;; amdgpu-corpus repo=ROCm/rocThrust kind=compiled arch=gfx1030 opt=O3
	.amdgcn_target "amdgcn-amd-amdhsa--gfx1030"
	.amdhsa_code_object_version 6
	.text
	.protected	_Z18BinarySearchKerneliPiS_i ; -- Begin function _Z18BinarySearchKerneliPiS_i
	.globl	_Z18BinarySearchKerneliPiS_i
	.p2align	8
	.type	_Z18BinarySearchKerneliPiS_i,@function
_Z18BinarySearchKerneliPiS_i:           ; @_Z18BinarySearchKerneliPiS_i
; %bb.0:
	s_mov_b32 s0, exec_lo
	v_cmpx_eq_u32_e32 0, v0
	s_cbranch_execz .LBB0_7
; %bb.1:
	s_clause 0x2
	s_load_dword s6, s[4:5], 0x0
	s_load_dwordx4 s[0:3], s[4:5], 0x8
	s_load_dword s4, s[4:5], 0x18
	s_waitcnt lgkmcnt(0)
	s_ashr_i32 s7, s6, 31
	s_lshl_b64 s[8:9], s[6:7], 2
	s_sub_u32 s8, 0, s8
	s_subb_u32 s9, 0, s9
	s_ashr_i64 s[10:11], s[8:9], 2
	s_mov_b64 s[8:9], 0
	v_cmp_gt_i64_e64 s5, s[10:11], -1
	s_and_b32 vcc_lo, exec_lo, s5
	s_cbranch_vccnz .LBB0_4
; %bb.2:
	s_sub_u32 s10, 0, s10
	s_subb_u32 s11, 0, s11
	.p2align	6
.LBB0_3:                                ; =>This Inner Loop Header: Depth=1
	s_sub_u32 s12, s10, s8
	s_subb_u32 s13, s11, s9
	s_lshr_b64 s[12:13], s[12:13], 1
	s_add_u32 s12, s12, s8
	s_addc_u32 s13, s13, s9
	s_lshl_b64 s[14:15], s[12:13], 2
	s_add_u32 s14, s0, s14
	s_addc_u32 s15, s1, s15
	s_load_dword s5, s[14:15], 0x0
	s_add_u32 s14, s12, 1
	s_addc_u32 s15, s13, 0
	s_waitcnt lgkmcnt(0)
	s_cmp_lt_i32 s5, s4
	s_cselect_b32 s9, s15, s9
	s_cselect_b32 s8, s14, s8
	;; [unrolled: 1-line block ×4, first 2 shown]
	v_cmp_lt_i64_e64 s5, s[8:9], s[10:11]
	s_and_b32 vcc_lo, exec_lo, s5
	s_cbranch_vccnz .LBB0_3
.LBB0_4:
	v_mov_b32_e32 v0, 0
	v_mov_b32_e32 v1, 0
	s_cmp_eq_u64 s[8:9], s[6:7]
	s_cbranch_scc1 .LBB0_6
; %bb.5:
	s_lshl_b64 s[6:7], s[8:9], 2
	s_add_u32 s0, s0, s6
	s_addc_u32 s1, s1, s7
	s_load_dword s0, s[0:1], 0x0
	s_waitcnt lgkmcnt(0)
	s_cmp_ge_i32 s4, s0
	s_cselect_b32 s0, -1, 0
	v_cndmask_b32_e64 v1, 0, 1, s0
.LBB0_6:
	s_ashr_i32 s5, s4, 31
	s_lshl_b64 s[0:1], s[4:5], 2
	s_add_u32 s0, s2, s0
	s_addc_u32 s1, s3, s1
	global_store_dword v0, v1, s[0:1]
.LBB0_7:
	s_endpgm
	.section	.rodata,"a",@progbits
	.p2align	6, 0x0
	.amdhsa_kernel _Z18BinarySearchKerneliPiS_i
		.amdhsa_group_segment_fixed_size 0
		.amdhsa_private_segment_fixed_size 0
		.amdhsa_kernarg_size 28
		.amdhsa_user_sgpr_count 6
		.amdhsa_user_sgpr_private_segment_buffer 1
		.amdhsa_user_sgpr_dispatch_ptr 0
		.amdhsa_user_sgpr_queue_ptr 0
		.amdhsa_user_sgpr_kernarg_segment_ptr 1
		.amdhsa_user_sgpr_dispatch_id 0
		.amdhsa_user_sgpr_flat_scratch_init 0
		.amdhsa_user_sgpr_private_segment_size 0
		.amdhsa_wavefront_size32 1
		.amdhsa_uses_dynamic_stack 0
		.amdhsa_system_sgpr_private_segment_wavefront_offset 0
		.amdhsa_system_sgpr_workgroup_id_x 1
		.amdhsa_system_sgpr_workgroup_id_y 0
		.amdhsa_system_sgpr_workgroup_id_z 0
		.amdhsa_system_sgpr_workgroup_info 0
		.amdhsa_system_vgpr_workitem_id 0
		.amdhsa_next_free_vgpr 2
		.amdhsa_next_free_sgpr 16
		.amdhsa_reserve_vcc 1
		.amdhsa_reserve_flat_scratch 0
		.amdhsa_float_round_mode_32 0
		.amdhsa_float_round_mode_16_64 0
		.amdhsa_float_denorm_mode_32 3
		.amdhsa_float_denorm_mode_16_64 3
		.amdhsa_dx10_clamp 1
		.amdhsa_ieee_mode 1
		.amdhsa_fp16_overflow 0
		.amdhsa_workgroup_processor_mode 1
		.amdhsa_memory_ordered 1
		.amdhsa_forward_progress 1
		.amdhsa_shared_vgpr_count 0
		.amdhsa_exception_fp_ieee_invalid_op 0
		.amdhsa_exception_fp_denorm_src 0
		.amdhsa_exception_fp_ieee_div_zero 0
		.amdhsa_exception_fp_ieee_overflow 0
		.amdhsa_exception_fp_ieee_underflow 0
		.amdhsa_exception_fp_ieee_inexact 0
		.amdhsa_exception_int_div_zero 0
	.end_amdhsa_kernel
	.text
.Lfunc_end0:
	.size	_Z18BinarySearchKerneliPiS_i, .Lfunc_end0-_Z18BinarySearchKerneliPiS_i
                                        ; -- End function
	.set _Z18BinarySearchKerneliPiS_i.num_vgpr, 2
	.set _Z18BinarySearchKerneliPiS_i.num_agpr, 0
	.set _Z18BinarySearchKerneliPiS_i.numbered_sgpr, 16
	.set _Z18BinarySearchKerneliPiS_i.num_named_barrier, 0
	.set _Z18BinarySearchKerneliPiS_i.private_seg_size, 0
	.set _Z18BinarySearchKerneliPiS_i.uses_vcc, 1
	.set _Z18BinarySearchKerneliPiS_i.uses_flat_scratch, 0
	.set _Z18BinarySearchKerneliPiS_i.has_dyn_sized_stack, 0
	.set _Z18BinarySearchKerneliPiS_i.has_recursion, 0
	.set _Z18BinarySearchKerneliPiS_i.has_indirect_call, 0
	.section	.AMDGPU.csdata,"",@progbits
; Kernel info:
; codeLenInByte = 300
; TotalNumSgprs: 18
; NumVgprs: 2
; ScratchSize: 0
; MemoryBound: 0
; FloatMode: 240
; IeeeMode: 1
; LDSByteSize: 0 bytes/workgroup (compile time only)
; SGPRBlocks: 0
; VGPRBlocks: 0
; NumSGPRsForWavesPerEU: 18
; NumVGPRsForWavesPerEU: 2
; Occupancy: 16
; WaveLimiterHint : 0
; COMPUTE_PGM_RSRC2:SCRATCH_EN: 0
; COMPUTE_PGM_RSRC2:USER_SGPR: 6
; COMPUTE_PGM_RSRC2:TRAP_HANDLER: 0
; COMPUTE_PGM_RSRC2:TGID_X_EN: 1
; COMPUTE_PGM_RSRC2:TGID_Y_EN: 0
; COMPUTE_PGM_RSRC2:TGID_Z_EN: 0
; COMPUTE_PGM_RSRC2:TIDIG_COMP_CNT: 0
	.section	.text._ZN6thrust23THRUST_200600_302600_NS11hip_rocprim14__parallel_for6kernelILj256ENS1_20__uninitialized_fill7functorINS0_10device_ptrIdEEdEEmLj1EEEvT0_T1_SA_,"axG",@progbits,_ZN6thrust23THRUST_200600_302600_NS11hip_rocprim14__parallel_for6kernelILj256ENS1_20__uninitialized_fill7functorINS0_10device_ptrIdEEdEEmLj1EEEvT0_T1_SA_,comdat
	.protected	_ZN6thrust23THRUST_200600_302600_NS11hip_rocprim14__parallel_for6kernelILj256ENS1_20__uninitialized_fill7functorINS0_10device_ptrIdEEdEEmLj1EEEvT0_T1_SA_ ; -- Begin function _ZN6thrust23THRUST_200600_302600_NS11hip_rocprim14__parallel_for6kernelILj256ENS1_20__uninitialized_fill7functorINS0_10device_ptrIdEEdEEmLj1EEEvT0_T1_SA_
	.globl	_ZN6thrust23THRUST_200600_302600_NS11hip_rocprim14__parallel_for6kernelILj256ENS1_20__uninitialized_fill7functorINS0_10device_ptrIdEEdEEmLj1EEEvT0_T1_SA_
	.p2align	8
	.type	_ZN6thrust23THRUST_200600_302600_NS11hip_rocprim14__parallel_for6kernelILj256ENS1_20__uninitialized_fill7functorINS0_10device_ptrIdEEdEEmLj1EEEvT0_T1_SA_,@function
_ZN6thrust23THRUST_200600_302600_NS11hip_rocprim14__parallel_for6kernelILj256ENS1_20__uninitialized_fill7functorINS0_10device_ptrIdEEdEEmLj1EEEvT0_T1_SA_: ; @_ZN6thrust23THRUST_200600_302600_NS11hip_rocprim14__parallel_for6kernelILj256ENS1_20__uninitialized_fill7functorINS0_10device_ptrIdEEdEEmLj1EEEvT0_T1_SA_
; %bb.0:
	s_load_dwordx8 s[8:15], s[4:5], 0x0
	s_lshl_b32 s0, s6, 8
	s_waitcnt lgkmcnt(0)
	s_add_u32 s0, s14, s0
	s_addc_u32 s1, s15, 0
	s_sub_u32 s2, s12, s0
	s_subb_u32 s3, s13, s1
	v_cmp_lt_u64_e64 s3, 0xff, s[2:3]
	s_and_b32 vcc_lo, exec_lo, s3
	s_mov_b32 s3, -1
	s_cbranch_vccz .LBB1_3
; %bb.1:
	s_andn2_b32 vcc_lo, exec_lo, s3
	s_cbranch_vccz .LBB1_6
.LBB1_2:
	s_endpgm
.LBB1_3:
	v_cmp_gt_u32_e32 vcc_lo, s2, v0
	s_and_saveexec_b32 s2, vcc_lo
	s_cbranch_execz .LBB1_5
; %bb.4:
	v_lshlrev_b32_e32 v1, 3, v0
	s_lshl_b64 s[4:5], s[0:1], 3
	v_mov_b32_e32 v3, s10
	s_add_u32 s3, s8, s4
	s_addc_u32 s4, s9, s5
	v_add_co_u32 v1, s3, s3, v1
	v_add_co_ci_u32_e64 v2, null, s4, 0, s3
	v_mov_b32_e32 v4, s11
	flat_store_dwordx2 v[1:2], v[3:4]
.LBB1_5:
	s_or_b32 exec_lo, exec_lo, s2
	s_cbranch_execnz .LBB1_2
.LBB1_6:
	v_lshlrev_b32_e32 v0, 3, v0
	s_lshl_b64 s[0:1], s[0:1], 3
	v_mov_b32_e32 v2, s10
	s_add_u32 s0, s8, s0
	s_addc_u32 s1, s9, s1
	v_add_co_u32 v0, s0, s0, v0
	v_add_co_ci_u32_e64 v1, null, s1, 0, s0
	v_mov_b32_e32 v3, s11
	flat_store_dwordx2 v[0:1], v[2:3]
	s_endpgm
	.section	.rodata,"a",@progbits
	.p2align	6, 0x0
	.amdhsa_kernel _ZN6thrust23THRUST_200600_302600_NS11hip_rocprim14__parallel_for6kernelILj256ENS1_20__uninitialized_fill7functorINS0_10device_ptrIdEEdEEmLj1EEEvT0_T1_SA_
		.amdhsa_group_segment_fixed_size 0
		.amdhsa_private_segment_fixed_size 0
		.amdhsa_kernarg_size 32
		.amdhsa_user_sgpr_count 6
		.amdhsa_user_sgpr_private_segment_buffer 1
		.amdhsa_user_sgpr_dispatch_ptr 0
		.amdhsa_user_sgpr_queue_ptr 0
		.amdhsa_user_sgpr_kernarg_segment_ptr 1
		.amdhsa_user_sgpr_dispatch_id 0
		.amdhsa_user_sgpr_flat_scratch_init 0
		.amdhsa_user_sgpr_private_segment_size 0
		.amdhsa_wavefront_size32 1
		.amdhsa_uses_dynamic_stack 0
		.amdhsa_system_sgpr_private_segment_wavefront_offset 0
		.amdhsa_system_sgpr_workgroup_id_x 1
		.amdhsa_system_sgpr_workgroup_id_y 0
		.amdhsa_system_sgpr_workgroup_id_z 0
		.amdhsa_system_sgpr_workgroup_info 0
		.amdhsa_system_vgpr_workitem_id 0
		.amdhsa_next_free_vgpr 5
		.amdhsa_next_free_sgpr 16
		.amdhsa_reserve_vcc 1
		.amdhsa_reserve_flat_scratch 0
		.amdhsa_float_round_mode_32 0
		.amdhsa_float_round_mode_16_64 0
		.amdhsa_float_denorm_mode_32 3
		.amdhsa_float_denorm_mode_16_64 3
		.amdhsa_dx10_clamp 1
		.amdhsa_ieee_mode 1
		.amdhsa_fp16_overflow 0
		.amdhsa_workgroup_processor_mode 1
		.amdhsa_memory_ordered 1
		.amdhsa_forward_progress 1
		.amdhsa_shared_vgpr_count 0
		.amdhsa_exception_fp_ieee_invalid_op 0
		.amdhsa_exception_fp_denorm_src 0
		.amdhsa_exception_fp_ieee_div_zero 0
		.amdhsa_exception_fp_ieee_overflow 0
		.amdhsa_exception_fp_ieee_underflow 0
		.amdhsa_exception_fp_ieee_inexact 0
		.amdhsa_exception_int_div_zero 0
	.end_amdhsa_kernel
	.section	.text._ZN6thrust23THRUST_200600_302600_NS11hip_rocprim14__parallel_for6kernelILj256ENS1_20__uninitialized_fill7functorINS0_10device_ptrIdEEdEEmLj1EEEvT0_T1_SA_,"axG",@progbits,_ZN6thrust23THRUST_200600_302600_NS11hip_rocprim14__parallel_for6kernelILj256ENS1_20__uninitialized_fill7functorINS0_10device_ptrIdEEdEEmLj1EEEvT0_T1_SA_,comdat
.Lfunc_end1:
	.size	_ZN6thrust23THRUST_200600_302600_NS11hip_rocprim14__parallel_for6kernelILj256ENS1_20__uninitialized_fill7functorINS0_10device_ptrIdEEdEEmLj1EEEvT0_T1_SA_, .Lfunc_end1-_ZN6thrust23THRUST_200600_302600_NS11hip_rocprim14__parallel_for6kernelILj256ENS1_20__uninitialized_fill7functorINS0_10device_ptrIdEEdEEmLj1EEEvT0_T1_SA_
                                        ; -- End function
	.set _ZN6thrust23THRUST_200600_302600_NS11hip_rocprim14__parallel_for6kernelILj256ENS1_20__uninitialized_fill7functorINS0_10device_ptrIdEEdEEmLj1EEEvT0_T1_SA_.num_vgpr, 5
	.set _ZN6thrust23THRUST_200600_302600_NS11hip_rocprim14__parallel_for6kernelILj256ENS1_20__uninitialized_fill7functorINS0_10device_ptrIdEEdEEmLj1EEEvT0_T1_SA_.num_agpr, 0
	.set _ZN6thrust23THRUST_200600_302600_NS11hip_rocprim14__parallel_for6kernelILj256ENS1_20__uninitialized_fill7functorINS0_10device_ptrIdEEdEEmLj1EEEvT0_T1_SA_.numbered_sgpr, 16
	.set _ZN6thrust23THRUST_200600_302600_NS11hip_rocprim14__parallel_for6kernelILj256ENS1_20__uninitialized_fill7functorINS0_10device_ptrIdEEdEEmLj1EEEvT0_T1_SA_.num_named_barrier, 0
	.set _ZN6thrust23THRUST_200600_302600_NS11hip_rocprim14__parallel_for6kernelILj256ENS1_20__uninitialized_fill7functorINS0_10device_ptrIdEEdEEmLj1EEEvT0_T1_SA_.private_seg_size, 0
	.set _ZN6thrust23THRUST_200600_302600_NS11hip_rocprim14__parallel_for6kernelILj256ENS1_20__uninitialized_fill7functorINS0_10device_ptrIdEEdEEmLj1EEEvT0_T1_SA_.uses_vcc, 1
	.set _ZN6thrust23THRUST_200600_302600_NS11hip_rocprim14__parallel_for6kernelILj256ENS1_20__uninitialized_fill7functorINS0_10device_ptrIdEEdEEmLj1EEEvT0_T1_SA_.uses_flat_scratch, 0
	.set _ZN6thrust23THRUST_200600_302600_NS11hip_rocprim14__parallel_for6kernelILj256ENS1_20__uninitialized_fill7functorINS0_10device_ptrIdEEdEEmLj1EEEvT0_T1_SA_.has_dyn_sized_stack, 0
	.set _ZN6thrust23THRUST_200600_302600_NS11hip_rocprim14__parallel_for6kernelILj256ENS1_20__uninitialized_fill7functorINS0_10device_ptrIdEEdEEmLj1EEEvT0_T1_SA_.has_recursion, 0
	.set _ZN6thrust23THRUST_200600_302600_NS11hip_rocprim14__parallel_for6kernelILj256ENS1_20__uninitialized_fill7functorINS0_10device_ptrIdEEdEEmLj1EEEvT0_T1_SA_.has_indirect_call, 0
	.section	.AMDGPU.csdata,"",@progbits
; Kernel info:
; codeLenInByte = 188
; TotalNumSgprs: 18
; NumVgprs: 5
; ScratchSize: 0
; MemoryBound: 0
; FloatMode: 240
; IeeeMode: 1
; LDSByteSize: 0 bytes/workgroup (compile time only)
; SGPRBlocks: 0
; VGPRBlocks: 0
; NumSGPRsForWavesPerEU: 18
; NumVGPRsForWavesPerEU: 5
; Occupancy: 16
; WaveLimiterHint : 0
; COMPUTE_PGM_RSRC2:SCRATCH_EN: 0
; COMPUTE_PGM_RSRC2:USER_SGPR: 6
; COMPUTE_PGM_RSRC2:TRAP_HANDLER: 0
; COMPUTE_PGM_RSRC2:TGID_X_EN: 1
; COMPUTE_PGM_RSRC2:TGID_Y_EN: 0
; COMPUTE_PGM_RSRC2:TGID_Z_EN: 0
; COMPUTE_PGM_RSRC2:TIDIG_COMP_CNT: 0
	.section	.text._ZN6thrust23THRUST_200600_302600_NS11hip_rocprim14__parallel_for6kernelILj256ENS1_20__uninitialized_fill7functorINS0_10device_ptrIlEElEEmLj1EEEvT0_T1_SA_,"axG",@progbits,_ZN6thrust23THRUST_200600_302600_NS11hip_rocprim14__parallel_for6kernelILj256ENS1_20__uninitialized_fill7functorINS0_10device_ptrIlEElEEmLj1EEEvT0_T1_SA_,comdat
	.protected	_ZN6thrust23THRUST_200600_302600_NS11hip_rocprim14__parallel_for6kernelILj256ENS1_20__uninitialized_fill7functorINS0_10device_ptrIlEElEEmLj1EEEvT0_T1_SA_ ; -- Begin function _ZN6thrust23THRUST_200600_302600_NS11hip_rocprim14__parallel_for6kernelILj256ENS1_20__uninitialized_fill7functorINS0_10device_ptrIlEElEEmLj1EEEvT0_T1_SA_
	.globl	_ZN6thrust23THRUST_200600_302600_NS11hip_rocprim14__parallel_for6kernelILj256ENS1_20__uninitialized_fill7functorINS0_10device_ptrIlEElEEmLj1EEEvT0_T1_SA_
	.p2align	8
	.type	_ZN6thrust23THRUST_200600_302600_NS11hip_rocprim14__parallel_for6kernelILj256ENS1_20__uninitialized_fill7functorINS0_10device_ptrIlEElEEmLj1EEEvT0_T1_SA_,@function
_ZN6thrust23THRUST_200600_302600_NS11hip_rocprim14__parallel_for6kernelILj256ENS1_20__uninitialized_fill7functorINS0_10device_ptrIlEElEEmLj1EEEvT0_T1_SA_: ; @_ZN6thrust23THRUST_200600_302600_NS11hip_rocprim14__parallel_for6kernelILj256ENS1_20__uninitialized_fill7functorINS0_10device_ptrIlEElEEmLj1EEEvT0_T1_SA_
; %bb.0:
	s_load_dwordx8 s[8:15], s[4:5], 0x0
	s_lshl_b32 s0, s6, 8
	s_waitcnt lgkmcnt(0)
	s_add_u32 s0, s14, s0
	s_addc_u32 s1, s15, 0
	s_sub_u32 s2, s12, s0
	s_subb_u32 s3, s13, s1
	v_cmp_lt_u64_e64 s3, 0xff, s[2:3]
	s_and_b32 vcc_lo, exec_lo, s3
	s_mov_b32 s3, -1
	s_cbranch_vccz .LBB2_3
; %bb.1:
	s_andn2_b32 vcc_lo, exec_lo, s3
	s_cbranch_vccz .LBB2_6
.LBB2_2:
	s_endpgm
.LBB2_3:
	v_cmp_gt_u32_e32 vcc_lo, s2, v0
	s_and_saveexec_b32 s2, vcc_lo
	s_cbranch_execz .LBB2_5
; %bb.4:
	v_lshlrev_b32_e32 v1, 3, v0
	s_lshl_b64 s[4:5], s[0:1], 3
	v_mov_b32_e32 v3, s10
	s_add_u32 s3, s8, s4
	s_addc_u32 s4, s9, s5
	v_add_co_u32 v1, s3, s3, v1
	v_add_co_ci_u32_e64 v2, null, s4, 0, s3
	v_mov_b32_e32 v4, s11
	flat_store_dwordx2 v[1:2], v[3:4]
.LBB2_5:
	s_or_b32 exec_lo, exec_lo, s2
	s_cbranch_execnz .LBB2_2
.LBB2_6:
	v_lshlrev_b32_e32 v0, 3, v0
	s_lshl_b64 s[0:1], s[0:1], 3
	v_mov_b32_e32 v2, s10
	s_add_u32 s0, s8, s0
	s_addc_u32 s1, s9, s1
	v_add_co_u32 v0, s0, s0, v0
	v_add_co_ci_u32_e64 v1, null, s1, 0, s0
	v_mov_b32_e32 v3, s11
	flat_store_dwordx2 v[0:1], v[2:3]
	s_endpgm
	.section	.rodata,"a",@progbits
	.p2align	6, 0x0
	.amdhsa_kernel _ZN6thrust23THRUST_200600_302600_NS11hip_rocprim14__parallel_for6kernelILj256ENS1_20__uninitialized_fill7functorINS0_10device_ptrIlEElEEmLj1EEEvT0_T1_SA_
		.amdhsa_group_segment_fixed_size 0
		.amdhsa_private_segment_fixed_size 0
		.amdhsa_kernarg_size 32
		.amdhsa_user_sgpr_count 6
		.amdhsa_user_sgpr_private_segment_buffer 1
		.amdhsa_user_sgpr_dispatch_ptr 0
		.amdhsa_user_sgpr_queue_ptr 0
		.amdhsa_user_sgpr_kernarg_segment_ptr 1
		.amdhsa_user_sgpr_dispatch_id 0
		.amdhsa_user_sgpr_flat_scratch_init 0
		.amdhsa_user_sgpr_private_segment_size 0
		.amdhsa_wavefront_size32 1
		.amdhsa_uses_dynamic_stack 0
		.amdhsa_system_sgpr_private_segment_wavefront_offset 0
		.amdhsa_system_sgpr_workgroup_id_x 1
		.amdhsa_system_sgpr_workgroup_id_y 0
		.amdhsa_system_sgpr_workgroup_id_z 0
		.amdhsa_system_sgpr_workgroup_info 0
		.amdhsa_system_vgpr_workitem_id 0
		.amdhsa_next_free_vgpr 5
		.amdhsa_next_free_sgpr 16
		.amdhsa_reserve_vcc 1
		.amdhsa_reserve_flat_scratch 0
		.amdhsa_float_round_mode_32 0
		.amdhsa_float_round_mode_16_64 0
		.amdhsa_float_denorm_mode_32 3
		.amdhsa_float_denorm_mode_16_64 3
		.amdhsa_dx10_clamp 1
		.amdhsa_ieee_mode 1
		.amdhsa_fp16_overflow 0
		.amdhsa_workgroup_processor_mode 1
		.amdhsa_memory_ordered 1
		.amdhsa_forward_progress 1
		.amdhsa_shared_vgpr_count 0
		.amdhsa_exception_fp_ieee_invalid_op 0
		.amdhsa_exception_fp_denorm_src 0
		.amdhsa_exception_fp_ieee_div_zero 0
		.amdhsa_exception_fp_ieee_overflow 0
		.amdhsa_exception_fp_ieee_underflow 0
		.amdhsa_exception_fp_ieee_inexact 0
		.amdhsa_exception_int_div_zero 0
	.end_amdhsa_kernel
	.section	.text._ZN6thrust23THRUST_200600_302600_NS11hip_rocprim14__parallel_for6kernelILj256ENS1_20__uninitialized_fill7functorINS0_10device_ptrIlEElEEmLj1EEEvT0_T1_SA_,"axG",@progbits,_ZN6thrust23THRUST_200600_302600_NS11hip_rocprim14__parallel_for6kernelILj256ENS1_20__uninitialized_fill7functorINS0_10device_ptrIlEElEEmLj1EEEvT0_T1_SA_,comdat
.Lfunc_end2:
	.size	_ZN6thrust23THRUST_200600_302600_NS11hip_rocprim14__parallel_for6kernelILj256ENS1_20__uninitialized_fill7functorINS0_10device_ptrIlEElEEmLj1EEEvT0_T1_SA_, .Lfunc_end2-_ZN6thrust23THRUST_200600_302600_NS11hip_rocprim14__parallel_for6kernelILj256ENS1_20__uninitialized_fill7functorINS0_10device_ptrIlEElEEmLj1EEEvT0_T1_SA_
                                        ; -- End function
	.set _ZN6thrust23THRUST_200600_302600_NS11hip_rocprim14__parallel_for6kernelILj256ENS1_20__uninitialized_fill7functorINS0_10device_ptrIlEElEEmLj1EEEvT0_T1_SA_.num_vgpr, 5
	.set _ZN6thrust23THRUST_200600_302600_NS11hip_rocprim14__parallel_for6kernelILj256ENS1_20__uninitialized_fill7functorINS0_10device_ptrIlEElEEmLj1EEEvT0_T1_SA_.num_agpr, 0
	.set _ZN6thrust23THRUST_200600_302600_NS11hip_rocprim14__parallel_for6kernelILj256ENS1_20__uninitialized_fill7functorINS0_10device_ptrIlEElEEmLj1EEEvT0_T1_SA_.numbered_sgpr, 16
	.set _ZN6thrust23THRUST_200600_302600_NS11hip_rocprim14__parallel_for6kernelILj256ENS1_20__uninitialized_fill7functorINS0_10device_ptrIlEElEEmLj1EEEvT0_T1_SA_.num_named_barrier, 0
	.set _ZN6thrust23THRUST_200600_302600_NS11hip_rocprim14__parallel_for6kernelILj256ENS1_20__uninitialized_fill7functorINS0_10device_ptrIlEElEEmLj1EEEvT0_T1_SA_.private_seg_size, 0
	.set _ZN6thrust23THRUST_200600_302600_NS11hip_rocprim14__parallel_for6kernelILj256ENS1_20__uninitialized_fill7functorINS0_10device_ptrIlEElEEmLj1EEEvT0_T1_SA_.uses_vcc, 1
	.set _ZN6thrust23THRUST_200600_302600_NS11hip_rocprim14__parallel_for6kernelILj256ENS1_20__uninitialized_fill7functorINS0_10device_ptrIlEElEEmLj1EEEvT0_T1_SA_.uses_flat_scratch, 0
	.set _ZN6thrust23THRUST_200600_302600_NS11hip_rocprim14__parallel_for6kernelILj256ENS1_20__uninitialized_fill7functorINS0_10device_ptrIlEElEEmLj1EEEvT0_T1_SA_.has_dyn_sized_stack, 0
	.set _ZN6thrust23THRUST_200600_302600_NS11hip_rocprim14__parallel_for6kernelILj256ENS1_20__uninitialized_fill7functorINS0_10device_ptrIlEElEEmLj1EEEvT0_T1_SA_.has_recursion, 0
	.set _ZN6thrust23THRUST_200600_302600_NS11hip_rocprim14__parallel_for6kernelILj256ENS1_20__uninitialized_fill7functorINS0_10device_ptrIlEElEEmLj1EEEvT0_T1_SA_.has_indirect_call, 0
	.section	.AMDGPU.csdata,"",@progbits
; Kernel info:
; codeLenInByte = 188
; TotalNumSgprs: 18
; NumVgprs: 5
; ScratchSize: 0
; MemoryBound: 0
; FloatMode: 240
; IeeeMode: 1
; LDSByteSize: 0 bytes/workgroup (compile time only)
; SGPRBlocks: 0
; VGPRBlocks: 0
; NumSGPRsForWavesPerEU: 18
; NumVGPRsForWavesPerEU: 5
; Occupancy: 16
; WaveLimiterHint : 0
; COMPUTE_PGM_RSRC2:SCRATCH_EN: 0
; COMPUTE_PGM_RSRC2:USER_SGPR: 6
; COMPUTE_PGM_RSRC2:TRAP_HANDLER: 0
; COMPUTE_PGM_RSRC2:TGID_X_EN: 1
; COMPUTE_PGM_RSRC2:TGID_Y_EN: 0
; COMPUTE_PGM_RSRC2:TGID_Z_EN: 0
; COMPUTE_PGM_RSRC2:TIDIG_COMP_CNT: 0
	.section	.text._Z18lower_bound_kernelIdEvmPT_Pl,"axG",@progbits,_Z18lower_bound_kernelIdEvmPT_Pl,comdat
	.protected	_Z18lower_bound_kernelIdEvmPT_Pl ; -- Begin function _Z18lower_bound_kernelIdEvmPT_Pl
	.globl	_Z18lower_bound_kernelIdEvmPT_Pl
	.p2align	8
	.type	_Z18lower_bound_kernelIdEvmPT_Pl,@function
_Z18lower_bound_kernelIdEvmPT_Pl:       ; @_Z18lower_bound_kernelIdEvmPT_Pl
; %bb.0:
	s_clause 0x1
	s_load_dwordx4 s[0:3], s[4:5], 0x0
	s_load_dwordx2 s[4:5], s[4:5], 0x10
	s_waitcnt lgkmcnt(0)
	s_lshl_b64 s[0:1], s[0:1], 3
	s_add_u32 s0, s2, s0
	s_addc_u32 s1, s3, s1
	s_sub_u32 s0, s0, s2
	s_subb_u32 s1, s1, s3
	s_ashr_i64 s[6:7], s[0:1], 3
	s_mov_b32 s1, -1
	v_cmp_lt_i64_e64 s0, s[6:7], 1
	s_and_b32 s0, exec_lo, s0
	s_mov_b32 vcc_lo, s0
	s_cbranch_vccz .LBB3_2
; %bb.1:
	v_mov_b32_e32 v0, 0
	s_mov_b32 s1, 0
	v_mov_b32_e32 v1, v0
	global_store_dwordx2 v0, v[0:1], s[4:5]
.LBB3_2:
	s_andn2_b32 vcc_lo, exec_lo, s1
	s_mov_b64 s[8:9], 0
	s_cbranch_vccnz .LBB3_7
; %bb.3:
	s_mov_b64 s[10:11], s[6:7]
	.p2align	6
.LBB3_4:                                ; =>This Inner Loop Header: Depth=1
	s_sub_u32 s12, s10, s8
	s_subb_u32 s13, s11, s9
	s_lshr_b64 s[12:13], s[12:13], 1
	s_add_u32 s12, s12, s8
	s_addc_u32 s13, s13, s9
	s_lshl_b64 s[14:15], s[12:13], 3
	s_add_u32 s14, s2, s14
	s_addc_u32 s15, s3, s15
	s_load_dwordx2 s[14:15], s[14:15], 0x0
	s_waitcnt lgkmcnt(0)
	v_cmp_lt_f64_e64 s1, s[14:15], 0
	s_add_u32 s14, s12, 1
	s_addc_u32 s15, s13, 0
	s_and_b32 s1, s1, exec_lo
	s_cselect_b32 s9, s15, s9
	s_cselect_b32 s8, s14, s8
	;; [unrolled: 1-line block ×4, first 2 shown]
	v_cmp_lt_i64_e64 s1, s[8:9], s[10:11]
	s_and_b32 vcc_lo, exec_lo, s1
	s_cbranch_vccnz .LBB3_4
; %bb.5:
	s_lshl_b64 s[8:9], s[8:9], 3
	v_mov_b32_e32 v2, 0
	s_add_u32 s1, s2, s8
	s_addc_u32 s9, s3, s9
	s_sub_u32 s8, s1, s2
	s_subb_u32 s9, s9, s3
	s_mov_b64 s[10:11], s[6:7]
	s_ashr_i64 s[8:9], s[8:9], 3
	v_mov_b32_e32 v0, s8
	v_mov_b32_e32 v1, s9
	s_mov_b64 s[8:9], 0
	global_store_dwordx2 v2, v[0:1], s[4:5]
	.p2align	6
.LBB3_6:                                ; =>This Inner Loop Header: Depth=1
	s_sub_u32 s12, s10, s8
	s_subb_u32 s13, s11, s9
	s_lshr_b64 s[12:13], s[12:13], 1
	s_add_u32 s12, s12, s8
	s_addc_u32 s13, s13, s9
	s_lshl_b64 s[14:15], s[12:13], 3
	s_add_u32 s14, s2, s14
	s_addc_u32 s15, s3, s15
	s_load_dwordx2 s[14:15], s[14:15], 0x0
	s_waitcnt lgkmcnt(0)
	v_cmp_lt_f64_e64 s1, s[14:15], 1.0
	s_add_u32 s14, s12, 1
	s_addc_u32 s15, s13, 0
	s_and_b32 s1, s1, exec_lo
	s_cselect_b32 s9, s15, s9
	s_cselect_b32 s8, s14, s8
	;; [unrolled: 1-line block ×4, first 2 shown]
	v_cmp_ge_i64_e64 s1, s[8:9], s[10:11]
	s_and_b32 vcc_lo, exec_lo, s1
	s_cbranch_vccz .LBB3_6
.LBB3_7:
	s_lshl_b64 s[8:9], s[8:9], 3
	v_mov_b32_e32 v0, 0
	s_add_u32 s1, s2, s8
	s_addc_u32 s9, s3, s9
	s_sub_u32 s8, s1, s2
	s_subb_u32 s9, s9, s3
	s_mov_b32 s1, -1
	s_ashr_i64 s[8:9], s[8:9], 3
	s_mov_b32 vcc_lo, s0
	v_mov_b32_e32 v1, s8
	v_mov_b32_e32 v2, s9
	global_store_dwordx2 v0, v[1:2], s[4:5] offset:8
	s_cbranch_vccz .LBB3_9
; %bb.8:
	v_mov_b32_e32 v1, v0
	s_mov_b32 s1, 0
	global_store_dwordx2 v0, v[0:1], s[4:5] offset:16
.LBB3_9:
	s_andn2_b32 vcc_lo, exec_lo, s1
	s_mov_b64 s[8:9], 0
	s_cbranch_vccnz .LBB3_14
; %bb.10:
	s_mov_b64 s[10:11], s[6:7]
	.p2align	6
.LBB3_11:                               ; =>This Inner Loop Header: Depth=1
	s_sub_u32 s12, s10, s8
	s_subb_u32 s13, s11, s9
	s_lshr_b64 s[12:13], s[12:13], 1
	s_add_u32 s12, s12, s8
	s_addc_u32 s13, s13, s9
	s_lshl_b64 s[14:15], s[12:13], 3
	s_add_u32 s14, s2, s14
	s_addc_u32 s15, s3, s15
	s_load_dwordx2 s[14:15], s[14:15], 0x0
	s_waitcnt lgkmcnt(0)
	v_cmp_lt_f64_e64 s1, s[14:15], 2.0
	s_add_u32 s14, s12, 1
	s_addc_u32 s15, s13, 0
	s_and_b32 s1, s1, exec_lo
	s_cselect_b32 s9, s15, s9
	s_cselect_b32 s8, s14, s8
	;; [unrolled: 1-line block ×4, first 2 shown]
	v_cmp_lt_i64_e64 s1, s[8:9], s[10:11]
	s_and_b32 vcc_lo, exec_lo, s1
	s_cbranch_vccnz .LBB3_11
; %bb.12:
	s_lshl_b64 s[8:9], s[8:9], 3
	v_mov_b32_e32 v2, 0
	s_add_u32 s1, s2, s8
	s_addc_u32 s9, s3, s9
	s_sub_u32 s8, s1, s2
	s_subb_u32 s9, s9, s3
	s_mov_b64 s[10:11], s[6:7]
	s_ashr_i64 s[8:9], s[8:9], 3
	v_mov_b32_e32 v0, s8
	v_mov_b32_e32 v1, s9
	s_mov_b64 s[8:9], 0
	global_store_dwordx2 v2, v[0:1], s[4:5] offset:16
	.p2align	6
.LBB3_13:                               ; =>This Inner Loop Header: Depth=1
	s_sub_u32 s12, s10, s8
	s_subb_u32 s13, s11, s9
	s_lshr_b64 s[12:13], s[12:13], 1
	s_add_u32 s12, s12, s8
	s_addc_u32 s13, s13, s9
	s_lshl_b64 s[14:15], s[12:13], 3
	s_add_u32 s14, s2, s14
	s_addc_u32 s15, s3, s15
	s_load_dwordx2 s[14:15], s[14:15], 0x0
	s_waitcnt lgkmcnt(0)
	v_cmp_gt_f64_e64 s1, 0x40080000, s[14:15]
	s_add_u32 s14, s12, 1
	s_addc_u32 s15, s13, 0
	s_and_b32 s1, s1, exec_lo
	s_cselect_b32 s9, s15, s9
	s_cselect_b32 s8, s14, s8
	;; [unrolled: 1-line block ×4, first 2 shown]
	v_cmp_ge_i64_e64 s1, s[8:9], s[10:11]
	s_and_b32 vcc_lo, exec_lo, s1
	s_cbranch_vccz .LBB3_13
.LBB3_14:
	s_lshl_b64 s[8:9], s[8:9], 3
	v_mov_b32_e32 v0, 0
	s_add_u32 s1, s2, s8
	s_addc_u32 s9, s3, s9
	s_sub_u32 s8, s1, s2
	s_subb_u32 s9, s9, s3
	s_mov_b32 s1, -1
	s_ashr_i64 s[8:9], s[8:9], 3
	s_mov_b32 vcc_lo, s0
	v_mov_b32_e32 v1, s8
	v_mov_b32_e32 v2, s9
	global_store_dwordx2 v0, v[1:2], s[4:5] offset:24
	s_cbranch_vccz .LBB3_16
; %bb.15:
	v_mov_b32_e32 v1, v0
	s_mov_b32 s1, 0
	global_store_dwordx2 v0, v[0:1], s[4:5] offset:32
.LBB3_16:
	s_andn2_b32 vcc_lo, exec_lo, s1
	s_mov_b64 s[8:9], 0
	s_cbranch_vccnz .LBB3_21
; %bb.17:
	s_mov_b64 s[10:11], s[6:7]
	.p2align	6
.LBB3_18:                               ; =>This Inner Loop Header: Depth=1
	s_sub_u32 s12, s10, s8
	s_subb_u32 s13, s11, s9
	s_lshr_b64 s[12:13], s[12:13], 1
	s_add_u32 s12, s12, s8
	s_addc_u32 s13, s13, s9
	s_lshl_b64 s[14:15], s[12:13], 3
	s_add_u32 s14, s2, s14
	s_addc_u32 s15, s3, s15
	s_load_dwordx2 s[14:15], s[14:15], 0x0
	s_waitcnt lgkmcnt(0)
	v_cmp_lt_f64_e64 s1, s[14:15], 4.0
	s_add_u32 s14, s12, 1
	s_addc_u32 s15, s13, 0
	s_and_b32 s1, s1, exec_lo
	s_cselect_b32 s9, s15, s9
	s_cselect_b32 s8, s14, s8
	;; [unrolled: 1-line block ×4, first 2 shown]
	v_cmp_lt_i64_e64 s1, s[8:9], s[10:11]
	s_and_b32 vcc_lo, exec_lo, s1
	s_cbranch_vccnz .LBB3_18
; %bb.19:
	s_lshl_b64 s[8:9], s[8:9], 3
	v_mov_b32_e32 v2, 0
	s_add_u32 s1, s2, s8
	s_addc_u32 s9, s3, s9
	s_sub_u32 s8, s1, s2
	s_subb_u32 s9, s9, s3
	s_mov_b64 s[10:11], s[6:7]
	s_ashr_i64 s[8:9], s[8:9], 3
	v_mov_b32_e32 v0, s8
	v_mov_b32_e32 v1, s9
	s_mov_b64 s[8:9], 0
	global_store_dwordx2 v2, v[0:1], s[4:5] offset:32
	.p2align	6
.LBB3_20:                               ; =>This Inner Loop Header: Depth=1
	s_sub_u32 s12, s10, s8
	s_subb_u32 s13, s11, s9
	s_lshr_b64 s[12:13], s[12:13], 1
	s_add_u32 s12, s12, s8
	s_addc_u32 s13, s13, s9
	s_lshl_b64 s[14:15], s[12:13], 3
	s_add_u32 s14, s2, s14
	s_addc_u32 s15, s3, s15
	s_load_dwordx2 s[14:15], s[14:15], 0x0
	s_waitcnt lgkmcnt(0)
	v_cmp_gt_f64_e64 s1, 0x40140000, s[14:15]
	s_add_u32 s14, s12, 1
	s_addc_u32 s15, s13, 0
	s_and_b32 s1, s1, exec_lo
	s_cselect_b32 s9, s15, s9
	s_cselect_b32 s8, s14, s8
	s_cselect_b32 s11, s11, s13
	s_cselect_b32 s10, s10, s12
	v_cmp_ge_i64_e64 s1, s[8:9], s[10:11]
	s_and_b32 vcc_lo, exec_lo, s1
	s_cbranch_vccz .LBB3_20
.LBB3_21:
	s_lshl_b64 s[8:9], s[8:9], 3
	v_mov_b32_e32 v0, 0
	s_add_u32 s1, s2, s8
	s_addc_u32 s9, s3, s9
	s_sub_u32 s8, s1, s2
	s_subb_u32 s9, s9, s3
	s_mov_b32 s1, -1
	s_ashr_i64 s[8:9], s[8:9], 3
	s_mov_b32 vcc_lo, s0
	v_mov_b32_e32 v1, s8
	v_mov_b32_e32 v2, s9
	global_store_dwordx2 v0, v[1:2], s[4:5] offset:40
	s_cbranch_vccz .LBB3_23
; %bb.22:
	v_mov_b32_e32 v1, v0
	s_mov_b32 s1, 0
	global_store_dwordx2 v0, v[0:1], s[4:5] offset:48
.LBB3_23:
	s_andn2_b32 vcc_lo, exec_lo, s1
	s_mov_b64 s[8:9], 0
	s_cbranch_vccnz .LBB3_28
; %bb.24:
	s_mov_b64 s[10:11], s[6:7]
	.p2align	6
.LBB3_25:                               ; =>This Inner Loop Header: Depth=1
	s_sub_u32 s12, s10, s8
	s_subb_u32 s13, s11, s9
	s_lshr_b64 s[12:13], s[12:13], 1
	s_add_u32 s12, s12, s8
	s_addc_u32 s13, s13, s9
	s_lshl_b64 s[14:15], s[12:13], 3
	s_add_u32 s14, s2, s14
	s_addc_u32 s15, s3, s15
	s_load_dwordx2 s[14:15], s[14:15], 0x0
	s_waitcnt lgkmcnt(0)
	v_cmp_gt_f64_e64 s1, 0x40180000, s[14:15]
	s_add_u32 s14, s12, 1
	s_addc_u32 s15, s13, 0
	s_and_b32 s1, s1, exec_lo
	s_cselect_b32 s9, s15, s9
	s_cselect_b32 s8, s14, s8
	;; [unrolled: 1-line block ×4, first 2 shown]
	v_cmp_lt_i64_e64 s1, s[8:9], s[10:11]
	s_and_b32 vcc_lo, exec_lo, s1
	s_cbranch_vccnz .LBB3_25
; %bb.26:
	s_lshl_b64 s[8:9], s[8:9], 3
	v_mov_b32_e32 v2, 0
	s_add_u32 s1, s2, s8
	s_addc_u32 s9, s3, s9
	s_sub_u32 s8, s1, s2
	s_subb_u32 s9, s9, s3
	s_mov_b64 s[10:11], s[6:7]
	s_ashr_i64 s[8:9], s[8:9], 3
	v_mov_b32_e32 v0, s8
	v_mov_b32_e32 v1, s9
	s_mov_b64 s[8:9], 0
	global_store_dwordx2 v2, v[0:1], s[4:5] offset:48
	.p2align	6
.LBB3_27:                               ; =>This Inner Loop Header: Depth=1
	s_sub_u32 s12, s10, s8
	s_subb_u32 s13, s11, s9
	s_lshr_b64 s[12:13], s[12:13], 1
	s_add_u32 s12, s12, s8
	s_addc_u32 s13, s13, s9
	s_lshl_b64 s[14:15], s[12:13], 3
	s_add_u32 s14, s2, s14
	s_addc_u32 s15, s3, s15
	s_load_dwordx2 s[14:15], s[14:15], 0x0
	s_waitcnt lgkmcnt(0)
	v_cmp_gt_f64_e64 s1, 0x401c0000, s[14:15]
	s_add_u32 s14, s12, 1
	s_addc_u32 s15, s13, 0
	s_and_b32 s1, s1, exec_lo
	s_cselect_b32 s9, s15, s9
	s_cselect_b32 s8, s14, s8
	s_cselect_b32 s11, s11, s13
	s_cselect_b32 s10, s10, s12
	v_cmp_ge_i64_e64 s1, s[8:9], s[10:11]
	s_and_b32 vcc_lo, exec_lo, s1
	s_cbranch_vccz .LBB3_27
.LBB3_28:
	s_lshl_b64 s[8:9], s[8:9], 3
	v_mov_b32_e32 v0, 0
	s_add_u32 s1, s2, s8
	s_addc_u32 s9, s3, s9
	s_sub_u32 s8, s1, s2
	s_subb_u32 s9, s9, s3
	s_mov_b32 s1, -1
	s_ashr_i64 s[8:9], s[8:9], 3
	s_mov_b32 vcc_lo, s0
	v_mov_b32_e32 v1, s8
	v_mov_b32_e32 v2, s9
	global_store_dwordx2 v0, v[1:2], s[4:5] offset:56
	s_cbranch_vccz .LBB3_30
; %bb.29:
	v_mov_b32_e32 v1, v0
	s_mov_b32 s1, 0
	global_store_dwordx2 v0, v[0:1], s[4:5] offset:64
.LBB3_30:
	s_andn2_b32 vcc_lo, exec_lo, s1
	s_mov_b64 s[0:1], 0
	s_cbranch_vccnz .LBB3_35
; %bb.31:
	s_mov_b64 s[8:9], s[6:7]
	.p2align	6
.LBB3_32:                               ; =>This Inner Loop Header: Depth=1
	s_sub_u32 s10, s8, s0
	s_subb_u32 s11, s9, s1
	s_lshr_b64 s[10:11], s[10:11], 1
	s_add_u32 s10, s10, s0
	s_addc_u32 s11, s11, s1
	s_lshl_b64 s[12:13], s[10:11], 3
	s_add_u32 s12, s2, s12
	s_addc_u32 s13, s3, s13
	s_load_dwordx2 s[12:13], s[12:13], 0x0
	s_waitcnt lgkmcnt(0)
	v_cmp_gt_f64_e64 s12, 0x40200000, s[12:13]
	s_add_u32 s13, s10, 1
	s_addc_u32 s14, s11, 0
	s_and_b32 s12, s12, exec_lo
	s_cselect_b32 s1, s14, s1
	s_cselect_b32 s0, s13, s0
	;; [unrolled: 1-line block ×4, first 2 shown]
	v_cmp_lt_i64_e64 s10, s[0:1], s[8:9]
	s_and_b32 vcc_lo, exec_lo, s10
	s_cbranch_vccnz .LBB3_32
; %bb.33:
	s_lshl_b64 s[0:1], s[0:1], 3
	v_mov_b32_e32 v2, 0
	s_add_u32 s0, s2, s0
	s_addc_u32 s1, s3, s1
	s_sub_u32 s0, s0, s2
	s_subb_u32 s1, s1, s3
	s_ashr_i64 s[0:1], s[0:1], 3
	v_mov_b32_e32 v0, s0
	v_mov_b32_e32 v1, s1
	s_mov_b64 s[0:1], 0
	global_store_dwordx2 v2, v[0:1], s[4:5] offset:64
	.p2align	6
.LBB3_34:                               ; =>This Inner Loop Header: Depth=1
	s_sub_u32 s8, s6, s0
	s_subb_u32 s9, s7, s1
	s_lshr_b64 s[8:9], s[8:9], 1
	s_add_u32 s8, s8, s0
	s_addc_u32 s9, s9, s1
	s_lshl_b64 s[10:11], s[8:9], 3
	s_add_u32 s10, s2, s10
	s_addc_u32 s11, s3, s11
	s_load_dwordx2 s[10:11], s[10:11], 0x0
	s_waitcnt lgkmcnt(0)
	v_cmp_gt_f64_e64 s10, 0x40220000, s[10:11]
	s_add_u32 s11, s8, 1
	s_addc_u32 s12, s9, 0
	s_and_b32 s10, s10, exec_lo
	s_cselect_b32 s1, s12, s1
	s_cselect_b32 s0, s11, s0
	;; [unrolled: 1-line block ×4, first 2 shown]
	v_cmp_ge_i64_e64 s8, s[0:1], s[6:7]
	s_and_b32 vcc_lo, exec_lo, s8
	s_cbranch_vccz .LBB3_34
.LBB3_35:
	s_lshl_b64 s[0:1], s[0:1], 3
	v_mov_b32_e32 v2, 0
	s_add_u32 s0, s2, s0
	s_addc_u32 s1, s3, s1
	s_sub_u32 s0, s0, s2
	s_subb_u32 s1, s1, s3
	s_ashr_i64 s[0:1], s[0:1], 3
	v_mov_b32_e32 v0, s0
	v_mov_b32_e32 v1, s1
	global_store_dwordx2 v2, v[0:1], s[4:5] offset:72
	s_endpgm
	.section	.rodata,"a",@progbits
	.p2align	6, 0x0
	.amdhsa_kernel _Z18lower_bound_kernelIdEvmPT_Pl
		.amdhsa_group_segment_fixed_size 0
		.amdhsa_private_segment_fixed_size 0
		.amdhsa_kernarg_size 24
		.amdhsa_user_sgpr_count 6
		.amdhsa_user_sgpr_private_segment_buffer 1
		.amdhsa_user_sgpr_dispatch_ptr 0
		.amdhsa_user_sgpr_queue_ptr 0
		.amdhsa_user_sgpr_kernarg_segment_ptr 1
		.amdhsa_user_sgpr_dispatch_id 0
		.amdhsa_user_sgpr_flat_scratch_init 0
		.amdhsa_user_sgpr_private_segment_size 0
		.amdhsa_wavefront_size32 1
		.amdhsa_uses_dynamic_stack 0
		.amdhsa_system_sgpr_private_segment_wavefront_offset 0
		.amdhsa_system_sgpr_workgroup_id_x 1
		.amdhsa_system_sgpr_workgroup_id_y 0
		.amdhsa_system_sgpr_workgroup_id_z 0
		.amdhsa_system_sgpr_workgroup_info 0
		.amdhsa_system_vgpr_workitem_id 0
		.amdhsa_next_free_vgpr 3
		.amdhsa_next_free_sgpr 16
		.amdhsa_reserve_vcc 1
		.amdhsa_reserve_flat_scratch 0
		.amdhsa_float_round_mode_32 0
		.amdhsa_float_round_mode_16_64 0
		.amdhsa_float_denorm_mode_32 3
		.amdhsa_float_denorm_mode_16_64 3
		.amdhsa_dx10_clamp 1
		.amdhsa_ieee_mode 1
		.amdhsa_fp16_overflow 0
		.amdhsa_workgroup_processor_mode 1
		.amdhsa_memory_ordered 1
		.amdhsa_forward_progress 1
		.amdhsa_shared_vgpr_count 0
		.amdhsa_exception_fp_ieee_invalid_op 0
		.amdhsa_exception_fp_denorm_src 0
		.amdhsa_exception_fp_ieee_div_zero 0
		.amdhsa_exception_fp_ieee_overflow 0
		.amdhsa_exception_fp_ieee_underflow 0
		.amdhsa_exception_fp_ieee_inexact 0
		.amdhsa_exception_int_div_zero 0
	.end_amdhsa_kernel
	.section	.text._Z18lower_bound_kernelIdEvmPT_Pl,"axG",@progbits,_Z18lower_bound_kernelIdEvmPT_Pl,comdat
.Lfunc_end3:
	.size	_Z18lower_bound_kernelIdEvmPT_Pl, .Lfunc_end3-_Z18lower_bound_kernelIdEvmPT_Pl
                                        ; -- End function
	.set _Z18lower_bound_kernelIdEvmPT_Pl.num_vgpr, 3
	.set _Z18lower_bound_kernelIdEvmPT_Pl.num_agpr, 0
	.set _Z18lower_bound_kernelIdEvmPT_Pl.numbered_sgpr, 16
	.set _Z18lower_bound_kernelIdEvmPT_Pl.num_named_barrier, 0
	.set _Z18lower_bound_kernelIdEvmPT_Pl.private_seg_size, 0
	.set _Z18lower_bound_kernelIdEvmPT_Pl.uses_vcc, 1
	.set _Z18lower_bound_kernelIdEvmPT_Pl.uses_flat_scratch, 0
	.set _Z18lower_bound_kernelIdEvmPT_Pl.has_dyn_sized_stack, 0
	.set _Z18lower_bound_kernelIdEvmPT_Pl.has_recursion, 0
	.set _Z18lower_bound_kernelIdEvmPT_Pl.has_indirect_call, 0
	.section	.AMDGPU.csdata,"",@progbits
; Kernel info:
; codeLenInByte = 2004
; TotalNumSgprs: 18
; NumVgprs: 3
; ScratchSize: 0
; MemoryBound: 0
; FloatMode: 240
; IeeeMode: 1
; LDSByteSize: 0 bytes/workgroup (compile time only)
; SGPRBlocks: 0
; VGPRBlocks: 0
; NumSGPRsForWavesPerEU: 18
; NumVGPRsForWavesPerEU: 3
; Occupancy: 16
; WaveLimiterHint : 0
; COMPUTE_PGM_RSRC2:SCRATCH_EN: 0
; COMPUTE_PGM_RSRC2:USER_SGPR: 6
; COMPUTE_PGM_RSRC2:TRAP_HANDLER: 0
; COMPUTE_PGM_RSRC2:TGID_X_EN: 1
; COMPUTE_PGM_RSRC2:TGID_Y_EN: 0
; COMPUTE_PGM_RSRC2:TGID_Z_EN: 0
; COMPUTE_PGM_RSRC2:TIDIG_COMP_CNT: 0
	.section	.text._ZN7rocprim17ROCPRIM_400000_NS6detail17trampoline_kernelINS0_14default_configENS1_27lower_bound_config_selectorIdlEEZNS1_14transform_implILb0ES3_S5_N6thrust23THRUST_200600_302600_NS6detail15normal_iteratorINS8_7pointerIdNS8_11hip_rocprim5par_tENS8_11use_defaultESE_EEEENSA_INSB_IlSD_SE_SE_EEEEZNS1_13binary_searchIS3_S5_PdSG_SI_NS1_21lower_bound_search_opENS9_16wrapped_functionI11custom_lessbEEEE10hipError_tPvRmT1_T2_T3_mmT4_T5_P12ihipStream_tbEUlRKdE_EESP_ST_SU_mSV_SY_bEUlT_E_NS1_11comp_targetILNS1_3genE0ELNS1_11target_archE4294967295ELNS1_3gpuE0ELNS1_3repE0EEENS1_30default_config_static_selectorELNS0_4arch9wavefront6targetE0EEEvSS_,"axG",@progbits,_ZN7rocprim17ROCPRIM_400000_NS6detail17trampoline_kernelINS0_14default_configENS1_27lower_bound_config_selectorIdlEEZNS1_14transform_implILb0ES3_S5_N6thrust23THRUST_200600_302600_NS6detail15normal_iteratorINS8_7pointerIdNS8_11hip_rocprim5par_tENS8_11use_defaultESE_EEEENSA_INSB_IlSD_SE_SE_EEEEZNS1_13binary_searchIS3_S5_PdSG_SI_NS1_21lower_bound_search_opENS9_16wrapped_functionI11custom_lessbEEEE10hipError_tPvRmT1_T2_T3_mmT4_T5_P12ihipStream_tbEUlRKdE_EESP_ST_SU_mSV_SY_bEUlT_E_NS1_11comp_targetILNS1_3genE0ELNS1_11target_archE4294967295ELNS1_3gpuE0ELNS1_3repE0EEENS1_30default_config_static_selectorELNS0_4arch9wavefront6targetE0EEEvSS_,comdat
	.protected	_ZN7rocprim17ROCPRIM_400000_NS6detail17trampoline_kernelINS0_14default_configENS1_27lower_bound_config_selectorIdlEEZNS1_14transform_implILb0ES3_S5_N6thrust23THRUST_200600_302600_NS6detail15normal_iteratorINS8_7pointerIdNS8_11hip_rocprim5par_tENS8_11use_defaultESE_EEEENSA_INSB_IlSD_SE_SE_EEEEZNS1_13binary_searchIS3_S5_PdSG_SI_NS1_21lower_bound_search_opENS9_16wrapped_functionI11custom_lessbEEEE10hipError_tPvRmT1_T2_T3_mmT4_T5_P12ihipStream_tbEUlRKdE_EESP_ST_SU_mSV_SY_bEUlT_E_NS1_11comp_targetILNS1_3genE0ELNS1_11target_archE4294967295ELNS1_3gpuE0ELNS1_3repE0EEENS1_30default_config_static_selectorELNS0_4arch9wavefront6targetE0EEEvSS_ ; -- Begin function _ZN7rocprim17ROCPRIM_400000_NS6detail17trampoline_kernelINS0_14default_configENS1_27lower_bound_config_selectorIdlEEZNS1_14transform_implILb0ES3_S5_N6thrust23THRUST_200600_302600_NS6detail15normal_iteratorINS8_7pointerIdNS8_11hip_rocprim5par_tENS8_11use_defaultESE_EEEENSA_INSB_IlSD_SE_SE_EEEEZNS1_13binary_searchIS3_S5_PdSG_SI_NS1_21lower_bound_search_opENS9_16wrapped_functionI11custom_lessbEEEE10hipError_tPvRmT1_T2_T3_mmT4_T5_P12ihipStream_tbEUlRKdE_EESP_ST_SU_mSV_SY_bEUlT_E_NS1_11comp_targetILNS1_3genE0ELNS1_11target_archE4294967295ELNS1_3gpuE0ELNS1_3repE0EEENS1_30default_config_static_selectorELNS0_4arch9wavefront6targetE0EEEvSS_
	.globl	_ZN7rocprim17ROCPRIM_400000_NS6detail17trampoline_kernelINS0_14default_configENS1_27lower_bound_config_selectorIdlEEZNS1_14transform_implILb0ES3_S5_N6thrust23THRUST_200600_302600_NS6detail15normal_iteratorINS8_7pointerIdNS8_11hip_rocprim5par_tENS8_11use_defaultESE_EEEENSA_INSB_IlSD_SE_SE_EEEEZNS1_13binary_searchIS3_S5_PdSG_SI_NS1_21lower_bound_search_opENS9_16wrapped_functionI11custom_lessbEEEE10hipError_tPvRmT1_T2_T3_mmT4_T5_P12ihipStream_tbEUlRKdE_EESP_ST_SU_mSV_SY_bEUlT_E_NS1_11comp_targetILNS1_3genE0ELNS1_11target_archE4294967295ELNS1_3gpuE0ELNS1_3repE0EEENS1_30default_config_static_selectorELNS0_4arch9wavefront6targetE0EEEvSS_
	.p2align	8
	.type	_ZN7rocprim17ROCPRIM_400000_NS6detail17trampoline_kernelINS0_14default_configENS1_27lower_bound_config_selectorIdlEEZNS1_14transform_implILb0ES3_S5_N6thrust23THRUST_200600_302600_NS6detail15normal_iteratorINS8_7pointerIdNS8_11hip_rocprim5par_tENS8_11use_defaultESE_EEEENSA_INSB_IlSD_SE_SE_EEEEZNS1_13binary_searchIS3_S5_PdSG_SI_NS1_21lower_bound_search_opENS9_16wrapped_functionI11custom_lessbEEEE10hipError_tPvRmT1_T2_T3_mmT4_T5_P12ihipStream_tbEUlRKdE_EESP_ST_SU_mSV_SY_bEUlT_E_NS1_11comp_targetILNS1_3genE0ELNS1_11target_archE4294967295ELNS1_3gpuE0ELNS1_3repE0EEENS1_30default_config_static_selectorELNS0_4arch9wavefront6targetE0EEEvSS_,@function
_ZN7rocprim17ROCPRIM_400000_NS6detail17trampoline_kernelINS0_14default_configENS1_27lower_bound_config_selectorIdlEEZNS1_14transform_implILb0ES3_S5_N6thrust23THRUST_200600_302600_NS6detail15normal_iteratorINS8_7pointerIdNS8_11hip_rocprim5par_tENS8_11use_defaultESE_EEEENSA_INSB_IlSD_SE_SE_EEEEZNS1_13binary_searchIS3_S5_PdSG_SI_NS1_21lower_bound_search_opENS9_16wrapped_functionI11custom_lessbEEEE10hipError_tPvRmT1_T2_T3_mmT4_T5_P12ihipStream_tbEUlRKdE_EESP_ST_SU_mSV_SY_bEUlT_E_NS1_11comp_targetILNS1_3genE0ELNS1_11target_archE4294967295ELNS1_3gpuE0ELNS1_3repE0EEENS1_30default_config_static_selectorELNS0_4arch9wavefront6targetE0EEEvSS_: ; @_ZN7rocprim17ROCPRIM_400000_NS6detail17trampoline_kernelINS0_14default_configENS1_27lower_bound_config_selectorIdlEEZNS1_14transform_implILb0ES3_S5_N6thrust23THRUST_200600_302600_NS6detail15normal_iteratorINS8_7pointerIdNS8_11hip_rocprim5par_tENS8_11use_defaultESE_EEEENSA_INSB_IlSD_SE_SE_EEEEZNS1_13binary_searchIS3_S5_PdSG_SI_NS1_21lower_bound_search_opENS9_16wrapped_functionI11custom_lessbEEEE10hipError_tPvRmT1_T2_T3_mmT4_T5_P12ihipStream_tbEUlRKdE_EESP_ST_SU_mSV_SY_bEUlT_E_NS1_11comp_targetILNS1_3genE0ELNS1_11target_archE4294967295ELNS1_3gpuE0ELNS1_3repE0EEENS1_30default_config_static_selectorELNS0_4arch9wavefront6targetE0EEEvSS_
; %bb.0:
	.section	.rodata,"a",@progbits
	.p2align	6, 0x0
	.amdhsa_kernel _ZN7rocprim17ROCPRIM_400000_NS6detail17trampoline_kernelINS0_14default_configENS1_27lower_bound_config_selectorIdlEEZNS1_14transform_implILb0ES3_S5_N6thrust23THRUST_200600_302600_NS6detail15normal_iteratorINS8_7pointerIdNS8_11hip_rocprim5par_tENS8_11use_defaultESE_EEEENSA_INSB_IlSD_SE_SE_EEEEZNS1_13binary_searchIS3_S5_PdSG_SI_NS1_21lower_bound_search_opENS9_16wrapped_functionI11custom_lessbEEEE10hipError_tPvRmT1_T2_T3_mmT4_T5_P12ihipStream_tbEUlRKdE_EESP_ST_SU_mSV_SY_bEUlT_E_NS1_11comp_targetILNS1_3genE0ELNS1_11target_archE4294967295ELNS1_3gpuE0ELNS1_3repE0EEENS1_30default_config_static_selectorELNS0_4arch9wavefront6targetE0EEEvSS_
		.amdhsa_group_segment_fixed_size 0
		.amdhsa_private_segment_fixed_size 0
		.amdhsa_kernarg_size 56
		.amdhsa_user_sgpr_count 6
		.amdhsa_user_sgpr_private_segment_buffer 1
		.amdhsa_user_sgpr_dispatch_ptr 0
		.amdhsa_user_sgpr_queue_ptr 0
		.amdhsa_user_sgpr_kernarg_segment_ptr 1
		.amdhsa_user_sgpr_dispatch_id 0
		.amdhsa_user_sgpr_flat_scratch_init 0
		.amdhsa_user_sgpr_private_segment_size 0
		.amdhsa_wavefront_size32 1
		.amdhsa_uses_dynamic_stack 0
		.amdhsa_system_sgpr_private_segment_wavefront_offset 0
		.amdhsa_system_sgpr_workgroup_id_x 1
		.amdhsa_system_sgpr_workgroup_id_y 0
		.amdhsa_system_sgpr_workgroup_id_z 0
		.amdhsa_system_sgpr_workgroup_info 0
		.amdhsa_system_vgpr_workitem_id 0
		.amdhsa_next_free_vgpr 1
		.amdhsa_next_free_sgpr 1
		.amdhsa_reserve_vcc 0
		.amdhsa_reserve_flat_scratch 0
		.amdhsa_float_round_mode_32 0
		.amdhsa_float_round_mode_16_64 0
		.amdhsa_float_denorm_mode_32 3
		.amdhsa_float_denorm_mode_16_64 3
		.amdhsa_dx10_clamp 1
		.amdhsa_ieee_mode 1
		.amdhsa_fp16_overflow 0
		.amdhsa_workgroup_processor_mode 1
		.amdhsa_memory_ordered 1
		.amdhsa_forward_progress 1
		.amdhsa_shared_vgpr_count 0
		.amdhsa_exception_fp_ieee_invalid_op 0
		.amdhsa_exception_fp_denorm_src 0
		.amdhsa_exception_fp_ieee_div_zero 0
		.amdhsa_exception_fp_ieee_overflow 0
		.amdhsa_exception_fp_ieee_underflow 0
		.amdhsa_exception_fp_ieee_inexact 0
		.amdhsa_exception_int_div_zero 0
	.end_amdhsa_kernel
	.section	.text._ZN7rocprim17ROCPRIM_400000_NS6detail17trampoline_kernelINS0_14default_configENS1_27lower_bound_config_selectorIdlEEZNS1_14transform_implILb0ES3_S5_N6thrust23THRUST_200600_302600_NS6detail15normal_iteratorINS8_7pointerIdNS8_11hip_rocprim5par_tENS8_11use_defaultESE_EEEENSA_INSB_IlSD_SE_SE_EEEEZNS1_13binary_searchIS3_S5_PdSG_SI_NS1_21lower_bound_search_opENS9_16wrapped_functionI11custom_lessbEEEE10hipError_tPvRmT1_T2_T3_mmT4_T5_P12ihipStream_tbEUlRKdE_EESP_ST_SU_mSV_SY_bEUlT_E_NS1_11comp_targetILNS1_3genE0ELNS1_11target_archE4294967295ELNS1_3gpuE0ELNS1_3repE0EEENS1_30default_config_static_selectorELNS0_4arch9wavefront6targetE0EEEvSS_,"axG",@progbits,_ZN7rocprim17ROCPRIM_400000_NS6detail17trampoline_kernelINS0_14default_configENS1_27lower_bound_config_selectorIdlEEZNS1_14transform_implILb0ES3_S5_N6thrust23THRUST_200600_302600_NS6detail15normal_iteratorINS8_7pointerIdNS8_11hip_rocprim5par_tENS8_11use_defaultESE_EEEENSA_INSB_IlSD_SE_SE_EEEEZNS1_13binary_searchIS3_S5_PdSG_SI_NS1_21lower_bound_search_opENS9_16wrapped_functionI11custom_lessbEEEE10hipError_tPvRmT1_T2_T3_mmT4_T5_P12ihipStream_tbEUlRKdE_EESP_ST_SU_mSV_SY_bEUlT_E_NS1_11comp_targetILNS1_3genE0ELNS1_11target_archE4294967295ELNS1_3gpuE0ELNS1_3repE0EEENS1_30default_config_static_selectorELNS0_4arch9wavefront6targetE0EEEvSS_,comdat
.Lfunc_end4:
	.size	_ZN7rocprim17ROCPRIM_400000_NS6detail17trampoline_kernelINS0_14default_configENS1_27lower_bound_config_selectorIdlEEZNS1_14transform_implILb0ES3_S5_N6thrust23THRUST_200600_302600_NS6detail15normal_iteratorINS8_7pointerIdNS8_11hip_rocprim5par_tENS8_11use_defaultESE_EEEENSA_INSB_IlSD_SE_SE_EEEEZNS1_13binary_searchIS3_S5_PdSG_SI_NS1_21lower_bound_search_opENS9_16wrapped_functionI11custom_lessbEEEE10hipError_tPvRmT1_T2_T3_mmT4_T5_P12ihipStream_tbEUlRKdE_EESP_ST_SU_mSV_SY_bEUlT_E_NS1_11comp_targetILNS1_3genE0ELNS1_11target_archE4294967295ELNS1_3gpuE0ELNS1_3repE0EEENS1_30default_config_static_selectorELNS0_4arch9wavefront6targetE0EEEvSS_, .Lfunc_end4-_ZN7rocprim17ROCPRIM_400000_NS6detail17trampoline_kernelINS0_14default_configENS1_27lower_bound_config_selectorIdlEEZNS1_14transform_implILb0ES3_S5_N6thrust23THRUST_200600_302600_NS6detail15normal_iteratorINS8_7pointerIdNS8_11hip_rocprim5par_tENS8_11use_defaultESE_EEEENSA_INSB_IlSD_SE_SE_EEEEZNS1_13binary_searchIS3_S5_PdSG_SI_NS1_21lower_bound_search_opENS9_16wrapped_functionI11custom_lessbEEEE10hipError_tPvRmT1_T2_T3_mmT4_T5_P12ihipStream_tbEUlRKdE_EESP_ST_SU_mSV_SY_bEUlT_E_NS1_11comp_targetILNS1_3genE0ELNS1_11target_archE4294967295ELNS1_3gpuE0ELNS1_3repE0EEENS1_30default_config_static_selectorELNS0_4arch9wavefront6targetE0EEEvSS_
                                        ; -- End function
	.set _ZN7rocprim17ROCPRIM_400000_NS6detail17trampoline_kernelINS0_14default_configENS1_27lower_bound_config_selectorIdlEEZNS1_14transform_implILb0ES3_S5_N6thrust23THRUST_200600_302600_NS6detail15normal_iteratorINS8_7pointerIdNS8_11hip_rocprim5par_tENS8_11use_defaultESE_EEEENSA_INSB_IlSD_SE_SE_EEEEZNS1_13binary_searchIS3_S5_PdSG_SI_NS1_21lower_bound_search_opENS9_16wrapped_functionI11custom_lessbEEEE10hipError_tPvRmT1_T2_T3_mmT4_T5_P12ihipStream_tbEUlRKdE_EESP_ST_SU_mSV_SY_bEUlT_E_NS1_11comp_targetILNS1_3genE0ELNS1_11target_archE4294967295ELNS1_3gpuE0ELNS1_3repE0EEENS1_30default_config_static_selectorELNS0_4arch9wavefront6targetE0EEEvSS_.num_vgpr, 0
	.set _ZN7rocprim17ROCPRIM_400000_NS6detail17trampoline_kernelINS0_14default_configENS1_27lower_bound_config_selectorIdlEEZNS1_14transform_implILb0ES3_S5_N6thrust23THRUST_200600_302600_NS6detail15normal_iteratorINS8_7pointerIdNS8_11hip_rocprim5par_tENS8_11use_defaultESE_EEEENSA_INSB_IlSD_SE_SE_EEEEZNS1_13binary_searchIS3_S5_PdSG_SI_NS1_21lower_bound_search_opENS9_16wrapped_functionI11custom_lessbEEEE10hipError_tPvRmT1_T2_T3_mmT4_T5_P12ihipStream_tbEUlRKdE_EESP_ST_SU_mSV_SY_bEUlT_E_NS1_11comp_targetILNS1_3genE0ELNS1_11target_archE4294967295ELNS1_3gpuE0ELNS1_3repE0EEENS1_30default_config_static_selectorELNS0_4arch9wavefront6targetE0EEEvSS_.num_agpr, 0
	.set _ZN7rocprim17ROCPRIM_400000_NS6detail17trampoline_kernelINS0_14default_configENS1_27lower_bound_config_selectorIdlEEZNS1_14transform_implILb0ES3_S5_N6thrust23THRUST_200600_302600_NS6detail15normal_iteratorINS8_7pointerIdNS8_11hip_rocprim5par_tENS8_11use_defaultESE_EEEENSA_INSB_IlSD_SE_SE_EEEEZNS1_13binary_searchIS3_S5_PdSG_SI_NS1_21lower_bound_search_opENS9_16wrapped_functionI11custom_lessbEEEE10hipError_tPvRmT1_T2_T3_mmT4_T5_P12ihipStream_tbEUlRKdE_EESP_ST_SU_mSV_SY_bEUlT_E_NS1_11comp_targetILNS1_3genE0ELNS1_11target_archE4294967295ELNS1_3gpuE0ELNS1_3repE0EEENS1_30default_config_static_selectorELNS0_4arch9wavefront6targetE0EEEvSS_.numbered_sgpr, 0
	.set _ZN7rocprim17ROCPRIM_400000_NS6detail17trampoline_kernelINS0_14default_configENS1_27lower_bound_config_selectorIdlEEZNS1_14transform_implILb0ES3_S5_N6thrust23THRUST_200600_302600_NS6detail15normal_iteratorINS8_7pointerIdNS8_11hip_rocprim5par_tENS8_11use_defaultESE_EEEENSA_INSB_IlSD_SE_SE_EEEEZNS1_13binary_searchIS3_S5_PdSG_SI_NS1_21lower_bound_search_opENS9_16wrapped_functionI11custom_lessbEEEE10hipError_tPvRmT1_T2_T3_mmT4_T5_P12ihipStream_tbEUlRKdE_EESP_ST_SU_mSV_SY_bEUlT_E_NS1_11comp_targetILNS1_3genE0ELNS1_11target_archE4294967295ELNS1_3gpuE0ELNS1_3repE0EEENS1_30default_config_static_selectorELNS0_4arch9wavefront6targetE0EEEvSS_.num_named_barrier, 0
	.set _ZN7rocprim17ROCPRIM_400000_NS6detail17trampoline_kernelINS0_14default_configENS1_27lower_bound_config_selectorIdlEEZNS1_14transform_implILb0ES3_S5_N6thrust23THRUST_200600_302600_NS6detail15normal_iteratorINS8_7pointerIdNS8_11hip_rocprim5par_tENS8_11use_defaultESE_EEEENSA_INSB_IlSD_SE_SE_EEEEZNS1_13binary_searchIS3_S5_PdSG_SI_NS1_21lower_bound_search_opENS9_16wrapped_functionI11custom_lessbEEEE10hipError_tPvRmT1_T2_T3_mmT4_T5_P12ihipStream_tbEUlRKdE_EESP_ST_SU_mSV_SY_bEUlT_E_NS1_11comp_targetILNS1_3genE0ELNS1_11target_archE4294967295ELNS1_3gpuE0ELNS1_3repE0EEENS1_30default_config_static_selectorELNS0_4arch9wavefront6targetE0EEEvSS_.private_seg_size, 0
	.set _ZN7rocprim17ROCPRIM_400000_NS6detail17trampoline_kernelINS0_14default_configENS1_27lower_bound_config_selectorIdlEEZNS1_14transform_implILb0ES3_S5_N6thrust23THRUST_200600_302600_NS6detail15normal_iteratorINS8_7pointerIdNS8_11hip_rocprim5par_tENS8_11use_defaultESE_EEEENSA_INSB_IlSD_SE_SE_EEEEZNS1_13binary_searchIS3_S5_PdSG_SI_NS1_21lower_bound_search_opENS9_16wrapped_functionI11custom_lessbEEEE10hipError_tPvRmT1_T2_T3_mmT4_T5_P12ihipStream_tbEUlRKdE_EESP_ST_SU_mSV_SY_bEUlT_E_NS1_11comp_targetILNS1_3genE0ELNS1_11target_archE4294967295ELNS1_3gpuE0ELNS1_3repE0EEENS1_30default_config_static_selectorELNS0_4arch9wavefront6targetE0EEEvSS_.uses_vcc, 0
	.set _ZN7rocprim17ROCPRIM_400000_NS6detail17trampoline_kernelINS0_14default_configENS1_27lower_bound_config_selectorIdlEEZNS1_14transform_implILb0ES3_S5_N6thrust23THRUST_200600_302600_NS6detail15normal_iteratorINS8_7pointerIdNS8_11hip_rocprim5par_tENS8_11use_defaultESE_EEEENSA_INSB_IlSD_SE_SE_EEEEZNS1_13binary_searchIS3_S5_PdSG_SI_NS1_21lower_bound_search_opENS9_16wrapped_functionI11custom_lessbEEEE10hipError_tPvRmT1_T2_T3_mmT4_T5_P12ihipStream_tbEUlRKdE_EESP_ST_SU_mSV_SY_bEUlT_E_NS1_11comp_targetILNS1_3genE0ELNS1_11target_archE4294967295ELNS1_3gpuE0ELNS1_3repE0EEENS1_30default_config_static_selectorELNS0_4arch9wavefront6targetE0EEEvSS_.uses_flat_scratch, 0
	.set _ZN7rocprim17ROCPRIM_400000_NS6detail17trampoline_kernelINS0_14default_configENS1_27lower_bound_config_selectorIdlEEZNS1_14transform_implILb0ES3_S5_N6thrust23THRUST_200600_302600_NS6detail15normal_iteratorINS8_7pointerIdNS8_11hip_rocprim5par_tENS8_11use_defaultESE_EEEENSA_INSB_IlSD_SE_SE_EEEEZNS1_13binary_searchIS3_S5_PdSG_SI_NS1_21lower_bound_search_opENS9_16wrapped_functionI11custom_lessbEEEE10hipError_tPvRmT1_T2_T3_mmT4_T5_P12ihipStream_tbEUlRKdE_EESP_ST_SU_mSV_SY_bEUlT_E_NS1_11comp_targetILNS1_3genE0ELNS1_11target_archE4294967295ELNS1_3gpuE0ELNS1_3repE0EEENS1_30default_config_static_selectorELNS0_4arch9wavefront6targetE0EEEvSS_.has_dyn_sized_stack, 0
	.set _ZN7rocprim17ROCPRIM_400000_NS6detail17trampoline_kernelINS0_14default_configENS1_27lower_bound_config_selectorIdlEEZNS1_14transform_implILb0ES3_S5_N6thrust23THRUST_200600_302600_NS6detail15normal_iteratorINS8_7pointerIdNS8_11hip_rocprim5par_tENS8_11use_defaultESE_EEEENSA_INSB_IlSD_SE_SE_EEEEZNS1_13binary_searchIS3_S5_PdSG_SI_NS1_21lower_bound_search_opENS9_16wrapped_functionI11custom_lessbEEEE10hipError_tPvRmT1_T2_T3_mmT4_T5_P12ihipStream_tbEUlRKdE_EESP_ST_SU_mSV_SY_bEUlT_E_NS1_11comp_targetILNS1_3genE0ELNS1_11target_archE4294967295ELNS1_3gpuE0ELNS1_3repE0EEENS1_30default_config_static_selectorELNS0_4arch9wavefront6targetE0EEEvSS_.has_recursion, 0
	.set _ZN7rocprim17ROCPRIM_400000_NS6detail17trampoline_kernelINS0_14default_configENS1_27lower_bound_config_selectorIdlEEZNS1_14transform_implILb0ES3_S5_N6thrust23THRUST_200600_302600_NS6detail15normal_iteratorINS8_7pointerIdNS8_11hip_rocprim5par_tENS8_11use_defaultESE_EEEENSA_INSB_IlSD_SE_SE_EEEEZNS1_13binary_searchIS3_S5_PdSG_SI_NS1_21lower_bound_search_opENS9_16wrapped_functionI11custom_lessbEEEE10hipError_tPvRmT1_T2_T3_mmT4_T5_P12ihipStream_tbEUlRKdE_EESP_ST_SU_mSV_SY_bEUlT_E_NS1_11comp_targetILNS1_3genE0ELNS1_11target_archE4294967295ELNS1_3gpuE0ELNS1_3repE0EEENS1_30default_config_static_selectorELNS0_4arch9wavefront6targetE0EEEvSS_.has_indirect_call, 0
	.section	.AMDGPU.csdata,"",@progbits
; Kernel info:
; codeLenInByte = 0
; TotalNumSgprs: 0
; NumVgprs: 0
; ScratchSize: 0
; MemoryBound: 0
; FloatMode: 240
; IeeeMode: 1
; LDSByteSize: 0 bytes/workgroup (compile time only)
; SGPRBlocks: 0
; VGPRBlocks: 0
; NumSGPRsForWavesPerEU: 1
; NumVGPRsForWavesPerEU: 1
; Occupancy: 16
; WaveLimiterHint : 0
; COMPUTE_PGM_RSRC2:SCRATCH_EN: 0
; COMPUTE_PGM_RSRC2:USER_SGPR: 6
; COMPUTE_PGM_RSRC2:TRAP_HANDLER: 0
; COMPUTE_PGM_RSRC2:TGID_X_EN: 1
; COMPUTE_PGM_RSRC2:TGID_Y_EN: 0
; COMPUTE_PGM_RSRC2:TGID_Z_EN: 0
; COMPUTE_PGM_RSRC2:TIDIG_COMP_CNT: 0
	.section	.text._ZN7rocprim17ROCPRIM_400000_NS6detail17trampoline_kernelINS0_14default_configENS1_27lower_bound_config_selectorIdlEEZNS1_14transform_implILb0ES3_S5_N6thrust23THRUST_200600_302600_NS6detail15normal_iteratorINS8_7pointerIdNS8_11hip_rocprim5par_tENS8_11use_defaultESE_EEEENSA_INSB_IlSD_SE_SE_EEEEZNS1_13binary_searchIS3_S5_PdSG_SI_NS1_21lower_bound_search_opENS9_16wrapped_functionI11custom_lessbEEEE10hipError_tPvRmT1_T2_T3_mmT4_T5_P12ihipStream_tbEUlRKdE_EESP_ST_SU_mSV_SY_bEUlT_E_NS1_11comp_targetILNS1_3genE5ELNS1_11target_archE942ELNS1_3gpuE9ELNS1_3repE0EEENS1_30default_config_static_selectorELNS0_4arch9wavefront6targetE0EEEvSS_,"axG",@progbits,_ZN7rocprim17ROCPRIM_400000_NS6detail17trampoline_kernelINS0_14default_configENS1_27lower_bound_config_selectorIdlEEZNS1_14transform_implILb0ES3_S5_N6thrust23THRUST_200600_302600_NS6detail15normal_iteratorINS8_7pointerIdNS8_11hip_rocprim5par_tENS8_11use_defaultESE_EEEENSA_INSB_IlSD_SE_SE_EEEEZNS1_13binary_searchIS3_S5_PdSG_SI_NS1_21lower_bound_search_opENS9_16wrapped_functionI11custom_lessbEEEE10hipError_tPvRmT1_T2_T3_mmT4_T5_P12ihipStream_tbEUlRKdE_EESP_ST_SU_mSV_SY_bEUlT_E_NS1_11comp_targetILNS1_3genE5ELNS1_11target_archE942ELNS1_3gpuE9ELNS1_3repE0EEENS1_30default_config_static_selectorELNS0_4arch9wavefront6targetE0EEEvSS_,comdat
	.protected	_ZN7rocprim17ROCPRIM_400000_NS6detail17trampoline_kernelINS0_14default_configENS1_27lower_bound_config_selectorIdlEEZNS1_14transform_implILb0ES3_S5_N6thrust23THRUST_200600_302600_NS6detail15normal_iteratorINS8_7pointerIdNS8_11hip_rocprim5par_tENS8_11use_defaultESE_EEEENSA_INSB_IlSD_SE_SE_EEEEZNS1_13binary_searchIS3_S5_PdSG_SI_NS1_21lower_bound_search_opENS9_16wrapped_functionI11custom_lessbEEEE10hipError_tPvRmT1_T2_T3_mmT4_T5_P12ihipStream_tbEUlRKdE_EESP_ST_SU_mSV_SY_bEUlT_E_NS1_11comp_targetILNS1_3genE5ELNS1_11target_archE942ELNS1_3gpuE9ELNS1_3repE0EEENS1_30default_config_static_selectorELNS0_4arch9wavefront6targetE0EEEvSS_ ; -- Begin function _ZN7rocprim17ROCPRIM_400000_NS6detail17trampoline_kernelINS0_14default_configENS1_27lower_bound_config_selectorIdlEEZNS1_14transform_implILb0ES3_S5_N6thrust23THRUST_200600_302600_NS6detail15normal_iteratorINS8_7pointerIdNS8_11hip_rocprim5par_tENS8_11use_defaultESE_EEEENSA_INSB_IlSD_SE_SE_EEEEZNS1_13binary_searchIS3_S5_PdSG_SI_NS1_21lower_bound_search_opENS9_16wrapped_functionI11custom_lessbEEEE10hipError_tPvRmT1_T2_T3_mmT4_T5_P12ihipStream_tbEUlRKdE_EESP_ST_SU_mSV_SY_bEUlT_E_NS1_11comp_targetILNS1_3genE5ELNS1_11target_archE942ELNS1_3gpuE9ELNS1_3repE0EEENS1_30default_config_static_selectorELNS0_4arch9wavefront6targetE0EEEvSS_
	.globl	_ZN7rocprim17ROCPRIM_400000_NS6detail17trampoline_kernelINS0_14default_configENS1_27lower_bound_config_selectorIdlEEZNS1_14transform_implILb0ES3_S5_N6thrust23THRUST_200600_302600_NS6detail15normal_iteratorINS8_7pointerIdNS8_11hip_rocprim5par_tENS8_11use_defaultESE_EEEENSA_INSB_IlSD_SE_SE_EEEEZNS1_13binary_searchIS3_S5_PdSG_SI_NS1_21lower_bound_search_opENS9_16wrapped_functionI11custom_lessbEEEE10hipError_tPvRmT1_T2_T3_mmT4_T5_P12ihipStream_tbEUlRKdE_EESP_ST_SU_mSV_SY_bEUlT_E_NS1_11comp_targetILNS1_3genE5ELNS1_11target_archE942ELNS1_3gpuE9ELNS1_3repE0EEENS1_30default_config_static_selectorELNS0_4arch9wavefront6targetE0EEEvSS_
	.p2align	8
	.type	_ZN7rocprim17ROCPRIM_400000_NS6detail17trampoline_kernelINS0_14default_configENS1_27lower_bound_config_selectorIdlEEZNS1_14transform_implILb0ES3_S5_N6thrust23THRUST_200600_302600_NS6detail15normal_iteratorINS8_7pointerIdNS8_11hip_rocprim5par_tENS8_11use_defaultESE_EEEENSA_INSB_IlSD_SE_SE_EEEEZNS1_13binary_searchIS3_S5_PdSG_SI_NS1_21lower_bound_search_opENS9_16wrapped_functionI11custom_lessbEEEE10hipError_tPvRmT1_T2_T3_mmT4_T5_P12ihipStream_tbEUlRKdE_EESP_ST_SU_mSV_SY_bEUlT_E_NS1_11comp_targetILNS1_3genE5ELNS1_11target_archE942ELNS1_3gpuE9ELNS1_3repE0EEENS1_30default_config_static_selectorELNS0_4arch9wavefront6targetE0EEEvSS_,@function
_ZN7rocprim17ROCPRIM_400000_NS6detail17trampoline_kernelINS0_14default_configENS1_27lower_bound_config_selectorIdlEEZNS1_14transform_implILb0ES3_S5_N6thrust23THRUST_200600_302600_NS6detail15normal_iteratorINS8_7pointerIdNS8_11hip_rocprim5par_tENS8_11use_defaultESE_EEEENSA_INSB_IlSD_SE_SE_EEEEZNS1_13binary_searchIS3_S5_PdSG_SI_NS1_21lower_bound_search_opENS9_16wrapped_functionI11custom_lessbEEEE10hipError_tPvRmT1_T2_T3_mmT4_T5_P12ihipStream_tbEUlRKdE_EESP_ST_SU_mSV_SY_bEUlT_E_NS1_11comp_targetILNS1_3genE5ELNS1_11target_archE942ELNS1_3gpuE9ELNS1_3repE0EEENS1_30default_config_static_selectorELNS0_4arch9wavefront6targetE0EEEvSS_: ; @_ZN7rocprim17ROCPRIM_400000_NS6detail17trampoline_kernelINS0_14default_configENS1_27lower_bound_config_selectorIdlEEZNS1_14transform_implILb0ES3_S5_N6thrust23THRUST_200600_302600_NS6detail15normal_iteratorINS8_7pointerIdNS8_11hip_rocprim5par_tENS8_11use_defaultESE_EEEENSA_INSB_IlSD_SE_SE_EEEEZNS1_13binary_searchIS3_S5_PdSG_SI_NS1_21lower_bound_search_opENS9_16wrapped_functionI11custom_lessbEEEE10hipError_tPvRmT1_T2_T3_mmT4_T5_P12ihipStream_tbEUlRKdE_EESP_ST_SU_mSV_SY_bEUlT_E_NS1_11comp_targetILNS1_3genE5ELNS1_11target_archE942ELNS1_3gpuE9ELNS1_3repE0EEENS1_30default_config_static_selectorELNS0_4arch9wavefront6targetE0EEEvSS_
; %bb.0:
	.section	.rodata,"a",@progbits
	.p2align	6, 0x0
	.amdhsa_kernel _ZN7rocprim17ROCPRIM_400000_NS6detail17trampoline_kernelINS0_14default_configENS1_27lower_bound_config_selectorIdlEEZNS1_14transform_implILb0ES3_S5_N6thrust23THRUST_200600_302600_NS6detail15normal_iteratorINS8_7pointerIdNS8_11hip_rocprim5par_tENS8_11use_defaultESE_EEEENSA_INSB_IlSD_SE_SE_EEEEZNS1_13binary_searchIS3_S5_PdSG_SI_NS1_21lower_bound_search_opENS9_16wrapped_functionI11custom_lessbEEEE10hipError_tPvRmT1_T2_T3_mmT4_T5_P12ihipStream_tbEUlRKdE_EESP_ST_SU_mSV_SY_bEUlT_E_NS1_11comp_targetILNS1_3genE5ELNS1_11target_archE942ELNS1_3gpuE9ELNS1_3repE0EEENS1_30default_config_static_selectorELNS0_4arch9wavefront6targetE0EEEvSS_
		.amdhsa_group_segment_fixed_size 0
		.amdhsa_private_segment_fixed_size 0
		.amdhsa_kernarg_size 56
		.amdhsa_user_sgpr_count 6
		.amdhsa_user_sgpr_private_segment_buffer 1
		.amdhsa_user_sgpr_dispatch_ptr 0
		.amdhsa_user_sgpr_queue_ptr 0
		.amdhsa_user_sgpr_kernarg_segment_ptr 1
		.amdhsa_user_sgpr_dispatch_id 0
		.amdhsa_user_sgpr_flat_scratch_init 0
		.amdhsa_user_sgpr_private_segment_size 0
		.amdhsa_wavefront_size32 1
		.amdhsa_uses_dynamic_stack 0
		.amdhsa_system_sgpr_private_segment_wavefront_offset 0
		.amdhsa_system_sgpr_workgroup_id_x 1
		.amdhsa_system_sgpr_workgroup_id_y 0
		.amdhsa_system_sgpr_workgroup_id_z 0
		.amdhsa_system_sgpr_workgroup_info 0
		.amdhsa_system_vgpr_workitem_id 0
		.amdhsa_next_free_vgpr 1
		.amdhsa_next_free_sgpr 1
		.amdhsa_reserve_vcc 0
		.amdhsa_reserve_flat_scratch 0
		.amdhsa_float_round_mode_32 0
		.amdhsa_float_round_mode_16_64 0
		.amdhsa_float_denorm_mode_32 3
		.amdhsa_float_denorm_mode_16_64 3
		.amdhsa_dx10_clamp 1
		.amdhsa_ieee_mode 1
		.amdhsa_fp16_overflow 0
		.amdhsa_workgroup_processor_mode 1
		.amdhsa_memory_ordered 1
		.amdhsa_forward_progress 1
		.amdhsa_shared_vgpr_count 0
		.amdhsa_exception_fp_ieee_invalid_op 0
		.amdhsa_exception_fp_denorm_src 0
		.amdhsa_exception_fp_ieee_div_zero 0
		.amdhsa_exception_fp_ieee_overflow 0
		.amdhsa_exception_fp_ieee_underflow 0
		.amdhsa_exception_fp_ieee_inexact 0
		.amdhsa_exception_int_div_zero 0
	.end_amdhsa_kernel
	.section	.text._ZN7rocprim17ROCPRIM_400000_NS6detail17trampoline_kernelINS0_14default_configENS1_27lower_bound_config_selectorIdlEEZNS1_14transform_implILb0ES3_S5_N6thrust23THRUST_200600_302600_NS6detail15normal_iteratorINS8_7pointerIdNS8_11hip_rocprim5par_tENS8_11use_defaultESE_EEEENSA_INSB_IlSD_SE_SE_EEEEZNS1_13binary_searchIS3_S5_PdSG_SI_NS1_21lower_bound_search_opENS9_16wrapped_functionI11custom_lessbEEEE10hipError_tPvRmT1_T2_T3_mmT4_T5_P12ihipStream_tbEUlRKdE_EESP_ST_SU_mSV_SY_bEUlT_E_NS1_11comp_targetILNS1_3genE5ELNS1_11target_archE942ELNS1_3gpuE9ELNS1_3repE0EEENS1_30default_config_static_selectorELNS0_4arch9wavefront6targetE0EEEvSS_,"axG",@progbits,_ZN7rocprim17ROCPRIM_400000_NS6detail17trampoline_kernelINS0_14default_configENS1_27lower_bound_config_selectorIdlEEZNS1_14transform_implILb0ES3_S5_N6thrust23THRUST_200600_302600_NS6detail15normal_iteratorINS8_7pointerIdNS8_11hip_rocprim5par_tENS8_11use_defaultESE_EEEENSA_INSB_IlSD_SE_SE_EEEEZNS1_13binary_searchIS3_S5_PdSG_SI_NS1_21lower_bound_search_opENS9_16wrapped_functionI11custom_lessbEEEE10hipError_tPvRmT1_T2_T3_mmT4_T5_P12ihipStream_tbEUlRKdE_EESP_ST_SU_mSV_SY_bEUlT_E_NS1_11comp_targetILNS1_3genE5ELNS1_11target_archE942ELNS1_3gpuE9ELNS1_3repE0EEENS1_30default_config_static_selectorELNS0_4arch9wavefront6targetE0EEEvSS_,comdat
.Lfunc_end5:
	.size	_ZN7rocprim17ROCPRIM_400000_NS6detail17trampoline_kernelINS0_14default_configENS1_27lower_bound_config_selectorIdlEEZNS1_14transform_implILb0ES3_S5_N6thrust23THRUST_200600_302600_NS6detail15normal_iteratorINS8_7pointerIdNS8_11hip_rocprim5par_tENS8_11use_defaultESE_EEEENSA_INSB_IlSD_SE_SE_EEEEZNS1_13binary_searchIS3_S5_PdSG_SI_NS1_21lower_bound_search_opENS9_16wrapped_functionI11custom_lessbEEEE10hipError_tPvRmT1_T2_T3_mmT4_T5_P12ihipStream_tbEUlRKdE_EESP_ST_SU_mSV_SY_bEUlT_E_NS1_11comp_targetILNS1_3genE5ELNS1_11target_archE942ELNS1_3gpuE9ELNS1_3repE0EEENS1_30default_config_static_selectorELNS0_4arch9wavefront6targetE0EEEvSS_, .Lfunc_end5-_ZN7rocprim17ROCPRIM_400000_NS6detail17trampoline_kernelINS0_14default_configENS1_27lower_bound_config_selectorIdlEEZNS1_14transform_implILb0ES3_S5_N6thrust23THRUST_200600_302600_NS6detail15normal_iteratorINS8_7pointerIdNS8_11hip_rocprim5par_tENS8_11use_defaultESE_EEEENSA_INSB_IlSD_SE_SE_EEEEZNS1_13binary_searchIS3_S5_PdSG_SI_NS1_21lower_bound_search_opENS9_16wrapped_functionI11custom_lessbEEEE10hipError_tPvRmT1_T2_T3_mmT4_T5_P12ihipStream_tbEUlRKdE_EESP_ST_SU_mSV_SY_bEUlT_E_NS1_11comp_targetILNS1_3genE5ELNS1_11target_archE942ELNS1_3gpuE9ELNS1_3repE0EEENS1_30default_config_static_selectorELNS0_4arch9wavefront6targetE0EEEvSS_
                                        ; -- End function
	.set _ZN7rocprim17ROCPRIM_400000_NS6detail17trampoline_kernelINS0_14default_configENS1_27lower_bound_config_selectorIdlEEZNS1_14transform_implILb0ES3_S5_N6thrust23THRUST_200600_302600_NS6detail15normal_iteratorINS8_7pointerIdNS8_11hip_rocprim5par_tENS8_11use_defaultESE_EEEENSA_INSB_IlSD_SE_SE_EEEEZNS1_13binary_searchIS3_S5_PdSG_SI_NS1_21lower_bound_search_opENS9_16wrapped_functionI11custom_lessbEEEE10hipError_tPvRmT1_T2_T3_mmT4_T5_P12ihipStream_tbEUlRKdE_EESP_ST_SU_mSV_SY_bEUlT_E_NS1_11comp_targetILNS1_3genE5ELNS1_11target_archE942ELNS1_3gpuE9ELNS1_3repE0EEENS1_30default_config_static_selectorELNS0_4arch9wavefront6targetE0EEEvSS_.num_vgpr, 0
	.set _ZN7rocprim17ROCPRIM_400000_NS6detail17trampoline_kernelINS0_14default_configENS1_27lower_bound_config_selectorIdlEEZNS1_14transform_implILb0ES3_S5_N6thrust23THRUST_200600_302600_NS6detail15normal_iteratorINS8_7pointerIdNS8_11hip_rocprim5par_tENS8_11use_defaultESE_EEEENSA_INSB_IlSD_SE_SE_EEEEZNS1_13binary_searchIS3_S5_PdSG_SI_NS1_21lower_bound_search_opENS9_16wrapped_functionI11custom_lessbEEEE10hipError_tPvRmT1_T2_T3_mmT4_T5_P12ihipStream_tbEUlRKdE_EESP_ST_SU_mSV_SY_bEUlT_E_NS1_11comp_targetILNS1_3genE5ELNS1_11target_archE942ELNS1_3gpuE9ELNS1_3repE0EEENS1_30default_config_static_selectorELNS0_4arch9wavefront6targetE0EEEvSS_.num_agpr, 0
	.set _ZN7rocprim17ROCPRIM_400000_NS6detail17trampoline_kernelINS0_14default_configENS1_27lower_bound_config_selectorIdlEEZNS1_14transform_implILb0ES3_S5_N6thrust23THRUST_200600_302600_NS6detail15normal_iteratorINS8_7pointerIdNS8_11hip_rocprim5par_tENS8_11use_defaultESE_EEEENSA_INSB_IlSD_SE_SE_EEEEZNS1_13binary_searchIS3_S5_PdSG_SI_NS1_21lower_bound_search_opENS9_16wrapped_functionI11custom_lessbEEEE10hipError_tPvRmT1_T2_T3_mmT4_T5_P12ihipStream_tbEUlRKdE_EESP_ST_SU_mSV_SY_bEUlT_E_NS1_11comp_targetILNS1_3genE5ELNS1_11target_archE942ELNS1_3gpuE9ELNS1_3repE0EEENS1_30default_config_static_selectorELNS0_4arch9wavefront6targetE0EEEvSS_.numbered_sgpr, 0
	.set _ZN7rocprim17ROCPRIM_400000_NS6detail17trampoline_kernelINS0_14default_configENS1_27lower_bound_config_selectorIdlEEZNS1_14transform_implILb0ES3_S5_N6thrust23THRUST_200600_302600_NS6detail15normal_iteratorINS8_7pointerIdNS8_11hip_rocprim5par_tENS8_11use_defaultESE_EEEENSA_INSB_IlSD_SE_SE_EEEEZNS1_13binary_searchIS3_S5_PdSG_SI_NS1_21lower_bound_search_opENS9_16wrapped_functionI11custom_lessbEEEE10hipError_tPvRmT1_T2_T3_mmT4_T5_P12ihipStream_tbEUlRKdE_EESP_ST_SU_mSV_SY_bEUlT_E_NS1_11comp_targetILNS1_3genE5ELNS1_11target_archE942ELNS1_3gpuE9ELNS1_3repE0EEENS1_30default_config_static_selectorELNS0_4arch9wavefront6targetE0EEEvSS_.num_named_barrier, 0
	.set _ZN7rocprim17ROCPRIM_400000_NS6detail17trampoline_kernelINS0_14default_configENS1_27lower_bound_config_selectorIdlEEZNS1_14transform_implILb0ES3_S5_N6thrust23THRUST_200600_302600_NS6detail15normal_iteratorINS8_7pointerIdNS8_11hip_rocprim5par_tENS8_11use_defaultESE_EEEENSA_INSB_IlSD_SE_SE_EEEEZNS1_13binary_searchIS3_S5_PdSG_SI_NS1_21lower_bound_search_opENS9_16wrapped_functionI11custom_lessbEEEE10hipError_tPvRmT1_T2_T3_mmT4_T5_P12ihipStream_tbEUlRKdE_EESP_ST_SU_mSV_SY_bEUlT_E_NS1_11comp_targetILNS1_3genE5ELNS1_11target_archE942ELNS1_3gpuE9ELNS1_3repE0EEENS1_30default_config_static_selectorELNS0_4arch9wavefront6targetE0EEEvSS_.private_seg_size, 0
	.set _ZN7rocprim17ROCPRIM_400000_NS6detail17trampoline_kernelINS0_14default_configENS1_27lower_bound_config_selectorIdlEEZNS1_14transform_implILb0ES3_S5_N6thrust23THRUST_200600_302600_NS6detail15normal_iteratorINS8_7pointerIdNS8_11hip_rocprim5par_tENS8_11use_defaultESE_EEEENSA_INSB_IlSD_SE_SE_EEEEZNS1_13binary_searchIS3_S5_PdSG_SI_NS1_21lower_bound_search_opENS9_16wrapped_functionI11custom_lessbEEEE10hipError_tPvRmT1_T2_T3_mmT4_T5_P12ihipStream_tbEUlRKdE_EESP_ST_SU_mSV_SY_bEUlT_E_NS1_11comp_targetILNS1_3genE5ELNS1_11target_archE942ELNS1_3gpuE9ELNS1_3repE0EEENS1_30default_config_static_selectorELNS0_4arch9wavefront6targetE0EEEvSS_.uses_vcc, 0
	.set _ZN7rocprim17ROCPRIM_400000_NS6detail17trampoline_kernelINS0_14default_configENS1_27lower_bound_config_selectorIdlEEZNS1_14transform_implILb0ES3_S5_N6thrust23THRUST_200600_302600_NS6detail15normal_iteratorINS8_7pointerIdNS8_11hip_rocprim5par_tENS8_11use_defaultESE_EEEENSA_INSB_IlSD_SE_SE_EEEEZNS1_13binary_searchIS3_S5_PdSG_SI_NS1_21lower_bound_search_opENS9_16wrapped_functionI11custom_lessbEEEE10hipError_tPvRmT1_T2_T3_mmT4_T5_P12ihipStream_tbEUlRKdE_EESP_ST_SU_mSV_SY_bEUlT_E_NS1_11comp_targetILNS1_3genE5ELNS1_11target_archE942ELNS1_3gpuE9ELNS1_3repE0EEENS1_30default_config_static_selectorELNS0_4arch9wavefront6targetE0EEEvSS_.uses_flat_scratch, 0
	.set _ZN7rocprim17ROCPRIM_400000_NS6detail17trampoline_kernelINS0_14default_configENS1_27lower_bound_config_selectorIdlEEZNS1_14transform_implILb0ES3_S5_N6thrust23THRUST_200600_302600_NS6detail15normal_iteratorINS8_7pointerIdNS8_11hip_rocprim5par_tENS8_11use_defaultESE_EEEENSA_INSB_IlSD_SE_SE_EEEEZNS1_13binary_searchIS3_S5_PdSG_SI_NS1_21lower_bound_search_opENS9_16wrapped_functionI11custom_lessbEEEE10hipError_tPvRmT1_T2_T3_mmT4_T5_P12ihipStream_tbEUlRKdE_EESP_ST_SU_mSV_SY_bEUlT_E_NS1_11comp_targetILNS1_3genE5ELNS1_11target_archE942ELNS1_3gpuE9ELNS1_3repE0EEENS1_30default_config_static_selectorELNS0_4arch9wavefront6targetE0EEEvSS_.has_dyn_sized_stack, 0
	.set _ZN7rocprim17ROCPRIM_400000_NS6detail17trampoline_kernelINS0_14default_configENS1_27lower_bound_config_selectorIdlEEZNS1_14transform_implILb0ES3_S5_N6thrust23THRUST_200600_302600_NS6detail15normal_iteratorINS8_7pointerIdNS8_11hip_rocprim5par_tENS8_11use_defaultESE_EEEENSA_INSB_IlSD_SE_SE_EEEEZNS1_13binary_searchIS3_S5_PdSG_SI_NS1_21lower_bound_search_opENS9_16wrapped_functionI11custom_lessbEEEE10hipError_tPvRmT1_T2_T3_mmT4_T5_P12ihipStream_tbEUlRKdE_EESP_ST_SU_mSV_SY_bEUlT_E_NS1_11comp_targetILNS1_3genE5ELNS1_11target_archE942ELNS1_3gpuE9ELNS1_3repE0EEENS1_30default_config_static_selectorELNS0_4arch9wavefront6targetE0EEEvSS_.has_recursion, 0
	.set _ZN7rocprim17ROCPRIM_400000_NS6detail17trampoline_kernelINS0_14default_configENS1_27lower_bound_config_selectorIdlEEZNS1_14transform_implILb0ES3_S5_N6thrust23THRUST_200600_302600_NS6detail15normal_iteratorINS8_7pointerIdNS8_11hip_rocprim5par_tENS8_11use_defaultESE_EEEENSA_INSB_IlSD_SE_SE_EEEEZNS1_13binary_searchIS3_S5_PdSG_SI_NS1_21lower_bound_search_opENS9_16wrapped_functionI11custom_lessbEEEE10hipError_tPvRmT1_T2_T3_mmT4_T5_P12ihipStream_tbEUlRKdE_EESP_ST_SU_mSV_SY_bEUlT_E_NS1_11comp_targetILNS1_3genE5ELNS1_11target_archE942ELNS1_3gpuE9ELNS1_3repE0EEENS1_30default_config_static_selectorELNS0_4arch9wavefront6targetE0EEEvSS_.has_indirect_call, 0
	.section	.AMDGPU.csdata,"",@progbits
; Kernel info:
; codeLenInByte = 0
; TotalNumSgprs: 0
; NumVgprs: 0
; ScratchSize: 0
; MemoryBound: 0
; FloatMode: 240
; IeeeMode: 1
; LDSByteSize: 0 bytes/workgroup (compile time only)
; SGPRBlocks: 0
; VGPRBlocks: 0
; NumSGPRsForWavesPerEU: 1
; NumVGPRsForWavesPerEU: 1
; Occupancy: 16
; WaveLimiterHint : 0
; COMPUTE_PGM_RSRC2:SCRATCH_EN: 0
; COMPUTE_PGM_RSRC2:USER_SGPR: 6
; COMPUTE_PGM_RSRC2:TRAP_HANDLER: 0
; COMPUTE_PGM_RSRC2:TGID_X_EN: 1
; COMPUTE_PGM_RSRC2:TGID_Y_EN: 0
; COMPUTE_PGM_RSRC2:TGID_Z_EN: 0
; COMPUTE_PGM_RSRC2:TIDIG_COMP_CNT: 0
	.section	.text._ZN7rocprim17ROCPRIM_400000_NS6detail17trampoline_kernelINS0_14default_configENS1_27lower_bound_config_selectorIdlEEZNS1_14transform_implILb0ES3_S5_N6thrust23THRUST_200600_302600_NS6detail15normal_iteratorINS8_7pointerIdNS8_11hip_rocprim5par_tENS8_11use_defaultESE_EEEENSA_INSB_IlSD_SE_SE_EEEEZNS1_13binary_searchIS3_S5_PdSG_SI_NS1_21lower_bound_search_opENS9_16wrapped_functionI11custom_lessbEEEE10hipError_tPvRmT1_T2_T3_mmT4_T5_P12ihipStream_tbEUlRKdE_EESP_ST_SU_mSV_SY_bEUlT_E_NS1_11comp_targetILNS1_3genE4ELNS1_11target_archE910ELNS1_3gpuE8ELNS1_3repE0EEENS1_30default_config_static_selectorELNS0_4arch9wavefront6targetE0EEEvSS_,"axG",@progbits,_ZN7rocprim17ROCPRIM_400000_NS6detail17trampoline_kernelINS0_14default_configENS1_27lower_bound_config_selectorIdlEEZNS1_14transform_implILb0ES3_S5_N6thrust23THRUST_200600_302600_NS6detail15normal_iteratorINS8_7pointerIdNS8_11hip_rocprim5par_tENS8_11use_defaultESE_EEEENSA_INSB_IlSD_SE_SE_EEEEZNS1_13binary_searchIS3_S5_PdSG_SI_NS1_21lower_bound_search_opENS9_16wrapped_functionI11custom_lessbEEEE10hipError_tPvRmT1_T2_T3_mmT4_T5_P12ihipStream_tbEUlRKdE_EESP_ST_SU_mSV_SY_bEUlT_E_NS1_11comp_targetILNS1_3genE4ELNS1_11target_archE910ELNS1_3gpuE8ELNS1_3repE0EEENS1_30default_config_static_selectorELNS0_4arch9wavefront6targetE0EEEvSS_,comdat
	.protected	_ZN7rocprim17ROCPRIM_400000_NS6detail17trampoline_kernelINS0_14default_configENS1_27lower_bound_config_selectorIdlEEZNS1_14transform_implILb0ES3_S5_N6thrust23THRUST_200600_302600_NS6detail15normal_iteratorINS8_7pointerIdNS8_11hip_rocprim5par_tENS8_11use_defaultESE_EEEENSA_INSB_IlSD_SE_SE_EEEEZNS1_13binary_searchIS3_S5_PdSG_SI_NS1_21lower_bound_search_opENS9_16wrapped_functionI11custom_lessbEEEE10hipError_tPvRmT1_T2_T3_mmT4_T5_P12ihipStream_tbEUlRKdE_EESP_ST_SU_mSV_SY_bEUlT_E_NS1_11comp_targetILNS1_3genE4ELNS1_11target_archE910ELNS1_3gpuE8ELNS1_3repE0EEENS1_30default_config_static_selectorELNS0_4arch9wavefront6targetE0EEEvSS_ ; -- Begin function _ZN7rocprim17ROCPRIM_400000_NS6detail17trampoline_kernelINS0_14default_configENS1_27lower_bound_config_selectorIdlEEZNS1_14transform_implILb0ES3_S5_N6thrust23THRUST_200600_302600_NS6detail15normal_iteratorINS8_7pointerIdNS8_11hip_rocprim5par_tENS8_11use_defaultESE_EEEENSA_INSB_IlSD_SE_SE_EEEEZNS1_13binary_searchIS3_S5_PdSG_SI_NS1_21lower_bound_search_opENS9_16wrapped_functionI11custom_lessbEEEE10hipError_tPvRmT1_T2_T3_mmT4_T5_P12ihipStream_tbEUlRKdE_EESP_ST_SU_mSV_SY_bEUlT_E_NS1_11comp_targetILNS1_3genE4ELNS1_11target_archE910ELNS1_3gpuE8ELNS1_3repE0EEENS1_30default_config_static_selectorELNS0_4arch9wavefront6targetE0EEEvSS_
	.globl	_ZN7rocprim17ROCPRIM_400000_NS6detail17trampoline_kernelINS0_14default_configENS1_27lower_bound_config_selectorIdlEEZNS1_14transform_implILb0ES3_S5_N6thrust23THRUST_200600_302600_NS6detail15normal_iteratorINS8_7pointerIdNS8_11hip_rocprim5par_tENS8_11use_defaultESE_EEEENSA_INSB_IlSD_SE_SE_EEEEZNS1_13binary_searchIS3_S5_PdSG_SI_NS1_21lower_bound_search_opENS9_16wrapped_functionI11custom_lessbEEEE10hipError_tPvRmT1_T2_T3_mmT4_T5_P12ihipStream_tbEUlRKdE_EESP_ST_SU_mSV_SY_bEUlT_E_NS1_11comp_targetILNS1_3genE4ELNS1_11target_archE910ELNS1_3gpuE8ELNS1_3repE0EEENS1_30default_config_static_selectorELNS0_4arch9wavefront6targetE0EEEvSS_
	.p2align	8
	.type	_ZN7rocprim17ROCPRIM_400000_NS6detail17trampoline_kernelINS0_14default_configENS1_27lower_bound_config_selectorIdlEEZNS1_14transform_implILb0ES3_S5_N6thrust23THRUST_200600_302600_NS6detail15normal_iteratorINS8_7pointerIdNS8_11hip_rocprim5par_tENS8_11use_defaultESE_EEEENSA_INSB_IlSD_SE_SE_EEEEZNS1_13binary_searchIS3_S5_PdSG_SI_NS1_21lower_bound_search_opENS9_16wrapped_functionI11custom_lessbEEEE10hipError_tPvRmT1_T2_T3_mmT4_T5_P12ihipStream_tbEUlRKdE_EESP_ST_SU_mSV_SY_bEUlT_E_NS1_11comp_targetILNS1_3genE4ELNS1_11target_archE910ELNS1_3gpuE8ELNS1_3repE0EEENS1_30default_config_static_selectorELNS0_4arch9wavefront6targetE0EEEvSS_,@function
_ZN7rocprim17ROCPRIM_400000_NS6detail17trampoline_kernelINS0_14default_configENS1_27lower_bound_config_selectorIdlEEZNS1_14transform_implILb0ES3_S5_N6thrust23THRUST_200600_302600_NS6detail15normal_iteratorINS8_7pointerIdNS8_11hip_rocprim5par_tENS8_11use_defaultESE_EEEENSA_INSB_IlSD_SE_SE_EEEEZNS1_13binary_searchIS3_S5_PdSG_SI_NS1_21lower_bound_search_opENS9_16wrapped_functionI11custom_lessbEEEE10hipError_tPvRmT1_T2_T3_mmT4_T5_P12ihipStream_tbEUlRKdE_EESP_ST_SU_mSV_SY_bEUlT_E_NS1_11comp_targetILNS1_3genE4ELNS1_11target_archE910ELNS1_3gpuE8ELNS1_3repE0EEENS1_30default_config_static_selectorELNS0_4arch9wavefront6targetE0EEEvSS_: ; @_ZN7rocprim17ROCPRIM_400000_NS6detail17trampoline_kernelINS0_14default_configENS1_27lower_bound_config_selectorIdlEEZNS1_14transform_implILb0ES3_S5_N6thrust23THRUST_200600_302600_NS6detail15normal_iteratorINS8_7pointerIdNS8_11hip_rocprim5par_tENS8_11use_defaultESE_EEEENSA_INSB_IlSD_SE_SE_EEEEZNS1_13binary_searchIS3_S5_PdSG_SI_NS1_21lower_bound_search_opENS9_16wrapped_functionI11custom_lessbEEEE10hipError_tPvRmT1_T2_T3_mmT4_T5_P12ihipStream_tbEUlRKdE_EESP_ST_SU_mSV_SY_bEUlT_E_NS1_11comp_targetILNS1_3genE4ELNS1_11target_archE910ELNS1_3gpuE8ELNS1_3repE0EEENS1_30default_config_static_selectorELNS0_4arch9wavefront6targetE0EEEvSS_
; %bb.0:
	.section	.rodata,"a",@progbits
	.p2align	6, 0x0
	.amdhsa_kernel _ZN7rocprim17ROCPRIM_400000_NS6detail17trampoline_kernelINS0_14default_configENS1_27lower_bound_config_selectorIdlEEZNS1_14transform_implILb0ES3_S5_N6thrust23THRUST_200600_302600_NS6detail15normal_iteratorINS8_7pointerIdNS8_11hip_rocprim5par_tENS8_11use_defaultESE_EEEENSA_INSB_IlSD_SE_SE_EEEEZNS1_13binary_searchIS3_S5_PdSG_SI_NS1_21lower_bound_search_opENS9_16wrapped_functionI11custom_lessbEEEE10hipError_tPvRmT1_T2_T3_mmT4_T5_P12ihipStream_tbEUlRKdE_EESP_ST_SU_mSV_SY_bEUlT_E_NS1_11comp_targetILNS1_3genE4ELNS1_11target_archE910ELNS1_3gpuE8ELNS1_3repE0EEENS1_30default_config_static_selectorELNS0_4arch9wavefront6targetE0EEEvSS_
		.amdhsa_group_segment_fixed_size 0
		.amdhsa_private_segment_fixed_size 0
		.amdhsa_kernarg_size 56
		.amdhsa_user_sgpr_count 6
		.amdhsa_user_sgpr_private_segment_buffer 1
		.amdhsa_user_sgpr_dispatch_ptr 0
		.amdhsa_user_sgpr_queue_ptr 0
		.amdhsa_user_sgpr_kernarg_segment_ptr 1
		.amdhsa_user_sgpr_dispatch_id 0
		.amdhsa_user_sgpr_flat_scratch_init 0
		.amdhsa_user_sgpr_private_segment_size 0
		.amdhsa_wavefront_size32 1
		.amdhsa_uses_dynamic_stack 0
		.amdhsa_system_sgpr_private_segment_wavefront_offset 0
		.amdhsa_system_sgpr_workgroup_id_x 1
		.amdhsa_system_sgpr_workgroup_id_y 0
		.amdhsa_system_sgpr_workgroup_id_z 0
		.amdhsa_system_sgpr_workgroup_info 0
		.amdhsa_system_vgpr_workitem_id 0
		.amdhsa_next_free_vgpr 1
		.amdhsa_next_free_sgpr 1
		.amdhsa_reserve_vcc 0
		.amdhsa_reserve_flat_scratch 0
		.amdhsa_float_round_mode_32 0
		.amdhsa_float_round_mode_16_64 0
		.amdhsa_float_denorm_mode_32 3
		.amdhsa_float_denorm_mode_16_64 3
		.amdhsa_dx10_clamp 1
		.amdhsa_ieee_mode 1
		.amdhsa_fp16_overflow 0
		.amdhsa_workgroup_processor_mode 1
		.amdhsa_memory_ordered 1
		.amdhsa_forward_progress 1
		.amdhsa_shared_vgpr_count 0
		.amdhsa_exception_fp_ieee_invalid_op 0
		.amdhsa_exception_fp_denorm_src 0
		.amdhsa_exception_fp_ieee_div_zero 0
		.amdhsa_exception_fp_ieee_overflow 0
		.amdhsa_exception_fp_ieee_underflow 0
		.amdhsa_exception_fp_ieee_inexact 0
		.amdhsa_exception_int_div_zero 0
	.end_amdhsa_kernel
	.section	.text._ZN7rocprim17ROCPRIM_400000_NS6detail17trampoline_kernelINS0_14default_configENS1_27lower_bound_config_selectorIdlEEZNS1_14transform_implILb0ES3_S5_N6thrust23THRUST_200600_302600_NS6detail15normal_iteratorINS8_7pointerIdNS8_11hip_rocprim5par_tENS8_11use_defaultESE_EEEENSA_INSB_IlSD_SE_SE_EEEEZNS1_13binary_searchIS3_S5_PdSG_SI_NS1_21lower_bound_search_opENS9_16wrapped_functionI11custom_lessbEEEE10hipError_tPvRmT1_T2_T3_mmT4_T5_P12ihipStream_tbEUlRKdE_EESP_ST_SU_mSV_SY_bEUlT_E_NS1_11comp_targetILNS1_3genE4ELNS1_11target_archE910ELNS1_3gpuE8ELNS1_3repE0EEENS1_30default_config_static_selectorELNS0_4arch9wavefront6targetE0EEEvSS_,"axG",@progbits,_ZN7rocprim17ROCPRIM_400000_NS6detail17trampoline_kernelINS0_14default_configENS1_27lower_bound_config_selectorIdlEEZNS1_14transform_implILb0ES3_S5_N6thrust23THRUST_200600_302600_NS6detail15normal_iteratorINS8_7pointerIdNS8_11hip_rocprim5par_tENS8_11use_defaultESE_EEEENSA_INSB_IlSD_SE_SE_EEEEZNS1_13binary_searchIS3_S5_PdSG_SI_NS1_21lower_bound_search_opENS9_16wrapped_functionI11custom_lessbEEEE10hipError_tPvRmT1_T2_T3_mmT4_T5_P12ihipStream_tbEUlRKdE_EESP_ST_SU_mSV_SY_bEUlT_E_NS1_11comp_targetILNS1_3genE4ELNS1_11target_archE910ELNS1_3gpuE8ELNS1_3repE0EEENS1_30default_config_static_selectorELNS0_4arch9wavefront6targetE0EEEvSS_,comdat
.Lfunc_end6:
	.size	_ZN7rocprim17ROCPRIM_400000_NS6detail17trampoline_kernelINS0_14default_configENS1_27lower_bound_config_selectorIdlEEZNS1_14transform_implILb0ES3_S5_N6thrust23THRUST_200600_302600_NS6detail15normal_iteratorINS8_7pointerIdNS8_11hip_rocprim5par_tENS8_11use_defaultESE_EEEENSA_INSB_IlSD_SE_SE_EEEEZNS1_13binary_searchIS3_S5_PdSG_SI_NS1_21lower_bound_search_opENS9_16wrapped_functionI11custom_lessbEEEE10hipError_tPvRmT1_T2_T3_mmT4_T5_P12ihipStream_tbEUlRKdE_EESP_ST_SU_mSV_SY_bEUlT_E_NS1_11comp_targetILNS1_3genE4ELNS1_11target_archE910ELNS1_3gpuE8ELNS1_3repE0EEENS1_30default_config_static_selectorELNS0_4arch9wavefront6targetE0EEEvSS_, .Lfunc_end6-_ZN7rocprim17ROCPRIM_400000_NS6detail17trampoline_kernelINS0_14default_configENS1_27lower_bound_config_selectorIdlEEZNS1_14transform_implILb0ES3_S5_N6thrust23THRUST_200600_302600_NS6detail15normal_iteratorINS8_7pointerIdNS8_11hip_rocprim5par_tENS8_11use_defaultESE_EEEENSA_INSB_IlSD_SE_SE_EEEEZNS1_13binary_searchIS3_S5_PdSG_SI_NS1_21lower_bound_search_opENS9_16wrapped_functionI11custom_lessbEEEE10hipError_tPvRmT1_T2_T3_mmT4_T5_P12ihipStream_tbEUlRKdE_EESP_ST_SU_mSV_SY_bEUlT_E_NS1_11comp_targetILNS1_3genE4ELNS1_11target_archE910ELNS1_3gpuE8ELNS1_3repE0EEENS1_30default_config_static_selectorELNS0_4arch9wavefront6targetE0EEEvSS_
                                        ; -- End function
	.set _ZN7rocprim17ROCPRIM_400000_NS6detail17trampoline_kernelINS0_14default_configENS1_27lower_bound_config_selectorIdlEEZNS1_14transform_implILb0ES3_S5_N6thrust23THRUST_200600_302600_NS6detail15normal_iteratorINS8_7pointerIdNS8_11hip_rocprim5par_tENS8_11use_defaultESE_EEEENSA_INSB_IlSD_SE_SE_EEEEZNS1_13binary_searchIS3_S5_PdSG_SI_NS1_21lower_bound_search_opENS9_16wrapped_functionI11custom_lessbEEEE10hipError_tPvRmT1_T2_T3_mmT4_T5_P12ihipStream_tbEUlRKdE_EESP_ST_SU_mSV_SY_bEUlT_E_NS1_11comp_targetILNS1_3genE4ELNS1_11target_archE910ELNS1_3gpuE8ELNS1_3repE0EEENS1_30default_config_static_selectorELNS0_4arch9wavefront6targetE0EEEvSS_.num_vgpr, 0
	.set _ZN7rocprim17ROCPRIM_400000_NS6detail17trampoline_kernelINS0_14default_configENS1_27lower_bound_config_selectorIdlEEZNS1_14transform_implILb0ES3_S5_N6thrust23THRUST_200600_302600_NS6detail15normal_iteratorINS8_7pointerIdNS8_11hip_rocprim5par_tENS8_11use_defaultESE_EEEENSA_INSB_IlSD_SE_SE_EEEEZNS1_13binary_searchIS3_S5_PdSG_SI_NS1_21lower_bound_search_opENS9_16wrapped_functionI11custom_lessbEEEE10hipError_tPvRmT1_T2_T3_mmT4_T5_P12ihipStream_tbEUlRKdE_EESP_ST_SU_mSV_SY_bEUlT_E_NS1_11comp_targetILNS1_3genE4ELNS1_11target_archE910ELNS1_3gpuE8ELNS1_3repE0EEENS1_30default_config_static_selectorELNS0_4arch9wavefront6targetE0EEEvSS_.num_agpr, 0
	.set _ZN7rocprim17ROCPRIM_400000_NS6detail17trampoline_kernelINS0_14default_configENS1_27lower_bound_config_selectorIdlEEZNS1_14transform_implILb0ES3_S5_N6thrust23THRUST_200600_302600_NS6detail15normal_iteratorINS8_7pointerIdNS8_11hip_rocprim5par_tENS8_11use_defaultESE_EEEENSA_INSB_IlSD_SE_SE_EEEEZNS1_13binary_searchIS3_S5_PdSG_SI_NS1_21lower_bound_search_opENS9_16wrapped_functionI11custom_lessbEEEE10hipError_tPvRmT1_T2_T3_mmT4_T5_P12ihipStream_tbEUlRKdE_EESP_ST_SU_mSV_SY_bEUlT_E_NS1_11comp_targetILNS1_3genE4ELNS1_11target_archE910ELNS1_3gpuE8ELNS1_3repE0EEENS1_30default_config_static_selectorELNS0_4arch9wavefront6targetE0EEEvSS_.numbered_sgpr, 0
	.set _ZN7rocprim17ROCPRIM_400000_NS6detail17trampoline_kernelINS0_14default_configENS1_27lower_bound_config_selectorIdlEEZNS1_14transform_implILb0ES3_S5_N6thrust23THRUST_200600_302600_NS6detail15normal_iteratorINS8_7pointerIdNS8_11hip_rocprim5par_tENS8_11use_defaultESE_EEEENSA_INSB_IlSD_SE_SE_EEEEZNS1_13binary_searchIS3_S5_PdSG_SI_NS1_21lower_bound_search_opENS9_16wrapped_functionI11custom_lessbEEEE10hipError_tPvRmT1_T2_T3_mmT4_T5_P12ihipStream_tbEUlRKdE_EESP_ST_SU_mSV_SY_bEUlT_E_NS1_11comp_targetILNS1_3genE4ELNS1_11target_archE910ELNS1_3gpuE8ELNS1_3repE0EEENS1_30default_config_static_selectorELNS0_4arch9wavefront6targetE0EEEvSS_.num_named_barrier, 0
	.set _ZN7rocprim17ROCPRIM_400000_NS6detail17trampoline_kernelINS0_14default_configENS1_27lower_bound_config_selectorIdlEEZNS1_14transform_implILb0ES3_S5_N6thrust23THRUST_200600_302600_NS6detail15normal_iteratorINS8_7pointerIdNS8_11hip_rocprim5par_tENS8_11use_defaultESE_EEEENSA_INSB_IlSD_SE_SE_EEEEZNS1_13binary_searchIS3_S5_PdSG_SI_NS1_21lower_bound_search_opENS9_16wrapped_functionI11custom_lessbEEEE10hipError_tPvRmT1_T2_T3_mmT4_T5_P12ihipStream_tbEUlRKdE_EESP_ST_SU_mSV_SY_bEUlT_E_NS1_11comp_targetILNS1_3genE4ELNS1_11target_archE910ELNS1_3gpuE8ELNS1_3repE0EEENS1_30default_config_static_selectorELNS0_4arch9wavefront6targetE0EEEvSS_.private_seg_size, 0
	.set _ZN7rocprim17ROCPRIM_400000_NS6detail17trampoline_kernelINS0_14default_configENS1_27lower_bound_config_selectorIdlEEZNS1_14transform_implILb0ES3_S5_N6thrust23THRUST_200600_302600_NS6detail15normal_iteratorINS8_7pointerIdNS8_11hip_rocprim5par_tENS8_11use_defaultESE_EEEENSA_INSB_IlSD_SE_SE_EEEEZNS1_13binary_searchIS3_S5_PdSG_SI_NS1_21lower_bound_search_opENS9_16wrapped_functionI11custom_lessbEEEE10hipError_tPvRmT1_T2_T3_mmT4_T5_P12ihipStream_tbEUlRKdE_EESP_ST_SU_mSV_SY_bEUlT_E_NS1_11comp_targetILNS1_3genE4ELNS1_11target_archE910ELNS1_3gpuE8ELNS1_3repE0EEENS1_30default_config_static_selectorELNS0_4arch9wavefront6targetE0EEEvSS_.uses_vcc, 0
	.set _ZN7rocprim17ROCPRIM_400000_NS6detail17trampoline_kernelINS0_14default_configENS1_27lower_bound_config_selectorIdlEEZNS1_14transform_implILb0ES3_S5_N6thrust23THRUST_200600_302600_NS6detail15normal_iteratorINS8_7pointerIdNS8_11hip_rocprim5par_tENS8_11use_defaultESE_EEEENSA_INSB_IlSD_SE_SE_EEEEZNS1_13binary_searchIS3_S5_PdSG_SI_NS1_21lower_bound_search_opENS9_16wrapped_functionI11custom_lessbEEEE10hipError_tPvRmT1_T2_T3_mmT4_T5_P12ihipStream_tbEUlRKdE_EESP_ST_SU_mSV_SY_bEUlT_E_NS1_11comp_targetILNS1_3genE4ELNS1_11target_archE910ELNS1_3gpuE8ELNS1_3repE0EEENS1_30default_config_static_selectorELNS0_4arch9wavefront6targetE0EEEvSS_.uses_flat_scratch, 0
	.set _ZN7rocprim17ROCPRIM_400000_NS6detail17trampoline_kernelINS0_14default_configENS1_27lower_bound_config_selectorIdlEEZNS1_14transform_implILb0ES3_S5_N6thrust23THRUST_200600_302600_NS6detail15normal_iteratorINS8_7pointerIdNS8_11hip_rocprim5par_tENS8_11use_defaultESE_EEEENSA_INSB_IlSD_SE_SE_EEEEZNS1_13binary_searchIS3_S5_PdSG_SI_NS1_21lower_bound_search_opENS9_16wrapped_functionI11custom_lessbEEEE10hipError_tPvRmT1_T2_T3_mmT4_T5_P12ihipStream_tbEUlRKdE_EESP_ST_SU_mSV_SY_bEUlT_E_NS1_11comp_targetILNS1_3genE4ELNS1_11target_archE910ELNS1_3gpuE8ELNS1_3repE0EEENS1_30default_config_static_selectorELNS0_4arch9wavefront6targetE0EEEvSS_.has_dyn_sized_stack, 0
	.set _ZN7rocprim17ROCPRIM_400000_NS6detail17trampoline_kernelINS0_14default_configENS1_27lower_bound_config_selectorIdlEEZNS1_14transform_implILb0ES3_S5_N6thrust23THRUST_200600_302600_NS6detail15normal_iteratorINS8_7pointerIdNS8_11hip_rocprim5par_tENS8_11use_defaultESE_EEEENSA_INSB_IlSD_SE_SE_EEEEZNS1_13binary_searchIS3_S5_PdSG_SI_NS1_21lower_bound_search_opENS9_16wrapped_functionI11custom_lessbEEEE10hipError_tPvRmT1_T2_T3_mmT4_T5_P12ihipStream_tbEUlRKdE_EESP_ST_SU_mSV_SY_bEUlT_E_NS1_11comp_targetILNS1_3genE4ELNS1_11target_archE910ELNS1_3gpuE8ELNS1_3repE0EEENS1_30default_config_static_selectorELNS0_4arch9wavefront6targetE0EEEvSS_.has_recursion, 0
	.set _ZN7rocprim17ROCPRIM_400000_NS6detail17trampoline_kernelINS0_14default_configENS1_27lower_bound_config_selectorIdlEEZNS1_14transform_implILb0ES3_S5_N6thrust23THRUST_200600_302600_NS6detail15normal_iteratorINS8_7pointerIdNS8_11hip_rocprim5par_tENS8_11use_defaultESE_EEEENSA_INSB_IlSD_SE_SE_EEEEZNS1_13binary_searchIS3_S5_PdSG_SI_NS1_21lower_bound_search_opENS9_16wrapped_functionI11custom_lessbEEEE10hipError_tPvRmT1_T2_T3_mmT4_T5_P12ihipStream_tbEUlRKdE_EESP_ST_SU_mSV_SY_bEUlT_E_NS1_11comp_targetILNS1_3genE4ELNS1_11target_archE910ELNS1_3gpuE8ELNS1_3repE0EEENS1_30default_config_static_selectorELNS0_4arch9wavefront6targetE0EEEvSS_.has_indirect_call, 0
	.section	.AMDGPU.csdata,"",@progbits
; Kernel info:
; codeLenInByte = 0
; TotalNumSgprs: 0
; NumVgprs: 0
; ScratchSize: 0
; MemoryBound: 0
; FloatMode: 240
; IeeeMode: 1
; LDSByteSize: 0 bytes/workgroup (compile time only)
; SGPRBlocks: 0
; VGPRBlocks: 0
; NumSGPRsForWavesPerEU: 1
; NumVGPRsForWavesPerEU: 1
; Occupancy: 16
; WaveLimiterHint : 0
; COMPUTE_PGM_RSRC2:SCRATCH_EN: 0
; COMPUTE_PGM_RSRC2:USER_SGPR: 6
; COMPUTE_PGM_RSRC2:TRAP_HANDLER: 0
; COMPUTE_PGM_RSRC2:TGID_X_EN: 1
; COMPUTE_PGM_RSRC2:TGID_Y_EN: 0
; COMPUTE_PGM_RSRC2:TGID_Z_EN: 0
; COMPUTE_PGM_RSRC2:TIDIG_COMP_CNT: 0
	.section	.text._ZN7rocprim17ROCPRIM_400000_NS6detail17trampoline_kernelINS0_14default_configENS1_27lower_bound_config_selectorIdlEEZNS1_14transform_implILb0ES3_S5_N6thrust23THRUST_200600_302600_NS6detail15normal_iteratorINS8_7pointerIdNS8_11hip_rocprim5par_tENS8_11use_defaultESE_EEEENSA_INSB_IlSD_SE_SE_EEEEZNS1_13binary_searchIS3_S5_PdSG_SI_NS1_21lower_bound_search_opENS9_16wrapped_functionI11custom_lessbEEEE10hipError_tPvRmT1_T2_T3_mmT4_T5_P12ihipStream_tbEUlRKdE_EESP_ST_SU_mSV_SY_bEUlT_E_NS1_11comp_targetILNS1_3genE3ELNS1_11target_archE908ELNS1_3gpuE7ELNS1_3repE0EEENS1_30default_config_static_selectorELNS0_4arch9wavefront6targetE0EEEvSS_,"axG",@progbits,_ZN7rocprim17ROCPRIM_400000_NS6detail17trampoline_kernelINS0_14default_configENS1_27lower_bound_config_selectorIdlEEZNS1_14transform_implILb0ES3_S5_N6thrust23THRUST_200600_302600_NS6detail15normal_iteratorINS8_7pointerIdNS8_11hip_rocprim5par_tENS8_11use_defaultESE_EEEENSA_INSB_IlSD_SE_SE_EEEEZNS1_13binary_searchIS3_S5_PdSG_SI_NS1_21lower_bound_search_opENS9_16wrapped_functionI11custom_lessbEEEE10hipError_tPvRmT1_T2_T3_mmT4_T5_P12ihipStream_tbEUlRKdE_EESP_ST_SU_mSV_SY_bEUlT_E_NS1_11comp_targetILNS1_3genE3ELNS1_11target_archE908ELNS1_3gpuE7ELNS1_3repE0EEENS1_30default_config_static_selectorELNS0_4arch9wavefront6targetE0EEEvSS_,comdat
	.protected	_ZN7rocprim17ROCPRIM_400000_NS6detail17trampoline_kernelINS0_14default_configENS1_27lower_bound_config_selectorIdlEEZNS1_14transform_implILb0ES3_S5_N6thrust23THRUST_200600_302600_NS6detail15normal_iteratorINS8_7pointerIdNS8_11hip_rocprim5par_tENS8_11use_defaultESE_EEEENSA_INSB_IlSD_SE_SE_EEEEZNS1_13binary_searchIS3_S5_PdSG_SI_NS1_21lower_bound_search_opENS9_16wrapped_functionI11custom_lessbEEEE10hipError_tPvRmT1_T2_T3_mmT4_T5_P12ihipStream_tbEUlRKdE_EESP_ST_SU_mSV_SY_bEUlT_E_NS1_11comp_targetILNS1_3genE3ELNS1_11target_archE908ELNS1_3gpuE7ELNS1_3repE0EEENS1_30default_config_static_selectorELNS0_4arch9wavefront6targetE0EEEvSS_ ; -- Begin function _ZN7rocprim17ROCPRIM_400000_NS6detail17trampoline_kernelINS0_14default_configENS1_27lower_bound_config_selectorIdlEEZNS1_14transform_implILb0ES3_S5_N6thrust23THRUST_200600_302600_NS6detail15normal_iteratorINS8_7pointerIdNS8_11hip_rocprim5par_tENS8_11use_defaultESE_EEEENSA_INSB_IlSD_SE_SE_EEEEZNS1_13binary_searchIS3_S5_PdSG_SI_NS1_21lower_bound_search_opENS9_16wrapped_functionI11custom_lessbEEEE10hipError_tPvRmT1_T2_T3_mmT4_T5_P12ihipStream_tbEUlRKdE_EESP_ST_SU_mSV_SY_bEUlT_E_NS1_11comp_targetILNS1_3genE3ELNS1_11target_archE908ELNS1_3gpuE7ELNS1_3repE0EEENS1_30default_config_static_selectorELNS0_4arch9wavefront6targetE0EEEvSS_
	.globl	_ZN7rocprim17ROCPRIM_400000_NS6detail17trampoline_kernelINS0_14default_configENS1_27lower_bound_config_selectorIdlEEZNS1_14transform_implILb0ES3_S5_N6thrust23THRUST_200600_302600_NS6detail15normal_iteratorINS8_7pointerIdNS8_11hip_rocprim5par_tENS8_11use_defaultESE_EEEENSA_INSB_IlSD_SE_SE_EEEEZNS1_13binary_searchIS3_S5_PdSG_SI_NS1_21lower_bound_search_opENS9_16wrapped_functionI11custom_lessbEEEE10hipError_tPvRmT1_T2_T3_mmT4_T5_P12ihipStream_tbEUlRKdE_EESP_ST_SU_mSV_SY_bEUlT_E_NS1_11comp_targetILNS1_3genE3ELNS1_11target_archE908ELNS1_3gpuE7ELNS1_3repE0EEENS1_30default_config_static_selectorELNS0_4arch9wavefront6targetE0EEEvSS_
	.p2align	8
	.type	_ZN7rocprim17ROCPRIM_400000_NS6detail17trampoline_kernelINS0_14default_configENS1_27lower_bound_config_selectorIdlEEZNS1_14transform_implILb0ES3_S5_N6thrust23THRUST_200600_302600_NS6detail15normal_iteratorINS8_7pointerIdNS8_11hip_rocprim5par_tENS8_11use_defaultESE_EEEENSA_INSB_IlSD_SE_SE_EEEEZNS1_13binary_searchIS3_S5_PdSG_SI_NS1_21lower_bound_search_opENS9_16wrapped_functionI11custom_lessbEEEE10hipError_tPvRmT1_T2_T3_mmT4_T5_P12ihipStream_tbEUlRKdE_EESP_ST_SU_mSV_SY_bEUlT_E_NS1_11comp_targetILNS1_3genE3ELNS1_11target_archE908ELNS1_3gpuE7ELNS1_3repE0EEENS1_30default_config_static_selectorELNS0_4arch9wavefront6targetE0EEEvSS_,@function
_ZN7rocprim17ROCPRIM_400000_NS6detail17trampoline_kernelINS0_14default_configENS1_27lower_bound_config_selectorIdlEEZNS1_14transform_implILb0ES3_S5_N6thrust23THRUST_200600_302600_NS6detail15normal_iteratorINS8_7pointerIdNS8_11hip_rocprim5par_tENS8_11use_defaultESE_EEEENSA_INSB_IlSD_SE_SE_EEEEZNS1_13binary_searchIS3_S5_PdSG_SI_NS1_21lower_bound_search_opENS9_16wrapped_functionI11custom_lessbEEEE10hipError_tPvRmT1_T2_T3_mmT4_T5_P12ihipStream_tbEUlRKdE_EESP_ST_SU_mSV_SY_bEUlT_E_NS1_11comp_targetILNS1_3genE3ELNS1_11target_archE908ELNS1_3gpuE7ELNS1_3repE0EEENS1_30default_config_static_selectorELNS0_4arch9wavefront6targetE0EEEvSS_: ; @_ZN7rocprim17ROCPRIM_400000_NS6detail17trampoline_kernelINS0_14default_configENS1_27lower_bound_config_selectorIdlEEZNS1_14transform_implILb0ES3_S5_N6thrust23THRUST_200600_302600_NS6detail15normal_iteratorINS8_7pointerIdNS8_11hip_rocprim5par_tENS8_11use_defaultESE_EEEENSA_INSB_IlSD_SE_SE_EEEEZNS1_13binary_searchIS3_S5_PdSG_SI_NS1_21lower_bound_search_opENS9_16wrapped_functionI11custom_lessbEEEE10hipError_tPvRmT1_T2_T3_mmT4_T5_P12ihipStream_tbEUlRKdE_EESP_ST_SU_mSV_SY_bEUlT_E_NS1_11comp_targetILNS1_3genE3ELNS1_11target_archE908ELNS1_3gpuE7ELNS1_3repE0EEENS1_30default_config_static_selectorELNS0_4arch9wavefront6targetE0EEEvSS_
; %bb.0:
	.section	.rodata,"a",@progbits
	.p2align	6, 0x0
	.amdhsa_kernel _ZN7rocprim17ROCPRIM_400000_NS6detail17trampoline_kernelINS0_14default_configENS1_27lower_bound_config_selectorIdlEEZNS1_14transform_implILb0ES3_S5_N6thrust23THRUST_200600_302600_NS6detail15normal_iteratorINS8_7pointerIdNS8_11hip_rocprim5par_tENS8_11use_defaultESE_EEEENSA_INSB_IlSD_SE_SE_EEEEZNS1_13binary_searchIS3_S5_PdSG_SI_NS1_21lower_bound_search_opENS9_16wrapped_functionI11custom_lessbEEEE10hipError_tPvRmT1_T2_T3_mmT4_T5_P12ihipStream_tbEUlRKdE_EESP_ST_SU_mSV_SY_bEUlT_E_NS1_11comp_targetILNS1_3genE3ELNS1_11target_archE908ELNS1_3gpuE7ELNS1_3repE0EEENS1_30default_config_static_selectorELNS0_4arch9wavefront6targetE0EEEvSS_
		.amdhsa_group_segment_fixed_size 0
		.amdhsa_private_segment_fixed_size 0
		.amdhsa_kernarg_size 56
		.amdhsa_user_sgpr_count 6
		.amdhsa_user_sgpr_private_segment_buffer 1
		.amdhsa_user_sgpr_dispatch_ptr 0
		.amdhsa_user_sgpr_queue_ptr 0
		.amdhsa_user_sgpr_kernarg_segment_ptr 1
		.amdhsa_user_sgpr_dispatch_id 0
		.amdhsa_user_sgpr_flat_scratch_init 0
		.amdhsa_user_sgpr_private_segment_size 0
		.amdhsa_wavefront_size32 1
		.amdhsa_uses_dynamic_stack 0
		.amdhsa_system_sgpr_private_segment_wavefront_offset 0
		.amdhsa_system_sgpr_workgroup_id_x 1
		.amdhsa_system_sgpr_workgroup_id_y 0
		.amdhsa_system_sgpr_workgroup_id_z 0
		.amdhsa_system_sgpr_workgroup_info 0
		.amdhsa_system_vgpr_workitem_id 0
		.amdhsa_next_free_vgpr 1
		.amdhsa_next_free_sgpr 1
		.amdhsa_reserve_vcc 0
		.amdhsa_reserve_flat_scratch 0
		.amdhsa_float_round_mode_32 0
		.amdhsa_float_round_mode_16_64 0
		.amdhsa_float_denorm_mode_32 3
		.amdhsa_float_denorm_mode_16_64 3
		.amdhsa_dx10_clamp 1
		.amdhsa_ieee_mode 1
		.amdhsa_fp16_overflow 0
		.amdhsa_workgroup_processor_mode 1
		.amdhsa_memory_ordered 1
		.amdhsa_forward_progress 1
		.amdhsa_shared_vgpr_count 0
		.amdhsa_exception_fp_ieee_invalid_op 0
		.amdhsa_exception_fp_denorm_src 0
		.amdhsa_exception_fp_ieee_div_zero 0
		.amdhsa_exception_fp_ieee_overflow 0
		.amdhsa_exception_fp_ieee_underflow 0
		.amdhsa_exception_fp_ieee_inexact 0
		.amdhsa_exception_int_div_zero 0
	.end_amdhsa_kernel
	.section	.text._ZN7rocprim17ROCPRIM_400000_NS6detail17trampoline_kernelINS0_14default_configENS1_27lower_bound_config_selectorIdlEEZNS1_14transform_implILb0ES3_S5_N6thrust23THRUST_200600_302600_NS6detail15normal_iteratorINS8_7pointerIdNS8_11hip_rocprim5par_tENS8_11use_defaultESE_EEEENSA_INSB_IlSD_SE_SE_EEEEZNS1_13binary_searchIS3_S5_PdSG_SI_NS1_21lower_bound_search_opENS9_16wrapped_functionI11custom_lessbEEEE10hipError_tPvRmT1_T2_T3_mmT4_T5_P12ihipStream_tbEUlRKdE_EESP_ST_SU_mSV_SY_bEUlT_E_NS1_11comp_targetILNS1_3genE3ELNS1_11target_archE908ELNS1_3gpuE7ELNS1_3repE0EEENS1_30default_config_static_selectorELNS0_4arch9wavefront6targetE0EEEvSS_,"axG",@progbits,_ZN7rocprim17ROCPRIM_400000_NS6detail17trampoline_kernelINS0_14default_configENS1_27lower_bound_config_selectorIdlEEZNS1_14transform_implILb0ES3_S5_N6thrust23THRUST_200600_302600_NS6detail15normal_iteratorINS8_7pointerIdNS8_11hip_rocprim5par_tENS8_11use_defaultESE_EEEENSA_INSB_IlSD_SE_SE_EEEEZNS1_13binary_searchIS3_S5_PdSG_SI_NS1_21lower_bound_search_opENS9_16wrapped_functionI11custom_lessbEEEE10hipError_tPvRmT1_T2_T3_mmT4_T5_P12ihipStream_tbEUlRKdE_EESP_ST_SU_mSV_SY_bEUlT_E_NS1_11comp_targetILNS1_3genE3ELNS1_11target_archE908ELNS1_3gpuE7ELNS1_3repE0EEENS1_30default_config_static_selectorELNS0_4arch9wavefront6targetE0EEEvSS_,comdat
.Lfunc_end7:
	.size	_ZN7rocprim17ROCPRIM_400000_NS6detail17trampoline_kernelINS0_14default_configENS1_27lower_bound_config_selectorIdlEEZNS1_14transform_implILb0ES3_S5_N6thrust23THRUST_200600_302600_NS6detail15normal_iteratorINS8_7pointerIdNS8_11hip_rocprim5par_tENS8_11use_defaultESE_EEEENSA_INSB_IlSD_SE_SE_EEEEZNS1_13binary_searchIS3_S5_PdSG_SI_NS1_21lower_bound_search_opENS9_16wrapped_functionI11custom_lessbEEEE10hipError_tPvRmT1_T2_T3_mmT4_T5_P12ihipStream_tbEUlRKdE_EESP_ST_SU_mSV_SY_bEUlT_E_NS1_11comp_targetILNS1_3genE3ELNS1_11target_archE908ELNS1_3gpuE7ELNS1_3repE0EEENS1_30default_config_static_selectorELNS0_4arch9wavefront6targetE0EEEvSS_, .Lfunc_end7-_ZN7rocprim17ROCPRIM_400000_NS6detail17trampoline_kernelINS0_14default_configENS1_27lower_bound_config_selectorIdlEEZNS1_14transform_implILb0ES3_S5_N6thrust23THRUST_200600_302600_NS6detail15normal_iteratorINS8_7pointerIdNS8_11hip_rocprim5par_tENS8_11use_defaultESE_EEEENSA_INSB_IlSD_SE_SE_EEEEZNS1_13binary_searchIS3_S5_PdSG_SI_NS1_21lower_bound_search_opENS9_16wrapped_functionI11custom_lessbEEEE10hipError_tPvRmT1_T2_T3_mmT4_T5_P12ihipStream_tbEUlRKdE_EESP_ST_SU_mSV_SY_bEUlT_E_NS1_11comp_targetILNS1_3genE3ELNS1_11target_archE908ELNS1_3gpuE7ELNS1_3repE0EEENS1_30default_config_static_selectorELNS0_4arch9wavefront6targetE0EEEvSS_
                                        ; -- End function
	.set _ZN7rocprim17ROCPRIM_400000_NS6detail17trampoline_kernelINS0_14default_configENS1_27lower_bound_config_selectorIdlEEZNS1_14transform_implILb0ES3_S5_N6thrust23THRUST_200600_302600_NS6detail15normal_iteratorINS8_7pointerIdNS8_11hip_rocprim5par_tENS8_11use_defaultESE_EEEENSA_INSB_IlSD_SE_SE_EEEEZNS1_13binary_searchIS3_S5_PdSG_SI_NS1_21lower_bound_search_opENS9_16wrapped_functionI11custom_lessbEEEE10hipError_tPvRmT1_T2_T3_mmT4_T5_P12ihipStream_tbEUlRKdE_EESP_ST_SU_mSV_SY_bEUlT_E_NS1_11comp_targetILNS1_3genE3ELNS1_11target_archE908ELNS1_3gpuE7ELNS1_3repE0EEENS1_30default_config_static_selectorELNS0_4arch9wavefront6targetE0EEEvSS_.num_vgpr, 0
	.set _ZN7rocprim17ROCPRIM_400000_NS6detail17trampoline_kernelINS0_14default_configENS1_27lower_bound_config_selectorIdlEEZNS1_14transform_implILb0ES3_S5_N6thrust23THRUST_200600_302600_NS6detail15normal_iteratorINS8_7pointerIdNS8_11hip_rocprim5par_tENS8_11use_defaultESE_EEEENSA_INSB_IlSD_SE_SE_EEEEZNS1_13binary_searchIS3_S5_PdSG_SI_NS1_21lower_bound_search_opENS9_16wrapped_functionI11custom_lessbEEEE10hipError_tPvRmT1_T2_T3_mmT4_T5_P12ihipStream_tbEUlRKdE_EESP_ST_SU_mSV_SY_bEUlT_E_NS1_11comp_targetILNS1_3genE3ELNS1_11target_archE908ELNS1_3gpuE7ELNS1_3repE0EEENS1_30default_config_static_selectorELNS0_4arch9wavefront6targetE0EEEvSS_.num_agpr, 0
	.set _ZN7rocprim17ROCPRIM_400000_NS6detail17trampoline_kernelINS0_14default_configENS1_27lower_bound_config_selectorIdlEEZNS1_14transform_implILb0ES3_S5_N6thrust23THRUST_200600_302600_NS6detail15normal_iteratorINS8_7pointerIdNS8_11hip_rocprim5par_tENS8_11use_defaultESE_EEEENSA_INSB_IlSD_SE_SE_EEEEZNS1_13binary_searchIS3_S5_PdSG_SI_NS1_21lower_bound_search_opENS9_16wrapped_functionI11custom_lessbEEEE10hipError_tPvRmT1_T2_T3_mmT4_T5_P12ihipStream_tbEUlRKdE_EESP_ST_SU_mSV_SY_bEUlT_E_NS1_11comp_targetILNS1_3genE3ELNS1_11target_archE908ELNS1_3gpuE7ELNS1_3repE0EEENS1_30default_config_static_selectorELNS0_4arch9wavefront6targetE0EEEvSS_.numbered_sgpr, 0
	.set _ZN7rocprim17ROCPRIM_400000_NS6detail17trampoline_kernelINS0_14default_configENS1_27lower_bound_config_selectorIdlEEZNS1_14transform_implILb0ES3_S5_N6thrust23THRUST_200600_302600_NS6detail15normal_iteratorINS8_7pointerIdNS8_11hip_rocprim5par_tENS8_11use_defaultESE_EEEENSA_INSB_IlSD_SE_SE_EEEEZNS1_13binary_searchIS3_S5_PdSG_SI_NS1_21lower_bound_search_opENS9_16wrapped_functionI11custom_lessbEEEE10hipError_tPvRmT1_T2_T3_mmT4_T5_P12ihipStream_tbEUlRKdE_EESP_ST_SU_mSV_SY_bEUlT_E_NS1_11comp_targetILNS1_3genE3ELNS1_11target_archE908ELNS1_3gpuE7ELNS1_3repE0EEENS1_30default_config_static_selectorELNS0_4arch9wavefront6targetE0EEEvSS_.num_named_barrier, 0
	.set _ZN7rocprim17ROCPRIM_400000_NS6detail17trampoline_kernelINS0_14default_configENS1_27lower_bound_config_selectorIdlEEZNS1_14transform_implILb0ES3_S5_N6thrust23THRUST_200600_302600_NS6detail15normal_iteratorINS8_7pointerIdNS8_11hip_rocprim5par_tENS8_11use_defaultESE_EEEENSA_INSB_IlSD_SE_SE_EEEEZNS1_13binary_searchIS3_S5_PdSG_SI_NS1_21lower_bound_search_opENS9_16wrapped_functionI11custom_lessbEEEE10hipError_tPvRmT1_T2_T3_mmT4_T5_P12ihipStream_tbEUlRKdE_EESP_ST_SU_mSV_SY_bEUlT_E_NS1_11comp_targetILNS1_3genE3ELNS1_11target_archE908ELNS1_3gpuE7ELNS1_3repE0EEENS1_30default_config_static_selectorELNS0_4arch9wavefront6targetE0EEEvSS_.private_seg_size, 0
	.set _ZN7rocprim17ROCPRIM_400000_NS6detail17trampoline_kernelINS0_14default_configENS1_27lower_bound_config_selectorIdlEEZNS1_14transform_implILb0ES3_S5_N6thrust23THRUST_200600_302600_NS6detail15normal_iteratorINS8_7pointerIdNS8_11hip_rocprim5par_tENS8_11use_defaultESE_EEEENSA_INSB_IlSD_SE_SE_EEEEZNS1_13binary_searchIS3_S5_PdSG_SI_NS1_21lower_bound_search_opENS9_16wrapped_functionI11custom_lessbEEEE10hipError_tPvRmT1_T2_T3_mmT4_T5_P12ihipStream_tbEUlRKdE_EESP_ST_SU_mSV_SY_bEUlT_E_NS1_11comp_targetILNS1_3genE3ELNS1_11target_archE908ELNS1_3gpuE7ELNS1_3repE0EEENS1_30default_config_static_selectorELNS0_4arch9wavefront6targetE0EEEvSS_.uses_vcc, 0
	.set _ZN7rocprim17ROCPRIM_400000_NS6detail17trampoline_kernelINS0_14default_configENS1_27lower_bound_config_selectorIdlEEZNS1_14transform_implILb0ES3_S5_N6thrust23THRUST_200600_302600_NS6detail15normal_iteratorINS8_7pointerIdNS8_11hip_rocprim5par_tENS8_11use_defaultESE_EEEENSA_INSB_IlSD_SE_SE_EEEEZNS1_13binary_searchIS3_S5_PdSG_SI_NS1_21lower_bound_search_opENS9_16wrapped_functionI11custom_lessbEEEE10hipError_tPvRmT1_T2_T3_mmT4_T5_P12ihipStream_tbEUlRKdE_EESP_ST_SU_mSV_SY_bEUlT_E_NS1_11comp_targetILNS1_3genE3ELNS1_11target_archE908ELNS1_3gpuE7ELNS1_3repE0EEENS1_30default_config_static_selectorELNS0_4arch9wavefront6targetE0EEEvSS_.uses_flat_scratch, 0
	.set _ZN7rocprim17ROCPRIM_400000_NS6detail17trampoline_kernelINS0_14default_configENS1_27lower_bound_config_selectorIdlEEZNS1_14transform_implILb0ES3_S5_N6thrust23THRUST_200600_302600_NS6detail15normal_iteratorINS8_7pointerIdNS8_11hip_rocprim5par_tENS8_11use_defaultESE_EEEENSA_INSB_IlSD_SE_SE_EEEEZNS1_13binary_searchIS3_S5_PdSG_SI_NS1_21lower_bound_search_opENS9_16wrapped_functionI11custom_lessbEEEE10hipError_tPvRmT1_T2_T3_mmT4_T5_P12ihipStream_tbEUlRKdE_EESP_ST_SU_mSV_SY_bEUlT_E_NS1_11comp_targetILNS1_3genE3ELNS1_11target_archE908ELNS1_3gpuE7ELNS1_3repE0EEENS1_30default_config_static_selectorELNS0_4arch9wavefront6targetE0EEEvSS_.has_dyn_sized_stack, 0
	.set _ZN7rocprim17ROCPRIM_400000_NS6detail17trampoline_kernelINS0_14default_configENS1_27lower_bound_config_selectorIdlEEZNS1_14transform_implILb0ES3_S5_N6thrust23THRUST_200600_302600_NS6detail15normal_iteratorINS8_7pointerIdNS8_11hip_rocprim5par_tENS8_11use_defaultESE_EEEENSA_INSB_IlSD_SE_SE_EEEEZNS1_13binary_searchIS3_S5_PdSG_SI_NS1_21lower_bound_search_opENS9_16wrapped_functionI11custom_lessbEEEE10hipError_tPvRmT1_T2_T3_mmT4_T5_P12ihipStream_tbEUlRKdE_EESP_ST_SU_mSV_SY_bEUlT_E_NS1_11comp_targetILNS1_3genE3ELNS1_11target_archE908ELNS1_3gpuE7ELNS1_3repE0EEENS1_30default_config_static_selectorELNS0_4arch9wavefront6targetE0EEEvSS_.has_recursion, 0
	.set _ZN7rocprim17ROCPRIM_400000_NS6detail17trampoline_kernelINS0_14default_configENS1_27lower_bound_config_selectorIdlEEZNS1_14transform_implILb0ES3_S5_N6thrust23THRUST_200600_302600_NS6detail15normal_iteratorINS8_7pointerIdNS8_11hip_rocprim5par_tENS8_11use_defaultESE_EEEENSA_INSB_IlSD_SE_SE_EEEEZNS1_13binary_searchIS3_S5_PdSG_SI_NS1_21lower_bound_search_opENS9_16wrapped_functionI11custom_lessbEEEE10hipError_tPvRmT1_T2_T3_mmT4_T5_P12ihipStream_tbEUlRKdE_EESP_ST_SU_mSV_SY_bEUlT_E_NS1_11comp_targetILNS1_3genE3ELNS1_11target_archE908ELNS1_3gpuE7ELNS1_3repE0EEENS1_30default_config_static_selectorELNS0_4arch9wavefront6targetE0EEEvSS_.has_indirect_call, 0
	.section	.AMDGPU.csdata,"",@progbits
; Kernel info:
; codeLenInByte = 0
; TotalNumSgprs: 0
; NumVgprs: 0
; ScratchSize: 0
; MemoryBound: 0
; FloatMode: 240
; IeeeMode: 1
; LDSByteSize: 0 bytes/workgroup (compile time only)
; SGPRBlocks: 0
; VGPRBlocks: 0
; NumSGPRsForWavesPerEU: 1
; NumVGPRsForWavesPerEU: 1
; Occupancy: 16
; WaveLimiterHint : 0
; COMPUTE_PGM_RSRC2:SCRATCH_EN: 0
; COMPUTE_PGM_RSRC2:USER_SGPR: 6
; COMPUTE_PGM_RSRC2:TRAP_HANDLER: 0
; COMPUTE_PGM_RSRC2:TGID_X_EN: 1
; COMPUTE_PGM_RSRC2:TGID_Y_EN: 0
; COMPUTE_PGM_RSRC2:TGID_Z_EN: 0
; COMPUTE_PGM_RSRC2:TIDIG_COMP_CNT: 0
	.section	.text._ZN7rocprim17ROCPRIM_400000_NS6detail17trampoline_kernelINS0_14default_configENS1_27lower_bound_config_selectorIdlEEZNS1_14transform_implILb0ES3_S5_N6thrust23THRUST_200600_302600_NS6detail15normal_iteratorINS8_7pointerIdNS8_11hip_rocprim5par_tENS8_11use_defaultESE_EEEENSA_INSB_IlSD_SE_SE_EEEEZNS1_13binary_searchIS3_S5_PdSG_SI_NS1_21lower_bound_search_opENS9_16wrapped_functionI11custom_lessbEEEE10hipError_tPvRmT1_T2_T3_mmT4_T5_P12ihipStream_tbEUlRKdE_EESP_ST_SU_mSV_SY_bEUlT_E_NS1_11comp_targetILNS1_3genE2ELNS1_11target_archE906ELNS1_3gpuE6ELNS1_3repE0EEENS1_30default_config_static_selectorELNS0_4arch9wavefront6targetE0EEEvSS_,"axG",@progbits,_ZN7rocprim17ROCPRIM_400000_NS6detail17trampoline_kernelINS0_14default_configENS1_27lower_bound_config_selectorIdlEEZNS1_14transform_implILb0ES3_S5_N6thrust23THRUST_200600_302600_NS6detail15normal_iteratorINS8_7pointerIdNS8_11hip_rocprim5par_tENS8_11use_defaultESE_EEEENSA_INSB_IlSD_SE_SE_EEEEZNS1_13binary_searchIS3_S5_PdSG_SI_NS1_21lower_bound_search_opENS9_16wrapped_functionI11custom_lessbEEEE10hipError_tPvRmT1_T2_T3_mmT4_T5_P12ihipStream_tbEUlRKdE_EESP_ST_SU_mSV_SY_bEUlT_E_NS1_11comp_targetILNS1_3genE2ELNS1_11target_archE906ELNS1_3gpuE6ELNS1_3repE0EEENS1_30default_config_static_selectorELNS0_4arch9wavefront6targetE0EEEvSS_,comdat
	.protected	_ZN7rocprim17ROCPRIM_400000_NS6detail17trampoline_kernelINS0_14default_configENS1_27lower_bound_config_selectorIdlEEZNS1_14transform_implILb0ES3_S5_N6thrust23THRUST_200600_302600_NS6detail15normal_iteratorINS8_7pointerIdNS8_11hip_rocprim5par_tENS8_11use_defaultESE_EEEENSA_INSB_IlSD_SE_SE_EEEEZNS1_13binary_searchIS3_S5_PdSG_SI_NS1_21lower_bound_search_opENS9_16wrapped_functionI11custom_lessbEEEE10hipError_tPvRmT1_T2_T3_mmT4_T5_P12ihipStream_tbEUlRKdE_EESP_ST_SU_mSV_SY_bEUlT_E_NS1_11comp_targetILNS1_3genE2ELNS1_11target_archE906ELNS1_3gpuE6ELNS1_3repE0EEENS1_30default_config_static_selectorELNS0_4arch9wavefront6targetE0EEEvSS_ ; -- Begin function _ZN7rocprim17ROCPRIM_400000_NS6detail17trampoline_kernelINS0_14default_configENS1_27lower_bound_config_selectorIdlEEZNS1_14transform_implILb0ES3_S5_N6thrust23THRUST_200600_302600_NS6detail15normal_iteratorINS8_7pointerIdNS8_11hip_rocprim5par_tENS8_11use_defaultESE_EEEENSA_INSB_IlSD_SE_SE_EEEEZNS1_13binary_searchIS3_S5_PdSG_SI_NS1_21lower_bound_search_opENS9_16wrapped_functionI11custom_lessbEEEE10hipError_tPvRmT1_T2_T3_mmT4_T5_P12ihipStream_tbEUlRKdE_EESP_ST_SU_mSV_SY_bEUlT_E_NS1_11comp_targetILNS1_3genE2ELNS1_11target_archE906ELNS1_3gpuE6ELNS1_3repE0EEENS1_30default_config_static_selectorELNS0_4arch9wavefront6targetE0EEEvSS_
	.globl	_ZN7rocprim17ROCPRIM_400000_NS6detail17trampoline_kernelINS0_14default_configENS1_27lower_bound_config_selectorIdlEEZNS1_14transform_implILb0ES3_S5_N6thrust23THRUST_200600_302600_NS6detail15normal_iteratorINS8_7pointerIdNS8_11hip_rocprim5par_tENS8_11use_defaultESE_EEEENSA_INSB_IlSD_SE_SE_EEEEZNS1_13binary_searchIS3_S5_PdSG_SI_NS1_21lower_bound_search_opENS9_16wrapped_functionI11custom_lessbEEEE10hipError_tPvRmT1_T2_T3_mmT4_T5_P12ihipStream_tbEUlRKdE_EESP_ST_SU_mSV_SY_bEUlT_E_NS1_11comp_targetILNS1_3genE2ELNS1_11target_archE906ELNS1_3gpuE6ELNS1_3repE0EEENS1_30default_config_static_selectorELNS0_4arch9wavefront6targetE0EEEvSS_
	.p2align	8
	.type	_ZN7rocprim17ROCPRIM_400000_NS6detail17trampoline_kernelINS0_14default_configENS1_27lower_bound_config_selectorIdlEEZNS1_14transform_implILb0ES3_S5_N6thrust23THRUST_200600_302600_NS6detail15normal_iteratorINS8_7pointerIdNS8_11hip_rocprim5par_tENS8_11use_defaultESE_EEEENSA_INSB_IlSD_SE_SE_EEEEZNS1_13binary_searchIS3_S5_PdSG_SI_NS1_21lower_bound_search_opENS9_16wrapped_functionI11custom_lessbEEEE10hipError_tPvRmT1_T2_T3_mmT4_T5_P12ihipStream_tbEUlRKdE_EESP_ST_SU_mSV_SY_bEUlT_E_NS1_11comp_targetILNS1_3genE2ELNS1_11target_archE906ELNS1_3gpuE6ELNS1_3repE0EEENS1_30default_config_static_selectorELNS0_4arch9wavefront6targetE0EEEvSS_,@function
_ZN7rocprim17ROCPRIM_400000_NS6detail17trampoline_kernelINS0_14default_configENS1_27lower_bound_config_selectorIdlEEZNS1_14transform_implILb0ES3_S5_N6thrust23THRUST_200600_302600_NS6detail15normal_iteratorINS8_7pointerIdNS8_11hip_rocprim5par_tENS8_11use_defaultESE_EEEENSA_INSB_IlSD_SE_SE_EEEEZNS1_13binary_searchIS3_S5_PdSG_SI_NS1_21lower_bound_search_opENS9_16wrapped_functionI11custom_lessbEEEE10hipError_tPvRmT1_T2_T3_mmT4_T5_P12ihipStream_tbEUlRKdE_EESP_ST_SU_mSV_SY_bEUlT_E_NS1_11comp_targetILNS1_3genE2ELNS1_11target_archE906ELNS1_3gpuE6ELNS1_3repE0EEENS1_30default_config_static_selectorELNS0_4arch9wavefront6targetE0EEEvSS_: ; @_ZN7rocprim17ROCPRIM_400000_NS6detail17trampoline_kernelINS0_14default_configENS1_27lower_bound_config_selectorIdlEEZNS1_14transform_implILb0ES3_S5_N6thrust23THRUST_200600_302600_NS6detail15normal_iteratorINS8_7pointerIdNS8_11hip_rocprim5par_tENS8_11use_defaultESE_EEEENSA_INSB_IlSD_SE_SE_EEEEZNS1_13binary_searchIS3_S5_PdSG_SI_NS1_21lower_bound_search_opENS9_16wrapped_functionI11custom_lessbEEEE10hipError_tPvRmT1_T2_T3_mmT4_T5_P12ihipStream_tbEUlRKdE_EESP_ST_SU_mSV_SY_bEUlT_E_NS1_11comp_targetILNS1_3genE2ELNS1_11target_archE906ELNS1_3gpuE6ELNS1_3repE0EEENS1_30default_config_static_selectorELNS0_4arch9wavefront6targetE0EEEvSS_
; %bb.0:
	.section	.rodata,"a",@progbits
	.p2align	6, 0x0
	.amdhsa_kernel _ZN7rocprim17ROCPRIM_400000_NS6detail17trampoline_kernelINS0_14default_configENS1_27lower_bound_config_selectorIdlEEZNS1_14transform_implILb0ES3_S5_N6thrust23THRUST_200600_302600_NS6detail15normal_iteratorINS8_7pointerIdNS8_11hip_rocprim5par_tENS8_11use_defaultESE_EEEENSA_INSB_IlSD_SE_SE_EEEEZNS1_13binary_searchIS3_S5_PdSG_SI_NS1_21lower_bound_search_opENS9_16wrapped_functionI11custom_lessbEEEE10hipError_tPvRmT1_T2_T3_mmT4_T5_P12ihipStream_tbEUlRKdE_EESP_ST_SU_mSV_SY_bEUlT_E_NS1_11comp_targetILNS1_3genE2ELNS1_11target_archE906ELNS1_3gpuE6ELNS1_3repE0EEENS1_30default_config_static_selectorELNS0_4arch9wavefront6targetE0EEEvSS_
		.amdhsa_group_segment_fixed_size 0
		.amdhsa_private_segment_fixed_size 0
		.amdhsa_kernarg_size 56
		.amdhsa_user_sgpr_count 6
		.amdhsa_user_sgpr_private_segment_buffer 1
		.amdhsa_user_sgpr_dispatch_ptr 0
		.amdhsa_user_sgpr_queue_ptr 0
		.amdhsa_user_sgpr_kernarg_segment_ptr 1
		.amdhsa_user_sgpr_dispatch_id 0
		.amdhsa_user_sgpr_flat_scratch_init 0
		.amdhsa_user_sgpr_private_segment_size 0
		.amdhsa_wavefront_size32 1
		.amdhsa_uses_dynamic_stack 0
		.amdhsa_system_sgpr_private_segment_wavefront_offset 0
		.amdhsa_system_sgpr_workgroup_id_x 1
		.amdhsa_system_sgpr_workgroup_id_y 0
		.amdhsa_system_sgpr_workgroup_id_z 0
		.amdhsa_system_sgpr_workgroup_info 0
		.amdhsa_system_vgpr_workitem_id 0
		.amdhsa_next_free_vgpr 1
		.amdhsa_next_free_sgpr 1
		.amdhsa_reserve_vcc 0
		.amdhsa_reserve_flat_scratch 0
		.amdhsa_float_round_mode_32 0
		.amdhsa_float_round_mode_16_64 0
		.amdhsa_float_denorm_mode_32 3
		.amdhsa_float_denorm_mode_16_64 3
		.amdhsa_dx10_clamp 1
		.amdhsa_ieee_mode 1
		.amdhsa_fp16_overflow 0
		.amdhsa_workgroup_processor_mode 1
		.amdhsa_memory_ordered 1
		.amdhsa_forward_progress 1
		.amdhsa_shared_vgpr_count 0
		.amdhsa_exception_fp_ieee_invalid_op 0
		.amdhsa_exception_fp_denorm_src 0
		.amdhsa_exception_fp_ieee_div_zero 0
		.amdhsa_exception_fp_ieee_overflow 0
		.amdhsa_exception_fp_ieee_underflow 0
		.amdhsa_exception_fp_ieee_inexact 0
		.amdhsa_exception_int_div_zero 0
	.end_amdhsa_kernel
	.section	.text._ZN7rocprim17ROCPRIM_400000_NS6detail17trampoline_kernelINS0_14default_configENS1_27lower_bound_config_selectorIdlEEZNS1_14transform_implILb0ES3_S5_N6thrust23THRUST_200600_302600_NS6detail15normal_iteratorINS8_7pointerIdNS8_11hip_rocprim5par_tENS8_11use_defaultESE_EEEENSA_INSB_IlSD_SE_SE_EEEEZNS1_13binary_searchIS3_S5_PdSG_SI_NS1_21lower_bound_search_opENS9_16wrapped_functionI11custom_lessbEEEE10hipError_tPvRmT1_T2_T3_mmT4_T5_P12ihipStream_tbEUlRKdE_EESP_ST_SU_mSV_SY_bEUlT_E_NS1_11comp_targetILNS1_3genE2ELNS1_11target_archE906ELNS1_3gpuE6ELNS1_3repE0EEENS1_30default_config_static_selectorELNS0_4arch9wavefront6targetE0EEEvSS_,"axG",@progbits,_ZN7rocprim17ROCPRIM_400000_NS6detail17trampoline_kernelINS0_14default_configENS1_27lower_bound_config_selectorIdlEEZNS1_14transform_implILb0ES3_S5_N6thrust23THRUST_200600_302600_NS6detail15normal_iteratorINS8_7pointerIdNS8_11hip_rocprim5par_tENS8_11use_defaultESE_EEEENSA_INSB_IlSD_SE_SE_EEEEZNS1_13binary_searchIS3_S5_PdSG_SI_NS1_21lower_bound_search_opENS9_16wrapped_functionI11custom_lessbEEEE10hipError_tPvRmT1_T2_T3_mmT4_T5_P12ihipStream_tbEUlRKdE_EESP_ST_SU_mSV_SY_bEUlT_E_NS1_11comp_targetILNS1_3genE2ELNS1_11target_archE906ELNS1_3gpuE6ELNS1_3repE0EEENS1_30default_config_static_selectorELNS0_4arch9wavefront6targetE0EEEvSS_,comdat
.Lfunc_end8:
	.size	_ZN7rocprim17ROCPRIM_400000_NS6detail17trampoline_kernelINS0_14default_configENS1_27lower_bound_config_selectorIdlEEZNS1_14transform_implILb0ES3_S5_N6thrust23THRUST_200600_302600_NS6detail15normal_iteratorINS8_7pointerIdNS8_11hip_rocprim5par_tENS8_11use_defaultESE_EEEENSA_INSB_IlSD_SE_SE_EEEEZNS1_13binary_searchIS3_S5_PdSG_SI_NS1_21lower_bound_search_opENS9_16wrapped_functionI11custom_lessbEEEE10hipError_tPvRmT1_T2_T3_mmT4_T5_P12ihipStream_tbEUlRKdE_EESP_ST_SU_mSV_SY_bEUlT_E_NS1_11comp_targetILNS1_3genE2ELNS1_11target_archE906ELNS1_3gpuE6ELNS1_3repE0EEENS1_30default_config_static_selectorELNS0_4arch9wavefront6targetE0EEEvSS_, .Lfunc_end8-_ZN7rocprim17ROCPRIM_400000_NS6detail17trampoline_kernelINS0_14default_configENS1_27lower_bound_config_selectorIdlEEZNS1_14transform_implILb0ES3_S5_N6thrust23THRUST_200600_302600_NS6detail15normal_iteratorINS8_7pointerIdNS8_11hip_rocprim5par_tENS8_11use_defaultESE_EEEENSA_INSB_IlSD_SE_SE_EEEEZNS1_13binary_searchIS3_S5_PdSG_SI_NS1_21lower_bound_search_opENS9_16wrapped_functionI11custom_lessbEEEE10hipError_tPvRmT1_T2_T3_mmT4_T5_P12ihipStream_tbEUlRKdE_EESP_ST_SU_mSV_SY_bEUlT_E_NS1_11comp_targetILNS1_3genE2ELNS1_11target_archE906ELNS1_3gpuE6ELNS1_3repE0EEENS1_30default_config_static_selectorELNS0_4arch9wavefront6targetE0EEEvSS_
                                        ; -- End function
	.set _ZN7rocprim17ROCPRIM_400000_NS6detail17trampoline_kernelINS0_14default_configENS1_27lower_bound_config_selectorIdlEEZNS1_14transform_implILb0ES3_S5_N6thrust23THRUST_200600_302600_NS6detail15normal_iteratorINS8_7pointerIdNS8_11hip_rocprim5par_tENS8_11use_defaultESE_EEEENSA_INSB_IlSD_SE_SE_EEEEZNS1_13binary_searchIS3_S5_PdSG_SI_NS1_21lower_bound_search_opENS9_16wrapped_functionI11custom_lessbEEEE10hipError_tPvRmT1_T2_T3_mmT4_T5_P12ihipStream_tbEUlRKdE_EESP_ST_SU_mSV_SY_bEUlT_E_NS1_11comp_targetILNS1_3genE2ELNS1_11target_archE906ELNS1_3gpuE6ELNS1_3repE0EEENS1_30default_config_static_selectorELNS0_4arch9wavefront6targetE0EEEvSS_.num_vgpr, 0
	.set _ZN7rocprim17ROCPRIM_400000_NS6detail17trampoline_kernelINS0_14default_configENS1_27lower_bound_config_selectorIdlEEZNS1_14transform_implILb0ES3_S5_N6thrust23THRUST_200600_302600_NS6detail15normal_iteratorINS8_7pointerIdNS8_11hip_rocprim5par_tENS8_11use_defaultESE_EEEENSA_INSB_IlSD_SE_SE_EEEEZNS1_13binary_searchIS3_S5_PdSG_SI_NS1_21lower_bound_search_opENS9_16wrapped_functionI11custom_lessbEEEE10hipError_tPvRmT1_T2_T3_mmT4_T5_P12ihipStream_tbEUlRKdE_EESP_ST_SU_mSV_SY_bEUlT_E_NS1_11comp_targetILNS1_3genE2ELNS1_11target_archE906ELNS1_3gpuE6ELNS1_3repE0EEENS1_30default_config_static_selectorELNS0_4arch9wavefront6targetE0EEEvSS_.num_agpr, 0
	.set _ZN7rocprim17ROCPRIM_400000_NS6detail17trampoline_kernelINS0_14default_configENS1_27lower_bound_config_selectorIdlEEZNS1_14transform_implILb0ES3_S5_N6thrust23THRUST_200600_302600_NS6detail15normal_iteratorINS8_7pointerIdNS8_11hip_rocprim5par_tENS8_11use_defaultESE_EEEENSA_INSB_IlSD_SE_SE_EEEEZNS1_13binary_searchIS3_S5_PdSG_SI_NS1_21lower_bound_search_opENS9_16wrapped_functionI11custom_lessbEEEE10hipError_tPvRmT1_T2_T3_mmT4_T5_P12ihipStream_tbEUlRKdE_EESP_ST_SU_mSV_SY_bEUlT_E_NS1_11comp_targetILNS1_3genE2ELNS1_11target_archE906ELNS1_3gpuE6ELNS1_3repE0EEENS1_30default_config_static_selectorELNS0_4arch9wavefront6targetE0EEEvSS_.numbered_sgpr, 0
	.set _ZN7rocprim17ROCPRIM_400000_NS6detail17trampoline_kernelINS0_14default_configENS1_27lower_bound_config_selectorIdlEEZNS1_14transform_implILb0ES3_S5_N6thrust23THRUST_200600_302600_NS6detail15normal_iteratorINS8_7pointerIdNS8_11hip_rocprim5par_tENS8_11use_defaultESE_EEEENSA_INSB_IlSD_SE_SE_EEEEZNS1_13binary_searchIS3_S5_PdSG_SI_NS1_21lower_bound_search_opENS9_16wrapped_functionI11custom_lessbEEEE10hipError_tPvRmT1_T2_T3_mmT4_T5_P12ihipStream_tbEUlRKdE_EESP_ST_SU_mSV_SY_bEUlT_E_NS1_11comp_targetILNS1_3genE2ELNS1_11target_archE906ELNS1_3gpuE6ELNS1_3repE0EEENS1_30default_config_static_selectorELNS0_4arch9wavefront6targetE0EEEvSS_.num_named_barrier, 0
	.set _ZN7rocprim17ROCPRIM_400000_NS6detail17trampoline_kernelINS0_14default_configENS1_27lower_bound_config_selectorIdlEEZNS1_14transform_implILb0ES3_S5_N6thrust23THRUST_200600_302600_NS6detail15normal_iteratorINS8_7pointerIdNS8_11hip_rocprim5par_tENS8_11use_defaultESE_EEEENSA_INSB_IlSD_SE_SE_EEEEZNS1_13binary_searchIS3_S5_PdSG_SI_NS1_21lower_bound_search_opENS9_16wrapped_functionI11custom_lessbEEEE10hipError_tPvRmT1_T2_T3_mmT4_T5_P12ihipStream_tbEUlRKdE_EESP_ST_SU_mSV_SY_bEUlT_E_NS1_11comp_targetILNS1_3genE2ELNS1_11target_archE906ELNS1_3gpuE6ELNS1_3repE0EEENS1_30default_config_static_selectorELNS0_4arch9wavefront6targetE0EEEvSS_.private_seg_size, 0
	.set _ZN7rocprim17ROCPRIM_400000_NS6detail17trampoline_kernelINS0_14default_configENS1_27lower_bound_config_selectorIdlEEZNS1_14transform_implILb0ES3_S5_N6thrust23THRUST_200600_302600_NS6detail15normal_iteratorINS8_7pointerIdNS8_11hip_rocprim5par_tENS8_11use_defaultESE_EEEENSA_INSB_IlSD_SE_SE_EEEEZNS1_13binary_searchIS3_S5_PdSG_SI_NS1_21lower_bound_search_opENS9_16wrapped_functionI11custom_lessbEEEE10hipError_tPvRmT1_T2_T3_mmT4_T5_P12ihipStream_tbEUlRKdE_EESP_ST_SU_mSV_SY_bEUlT_E_NS1_11comp_targetILNS1_3genE2ELNS1_11target_archE906ELNS1_3gpuE6ELNS1_3repE0EEENS1_30default_config_static_selectorELNS0_4arch9wavefront6targetE0EEEvSS_.uses_vcc, 0
	.set _ZN7rocprim17ROCPRIM_400000_NS6detail17trampoline_kernelINS0_14default_configENS1_27lower_bound_config_selectorIdlEEZNS1_14transform_implILb0ES3_S5_N6thrust23THRUST_200600_302600_NS6detail15normal_iteratorINS8_7pointerIdNS8_11hip_rocprim5par_tENS8_11use_defaultESE_EEEENSA_INSB_IlSD_SE_SE_EEEEZNS1_13binary_searchIS3_S5_PdSG_SI_NS1_21lower_bound_search_opENS9_16wrapped_functionI11custom_lessbEEEE10hipError_tPvRmT1_T2_T3_mmT4_T5_P12ihipStream_tbEUlRKdE_EESP_ST_SU_mSV_SY_bEUlT_E_NS1_11comp_targetILNS1_3genE2ELNS1_11target_archE906ELNS1_3gpuE6ELNS1_3repE0EEENS1_30default_config_static_selectorELNS0_4arch9wavefront6targetE0EEEvSS_.uses_flat_scratch, 0
	.set _ZN7rocprim17ROCPRIM_400000_NS6detail17trampoline_kernelINS0_14default_configENS1_27lower_bound_config_selectorIdlEEZNS1_14transform_implILb0ES3_S5_N6thrust23THRUST_200600_302600_NS6detail15normal_iteratorINS8_7pointerIdNS8_11hip_rocprim5par_tENS8_11use_defaultESE_EEEENSA_INSB_IlSD_SE_SE_EEEEZNS1_13binary_searchIS3_S5_PdSG_SI_NS1_21lower_bound_search_opENS9_16wrapped_functionI11custom_lessbEEEE10hipError_tPvRmT1_T2_T3_mmT4_T5_P12ihipStream_tbEUlRKdE_EESP_ST_SU_mSV_SY_bEUlT_E_NS1_11comp_targetILNS1_3genE2ELNS1_11target_archE906ELNS1_3gpuE6ELNS1_3repE0EEENS1_30default_config_static_selectorELNS0_4arch9wavefront6targetE0EEEvSS_.has_dyn_sized_stack, 0
	.set _ZN7rocprim17ROCPRIM_400000_NS6detail17trampoline_kernelINS0_14default_configENS1_27lower_bound_config_selectorIdlEEZNS1_14transform_implILb0ES3_S5_N6thrust23THRUST_200600_302600_NS6detail15normal_iteratorINS8_7pointerIdNS8_11hip_rocprim5par_tENS8_11use_defaultESE_EEEENSA_INSB_IlSD_SE_SE_EEEEZNS1_13binary_searchIS3_S5_PdSG_SI_NS1_21lower_bound_search_opENS9_16wrapped_functionI11custom_lessbEEEE10hipError_tPvRmT1_T2_T3_mmT4_T5_P12ihipStream_tbEUlRKdE_EESP_ST_SU_mSV_SY_bEUlT_E_NS1_11comp_targetILNS1_3genE2ELNS1_11target_archE906ELNS1_3gpuE6ELNS1_3repE0EEENS1_30default_config_static_selectorELNS0_4arch9wavefront6targetE0EEEvSS_.has_recursion, 0
	.set _ZN7rocprim17ROCPRIM_400000_NS6detail17trampoline_kernelINS0_14default_configENS1_27lower_bound_config_selectorIdlEEZNS1_14transform_implILb0ES3_S5_N6thrust23THRUST_200600_302600_NS6detail15normal_iteratorINS8_7pointerIdNS8_11hip_rocprim5par_tENS8_11use_defaultESE_EEEENSA_INSB_IlSD_SE_SE_EEEEZNS1_13binary_searchIS3_S5_PdSG_SI_NS1_21lower_bound_search_opENS9_16wrapped_functionI11custom_lessbEEEE10hipError_tPvRmT1_T2_T3_mmT4_T5_P12ihipStream_tbEUlRKdE_EESP_ST_SU_mSV_SY_bEUlT_E_NS1_11comp_targetILNS1_3genE2ELNS1_11target_archE906ELNS1_3gpuE6ELNS1_3repE0EEENS1_30default_config_static_selectorELNS0_4arch9wavefront6targetE0EEEvSS_.has_indirect_call, 0
	.section	.AMDGPU.csdata,"",@progbits
; Kernel info:
; codeLenInByte = 0
; TotalNumSgprs: 0
; NumVgprs: 0
; ScratchSize: 0
; MemoryBound: 0
; FloatMode: 240
; IeeeMode: 1
; LDSByteSize: 0 bytes/workgroup (compile time only)
; SGPRBlocks: 0
; VGPRBlocks: 0
; NumSGPRsForWavesPerEU: 1
; NumVGPRsForWavesPerEU: 1
; Occupancy: 16
; WaveLimiterHint : 0
; COMPUTE_PGM_RSRC2:SCRATCH_EN: 0
; COMPUTE_PGM_RSRC2:USER_SGPR: 6
; COMPUTE_PGM_RSRC2:TRAP_HANDLER: 0
; COMPUTE_PGM_RSRC2:TGID_X_EN: 1
; COMPUTE_PGM_RSRC2:TGID_Y_EN: 0
; COMPUTE_PGM_RSRC2:TGID_Z_EN: 0
; COMPUTE_PGM_RSRC2:TIDIG_COMP_CNT: 0
	.section	.text._ZN7rocprim17ROCPRIM_400000_NS6detail17trampoline_kernelINS0_14default_configENS1_27lower_bound_config_selectorIdlEEZNS1_14transform_implILb0ES3_S5_N6thrust23THRUST_200600_302600_NS6detail15normal_iteratorINS8_7pointerIdNS8_11hip_rocprim5par_tENS8_11use_defaultESE_EEEENSA_INSB_IlSD_SE_SE_EEEEZNS1_13binary_searchIS3_S5_PdSG_SI_NS1_21lower_bound_search_opENS9_16wrapped_functionI11custom_lessbEEEE10hipError_tPvRmT1_T2_T3_mmT4_T5_P12ihipStream_tbEUlRKdE_EESP_ST_SU_mSV_SY_bEUlT_E_NS1_11comp_targetILNS1_3genE10ELNS1_11target_archE1201ELNS1_3gpuE5ELNS1_3repE0EEENS1_30default_config_static_selectorELNS0_4arch9wavefront6targetE0EEEvSS_,"axG",@progbits,_ZN7rocprim17ROCPRIM_400000_NS6detail17trampoline_kernelINS0_14default_configENS1_27lower_bound_config_selectorIdlEEZNS1_14transform_implILb0ES3_S5_N6thrust23THRUST_200600_302600_NS6detail15normal_iteratorINS8_7pointerIdNS8_11hip_rocprim5par_tENS8_11use_defaultESE_EEEENSA_INSB_IlSD_SE_SE_EEEEZNS1_13binary_searchIS3_S5_PdSG_SI_NS1_21lower_bound_search_opENS9_16wrapped_functionI11custom_lessbEEEE10hipError_tPvRmT1_T2_T3_mmT4_T5_P12ihipStream_tbEUlRKdE_EESP_ST_SU_mSV_SY_bEUlT_E_NS1_11comp_targetILNS1_3genE10ELNS1_11target_archE1201ELNS1_3gpuE5ELNS1_3repE0EEENS1_30default_config_static_selectorELNS0_4arch9wavefront6targetE0EEEvSS_,comdat
	.protected	_ZN7rocprim17ROCPRIM_400000_NS6detail17trampoline_kernelINS0_14default_configENS1_27lower_bound_config_selectorIdlEEZNS1_14transform_implILb0ES3_S5_N6thrust23THRUST_200600_302600_NS6detail15normal_iteratorINS8_7pointerIdNS8_11hip_rocprim5par_tENS8_11use_defaultESE_EEEENSA_INSB_IlSD_SE_SE_EEEEZNS1_13binary_searchIS3_S5_PdSG_SI_NS1_21lower_bound_search_opENS9_16wrapped_functionI11custom_lessbEEEE10hipError_tPvRmT1_T2_T3_mmT4_T5_P12ihipStream_tbEUlRKdE_EESP_ST_SU_mSV_SY_bEUlT_E_NS1_11comp_targetILNS1_3genE10ELNS1_11target_archE1201ELNS1_3gpuE5ELNS1_3repE0EEENS1_30default_config_static_selectorELNS0_4arch9wavefront6targetE0EEEvSS_ ; -- Begin function _ZN7rocprim17ROCPRIM_400000_NS6detail17trampoline_kernelINS0_14default_configENS1_27lower_bound_config_selectorIdlEEZNS1_14transform_implILb0ES3_S5_N6thrust23THRUST_200600_302600_NS6detail15normal_iteratorINS8_7pointerIdNS8_11hip_rocprim5par_tENS8_11use_defaultESE_EEEENSA_INSB_IlSD_SE_SE_EEEEZNS1_13binary_searchIS3_S5_PdSG_SI_NS1_21lower_bound_search_opENS9_16wrapped_functionI11custom_lessbEEEE10hipError_tPvRmT1_T2_T3_mmT4_T5_P12ihipStream_tbEUlRKdE_EESP_ST_SU_mSV_SY_bEUlT_E_NS1_11comp_targetILNS1_3genE10ELNS1_11target_archE1201ELNS1_3gpuE5ELNS1_3repE0EEENS1_30default_config_static_selectorELNS0_4arch9wavefront6targetE0EEEvSS_
	.globl	_ZN7rocprim17ROCPRIM_400000_NS6detail17trampoline_kernelINS0_14default_configENS1_27lower_bound_config_selectorIdlEEZNS1_14transform_implILb0ES3_S5_N6thrust23THRUST_200600_302600_NS6detail15normal_iteratorINS8_7pointerIdNS8_11hip_rocprim5par_tENS8_11use_defaultESE_EEEENSA_INSB_IlSD_SE_SE_EEEEZNS1_13binary_searchIS3_S5_PdSG_SI_NS1_21lower_bound_search_opENS9_16wrapped_functionI11custom_lessbEEEE10hipError_tPvRmT1_T2_T3_mmT4_T5_P12ihipStream_tbEUlRKdE_EESP_ST_SU_mSV_SY_bEUlT_E_NS1_11comp_targetILNS1_3genE10ELNS1_11target_archE1201ELNS1_3gpuE5ELNS1_3repE0EEENS1_30default_config_static_selectorELNS0_4arch9wavefront6targetE0EEEvSS_
	.p2align	8
	.type	_ZN7rocprim17ROCPRIM_400000_NS6detail17trampoline_kernelINS0_14default_configENS1_27lower_bound_config_selectorIdlEEZNS1_14transform_implILb0ES3_S5_N6thrust23THRUST_200600_302600_NS6detail15normal_iteratorINS8_7pointerIdNS8_11hip_rocprim5par_tENS8_11use_defaultESE_EEEENSA_INSB_IlSD_SE_SE_EEEEZNS1_13binary_searchIS3_S5_PdSG_SI_NS1_21lower_bound_search_opENS9_16wrapped_functionI11custom_lessbEEEE10hipError_tPvRmT1_T2_T3_mmT4_T5_P12ihipStream_tbEUlRKdE_EESP_ST_SU_mSV_SY_bEUlT_E_NS1_11comp_targetILNS1_3genE10ELNS1_11target_archE1201ELNS1_3gpuE5ELNS1_3repE0EEENS1_30default_config_static_selectorELNS0_4arch9wavefront6targetE0EEEvSS_,@function
_ZN7rocprim17ROCPRIM_400000_NS6detail17trampoline_kernelINS0_14default_configENS1_27lower_bound_config_selectorIdlEEZNS1_14transform_implILb0ES3_S5_N6thrust23THRUST_200600_302600_NS6detail15normal_iteratorINS8_7pointerIdNS8_11hip_rocprim5par_tENS8_11use_defaultESE_EEEENSA_INSB_IlSD_SE_SE_EEEEZNS1_13binary_searchIS3_S5_PdSG_SI_NS1_21lower_bound_search_opENS9_16wrapped_functionI11custom_lessbEEEE10hipError_tPvRmT1_T2_T3_mmT4_T5_P12ihipStream_tbEUlRKdE_EESP_ST_SU_mSV_SY_bEUlT_E_NS1_11comp_targetILNS1_3genE10ELNS1_11target_archE1201ELNS1_3gpuE5ELNS1_3repE0EEENS1_30default_config_static_selectorELNS0_4arch9wavefront6targetE0EEEvSS_: ; @_ZN7rocprim17ROCPRIM_400000_NS6detail17trampoline_kernelINS0_14default_configENS1_27lower_bound_config_selectorIdlEEZNS1_14transform_implILb0ES3_S5_N6thrust23THRUST_200600_302600_NS6detail15normal_iteratorINS8_7pointerIdNS8_11hip_rocprim5par_tENS8_11use_defaultESE_EEEENSA_INSB_IlSD_SE_SE_EEEEZNS1_13binary_searchIS3_S5_PdSG_SI_NS1_21lower_bound_search_opENS9_16wrapped_functionI11custom_lessbEEEE10hipError_tPvRmT1_T2_T3_mmT4_T5_P12ihipStream_tbEUlRKdE_EESP_ST_SU_mSV_SY_bEUlT_E_NS1_11comp_targetILNS1_3genE10ELNS1_11target_archE1201ELNS1_3gpuE5ELNS1_3repE0EEENS1_30default_config_static_selectorELNS0_4arch9wavefront6targetE0EEEvSS_
; %bb.0:
	.section	.rodata,"a",@progbits
	.p2align	6, 0x0
	.amdhsa_kernel _ZN7rocprim17ROCPRIM_400000_NS6detail17trampoline_kernelINS0_14default_configENS1_27lower_bound_config_selectorIdlEEZNS1_14transform_implILb0ES3_S5_N6thrust23THRUST_200600_302600_NS6detail15normal_iteratorINS8_7pointerIdNS8_11hip_rocprim5par_tENS8_11use_defaultESE_EEEENSA_INSB_IlSD_SE_SE_EEEEZNS1_13binary_searchIS3_S5_PdSG_SI_NS1_21lower_bound_search_opENS9_16wrapped_functionI11custom_lessbEEEE10hipError_tPvRmT1_T2_T3_mmT4_T5_P12ihipStream_tbEUlRKdE_EESP_ST_SU_mSV_SY_bEUlT_E_NS1_11comp_targetILNS1_3genE10ELNS1_11target_archE1201ELNS1_3gpuE5ELNS1_3repE0EEENS1_30default_config_static_selectorELNS0_4arch9wavefront6targetE0EEEvSS_
		.amdhsa_group_segment_fixed_size 0
		.amdhsa_private_segment_fixed_size 0
		.amdhsa_kernarg_size 56
		.amdhsa_user_sgpr_count 6
		.amdhsa_user_sgpr_private_segment_buffer 1
		.amdhsa_user_sgpr_dispatch_ptr 0
		.amdhsa_user_sgpr_queue_ptr 0
		.amdhsa_user_sgpr_kernarg_segment_ptr 1
		.amdhsa_user_sgpr_dispatch_id 0
		.amdhsa_user_sgpr_flat_scratch_init 0
		.amdhsa_user_sgpr_private_segment_size 0
		.amdhsa_wavefront_size32 1
		.amdhsa_uses_dynamic_stack 0
		.amdhsa_system_sgpr_private_segment_wavefront_offset 0
		.amdhsa_system_sgpr_workgroup_id_x 1
		.amdhsa_system_sgpr_workgroup_id_y 0
		.amdhsa_system_sgpr_workgroup_id_z 0
		.amdhsa_system_sgpr_workgroup_info 0
		.amdhsa_system_vgpr_workitem_id 0
		.amdhsa_next_free_vgpr 1
		.amdhsa_next_free_sgpr 1
		.amdhsa_reserve_vcc 0
		.amdhsa_reserve_flat_scratch 0
		.amdhsa_float_round_mode_32 0
		.amdhsa_float_round_mode_16_64 0
		.amdhsa_float_denorm_mode_32 3
		.amdhsa_float_denorm_mode_16_64 3
		.amdhsa_dx10_clamp 1
		.amdhsa_ieee_mode 1
		.amdhsa_fp16_overflow 0
		.amdhsa_workgroup_processor_mode 1
		.amdhsa_memory_ordered 1
		.amdhsa_forward_progress 1
		.amdhsa_shared_vgpr_count 0
		.amdhsa_exception_fp_ieee_invalid_op 0
		.amdhsa_exception_fp_denorm_src 0
		.amdhsa_exception_fp_ieee_div_zero 0
		.amdhsa_exception_fp_ieee_overflow 0
		.amdhsa_exception_fp_ieee_underflow 0
		.amdhsa_exception_fp_ieee_inexact 0
		.amdhsa_exception_int_div_zero 0
	.end_amdhsa_kernel
	.section	.text._ZN7rocprim17ROCPRIM_400000_NS6detail17trampoline_kernelINS0_14default_configENS1_27lower_bound_config_selectorIdlEEZNS1_14transform_implILb0ES3_S5_N6thrust23THRUST_200600_302600_NS6detail15normal_iteratorINS8_7pointerIdNS8_11hip_rocprim5par_tENS8_11use_defaultESE_EEEENSA_INSB_IlSD_SE_SE_EEEEZNS1_13binary_searchIS3_S5_PdSG_SI_NS1_21lower_bound_search_opENS9_16wrapped_functionI11custom_lessbEEEE10hipError_tPvRmT1_T2_T3_mmT4_T5_P12ihipStream_tbEUlRKdE_EESP_ST_SU_mSV_SY_bEUlT_E_NS1_11comp_targetILNS1_3genE10ELNS1_11target_archE1201ELNS1_3gpuE5ELNS1_3repE0EEENS1_30default_config_static_selectorELNS0_4arch9wavefront6targetE0EEEvSS_,"axG",@progbits,_ZN7rocprim17ROCPRIM_400000_NS6detail17trampoline_kernelINS0_14default_configENS1_27lower_bound_config_selectorIdlEEZNS1_14transform_implILb0ES3_S5_N6thrust23THRUST_200600_302600_NS6detail15normal_iteratorINS8_7pointerIdNS8_11hip_rocprim5par_tENS8_11use_defaultESE_EEEENSA_INSB_IlSD_SE_SE_EEEEZNS1_13binary_searchIS3_S5_PdSG_SI_NS1_21lower_bound_search_opENS9_16wrapped_functionI11custom_lessbEEEE10hipError_tPvRmT1_T2_T3_mmT4_T5_P12ihipStream_tbEUlRKdE_EESP_ST_SU_mSV_SY_bEUlT_E_NS1_11comp_targetILNS1_3genE10ELNS1_11target_archE1201ELNS1_3gpuE5ELNS1_3repE0EEENS1_30default_config_static_selectorELNS0_4arch9wavefront6targetE0EEEvSS_,comdat
.Lfunc_end9:
	.size	_ZN7rocprim17ROCPRIM_400000_NS6detail17trampoline_kernelINS0_14default_configENS1_27lower_bound_config_selectorIdlEEZNS1_14transform_implILb0ES3_S5_N6thrust23THRUST_200600_302600_NS6detail15normal_iteratorINS8_7pointerIdNS8_11hip_rocprim5par_tENS8_11use_defaultESE_EEEENSA_INSB_IlSD_SE_SE_EEEEZNS1_13binary_searchIS3_S5_PdSG_SI_NS1_21lower_bound_search_opENS9_16wrapped_functionI11custom_lessbEEEE10hipError_tPvRmT1_T2_T3_mmT4_T5_P12ihipStream_tbEUlRKdE_EESP_ST_SU_mSV_SY_bEUlT_E_NS1_11comp_targetILNS1_3genE10ELNS1_11target_archE1201ELNS1_3gpuE5ELNS1_3repE0EEENS1_30default_config_static_selectorELNS0_4arch9wavefront6targetE0EEEvSS_, .Lfunc_end9-_ZN7rocprim17ROCPRIM_400000_NS6detail17trampoline_kernelINS0_14default_configENS1_27lower_bound_config_selectorIdlEEZNS1_14transform_implILb0ES3_S5_N6thrust23THRUST_200600_302600_NS6detail15normal_iteratorINS8_7pointerIdNS8_11hip_rocprim5par_tENS8_11use_defaultESE_EEEENSA_INSB_IlSD_SE_SE_EEEEZNS1_13binary_searchIS3_S5_PdSG_SI_NS1_21lower_bound_search_opENS9_16wrapped_functionI11custom_lessbEEEE10hipError_tPvRmT1_T2_T3_mmT4_T5_P12ihipStream_tbEUlRKdE_EESP_ST_SU_mSV_SY_bEUlT_E_NS1_11comp_targetILNS1_3genE10ELNS1_11target_archE1201ELNS1_3gpuE5ELNS1_3repE0EEENS1_30default_config_static_selectorELNS0_4arch9wavefront6targetE0EEEvSS_
                                        ; -- End function
	.set _ZN7rocprim17ROCPRIM_400000_NS6detail17trampoline_kernelINS0_14default_configENS1_27lower_bound_config_selectorIdlEEZNS1_14transform_implILb0ES3_S5_N6thrust23THRUST_200600_302600_NS6detail15normal_iteratorINS8_7pointerIdNS8_11hip_rocprim5par_tENS8_11use_defaultESE_EEEENSA_INSB_IlSD_SE_SE_EEEEZNS1_13binary_searchIS3_S5_PdSG_SI_NS1_21lower_bound_search_opENS9_16wrapped_functionI11custom_lessbEEEE10hipError_tPvRmT1_T2_T3_mmT4_T5_P12ihipStream_tbEUlRKdE_EESP_ST_SU_mSV_SY_bEUlT_E_NS1_11comp_targetILNS1_3genE10ELNS1_11target_archE1201ELNS1_3gpuE5ELNS1_3repE0EEENS1_30default_config_static_selectorELNS0_4arch9wavefront6targetE0EEEvSS_.num_vgpr, 0
	.set _ZN7rocprim17ROCPRIM_400000_NS6detail17trampoline_kernelINS0_14default_configENS1_27lower_bound_config_selectorIdlEEZNS1_14transform_implILb0ES3_S5_N6thrust23THRUST_200600_302600_NS6detail15normal_iteratorINS8_7pointerIdNS8_11hip_rocprim5par_tENS8_11use_defaultESE_EEEENSA_INSB_IlSD_SE_SE_EEEEZNS1_13binary_searchIS3_S5_PdSG_SI_NS1_21lower_bound_search_opENS9_16wrapped_functionI11custom_lessbEEEE10hipError_tPvRmT1_T2_T3_mmT4_T5_P12ihipStream_tbEUlRKdE_EESP_ST_SU_mSV_SY_bEUlT_E_NS1_11comp_targetILNS1_3genE10ELNS1_11target_archE1201ELNS1_3gpuE5ELNS1_3repE0EEENS1_30default_config_static_selectorELNS0_4arch9wavefront6targetE0EEEvSS_.num_agpr, 0
	.set _ZN7rocprim17ROCPRIM_400000_NS6detail17trampoline_kernelINS0_14default_configENS1_27lower_bound_config_selectorIdlEEZNS1_14transform_implILb0ES3_S5_N6thrust23THRUST_200600_302600_NS6detail15normal_iteratorINS8_7pointerIdNS8_11hip_rocprim5par_tENS8_11use_defaultESE_EEEENSA_INSB_IlSD_SE_SE_EEEEZNS1_13binary_searchIS3_S5_PdSG_SI_NS1_21lower_bound_search_opENS9_16wrapped_functionI11custom_lessbEEEE10hipError_tPvRmT1_T2_T3_mmT4_T5_P12ihipStream_tbEUlRKdE_EESP_ST_SU_mSV_SY_bEUlT_E_NS1_11comp_targetILNS1_3genE10ELNS1_11target_archE1201ELNS1_3gpuE5ELNS1_3repE0EEENS1_30default_config_static_selectorELNS0_4arch9wavefront6targetE0EEEvSS_.numbered_sgpr, 0
	.set _ZN7rocprim17ROCPRIM_400000_NS6detail17trampoline_kernelINS0_14default_configENS1_27lower_bound_config_selectorIdlEEZNS1_14transform_implILb0ES3_S5_N6thrust23THRUST_200600_302600_NS6detail15normal_iteratorINS8_7pointerIdNS8_11hip_rocprim5par_tENS8_11use_defaultESE_EEEENSA_INSB_IlSD_SE_SE_EEEEZNS1_13binary_searchIS3_S5_PdSG_SI_NS1_21lower_bound_search_opENS9_16wrapped_functionI11custom_lessbEEEE10hipError_tPvRmT1_T2_T3_mmT4_T5_P12ihipStream_tbEUlRKdE_EESP_ST_SU_mSV_SY_bEUlT_E_NS1_11comp_targetILNS1_3genE10ELNS1_11target_archE1201ELNS1_3gpuE5ELNS1_3repE0EEENS1_30default_config_static_selectorELNS0_4arch9wavefront6targetE0EEEvSS_.num_named_barrier, 0
	.set _ZN7rocprim17ROCPRIM_400000_NS6detail17trampoline_kernelINS0_14default_configENS1_27lower_bound_config_selectorIdlEEZNS1_14transform_implILb0ES3_S5_N6thrust23THRUST_200600_302600_NS6detail15normal_iteratorINS8_7pointerIdNS8_11hip_rocprim5par_tENS8_11use_defaultESE_EEEENSA_INSB_IlSD_SE_SE_EEEEZNS1_13binary_searchIS3_S5_PdSG_SI_NS1_21lower_bound_search_opENS9_16wrapped_functionI11custom_lessbEEEE10hipError_tPvRmT1_T2_T3_mmT4_T5_P12ihipStream_tbEUlRKdE_EESP_ST_SU_mSV_SY_bEUlT_E_NS1_11comp_targetILNS1_3genE10ELNS1_11target_archE1201ELNS1_3gpuE5ELNS1_3repE0EEENS1_30default_config_static_selectorELNS0_4arch9wavefront6targetE0EEEvSS_.private_seg_size, 0
	.set _ZN7rocprim17ROCPRIM_400000_NS6detail17trampoline_kernelINS0_14default_configENS1_27lower_bound_config_selectorIdlEEZNS1_14transform_implILb0ES3_S5_N6thrust23THRUST_200600_302600_NS6detail15normal_iteratorINS8_7pointerIdNS8_11hip_rocprim5par_tENS8_11use_defaultESE_EEEENSA_INSB_IlSD_SE_SE_EEEEZNS1_13binary_searchIS3_S5_PdSG_SI_NS1_21lower_bound_search_opENS9_16wrapped_functionI11custom_lessbEEEE10hipError_tPvRmT1_T2_T3_mmT4_T5_P12ihipStream_tbEUlRKdE_EESP_ST_SU_mSV_SY_bEUlT_E_NS1_11comp_targetILNS1_3genE10ELNS1_11target_archE1201ELNS1_3gpuE5ELNS1_3repE0EEENS1_30default_config_static_selectorELNS0_4arch9wavefront6targetE0EEEvSS_.uses_vcc, 0
	.set _ZN7rocprim17ROCPRIM_400000_NS6detail17trampoline_kernelINS0_14default_configENS1_27lower_bound_config_selectorIdlEEZNS1_14transform_implILb0ES3_S5_N6thrust23THRUST_200600_302600_NS6detail15normal_iteratorINS8_7pointerIdNS8_11hip_rocprim5par_tENS8_11use_defaultESE_EEEENSA_INSB_IlSD_SE_SE_EEEEZNS1_13binary_searchIS3_S5_PdSG_SI_NS1_21lower_bound_search_opENS9_16wrapped_functionI11custom_lessbEEEE10hipError_tPvRmT1_T2_T3_mmT4_T5_P12ihipStream_tbEUlRKdE_EESP_ST_SU_mSV_SY_bEUlT_E_NS1_11comp_targetILNS1_3genE10ELNS1_11target_archE1201ELNS1_3gpuE5ELNS1_3repE0EEENS1_30default_config_static_selectorELNS0_4arch9wavefront6targetE0EEEvSS_.uses_flat_scratch, 0
	.set _ZN7rocprim17ROCPRIM_400000_NS6detail17trampoline_kernelINS0_14default_configENS1_27lower_bound_config_selectorIdlEEZNS1_14transform_implILb0ES3_S5_N6thrust23THRUST_200600_302600_NS6detail15normal_iteratorINS8_7pointerIdNS8_11hip_rocprim5par_tENS8_11use_defaultESE_EEEENSA_INSB_IlSD_SE_SE_EEEEZNS1_13binary_searchIS3_S5_PdSG_SI_NS1_21lower_bound_search_opENS9_16wrapped_functionI11custom_lessbEEEE10hipError_tPvRmT1_T2_T3_mmT4_T5_P12ihipStream_tbEUlRKdE_EESP_ST_SU_mSV_SY_bEUlT_E_NS1_11comp_targetILNS1_3genE10ELNS1_11target_archE1201ELNS1_3gpuE5ELNS1_3repE0EEENS1_30default_config_static_selectorELNS0_4arch9wavefront6targetE0EEEvSS_.has_dyn_sized_stack, 0
	.set _ZN7rocprim17ROCPRIM_400000_NS6detail17trampoline_kernelINS0_14default_configENS1_27lower_bound_config_selectorIdlEEZNS1_14transform_implILb0ES3_S5_N6thrust23THRUST_200600_302600_NS6detail15normal_iteratorINS8_7pointerIdNS8_11hip_rocprim5par_tENS8_11use_defaultESE_EEEENSA_INSB_IlSD_SE_SE_EEEEZNS1_13binary_searchIS3_S5_PdSG_SI_NS1_21lower_bound_search_opENS9_16wrapped_functionI11custom_lessbEEEE10hipError_tPvRmT1_T2_T3_mmT4_T5_P12ihipStream_tbEUlRKdE_EESP_ST_SU_mSV_SY_bEUlT_E_NS1_11comp_targetILNS1_3genE10ELNS1_11target_archE1201ELNS1_3gpuE5ELNS1_3repE0EEENS1_30default_config_static_selectorELNS0_4arch9wavefront6targetE0EEEvSS_.has_recursion, 0
	.set _ZN7rocprim17ROCPRIM_400000_NS6detail17trampoline_kernelINS0_14default_configENS1_27lower_bound_config_selectorIdlEEZNS1_14transform_implILb0ES3_S5_N6thrust23THRUST_200600_302600_NS6detail15normal_iteratorINS8_7pointerIdNS8_11hip_rocprim5par_tENS8_11use_defaultESE_EEEENSA_INSB_IlSD_SE_SE_EEEEZNS1_13binary_searchIS3_S5_PdSG_SI_NS1_21lower_bound_search_opENS9_16wrapped_functionI11custom_lessbEEEE10hipError_tPvRmT1_T2_T3_mmT4_T5_P12ihipStream_tbEUlRKdE_EESP_ST_SU_mSV_SY_bEUlT_E_NS1_11comp_targetILNS1_3genE10ELNS1_11target_archE1201ELNS1_3gpuE5ELNS1_3repE0EEENS1_30default_config_static_selectorELNS0_4arch9wavefront6targetE0EEEvSS_.has_indirect_call, 0
	.section	.AMDGPU.csdata,"",@progbits
; Kernel info:
; codeLenInByte = 0
; TotalNumSgprs: 0
; NumVgprs: 0
; ScratchSize: 0
; MemoryBound: 0
; FloatMode: 240
; IeeeMode: 1
; LDSByteSize: 0 bytes/workgroup (compile time only)
; SGPRBlocks: 0
; VGPRBlocks: 0
; NumSGPRsForWavesPerEU: 1
; NumVGPRsForWavesPerEU: 1
; Occupancy: 16
; WaveLimiterHint : 0
; COMPUTE_PGM_RSRC2:SCRATCH_EN: 0
; COMPUTE_PGM_RSRC2:USER_SGPR: 6
; COMPUTE_PGM_RSRC2:TRAP_HANDLER: 0
; COMPUTE_PGM_RSRC2:TGID_X_EN: 1
; COMPUTE_PGM_RSRC2:TGID_Y_EN: 0
; COMPUTE_PGM_RSRC2:TGID_Z_EN: 0
; COMPUTE_PGM_RSRC2:TIDIG_COMP_CNT: 0
	.section	.text._ZN7rocprim17ROCPRIM_400000_NS6detail17trampoline_kernelINS0_14default_configENS1_27lower_bound_config_selectorIdlEEZNS1_14transform_implILb0ES3_S5_N6thrust23THRUST_200600_302600_NS6detail15normal_iteratorINS8_7pointerIdNS8_11hip_rocprim5par_tENS8_11use_defaultESE_EEEENSA_INSB_IlSD_SE_SE_EEEEZNS1_13binary_searchIS3_S5_PdSG_SI_NS1_21lower_bound_search_opENS9_16wrapped_functionI11custom_lessbEEEE10hipError_tPvRmT1_T2_T3_mmT4_T5_P12ihipStream_tbEUlRKdE_EESP_ST_SU_mSV_SY_bEUlT_E_NS1_11comp_targetILNS1_3genE10ELNS1_11target_archE1200ELNS1_3gpuE4ELNS1_3repE0EEENS1_30default_config_static_selectorELNS0_4arch9wavefront6targetE0EEEvSS_,"axG",@progbits,_ZN7rocprim17ROCPRIM_400000_NS6detail17trampoline_kernelINS0_14default_configENS1_27lower_bound_config_selectorIdlEEZNS1_14transform_implILb0ES3_S5_N6thrust23THRUST_200600_302600_NS6detail15normal_iteratorINS8_7pointerIdNS8_11hip_rocprim5par_tENS8_11use_defaultESE_EEEENSA_INSB_IlSD_SE_SE_EEEEZNS1_13binary_searchIS3_S5_PdSG_SI_NS1_21lower_bound_search_opENS9_16wrapped_functionI11custom_lessbEEEE10hipError_tPvRmT1_T2_T3_mmT4_T5_P12ihipStream_tbEUlRKdE_EESP_ST_SU_mSV_SY_bEUlT_E_NS1_11comp_targetILNS1_3genE10ELNS1_11target_archE1200ELNS1_3gpuE4ELNS1_3repE0EEENS1_30default_config_static_selectorELNS0_4arch9wavefront6targetE0EEEvSS_,comdat
	.protected	_ZN7rocprim17ROCPRIM_400000_NS6detail17trampoline_kernelINS0_14default_configENS1_27lower_bound_config_selectorIdlEEZNS1_14transform_implILb0ES3_S5_N6thrust23THRUST_200600_302600_NS6detail15normal_iteratorINS8_7pointerIdNS8_11hip_rocprim5par_tENS8_11use_defaultESE_EEEENSA_INSB_IlSD_SE_SE_EEEEZNS1_13binary_searchIS3_S5_PdSG_SI_NS1_21lower_bound_search_opENS9_16wrapped_functionI11custom_lessbEEEE10hipError_tPvRmT1_T2_T3_mmT4_T5_P12ihipStream_tbEUlRKdE_EESP_ST_SU_mSV_SY_bEUlT_E_NS1_11comp_targetILNS1_3genE10ELNS1_11target_archE1200ELNS1_3gpuE4ELNS1_3repE0EEENS1_30default_config_static_selectorELNS0_4arch9wavefront6targetE0EEEvSS_ ; -- Begin function _ZN7rocprim17ROCPRIM_400000_NS6detail17trampoline_kernelINS0_14default_configENS1_27lower_bound_config_selectorIdlEEZNS1_14transform_implILb0ES3_S5_N6thrust23THRUST_200600_302600_NS6detail15normal_iteratorINS8_7pointerIdNS8_11hip_rocprim5par_tENS8_11use_defaultESE_EEEENSA_INSB_IlSD_SE_SE_EEEEZNS1_13binary_searchIS3_S5_PdSG_SI_NS1_21lower_bound_search_opENS9_16wrapped_functionI11custom_lessbEEEE10hipError_tPvRmT1_T2_T3_mmT4_T5_P12ihipStream_tbEUlRKdE_EESP_ST_SU_mSV_SY_bEUlT_E_NS1_11comp_targetILNS1_3genE10ELNS1_11target_archE1200ELNS1_3gpuE4ELNS1_3repE0EEENS1_30default_config_static_selectorELNS0_4arch9wavefront6targetE0EEEvSS_
	.globl	_ZN7rocprim17ROCPRIM_400000_NS6detail17trampoline_kernelINS0_14default_configENS1_27lower_bound_config_selectorIdlEEZNS1_14transform_implILb0ES3_S5_N6thrust23THRUST_200600_302600_NS6detail15normal_iteratorINS8_7pointerIdNS8_11hip_rocprim5par_tENS8_11use_defaultESE_EEEENSA_INSB_IlSD_SE_SE_EEEEZNS1_13binary_searchIS3_S5_PdSG_SI_NS1_21lower_bound_search_opENS9_16wrapped_functionI11custom_lessbEEEE10hipError_tPvRmT1_T2_T3_mmT4_T5_P12ihipStream_tbEUlRKdE_EESP_ST_SU_mSV_SY_bEUlT_E_NS1_11comp_targetILNS1_3genE10ELNS1_11target_archE1200ELNS1_3gpuE4ELNS1_3repE0EEENS1_30default_config_static_selectorELNS0_4arch9wavefront6targetE0EEEvSS_
	.p2align	8
	.type	_ZN7rocprim17ROCPRIM_400000_NS6detail17trampoline_kernelINS0_14default_configENS1_27lower_bound_config_selectorIdlEEZNS1_14transform_implILb0ES3_S5_N6thrust23THRUST_200600_302600_NS6detail15normal_iteratorINS8_7pointerIdNS8_11hip_rocprim5par_tENS8_11use_defaultESE_EEEENSA_INSB_IlSD_SE_SE_EEEEZNS1_13binary_searchIS3_S5_PdSG_SI_NS1_21lower_bound_search_opENS9_16wrapped_functionI11custom_lessbEEEE10hipError_tPvRmT1_T2_T3_mmT4_T5_P12ihipStream_tbEUlRKdE_EESP_ST_SU_mSV_SY_bEUlT_E_NS1_11comp_targetILNS1_3genE10ELNS1_11target_archE1200ELNS1_3gpuE4ELNS1_3repE0EEENS1_30default_config_static_selectorELNS0_4arch9wavefront6targetE0EEEvSS_,@function
_ZN7rocprim17ROCPRIM_400000_NS6detail17trampoline_kernelINS0_14default_configENS1_27lower_bound_config_selectorIdlEEZNS1_14transform_implILb0ES3_S5_N6thrust23THRUST_200600_302600_NS6detail15normal_iteratorINS8_7pointerIdNS8_11hip_rocprim5par_tENS8_11use_defaultESE_EEEENSA_INSB_IlSD_SE_SE_EEEEZNS1_13binary_searchIS3_S5_PdSG_SI_NS1_21lower_bound_search_opENS9_16wrapped_functionI11custom_lessbEEEE10hipError_tPvRmT1_T2_T3_mmT4_T5_P12ihipStream_tbEUlRKdE_EESP_ST_SU_mSV_SY_bEUlT_E_NS1_11comp_targetILNS1_3genE10ELNS1_11target_archE1200ELNS1_3gpuE4ELNS1_3repE0EEENS1_30default_config_static_selectorELNS0_4arch9wavefront6targetE0EEEvSS_: ; @_ZN7rocprim17ROCPRIM_400000_NS6detail17trampoline_kernelINS0_14default_configENS1_27lower_bound_config_selectorIdlEEZNS1_14transform_implILb0ES3_S5_N6thrust23THRUST_200600_302600_NS6detail15normal_iteratorINS8_7pointerIdNS8_11hip_rocprim5par_tENS8_11use_defaultESE_EEEENSA_INSB_IlSD_SE_SE_EEEEZNS1_13binary_searchIS3_S5_PdSG_SI_NS1_21lower_bound_search_opENS9_16wrapped_functionI11custom_lessbEEEE10hipError_tPvRmT1_T2_T3_mmT4_T5_P12ihipStream_tbEUlRKdE_EESP_ST_SU_mSV_SY_bEUlT_E_NS1_11comp_targetILNS1_3genE10ELNS1_11target_archE1200ELNS1_3gpuE4ELNS1_3repE0EEENS1_30default_config_static_selectorELNS0_4arch9wavefront6targetE0EEEvSS_
; %bb.0:
	.section	.rodata,"a",@progbits
	.p2align	6, 0x0
	.amdhsa_kernel _ZN7rocprim17ROCPRIM_400000_NS6detail17trampoline_kernelINS0_14default_configENS1_27lower_bound_config_selectorIdlEEZNS1_14transform_implILb0ES3_S5_N6thrust23THRUST_200600_302600_NS6detail15normal_iteratorINS8_7pointerIdNS8_11hip_rocprim5par_tENS8_11use_defaultESE_EEEENSA_INSB_IlSD_SE_SE_EEEEZNS1_13binary_searchIS3_S5_PdSG_SI_NS1_21lower_bound_search_opENS9_16wrapped_functionI11custom_lessbEEEE10hipError_tPvRmT1_T2_T3_mmT4_T5_P12ihipStream_tbEUlRKdE_EESP_ST_SU_mSV_SY_bEUlT_E_NS1_11comp_targetILNS1_3genE10ELNS1_11target_archE1200ELNS1_3gpuE4ELNS1_3repE0EEENS1_30default_config_static_selectorELNS0_4arch9wavefront6targetE0EEEvSS_
		.amdhsa_group_segment_fixed_size 0
		.amdhsa_private_segment_fixed_size 0
		.amdhsa_kernarg_size 56
		.amdhsa_user_sgpr_count 6
		.amdhsa_user_sgpr_private_segment_buffer 1
		.amdhsa_user_sgpr_dispatch_ptr 0
		.amdhsa_user_sgpr_queue_ptr 0
		.amdhsa_user_sgpr_kernarg_segment_ptr 1
		.amdhsa_user_sgpr_dispatch_id 0
		.amdhsa_user_sgpr_flat_scratch_init 0
		.amdhsa_user_sgpr_private_segment_size 0
		.amdhsa_wavefront_size32 1
		.amdhsa_uses_dynamic_stack 0
		.amdhsa_system_sgpr_private_segment_wavefront_offset 0
		.amdhsa_system_sgpr_workgroup_id_x 1
		.amdhsa_system_sgpr_workgroup_id_y 0
		.amdhsa_system_sgpr_workgroup_id_z 0
		.amdhsa_system_sgpr_workgroup_info 0
		.amdhsa_system_vgpr_workitem_id 0
		.amdhsa_next_free_vgpr 1
		.amdhsa_next_free_sgpr 1
		.amdhsa_reserve_vcc 0
		.amdhsa_reserve_flat_scratch 0
		.amdhsa_float_round_mode_32 0
		.amdhsa_float_round_mode_16_64 0
		.amdhsa_float_denorm_mode_32 3
		.amdhsa_float_denorm_mode_16_64 3
		.amdhsa_dx10_clamp 1
		.amdhsa_ieee_mode 1
		.amdhsa_fp16_overflow 0
		.amdhsa_workgroup_processor_mode 1
		.amdhsa_memory_ordered 1
		.amdhsa_forward_progress 1
		.amdhsa_shared_vgpr_count 0
		.amdhsa_exception_fp_ieee_invalid_op 0
		.amdhsa_exception_fp_denorm_src 0
		.amdhsa_exception_fp_ieee_div_zero 0
		.amdhsa_exception_fp_ieee_overflow 0
		.amdhsa_exception_fp_ieee_underflow 0
		.amdhsa_exception_fp_ieee_inexact 0
		.amdhsa_exception_int_div_zero 0
	.end_amdhsa_kernel
	.section	.text._ZN7rocprim17ROCPRIM_400000_NS6detail17trampoline_kernelINS0_14default_configENS1_27lower_bound_config_selectorIdlEEZNS1_14transform_implILb0ES3_S5_N6thrust23THRUST_200600_302600_NS6detail15normal_iteratorINS8_7pointerIdNS8_11hip_rocprim5par_tENS8_11use_defaultESE_EEEENSA_INSB_IlSD_SE_SE_EEEEZNS1_13binary_searchIS3_S5_PdSG_SI_NS1_21lower_bound_search_opENS9_16wrapped_functionI11custom_lessbEEEE10hipError_tPvRmT1_T2_T3_mmT4_T5_P12ihipStream_tbEUlRKdE_EESP_ST_SU_mSV_SY_bEUlT_E_NS1_11comp_targetILNS1_3genE10ELNS1_11target_archE1200ELNS1_3gpuE4ELNS1_3repE0EEENS1_30default_config_static_selectorELNS0_4arch9wavefront6targetE0EEEvSS_,"axG",@progbits,_ZN7rocprim17ROCPRIM_400000_NS6detail17trampoline_kernelINS0_14default_configENS1_27lower_bound_config_selectorIdlEEZNS1_14transform_implILb0ES3_S5_N6thrust23THRUST_200600_302600_NS6detail15normal_iteratorINS8_7pointerIdNS8_11hip_rocprim5par_tENS8_11use_defaultESE_EEEENSA_INSB_IlSD_SE_SE_EEEEZNS1_13binary_searchIS3_S5_PdSG_SI_NS1_21lower_bound_search_opENS9_16wrapped_functionI11custom_lessbEEEE10hipError_tPvRmT1_T2_T3_mmT4_T5_P12ihipStream_tbEUlRKdE_EESP_ST_SU_mSV_SY_bEUlT_E_NS1_11comp_targetILNS1_3genE10ELNS1_11target_archE1200ELNS1_3gpuE4ELNS1_3repE0EEENS1_30default_config_static_selectorELNS0_4arch9wavefront6targetE0EEEvSS_,comdat
.Lfunc_end10:
	.size	_ZN7rocprim17ROCPRIM_400000_NS6detail17trampoline_kernelINS0_14default_configENS1_27lower_bound_config_selectorIdlEEZNS1_14transform_implILb0ES3_S5_N6thrust23THRUST_200600_302600_NS6detail15normal_iteratorINS8_7pointerIdNS8_11hip_rocprim5par_tENS8_11use_defaultESE_EEEENSA_INSB_IlSD_SE_SE_EEEEZNS1_13binary_searchIS3_S5_PdSG_SI_NS1_21lower_bound_search_opENS9_16wrapped_functionI11custom_lessbEEEE10hipError_tPvRmT1_T2_T3_mmT4_T5_P12ihipStream_tbEUlRKdE_EESP_ST_SU_mSV_SY_bEUlT_E_NS1_11comp_targetILNS1_3genE10ELNS1_11target_archE1200ELNS1_3gpuE4ELNS1_3repE0EEENS1_30default_config_static_selectorELNS0_4arch9wavefront6targetE0EEEvSS_, .Lfunc_end10-_ZN7rocprim17ROCPRIM_400000_NS6detail17trampoline_kernelINS0_14default_configENS1_27lower_bound_config_selectorIdlEEZNS1_14transform_implILb0ES3_S5_N6thrust23THRUST_200600_302600_NS6detail15normal_iteratorINS8_7pointerIdNS8_11hip_rocprim5par_tENS8_11use_defaultESE_EEEENSA_INSB_IlSD_SE_SE_EEEEZNS1_13binary_searchIS3_S5_PdSG_SI_NS1_21lower_bound_search_opENS9_16wrapped_functionI11custom_lessbEEEE10hipError_tPvRmT1_T2_T3_mmT4_T5_P12ihipStream_tbEUlRKdE_EESP_ST_SU_mSV_SY_bEUlT_E_NS1_11comp_targetILNS1_3genE10ELNS1_11target_archE1200ELNS1_3gpuE4ELNS1_3repE0EEENS1_30default_config_static_selectorELNS0_4arch9wavefront6targetE0EEEvSS_
                                        ; -- End function
	.set _ZN7rocprim17ROCPRIM_400000_NS6detail17trampoline_kernelINS0_14default_configENS1_27lower_bound_config_selectorIdlEEZNS1_14transform_implILb0ES3_S5_N6thrust23THRUST_200600_302600_NS6detail15normal_iteratorINS8_7pointerIdNS8_11hip_rocprim5par_tENS8_11use_defaultESE_EEEENSA_INSB_IlSD_SE_SE_EEEEZNS1_13binary_searchIS3_S5_PdSG_SI_NS1_21lower_bound_search_opENS9_16wrapped_functionI11custom_lessbEEEE10hipError_tPvRmT1_T2_T3_mmT4_T5_P12ihipStream_tbEUlRKdE_EESP_ST_SU_mSV_SY_bEUlT_E_NS1_11comp_targetILNS1_3genE10ELNS1_11target_archE1200ELNS1_3gpuE4ELNS1_3repE0EEENS1_30default_config_static_selectorELNS0_4arch9wavefront6targetE0EEEvSS_.num_vgpr, 0
	.set _ZN7rocprim17ROCPRIM_400000_NS6detail17trampoline_kernelINS0_14default_configENS1_27lower_bound_config_selectorIdlEEZNS1_14transform_implILb0ES3_S5_N6thrust23THRUST_200600_302600_NS6detail15normal_iteratorINS8_7pointerIdNS8_11hip_rocprim5par_tENS8_11use_defaultESE_EEEENSA_INSB_IlSD_SE_SE_EEEEZNS1_13binary_searchIS3_S5_PdSG_SI_NS1_21lower_bound_search_opENS9_16wrapped_functionI11custom_lessbEEEE10hipError_tPvRmT1_T2_T3_mmT4_T5_P12ihipStream_tbEUlRKdE_EESP_ST_SU_mSV_SY_bEUlT_E_NS1_11comp_targetILNS1_3genE10ELNS1_11target_archE1200ELNS1_3gpuE4ELNS1_3repE0EEENS1_30default_config_static_selectorELNS0_4arch9wavefront6targetE0EEEvSS_.num_agpr, 0
	.set _ZN7rocprim17ROCPRIM_400000_NS6detail17trampoline_kernelINS0_14default_configENS1_27lower_bound_config_selectorIdlEEZNS1_14transform_implILb0ES3_S5_N6thrust23THRUST_200600_302600_NS6detail15normal_iteratorINS8_7pointerIdNS8_11hip_rocprim5par_tENS8_11use_defaultESE_EEEENSA_INSB_IlSD_SE_SE_EEEEZNS1_13binary_searchIS3_S5_PdSG_SI_NS1_21lower_bound_search_opENS9_16wrapped_functionI11custom_lessbEEEE10hipError_tPvRmT1_T2_T3_mmT4_T5_P12ihipStream_tbEUlRKdE_EESP_ST_SU_mSV_SY_bEUlT_E_NS1_11comp_targetILNS1_3genE10ELNS1_11target_archE1200ELNS1_3gpuE4ELNS1_3repE0EEENS1_30default_config_static_selectorELNS0_4arch9wavefront6targetE0EEEvSS_.numbered_sgpr, 0
	.set _ZN7rocprim17ROCPRIM_400000_NS6detail17trampoline_kernelINS0_14default_configENS1_27lower_bound_config_selectorIdlEEZNS1_14transform_implILb0ES3_S5_N6thrust23THRUST_200600_302600_NS6detail15normal_iteratorINS8_7pointerIdNS8_11hip_rocprim5par_tENS8_11use_defaultESE_EEEENSA_INSB_IlSD_SE_SE_EEEEZNS1_13binary_searchIS3_S5_PdSG_SI_NS1_21lower_bound_search_opENS9_16wrapped_functionI11custom_lessbEEEE10hipError_tPvRmT1_T2_T3_mmT4_T5_P12ihipStream_tbEUlRKdE_EESP_ST_SU_mSV_SY_bEUlT_E_NS1_11comp_targetILNS1_3genE10ELNS1_11target_archE1200ELNS1_3gpuE4ELNS1_3repE0EEENS1_30default_config_static_selectorELNS0_4arch9wavefront6targetE0EEEvSS_.num_named_barrier, 0
	.set _ZN7rocprim17ROCPRIM_400000_NS6detail17trampoline_kernelINS0_14default_configENS1_27lower_bound_config_selectorIdlEEZNS1_14transform_implILb0ES3_S5_N6thrust23THRUST_200600_302600_NS6detail15normal_iteratorINS8_7pointerIdNS8_11hip_rocprim5par_tENS8_11use_defaultESE_EEEENSA_INSB_IlSD_SE_SE_EEEEZNS1_13binary_searchIS3_S5_PdSG_SI_NS1_21lower_bound_search_opENS9_16wrapped_functionI11custom_lessbEEEE10hipError_tPvRmT1_T2_T3_mmT4_T5_P12ihipStream_tbEUlRKdE_EESP_ST_SU_mSV_SY_bEUlT_E_NS1_11comp_targetILNS1_3genE10ELNS1_11target_archE1200ELNS1_3gpuE4ELNS1_3repE0EEENS1_30default_config_static_selectorELNS0_4arch9wavefront6targetE0EEEvSS_.private_seg_size, 0
	.set _ZN7rocprim17ROCPRIM_400000_NS6detail17trampoline_kernelINS0_14default_configENS1_27lower_bound_config_selectorIdlEEZNS1_14transform_implILb0ES3_S5_N6thrust23THRUST_200600_302600_NS6detail15normal_iteratorINS8_7pointerIdNS8_11hip_rocprim5par_tENS8_11use_defaultESE_EEEENSA_INSB_IlSD_SE_SE_EEEEZNS1_13binary_searchIS3_S5_PdSG_SI_NS1_21lower_bound_search_opENS9_16wrapped_functionI11custom_lessbEEEE10hipError_tPvRmT1_T2_T3_mmT4_T5_P12ihipStream_tbEUlRKdE_EESP_ST_SU_mSV_SY_bEUlT_E_NS1_11comp_targetILNS1_3genE10ELNS1_11target_archE1200ELNS1_3gpuE4ELNS1_3repE0EEENS1_30default_config_static_selectorELNS0_4arch9wavefront6targetE0EEEvSS_.uses_vcc, 0
	.set _ZN7rocprim17ROCPRIM_400000_NS6detail17trampoline_kernelINS0_14default_configENS1_27lower_bound_config_selectorIdlEEZNS1_14transform_implILb0ES3_S5_N6thrust23THRUST_200600_302600_NS6detail15normal_iteratorINS8_7pointerIdNS8_11hip_rocprim5par_tENS8_11use_defaultESE_EEEENSA_INSB_IlSD_SE_SE_EEEEZNS1_13binary_searchIS3_S5_PdSG_SI_NS1_21lower_bound_search_opENS9_16wrapped_functionI11custom_lessbEEEE10hipError_tPvRmT1_T2_T3_mmT4_T5_P12ihipStream_tbEUlRKdE_EESP_ST_SU_mSV_SY_bEUlT_E_NS1_11comp_targetILNS1_3genE10ELNS1_11target_archE1200ELNS1_3gpuE4ELNS1_3repE0EEENS1_30default_config_static_selectorELNS0_4arch9wavefront6targetE0EEEvSS_.uses_flat_scratch, 0
	.set _ZN7rocprim17ROCPRIM_400000_NS6detail17trampoline_kernelINS0_14default_configENS1_27lower_bound_config_selectorIdlEEZNS1_14transform_implILb0ES3_S5_N6thrust23THRUST_200600_302600_NS6detail15normal_iteratorINS8_7pointerIdNS8_11hip_rocprim5par_tENS8_11use_defaultESE_EEEENSA_INSB_IlSD_SE_SE_EEEEZNS1_13binary_searchIS3_S5_PdSG_SI_NS1_21lower_bound_search_opENS9_16wrapped_functionI11custom_lessbEEEE10hipError_tPvRmT1_T2_T3_mmT4_T5_P12ihipStream_tbEUlRKdE_EESP_ST_SU_mSV_SY_bEUlT_E_NS1_11comp_targetILNS1_3genE10ELNS1_11target_archE1200ELNS1_3gpuE4ELNS1_3repE0EEENS1_30default_config_static_selectorELNS0_4arch9wavefront6targetE0EEEvSS_.has_dyn_sized_stack, 0
	.set _ZN7rocprim17ROCPRIM_400000_NS6detail17trampoline_kernelINS0_14default_configENS1_27lower_bound_config_selectorIdlEEZNS1_14transform_implILb0ES3_S5_N6thrust23THRUST_200600_302600_NS6detail15normal_iteratorINS8_7pointerIdNS8_11hip_rocprim5par_tENS8_11use_defaultESE_EEEENSA_INSB_IlSD_SE_SE_EEEEZNS1_13binary_searchIS3_S5_PdSG_SI_NS1_21lower_bound_search_opENS9_16wrapped_functionI11custom_lessbEEEE10hipError_tPvRmT1_T2_T3_mmT4_T5_P12ihipStream_tbEUlRKdE_EESP_ST_SU_mSV_SY_bEUlT_E_NS1_11comp_targetILNS1_3genE10ELNS1_11target_archE1200ELNS1_3gpuE4ELNS1_3repE0EEENS1_30default_config_static_selectorELNS0_4arch9wavefront6targetE0EEEvSS_.has_recursion, 0
	.set _ZN7rocprim17ROCPRIM_400000_NS6detail17trampoline_kernelINS0_14default_configENS1_27lower_bound_config_selectorIdlEEZNS1_14transform_implILb0ES3_S5_N6thrust23THRUST_200600_302600_NS6detail15normal_iteratorINS8_7pointerIdNS8_11hip_rocprim5par_tENS8_11use_defaultESE_EEEENSA_INSB_IlSD_SE_SE_EEEEZNS1_13binary_searchIS3_S5_PdSG_SI_NS1_21lower_bound_search_opENS9_16wrapped_functionI11custom_lessbEEEE10hipError_tPvRmT1_T2_T3_mmT4_T5_P12ihipStream_tbEUlRKdE_EESP_ST_SU_mSV_SY_bEUlT_E_NS1_11comp_targetILNS1_3genE10ELNS1_11target_archE1200ELNS1_3gpuE4ELNS1_3repE0EEENS1_30default_config_static_selectorELNS0_4arch9wavefront6targetE0EEEvSS_.has_indirect_call, 0
	.section	.AMDGPU.csdata,"",@progbits
; Kernel info:
; codeLenInByte = 0
; TotalNumSgprs: 0
; NumVgprs: 0
; ScratchSize: 0
; MemoryBound: 0
; FloatMode: 240
; IeeeMode: 1
; LDSByteSize: 0 bytes/workgroup (compile time only)
; SGPRBlocks: 0
; VGPRBlocks: 0
; NumSGPRsForWavesPerEU: 1
; NumVGPRsForWavesPerEU: 1
; Occupancy: 16
; WaveLimiterHint : 0
; COMPUTE_PGM_RSRC2:SCRATCH_EN: 0
; COMPUTE_PGM_RSRC2:USER_SGPR: 6
; COMPUTE_PGM_RSRC2:TRAP_HANDLER: 0
; COMPUTE_PGM_RSRC2:TGID_X_EN: 1
; COMPUTE_PGM_RSRC2:TGID_Y_EN: 0
; COMPUTE_PGM_RSRC2:TGID_Z_EN: 0
; COMPUTE_PGM_RSRC2:TIDIG_COMP_CNT: 0
	.section	.text._ZN7rocprim17ROCPRIM_400000_NS6detail17trampoline_kernelINS0_14default_configENS1_27lower_bound_config_selectorIdlEEZNS1_14transform_implILb0ES3_S5_N6thrust23THRUST_200600_302600_NS6detail15normal_iteratorINS8_7pointerIdNS8_11hip_rocprim5par_tENS8_11use_defaultESE_EEEENSA_INSB_IlSD_SE_SE_EEEEZNS1_13binary_searchIS3_S5_PdSG_SI_NS1_21lower_bound_search_opENS9_16wrapped_functionI11custom_lessbEEEE10hipError_tPvRmT1_T2_T3_mmT4_T5_P12ihipStream_tbEUlRKdE_EESP_ST_SU_mSV_SY_bEUlT_E_NS1_11comp_targetILNS1_3genE9ELNS1_11target_archE1100ELNS1_3gpuE3ELNS1_3repE0EEENS1_30default_config_static_selectorELNS0_4arch9wavefront6targetE0EEEvSS_,"axG",@progbits,_ZN7rocprim17ROCPRIM_400000_NS6detail17trampoline_kernelINS0_14default_configENS1_27lower_bound_config_selectorIdlEEZNS1_14transform_implILb0ES3_S5_N6thrust23THRUST_200600_302600_NS6detail15normal_iteratorINS8_7pointerIdNS8_11hip_rocprim5par_tENS8_11use_defaultESE_EEEENSA_INSB_IlSD_SE_SE_EEEEZNS1_13binary_searchIS3_S5_PdSG_SI_NS1_21lower_bound_search_opENS9_16wrapped_functionI11custom_lessbEEEE10hipError_tPvRmT1_T2_T3_mmT4_T5_P12ihipStream_tbEUlRKdE_EESP_ST_SU_mSV_SY_bEUlT_E_NS1_11comp_targetILNS1_3genE9ELNS1_11target_archE1100ELNS1_3gpuE3ELNS1_3repE0EEENS1_30default_config_static_selectorELNS0_4arch9wavefront6targetE0EEEvSS_,comdat
	.protected	_ZN7rocprim17ROCPRIM_400000_NS6detail17trampoline_kernelINS0_14default_configENS1_27lower_bound_config_selectorIdlEEZNS1_14transform_implILb0ES3_S5_N6thrust23THRUST_200600_302600_NS6detail15normal_iteratorINS8_7pointerIdNS8_11hip_rocprim5par_tENS8_11use_defaultESE_EEEENSA_INSB_IlSD_SE_SE_EEEEZNS1_13binary_searchIS3_S5_PdSG_SI_NS1_21lower_bound_search_opENS9_16wrapped_functionI11custom_lessbEEEE10hipError_tPvRmT1_T2_T3_mmT4_T5_P12ihipStream_tbEUlRKdE_EESP_ST_SU_mSV_SY_bEUlT_E_NS1_11comp_targetILNS1_3genE9ELNS1_11target_archE1100ELNS1_3gpuE3ELNS1_3repE0EEENS1_30default_config_static_selectorELNS0_4arch9wavefront6targetE0EEEvSS_ ; -- Begin function _ZN7rocprim17ROCPRIM_400000_NS6detail17trampoline_kernelINS0_14default_configENS1_27lower_bound_config_selectorIdlEEZNS1_14transform_implILb0ES3_S5_N6thrust23THRUST_200600_302600_NS6detail15normal_iteratorINS8_7pointerIdNS8_11hip_rocprim5par_tENS8_11use_defaultESE_EEEENSA_INSB_IlSD_SE_SE_EEEEZNS1_13binary_searchIS3_S5_PdSG_SI_NS1_21lower_bound_search_opENS9_16wrapped_functionI11custom_lessbEEEE10hipError_tPvRmT1_T2_T3_mmT4_T5_P12ihipStream_tbEUlRKdE_EESP_ST_SU_mSV_SY_bEUlT_E_NS1_11comp_targetILNS1_3genE9ELNS1_11target_archE1100ELNS1_3gpuE3ELNS1_3repE0EEENS1_30default_config_static_selectorELNS0_4arch9wavefront6targetE0EEEvSS_
	.globl	_ZN7rocprim17ROCPRIM_400000_NS6detail17trampoline_kernelINS0_14default_configENS1_27lower_bound_config_selectorIdlEEZNS1_14transform_implILb0ES3_S5_N6thrust23THRUST_200600_302600_NS6detail15normal_iteratorINS8_7pointerIdNS8_11hip_rocprim5par_tENS8_11use_defaultESE_EEEENSA_INSB_IlSD_SE_SE_EEEEZNS1_13binary_searchIS3_S5_PdSG_SI_NS1_21lower_bound_search_opENS9_16wrapped_functionI11custom_lessbEEEE10hipError_tPvRmT1_T2_T3_mmT4_T5_P12ihipStream_tbEUlRKdE_EESP_ST_SU_mSV_SY_bEUlT_E_NS1_11comp_targetILNS1_3genE9ELNS1_11target_archE1100ELNS1_3gpuE3ELNS1_3repE0EEENS1_30default_config_static_selectorELNS0_4arch9wavefront6targetE0EEEvSS_
	.p2align	8
	.type	_ZN7rocprim17ROCPRIM_400000_NS6detail17trampoline_kernelINS0_14default_configENS1_27lower_bound_config_selectorIdlEEZNS1_14transform_implILb0ES3_S5_N6thrust23THRUST_200600_302600_NS6detail15normal_iteratorINS8_7pointerIdNS8_11hip_rocprim5par_tENS8_11use_defaultESE_EEEENSA_INSB_IlSD_SE_SE_EEEEZNS1_13binary_searchIS3_S5_PdSG_SI_NS1_21lower_bound_search_opENS9_16wrapped_functionI11custom_lessbEEEE10hipError_tPvRmT1_T2_T3_mmT4_T5_P12ihipStream_tbEUlRKdE_EESP_ST_SU_mSV_SY_bEUlT_E_NS1_11comp_targetILNS1_3genE9ELNS1_11target_archE1100ELNS1_3gpuE3ELNS1_3repE0EEENS1_30default_config_static_selectorELNS0_4arch9wavefront6targetE0EEEvSS_,@function
_ZN7rocprim17ROCPRIM_400000_NS6detail17trampoline_kernelINS0_14default_configENS1_27lower_bound_config_selectorIdlEEZNS1_14transform_implILb0ES3_S5_N6thrust23THRUST_200600_302600_NS6detail15normal_iteratorINS8_7pointerIdNS8_11hip_rocprim5par_tENS8_11use_defaultESE_EEEENSA_INSB_IlSD_SE_SE_EEEEZNS1_13binary_searchIS3_S5_PdSG_SI_NS1_21lower_bound_search_opENS9_16wrapped_functionI11custom_lessbEEEE10hipError_tPvRmT1_T2_T3_mmT4_T5_P12ihipStream_tbEUlRKdE_EESP_ST_SU_mSV_SY_bEUlT_E_NS1_11comp_targetILNS1_3genE9ELNS1_11target_archE1100ELNS1_3gpuE3ELNS1_3repE0EEENS1_30default_config_static_selectorELNS0_4arch9wavefront6targetE0EEEvSS_: ; @_ZN7rocprim17ROCPRIM_400000_NS6detail17trampoline_kernelINS0_14default_configENS1_27lower_bound_config_selectorIdlEEZNS1_14transform_implILb0ES3_S5_N6thrust23THRUST_200600_302600_NS6detail15normal_iteratorINS8_7pointerIdNS8_11hip_rocprim5par_tENS8_11use_defaultESE_EEEENSA_INSB_IlSD_SE_SE_EEEEZNS1_13binary_searchIS3_S5_PdSG_SI_NS1_21lower_bound_search_opENS9_16wrapped_functionI11custom_lessbEEEE10hipError_tPvRmT1_T2_T3_mmT4_T5_P12ihipStream_tbEUlRKdE_EESP_ST_SU_mSV_SY_bEUlT_E_NS1_11comp_targetILNS1_3genE9ELNS1_11target_archE1100ELNS1_3gpuE3ELNS1_3repE0EEENS1_30default_config_static_selectorELNS0_4arch9wavefront6targetE0EEEvSS_
; %bb.0:
	.section	.rodata,"a",@progbits
	.p2align	6, 0x0
	.amdhsa_kernel _ZN7rocprim17ROCPRIM_400000_NS6detail17trampoline_kernelINS0_14default_configENS1_27lower_bound_config_selectorIdlEEZNS1_14transform_implILb0ES3_S5_N6thrust23THRUST_200600_302600_NS6detail15normal_iteratorINS8_7pointerIdNS8_11hip_rocprim5par_tENS8_11use_defaultESE_EEEENSA_INSB_IlSD_SE_SE_EEEEZNS1_13binary_searchIS3_S5_PdSG_SI_NS1_21lower_bound_search_opENS9_16wrapped_functionI11custom_lessbEEEE10hipError_tPvRmT1_T2_T3_mmT4_T5_P12ihipStream_tbEUlRKdE_EESP_ST_SU_mSV_SY_bEUlT_E_NS1_11comp_targetILNS1_3genE9ELNS1_11target_archE1100ELNS1_3gpuE3ELNS1_3repE0EEENS1_30default_config_static_selectorELNS0_4arch9wavefront6targetE0EEEvSS_
		.amdhsa_group_segment_fixed_size 0
		.amdhsa_private_segment_fixed_size 0
		.amdhsa_kernarg_size 56
		.amdhsa_user_sgpr_count 6
		.amdhsa_user_sgpr_private_segment_buffer 1
		.amdhsa_user_sgpr_dispatch_ptr 0
		.amdhsa_user_sgpr_queue_ptr 0
		.amdhsa_user_sgpr_kernarg_segment_ptr 1
		.amdhsa_user_sgpr_dispatch_id 0
		.amdhsa_user_sgpr_flat_scratch_init 0
		.amdhsa_user_sgpr_private_segment_size 0
		.amdhsa_wavefront_size32 1
		.amdhsa_uses_dynamic_stack 0
		.amdhsa_system_sgpr_private_segment_wavefront_offset 0
		.amdhsa_system_sgpr_workgroup_id_x 1
		.amdhsa_system_sgpr_workgroup_id_y 0
		.amdhsa_system_sgpr_workgroup_id_z 0
		.amdhsa_system_sgpr_workgroup_info 0
		.amdhsa_system_vgpr_workitem_id 0
		.amdhsa_next_free_vgpr 1
		.amdhsa_next_free_sgpr 1
		.amdhsa_reserve_vcc 0
		.amdhsa_reserve_flat_scratch 0
		.amdhsa_float_round_mode_32 0
		.amdhsa_float_round_mode_16_64 0
		.amdhsa_float_denorm_mode_32 3
		.amdhsa_float_denorm_mode_16_64 3
		.amdhsa_dx10_clamp 1
		.amdhsa_ieee_mode 1
		.amdhsa_fp16_overflow 0
		.amdhsa_workgroup_processor_mode 1
		.amdhsa_memory_ordered 1
		.amdhsa_forward_progress 1
		.amdhsa_shared_vgpr_count 0
		.amdhsa_exception_fp_ieee_invalid_op 0
		.amdhsa_exception_fp_denorm_src 0
		.amdhsa_exception_fp_ieee_div_zero 0
		.amdhsa_exception_fp_ieee_overflow 0
		.amdhsa_exception_fp_ieee_underflow 0
		.amdhsa_exception_fp_ieee_inexact 0
		.amdhsa_exception_int_div_zero 0
	.end_amdhsa_kernel
	.section	.text._ZN7rocprim17ROCPRIM_400000_NS6detail17trampoline_kernelINS0_14default_configENS1_27lower_bound_config_selectorIdlEEZNS1_14transform_implILb0ES3_S5_N6thrust23THRUST_200600_302600_NS6detail15normal_iteratorINS8_7pointerIdNS8_11hip_rocprim5par_tENS8_11use_defaultESE_EEEENSA_INSB_IlSD_SE_SE_EEEEZNS1_13binary_searchIS3_S5_PdSG_SI_NS1_21lower_bound_search_opENS9_16wrapped_functionI11custom_lessbEEEE10hipError_tPvRmT1_T2_T3_mmT4_T5_P12ihipStream_tbEUlRKdE_EESP_ST_SU_mSV_SY_bEUlT_E_NS1_11comp_targetILNS1_3genE9ELNS1_11target_archE1100ELNS1_3gpuE3ELNS1_3repE0EEENS1_30default_config_static_selectorELNS0_4arch9wavefront6targetE0EEEvSS_,"axG",@progbits,_ZN7rocprim17ROCPRIM_400000_NS6detail17trampoline_kernelINS0_14default_configENS1_27lower_bound_config_selectorIdlEEZNS1_14transform_implILb0ES3_S5_N6thrust23THRUST_200600_302600_NS6detail15normal_iteratorINS8_7pointerIdNS8_11hip_rocprim5par_tENS8_11use_defaultESE_EEEENSA_INSB_IlSD_SE_SE_EEEEZNS1_13binary_searchIS3_S5_PdSG_SI_NS1_21lower_bound_search_opENS9_16wrapped_functionI11custom_lessbEEEE10hipError_tPvRmT1_T2_T3_mmT4_T5_P12ihipStream_tbEUlRKdE_EESP_ST_SU_mSV_SY_bEUlT_E_NS1_11comp_targetILNS1_3genE9ELNS1_11target_archE1100ELNS1_3gpuE3ELNS1_3repE0EEENS1_30default_config_static_selectorELNS0_4arch9wavefront6targetE0EEEvSS_,comdat
.Lfunc_end11:
	.size	_ZN7rocprim17ROCPRIM_400000_NS6detail17trampoline_kernelINS0_14default_configENS1_27lower_bound_config_selectorIdlEEZNS1_14transform_implILb0ES3_S5_N6thrust23THRUST_200600_302600_NS6detail15normal_iteratorINS8_7pointerIdNS8_11hip_rocprim5par_tENS8_11use_defaultESE_EEEENSA_INSB_IlSD_SE_SE_EEEEZNS1_13binary_searchIS3_S5_PdSG_SI_NS1_21lower_bound_search_opENS9_16wrapped_functionI11custom_lessbEEEE10hipError_tPvRmT1_T2_T3_mmT4_T5_P12ihipStream_tbEUlRKdE_EESP_ST_SU_mSV_SY_bEUlT_E_NS1_11comp_targetILNS1_3genE9ELNS1_11target_archE1100ELNS1_3gpuE3ELNS1_3repE0EEENS1_30default_config_static_selectorELNS0_4arch9wavefront6targetE0EEEvSS_, .Lfunc_end11-_ZN7rocprim17ROCPRIM_400000_NS6detail17trampoline_kernelINS0_14default_configENS1_27lower_bound_config_selectorIdlEEZNS1_14transform_implILb0ES3_S5_N6thrust23THRUST_200600_302600_NS6detail15normal_iteratorINS8_7pointerIdNS8_11hip_rocprim5par_tENS8_11use_defaultESE_EEEENSA_INSB_IlSD_SE_SE_EEEEZNS1_13binary_searchIS3_S5_PdSG_SI_NS1_21lower_bound_search_opENS9_16wrapped_functionI11custom_lessbEEEE10hipError_tPvRmT1_T2_T3_mmT4_T5_P12ihipStream_tbEUlRKdE_EESP_ST_SU_mSV_SY_bEUlT_E_NS1_11comp_targetILNS1_3genE9ELNS1_11target_archE1100ELNS1_3gpuE3ELNS1_3repE0EEENS1_30default_config_static_selectorELNS0_4arch9wavefront6targetE0EEEvSS_
                                        ; -- End function
	.set _ZN7rocprim17ROCPRIM_400000_NS6detail17trampoline_kernelINS0_14default_configENS1_27lower_bound_config_selectorIdlEEZNS1_14transform_implILb0ES3_S5_N6thrust23THRUST_200600_302600_NS6detail15normal_iteratorINS8_7pointerIdNS8_11hip_rocprim5par_tENS8_11use_defaultESE_EEEENSA_INSB_IlSD_SE_SE_EEEEZNS1_13binary_searchIS3_S5_PdSG_SI_NS1_21lower_bound_search_opENS9_16wrapped_functionI11custom_lessbEEEE10hipError_tPvRmT1_T2_T3_mmT4_T5_P12ihipStream_tbEUlRKdE_EESP_ST_SU_mSV_SY_bEUlT_E_NS1_11comp_targetILNS1_3genE9ELNS1_11target_archE1100ELNS1_3gpuE3ELNS1_3repE0EEENS1_30default_config_static_selectorELNS0_4arch9wavefront6targetE0EEEvSS_.num_vgpr, 0
	.set _ZN7rocprim17ROCPRIM_400000_NS6detail17trampoline_kernelINS0_14default_configENS1_27lower_bound_config_selectorIdlEEZNS1_14transform_implILb0ES3_S5_N6thrust23THRUST_200600_302600_NS6detail15normal_iteratorINS8_7pointerIdNS8_11hip_rocprim5par_tENS8_11use_defaultESE_EEEENSA_INSB_IlSD_SE_SE_EEEEZNS1_13binary_searchIS3_S5_PdSG_SI_NS1_21lower_bound_search_opENS9_16wrapped_functionI11custom_lessbEEEE10hipError_tPvRmT1_T2_T3_mmT4_T5_P12ihipStream_tbEUlRKdE_EESP_ST_SU_mSV_SY_bEUlT_E_NS1_11comp_targetILNS1_3genE9ELNS1_11target_archE1100ELNS1_3gpuE3ELNS1_3repE0EEENS1_30default_config_static_selectorELNS0_4arch9wavefront6targetE0EEEvSS_.num_agpr, 0
	.set _ZN7rocprim17ROCPRIM_400000_NS6detail17trampoline_kernelINS0_14default_configENS1_27lower_bound_config_selectorIdlEEZNS1_14transform_implILb0ES3_S5_N6thrust23THRUST_200600_302600_NS6detail15normal_iteratorINS8_7pointerIdNS8_11hip_rocprim5par_tENS8_11use_defaultESE_EEEENSA_INSB_IlSD_SE_SE_EEEEZNS1_13binary_searchIS3_S5_PdSG_SI_NS1_21lower_bound_search_opENS9_16wrapped_functionI11custom_lessbEEEE10hipError_tPvRmT1_T2_T3_mmT4_T5_P12ihipStream_tbEUlRKdE_EESP_ST_SU_mSV_SY_bEUlT_E_NS1_11comp_targetILNS1_3genE9ELNS1_11target_archE1100ELNS1_3gpuE3ELNS1_3repE0EEENS1_30default_config_static_selectorELNS0_4arch9wavefront6targetE0EEEvSS_.numbered_sgpr, 0
	.set _ZN7rocprim17ROCPRIM_400000_NS6detail17trampoline_kernelINS0_14default_configENS1_27lower_bound_config_selectorIdlEEZNS1_14transform_implILb0ES3_S5_N6thrust23THRUST_200600_302600_NS6detail15normal_iteratorINS8_7pointerIdNS8_11hip_rocprim5par_tENS8_11use_defaultESE_EEEENSA_INSB_IlSD_SE_SE_EEEEZNS1_13binary_searchIS3_S5_PdSG_SI_NS1_21lower_bound_search_opENS9_16wrapped_functionI11custom_lessbEEEE10hipError_tPvRmT1_T2_T3_mmT4_T5_P12ihipStream_tbEUlRKdE_EESP_ST_SU_mSV_SY_bEUlT_E_NS1_11comp_targetILNS1_3genE9ELNS1_11target_archE1100ELNS1_3gpuE3ELNS1_3repE0EEENS1_30default_config_static_selectorELNS0_4arch9wavefront6targetE0EEEvSS_.num_named_barrier, 0
	.set _ZN7rocprim17ROCPRIM_400000_NS6detail17trampoline_kernelINS0_14default_configENS1_27lower_bound_config_selectorIdlEEZNS1_14transform_implILb0ES3_S5_N6thrust23THRUST_200600_302600_NS6detail15normal_iteratorINS8_7pointerIdNS8_11hip_rocprim5par_tENS8_11use_defaultESE_EEEENSA_INSB_IlSD_SE_SE_EEEEZNS1_13binary_searchIS3_S5_PdSG_SI_NS1_21lower_bound_search_opENS9_16wrapped_functionI11custom_lessbEEEE10hipError_tPvRmT1_T2_T3_mmT4_T5_P12ihipStream_tbEUlRKdE_EESP_ST_SU_mSV_SY_bEUlT_E_NS1_11comp_targetILNS1_3genE9ELNS1_11target_archE1100ELNS1_3gpuE3ELNS1_3repE0EEENS1_30default_config_static_selectorELNS0_4arch9wavefront6targetE0EEEvSS_.private_seg_size, 0
	.set _ZN7rocprim17ROCPRIM_400000_NS6detail17trampoline_kernelINS0_14default_configENS1_27lower_bound_config_selectorIdlEEZNS1_14transform_implILb0ES3_S5_N6thrust23THRUST_200600_302600_NS6detail15normal_iteratorINS8_7pointerIdNS8_11hip_rocprim5par_tENS8_11use_defaultESE_EEEENSA_INSB_IlSD_SE_SE_EEEEZNS1_13binary_searchIS3_S5_PdSG_SI_NS1_21lower_bound_search_opENS9_16wrapped_functionI11custom_lessbEEEE10hipError_tPvRmT1_T2_T3_mmT4_T5_P12ihipStream_tbEUlRKdE_EESP_ST_SU_mSV_SY_bEUlT_E_NS1_11comp_targetILNS1_3genE9ELNS1_11target_archE1100ELNS1_3gpuE3ELNS1_3repE0EEENS1_30default_config_static_selectorELNS0_4arch9wavefront6targetE0EEEvSS_.uses_vcc, 0
	.set _ZN7rocprim17ROCPRIM_400000_NS6detail17trampoline_kernelINS0_14default_configENS1_27lower_bound_config_selectorIdlEEZNS1_14transform_implILb0ES3_S5_N6thrust23THRUST_200600_302600_NS6detail15normal_iteratorINS8_7pointerIdNS8_11hip_rocprim5par_tENS8_11use_defaultESE_EEEENSA_INSB_IlSD_SE_SE_EEEEZNS1_13binary_searchIS3_S5_PdSG_SI_NS1_21lower_bound_search_opENS9_16wrapped_functionI11custom_lessbEEEE10hipError_tPvRmT1_T2_T3_mmT4_T5_P12ihipStream_tbEUlRKdE_EESP_ST_SU_mSV_SY_bEUlT_E_NS1_11comp_targetILNS1_3genE9ELNS1_11target_archE1100ELNS1_3gpuE3ELNS1_3repE0EEENS1_30default_config_static_selectorELNS0_4arch9wavefront6targetE0EEEvSS_.uses_flat_scratch, 0
	.set _ZN7rocprim17ROCPRIM_400000_NS6detail17trampoline_kernelINS0_14default_configENS1_27lower_bound_config_selectorIdlEEZNS1_14transform_implILb0ES3_S5_N6thrust23THRUST_200600_302600_NS6detail15normal_iteratorINS8_7pointerIdNS8_11hip_rocprim5par_tENS8_11use_defaultESE_EEEENSA_INSB_IlSD_SE_SE_EEEEZNS1_13binary_searchIS3_S5_PdSG_SI_NS1_21lower_bound_search_opENS9_16wrapped_functionI11custom_lessbEEEE10hipError_tPvRmT1_T2_T3_mmT4_T5_P12ihipStream_tbEUlRKdE_EESP_ST_SU_mSV_SY_bEUlT_E_NS1_11comp_targetILNS1_3genE9ELNS1_11target_archE1100ELNS1_3gpuE3ELNS1_3repE0EEENS1_30default_config_static_selectorELNS0_4arch9wavefront6targetE0EEEvSS_.has_dyn_sized_stack, 0
	.set _ZN7rocprim17ROCPRIM_400000_NS6detail17trampoline_kernelINS0_14default_configENS1_27lower_bound_config_selectorIdlEEZNS1_14transform_implILb0ES3_S5_N6thrust23THRUST_200600_302600_NS6detail15normal_iteratorINS8_7pointerIdNS8_11hip_rocprim5par_tENS8_11use_defaultESE_EEEENSA_INSB_IlSD_SE_SE_EEEEZNS1_13binary_searchIS3_S5_PdSG_SI_NS1_21lower_bound_search_opENS9_16wrapped_functionI11custom_lessbEEEE10hipError_tPvRmT1_T2_T3_mmT4_T5_P12ihipStream_tbEUlRKdE_EESP_ST_SU_mSV_SY_bEUlT_E_NS1_11comp_targetILNS1_3genE9ELNS1_11target_archE1100ELNS1_3gpuE3ELNS1_3repE0EEENS1_30default_config_static_selectorELNS0_4arch9wavefront6targetE0EEEvSS_.has_recursion, 0
	.set _ZN7rocprim17ROCPRIM_400000_NS6detail17trampoline_kernelINS0_14default_configENS1_27lower_bound_config_selectorIdlEEZNS1_14transform_implILb0ES3_S5_N6thrust23THRUST_200600_302600_NS6detail15normal_iteratorINS8_7pointerIdNS8_11hip_rocprim5par_tENS8_11use_defaultESE_EEEENSA_INSB_IlSD_SE_SE_EEEEZNS1_13binary_searchIS3_S5_PdSG_SI_NS1_21lower_bound_search_opENS9_16wrapped_functionI11custom_lessbEEEE10hipError_tPvRmT1_T2_T3_mmT4_T5_P12ihipStream_tbEUlRKdE_EESP_ST_SU_mSV_SY_bEUlT_E_NS1_11comp_targetILNS1_3genE9ELNS1_11target_archE1100ELNS1_3gpuE3ELNS1_3repE0EEENS1_30default_config_static_selectorELNS0_4arch9wavefront6targetE0EEEvSS_.has_indirect_call, 0
	.section	.AMDGPU.csdata,"",@progbits
; Kernel info:
; codeLenInByte = 0
; TotalNumSgprs: 0
; NumVgprs: 0
; ScratchSize: 0
; MemoryBound: 0
; FloatMode: 240
; IeeeMode: 1
; LDSByteSize: 0 bytes/workgroup (compile time only)
; SGPRBlocks: 0
; VGPRBlocks: 0
; NumSGPRsForWavesPerEU: 1
; NumVGPRsForWavesPerEU: 1
; Occupancy: 16
; WaveLimiterHint : 0
; COMPUTE_PGM_RSRC2:SCRATCH_EN: 0
; COMPUTE_PGM_RSRC2:USER_SGPR: 6
; COMPUTE_PGM_RSRC2:TRAP_HANDLER: 0
; COMPUTE_PGM_RSRC2:TGID_X_EN: 1
; COMPUTE_PGM_RSRC2:TGID_Y_EN: 0
; COMPUTE_PGM_RSRC2:TGID_Z_EN: 0
; COMPUTE_PGM_RSRC2:TIDIG_COMP_CNT: 0
	.section	.text._ZN7rocprim17ROCPRIM_400000_NS6detail17trampoline_kernelINS0_14default_configENS1_27lower_bound_config_selectorIdlEEZNS1_14transform_implILb0ES3_S5_N6thrust23THRUST_200600_302600_NS6detail15normal_iteratorINS8_7pointerIdNS8_11hip_rocprim5par_tENS8_11use_defaultESE_EEEENSA_INSB_IlSD_SE_SE_EEEEZNS1_13binary_searchIS3_S5_PdSG_SI_NS1_21lower_bound_search_opENS9_16wrapped_functionI11custom_lessbEEEE10hipError_tPvRmT1_T2_T3_mmT4_T5_P12ihipStream_tbEUlRKdE_EESP_ST_SU_mSV_SY_bEUlT_E_NS1_11comp_targetILNS1_3genE8ELNS1_11target_archE1030ELNS1_3gpuE2ELNS1_3repE0EEENS1_30default_config_static_selectorELNS0_4arch9wavefront6targetE0EEEvSS_,"axG",@progbits,_ZN7rocprim17ROCPRIM_400000_NS6detail17trampoline_kernelINS0_14default_configENS1_27lower_bound_config_selectorIdlEEZNS1_14transform_implILb0ES3_S5_N6thrust23THRUST_200600_302600_NS6detail15normal_iteratorINS8_7pointerIdNS8_11hip_rocprim5par_tENS8_11use_defaultESE_EEEENSA_INSB_IlSD_SE_SE_EEEEZNS1_13binary_searchIS3_S5_PdSG_SI_NS1_21lower_bound_search_opENS9_16wrapped_functionI11custom_lessbEEEE10hipError_tPvRmT1_T2_T3_mmT4_T5_P12ihipStream_tbEUlRKdE_EESP_ST_SU_mSV_SY_bEUlT_E_NS1_11comp_targetILNS1_3genE8ELNS1_11target_archE1030ELNS1_3gpuE2ELNS1_3repE0EEENS1_30default_config_static_selectorELNS0_4arch9wavefront6targetE0EEEvSS_,comdat
	.protected	_ZN7rocprim17ROCPRIM_400000_NS6detail17trampoline_kernelINS0_14default_configENS1_27lower_bound_config_selectorIdlEEZNS1_14transform_implILb0ES3_S5_N6thrust23THRUST_200600_302600_NS6detail15normal_iteratorINS8_7pointerIdNS8_11hip_rocprim5par_tENS8_11use_defaultESE_EEEENSA_INSB_IlSD_SE_SE_EEEEZNS1_13binary_searchIS3_S5_PdSG_SI_NS1_21lower_bound_search_opENS9_16wrapped_functionI11custom_lessbEEEE10hipError_tPvRmT1_T2_T3_mmT4_T5_P12ihipStream_tbEUlRKdE_EESP_ST_SU_mSV_SY_bEUlT_E_NS1_11comp_targetILNS1_3genE8ELNS1_11target_archE1030ELNS1_3gpuE2ELNS1_3repE0EEENS1_30default_config_static_selectorELNS0_4arch9wavefront6targetE0EEEvSS_ ; -- Begin function _ZN7rocprim17ROCPRIM_400000_NS6detail17trampoline_kernelINS0_14default_configENS1_27lower_bound_config_selectorIdlEEZNS1_14transform_implILb0ES3_S5_N6thrust23THRUST_200600_302600_NS6detail15normal_iteratorINS8_7pointerIdNS8_11hip_rocprim5par_tENS8_11use_defaultESE_EEEENSA_INSB_IlSD_SE_SE_EEEEZNS1_13binary_searchIS3_S5_PdSG_SI_NS1_21lower_bound_search_opENS9_16wrapped_functionI11custom_lessbEEEE10hipError_tPvRmT1_T2_T3_mmT4_T5_P12ihipStream_tbEUlRKdE_EESP_ST_SU_mSV_SY_bEUlT_E_NS1_11comp_targetILNS1_3genE8ELNS1_11target_archE1030ELNS1_3gpuE2ELNS1_3repE0EEENS1_30default_config_static_selectorELNS0_4arch9wavefront6targetE0EEEvSS_
	.globl	_ZN7rocprim17ROCPRIM_400000_NS6detail17trampoline_kernelINS0_14default_configENS1_27lower_bound_config_selectorIdlEEZNS1_14transform_implILb0ES3_S5_N6thrust23THRUST_200600_302600_NS6detail15normal_iteratorINS8_7pointerIdNS8_11hip_rocprim5par_tENS8_11use_defaultESE_EEEENSA_INSB_IlSD_SE_SE_EEEEZNS1_13binary_searchIS3_S5_PdSG_SI_NS1_21lower_bound_search_opENS9_16wrapped_functionI11custom_lessbEEEE10hipError_tPvRmT1_T2_T3_mmT4_T5_P12ihipStream_tbEUlRKdE_EESP_ST_SU_mSV_SY_bEUlT_E_NS1_11comp_targetILNS1_3genE8ELNS1_11target_archE1030ELNS1_3gpuE2ELNS1_3repE0EEENS1_30default_config_static_selectorELNS0_4arch9wavefront6targetE0EEEvSS_
	.p2align	8
	.type	_ZN7rocprim17ROCPRIM_400000_NS6detail17trampoline_kernelINS0_14default_configENS1_27lower_bound_config_selectorIdlEEZNS1_14transform_implILb0ES3_S5_N6thrust23THRUST_200600_302600_NS6detail15normal_iteratorINS8_7pointerIdNS8_11hip_rocprim5par_tENS8_11use_defaultESE_EEEENSA_INSB_IlSD_SE_SE_EEEEZNS1_13binary_searchIS3_S5_PdSG_SI_NS1_21lower_bound_search_opENS9_16wrapped_functionI11custom_lessbEEEE10hipError_tPvRmT1_T2_T3_mmT4_T5_P12ihipStream_tbEUlRKdE_EESP_ST_SU_mSV_SY_bEUlT_E_NS1_11comp_targetILNS1_3genE8ELNS1_11target_archE1030ELNS1_3gpuE2ELNS1_3repE0EEENS1_30default_config_static_selectorELNS0_4arch9wavefront6targetE0EEEvSS_,@function
_ZN7rocprim17ROCPRIM_400000_NS6detail17trampoline_kernelINS0_14default_configENS1_27lower_bound_config_selectorIdlEEZNS1_14transform_implILb0ES3_S5_N6thrust23THRUST_200600_302600_NS6detail15normal_iteratorINS8_7pointerIdNS8_11hip_rocprim5par_tENS8_11use_defaultESE_EEEENSA_INSB_IlSD_SE_SE_EEEEZNS1_13binary_searchIS3_S5_PdSG_SI_NS1_21lower_bound_search_opENS9_16wrapped_functionI11custom_lessbEEEE10hipError_tPvRmT1_T2_T3_mmT4_T5_P12ihipStream_tbEUlRKdE_EESP_ST_SU_mSV_SY_bEUlT_E_NS1_11comp_targetILNS1_3genE8ELNS1_11target_archE1030ELNS1_3gpuE2ELNS1_3repE0EEENS1_30default_config_static_selectorELNS0_4arch9wavefront6targetE0EEEvSS_: ; @_ZN7rocprim17ROCPRIM_400000_NS6detail17trampoline_kernelINS0_14default_configENS1_27lower_bound_config_selectorIdlEEZNS1_14transform_implILb0ES3_S5_N6thrust23THRUST_200600_302600_NS6detail15normal_iteratorINS8_7pointerIdNS8_11hip_rocprim5par_tENS8_11use_defaultESE_EEEENSA_INSB_IlSD_SE_SE_EEEEZNS1_13binary_searchIS3_S5_PdSG_SI_NS1_21lower_bound_search_opENS9_16wrapped_functionI11custom_lessbEEEE10hipError_tPvRmT1_T2_T3_mmT4_T5_P12ihipStream_tbEUlRKdE_EESP_ST_SU_mSV_SY_bEUlT_E_NS1_11comp_targetILNS1_3genE8ELNS1_11target_archE1030ELNS1_3gpuE2ELNS1_3repE0EEENS1_30default_config_static_selectorELNS0_4arch9wavefront6targetE0EEEvSS_
; %bb.0:
	s_clause 0x3
	s_load_dwordx4 s[16:19], s[4:5], 0x0
	s_load_dwordx4 s[0:3], s[4:5], 0x18
	s_load_dword s15, s[4:5], 0x38
	s_load_dwordx2 s[10:11], s[4:5], 0x28
	s_waitcnt lgkmcnt(0)
	s_lshl_b64 s[8:9], s[18:19], 3
	s_add_u32 s13, s16, s8
	s_addc_u32 s14, s17, s9
	s_add_u32 s7, s0, s8
	s_addc_u32 s12, s1, s9
	s_add_i32 s15, s15, -1
	s_lshl_b32 s8, s6, 8
	s_mov_b32 s9, 0
	s_cmp_lg_u32 s6, s15
	s_mov_b32 s0, -1
	s_cbranch_scc0 .LBB12_7
; %bb.1:
	s_cmp_eq_u64 s[10:11], 0
	s_cbranch_scc1 .LBB12_5
; %bb.2:
	v_lshlrev_b32_e32 v1, 3, v0
	s_lshl_b64 s[0:1], s[8:9], 3
	v_mov_b32_e32 v5, s10
	s_add_u32 s0, s13, s0
	s_addc_u32 s1, s14, s1
	v_add_co_u32 v1, s0, s0, v1
	v_add_co_ci_u32_e64 v2, null, s1, 0, s0
	v_mov_b32_e32 v6, s11
	s_mov_b32 s1, 0
	flat_load_dwordx2 v[3:4], v[1:2]
	v_mov_b32_e32 v1, 0
	v_mov_b32_e32 v2, 0
	s_inst_prefetch 0x1
	.p2align	6
.LBB12_3:                               ; =>This Inner Loop Header: Depth=1
	v_sub_co_u32 v7, vcc_lo, v5, v1
	v_sub_co_ci_u32_e64 v8, null, v6, v2, vcc_lo
	v_lshrrev_b64 v[9:10], 1, v[7:8]
	v_lshrrev_b64 v[7:8], 6, v[7:8]
	v_add_co_u32 v9, vcc_lo, v9, v1
	v_add_co_ci_u32_e64 v10, null, v10, v2, vcc_lo
	v_add_co_u32 v7, vcc_lo, v9, v7
	v_add_co_ci_u32_e64 v8, null, v10, v8, vcc_lo
	v_lshlrev_b64 v[9:10], 3, v[7:8]
	v_add_co_u32 v9, vcc_lo, s2, v9
	v_add_co_ci_u32_e64 v10, null, s3, v10, vcc_lo
	global_load_dwordx2 v[9:10], v[9:10], off
	s_waitcnt vmcnt(0) lgkmcnt(0)
	v_cmp_lt_f64_e32 vcc_lo, v[9:10], v[3:4]
	v_add_co_u32 v9, s0, v7, 1
	v_add_co_ci_u32_e64 v10, null, 0, v8, s0
	v_cndmask_b32_e32 v6, v8, v6, vcc_lo
	v_cndmask_b32_e32 v5, v7, v5, vcc_lo
	;; [unrolled: 1-line block ×4, first 2 shown]
	v_cmp_ge_u64_e32 vcc_lo, v[1:2], v[5:6]
	s_or_b32 s1, vcc_lo, s1
	s_andn2_b32 exec_lo, exec_lo, s1
	s_cbranch_execnz .LBB12_3
; %bb.4:
	s_inst_prefetch 0x2
	s_or_b32 exec_lo, exec_lo, s1
	s_branch .LBB12_6
.LBB12_5:
	v_mov_b32_e32 v1, 0
	v_mov_b32_e32 v2, 0
.LBB12_6:
	v_lshlrev_b32_e32 v3, 3, v0
	s_lshl_b64 s[0:1], s[8:9], 3
	s_add_u32 s0, s7, s0
	s_addc_u32 s1, s12, s1
	v_add_co_u32 v3, s0, s0, v3
	v_add_co_ci_u32_e64 v4, null, s1, 0, s0
	s_mov_b32 s0, 0
	flat_store_dwordx2 v[3:4], v[1:2]
.LBB12_7:
	s_and_b32 vcc_lo, exec_lo, s0
	s_cbranch_vccz .LBB12_16
; %bb.8:
	s_load_dword s0, s[4:5], 0x10
                                        ; implicit-def: $vgpr3_vgpr4
	s_waitcnt lgkmcnt(0)
	s_sub_i32 s1, s0, s8
	v_cmp_le_u32_e64 s0, s1, v0
	v_cmp_gt_u32_e32 vcc_lo, s1, v0
	s_and_saveexec_b32 s1, vcc_lo
	s_cbranch_execz .LBB12_10
; %bb.9:
	v_lshlrev_b32_e32 v1, 3, v0
	s_lshl_b64 s[4:5], s[8:9], 3
	s_add_u32 s4, s13, s4
	s_addc_u32 s5, s14, s5
	v_add_co_u32 v1, s4, s4, v1
	v_add_co_ci_u32_e64 v2, null, s5, 0, s4
	flat_load_dwordx2 v[3:4], v[1:2]
.LBB12_10:
	s_or_b32 exec_lo, exec_lo, s1
	s_cmp_lg_u64 s[10:11], 0
	v_mov_b32_e32 v1, 0
	v_mov_b32_e32 v2, 0
	s_cselect_b32 s1, -1, 0
	s_xor_b32 s0, s0, -1
	s_and_b32 s0, s0, s1
	s_and_saveexec_b32 s4, s0
	s_cbranch_execz .LBB12_14
; %bb.11:
	v_mov_b32_e32 v1, 0
	v_mov_b32_e32 v5, s10
	;; [unrolled: 1-line block ×4, first 2 shown]
	s_mov_b32 s5, 0
	s_inst_prefetch 0x1
	.p2align	6
.LBB12_12:                              ; =>This Inner Loop Header: Depth=1
	v_sub_co_u32 v7, s0, v5, v1
	v_sub_co_ci_u32_e64 v8, null, v6, v2, s0
	v_lshrrev_b64 v[9:10], 1, v[7:8]
	v_lshrrev_b64 v[7:8], 6, v[7:8]
	v_add_co_u32 v9, s0, v9, v1
	v_add_co_ci_u32_e64 v10, null, v10, v2, s0
	v_add_co_u32 v7, s0, v9, v7
	v_add_co_ci_u32_e64 v8, null, v10, v8, s0
	v_lshlrev_b64 v[9:10], 3, v[7:8]
	v_add_co_u32 v9, s0, s2, v9
	v_add_co_ci_u32_e64 v10, null, s3, v10, s0
	global_load_dwordx2 v[9:10], v[9:10], off
	s_waitcnt vmcnt(0) lgkmcnt(0)
	v_cmp_lt_f64_e64 s0, v[9:10], v[3:4]
	v_add_co_u32 v9, s1, v7, 1
	v_add_co_ci_u32_e64 v10, null, 0, v8, s1
	v_cndmask_b32_e64 v6, v8, v6, s0
	v_cndmask_b32_e64 v5, v7, v5, s0
	;; [unrolled: 1-line block ×4, first 2 shown]
	v_cmp_ge_u64_e64 s0, v[1:2], v[5:6]
	s_or_b32 s5, s0, s5
	s_andn2_b32 exec_lo, exec_lo, s5
	s_cbranch_execnz .LBB12_12
; %bb.13:
	s_inst_prefetch 0x2
	s_or_b32 exec_lo, exec_lo, s5
.LBB12_14:
	s_or_b32 exec_lo, exec_lo, s4
	s_and_saveexec_b32 s0, vcc_lo
	s_cbranch_execz .LBB12_16
; %bb.15:
	v_lshlrev_b32_e32 v0, 3, v0
	s_lshl_b64 s[0:1], s[8:9], 3
	s_add_u32 s0, s7, s0
	s_addc_u32 s1, s12, s1
	s_waitcnt vmcnt(0) lgkmcnt(0)
	v_add_co_u32 v3, s0, s0, v0
	v_add_co_ci_u32_e64 v4, null, s1, 0, s0
	flat_store_dwordx2 v[3:4], v[1:2]
.LBB12_16:
	s_endpgm
	.section	.rodata,"a",@progbits
	.p2align	6, 0x0
	.amdhsa_kernel _ZN7rocprim17ROCPRIM_400000_NS6detail17trampoline_kernelINS0_14default_configENS1_27lower_bound_config_selectorIdlEEZNS1_14transform_implILb0ES3_S5_N6thrust23THRUST_200600_302600_NS6detail15normal_iteratorINS8_7pointerIdNS8_11hip_rocprim5par_tENS8_11use_defaultESE_EEEENSA_INSB_IlSD_SE_SE_EEEEZNS1_13binary_searchIS3_S5_PdSG_SI_NS1_21lower_bound_search_opENS9_16wrapped_functionI11custom_lessbEEEE10hipError_tPvRmT1_T2_T3_mmT4_T5_P12ihipStream_tbEUlRKdE_EESP_ST_SU_mSV_SY_bEUlT_E_NS1_11comp_targetILNS1_3genE8ELNS1_11target_archE1030ELNS1_3gpuE2ELNS1_3repE0EEENS1_30default_config_static_selectorELNS0_4arch9wavefront6targetE0EEEvSS_
		.amdhsa_group_segment_fixed_size 0
		.amdhsa_private_segment_fixed_size 0
		.amdhsa_kernarg_size 312
		.amdhsa_user_sgpr_count 6
		.amdhsa_user_sgpr_private_segment_buffer 1
		.amdhsa_user_sgpr_dispatch_ptr 0
		.amdhsa_user_sgpr_queue_ptr 0
		.amdhsa_user_sgpr_kernarg_segment_ptr 1
		.amdhsa_user_sgpr_dispatch_id 0
		.amdhsa_user_sgpr_flat_scratch_init 0
		.amdhsa_user_sgpr_private_segment_size 0
		.amdhsa_wavefront_size32 1
		.amdhsa_uses_dynamic_stack 0
		.amdhsa_system_sgpr_private_segment_wavefront_offset 0
		.amdhsa_system_sgpr_workgroup_id_x 1
		.amdhsa_system_sgpr_workgroup_id_y 0
		.amdhsa_system_sgpr_workgroup_id_z 0
		.amdhsa_system_sgpr_workgroup_info 0
		.amdhsa_system_vgpr_workitem_id 0
		.amdhsa_next_free_vgpr 11
		.amdhsa_next_free_sgpr 20
		.amdhsa_reserve_vcc 1
		.amdhsa_reserve_flat_scratch 0
		.amdhsa_float_round_mode_32 0
		.amdhsa_float_round_mode_16_64 0
		.amdhsa_float_denorm_mode_32 3
		.amdhsa_float_denorm_mode_16_64 3
		.amdhsa_dx10_clamp 1
		.amdhsa_ieee_mode 1
		.amdhsa_fp16_overflow 0
		.amdhsa_workgroup_processor_mode 1
		.amdhsa_memory_ordered 1
		.amdhsa_forward_progress 1
		.amdhsa_shared_vgpr_count 0
		.amdhsa_exception_fp_ieee_invalid_op 0
		.amdhsa_exception_fp_denorm_src 0
		.amdhsa_exception_fp_ieee_div_zero 0
		.amdhsa_exception_fp_ieee_overflow 0
		.amdhsa_exception_fp_ieee_underflow 0
		.amdhsa_exception_fp_ieee_inexact 0
		.amdhsa_exception_int_div_zero 0
	.end_amdhsa_kernel
	.section	.text._ZN7rocprim17ROCPRIM_400000_NS6detail17trampoline_kernelINS0_14default_configENS1_27lower_bound_config_selectorIdlEEZNS1_14transform_implILb0ES3_S5_N6thrust23THRUST_200600_302600_NS6detail15normal_iteratorINS8_7pointerIdNS8_11hip_rocprim5par_tENS8_11use_defaultESE_EEEENSA_INSB_IlSD_SE_SE_EEEEZNS1_13binary_searchIS3_S5_PdSG_SI_NS1_21lower_bound_search_opENS9_16wrapped_functionI11custom_lessbEEEE10hipError_tPvRmT1_T2_T3_mmT4_T5_P12ihipStream_tbEUlRKdE_EESP_ST_SU_mSV_SY_bEUlT_E_NS1_11comp_targetILNS1_3genE8ELNS1_11target_archE1030ELNS1_3gpuE2ELNS1_3repE0EEENS1_30default_config_static_selectorELNS0_4arch9wavefront6targetE0EEEvSS_,"axG",@progbits,_ZN7rocprim17ROCPRIM_400000_NS6detail17trampoline_kernelINS0_14default_configENS1_27lower_bound_config_selectorIdlEEZNS1_14transform_implILb0ES3_S5_N6thrust23THRUST_200600_302600_NS6detail15normal_iteratorINS8_7pointerIdNS8_11hip_rocprim5par_tENS8_11use_defaultESE_EEEENSA_INSB_IlSD_SE_SE_EEEEZNS1_13binary_searchIS3_S5_PdSG_SI_NS1_21lower_bound_search_opENS9_16wrapped_functionI11custom_lessbEEEE10hipError_tPvRmT1_T2_T3_mmT4_T5_P12ihipStream_tbEUlRKdE_EESP_ST_SU_mSV_SY_bEUlT_E_NS1_11comp_targetILNS1_3genE8ELNS1_11target_archE1030ELNS1_3gpuE2ELNS1_3repE0EEENS1_30default_config_static_selectorELNS0_4arch9wavefront6targetE0EEEvSS_,comdat
.Lfunc_end12:
	.size	_ZN7rocprim17ROCPRIM_400000_NS6detail17trampoline_kernelINS0_14default_configENS1_27lower_bound_config_selectorIdlEEZNS1_14transform_implILb0ES3_S5_N6thrust23THRUST_200600_302600_NS6detail15normal_iteratorINS8_7pointerIdNS8_11hip_rocprim5par_tENS8_11use_defaultESE_EEEENSA_INSB_IlSD_SE_SE_EEEEZNS1_13binary_searchIS3_S5_PdSG_SI_NS1_21lower_bound_search_opENS9_16wrapped_functionI11custom_lessbEEEE10hipError_tPvRmT1_T2_T3_mmT4_T5_P12ihipStream_tbEUlRKdE_EESP_ST_SU_mSV_SY_bEUlT_E_NS1_11comp_targetILNS1_3genE8ELNS1_11target_archE1030ELNS1_3gpuE2ELNS1_3repE0EEENS1_30default_config_static_selectorELNS0_4arch9wavefront6targetE0EEEvSS_, .Lfunc_end12-_ZN7rocprim17ROCPRIM_400000_NS6detail17trampoline_kernelINS0_14default_configENS1_27lower_bound_config_selectorIdlEEZNS1_14transform_implILb0ES3_S5_N6thrust23THRUST_200600_302600_NS6detail15normal_iteratorINS8_7pointerIdNS8_11hip_rocprim5par_tENS8_11use_defaultESE_EEEENSA_INSB_IlSD_SE_SE_EEEEZNS1_13binary_searchIS3_S5_PdSG_SI_NS1_21lower_bound_search_opENS9_16wrapped_functionI11custom_lessbEEEE10hipError_tPvRmT1_T2_T3_mmT4_T5_P12ihipStream_tbEUlRKdE_EESP_ST_SU_mSV_SY_bEUlT_E_NS1_11comp_targetILNS1_3genE8ELNS1_11target_archE1030ELNS1_3gpuE2ELNS1_3repE0EEENS1_30default_config_static_selectorELNS0_4arch9wavefront6targetE0EEEvSS_
                                        ; -- End function
	.set _ZN7rocprim17ROCPRIM_400000_NS6detail17trampoline_kernelINS0_14default_configENS1_27lower_bound_config_selectorIdlEEZNS1_14transform_implILb0ES3_S5_N6thrust23THRUST_200600_302600_NS6detail15normal_iteratorINS8_7pointerIdNS8_11hip_rocprim5par_tENS8_11use_defaultESE_EEEENSA_INSB_IlSD_SE_SE_EEEEZNS1_13binary_searchIS3_S5_PdSG_SI_NS1_21lower_bound_search_opENS9_16wrapped_functionI11custom_lessbEEEE10hipError_tPvRmT1_T2_T3_mmT4_T5_P12ihipStream_tbEUlRKdE_EESP_ST_SU_mSV_SY_bEUlT_E_NS1_11comp_targetILNS1_3genE8ELNS1_11target_archE1030ELNS1_3gpuE2ELNS1_3repE0EEENS1_30default_config_static_selectorELNS0_4arch9wavefront6targetE0EEEvSS_.num_vgpr, 11
	.set _ZN7rocprim17ROCPRIM_400000_NS6detail17trampoline_kernelINS0_14default_configENS1_27lower_bound_config_selectorIdlEEZNS1_14transform_implILb0ES3_S5_N6thrust23THRUST_200600_302600_NS6detail15normal_iteratorINS8_7pointerIdNS8_11hip_rocprim5par_tENS8_11use_defaultESE_EEEENSA_INSB_IlSD_SE_SE_EEEEZNS1_13binary_searchIS3_S5_PdSG_SI_NS1_21lower_bound_search_opENS9_16wrapped_functionI11custom_lessbEEEE10hipError_tPvRmT1_T2_T3_mmT4_T5_P12ihipStream_tbEUlRKdE_EESP_ST_SU_mSV_SY_bEUlT_E_NS1_11comp_targetILNS1_3genE8ELNS1_11target_archE1030ELNS1_3gpuE2ELNS1_3repE0EEENS1_30default_config_static_selectorELNS0_4arch9wavefront6targetE0EEEvSS_.num_agpr, 0
	.set _ZN7rocprim17ROCPRIM_400000_NS6detail17trampoline_kernelINS0_14default_configENS1_27lower_bound_config_selectorIdlEEZNS1_14transform_implILb0ES3_S5_N6thrust23THRUST_200600_302600_NS6detail15normal_iteratorINS8_7pointerIdNS8_11hip_rocprim5par_tENS8_11use_defaultESE_EEEENSA_INSB_IlSD_SE_SE_EEEEZNS1_13binary_searchIS3_S5_PdSG_SI_NS1_21lower_bound_search_opENS9_16wrapped_functionI11custom_lessbEEEE10hipError_tPvRmT1_T2_T3_mmT4_T5_P12ihipStream_tbEUlRKdE_EESP_ST_SU_mSV_SY_bEUlT_E_NS1_11comp_targetILNS1_3genE8ELNS1_11target_archE1030ELNS1_3gpuE2ELNS1_3repE0EEENS1_30default_config_static_selectorELNS0_4arch9wavefront6targetE0EEEvSS_.numbered_sgpr, 20
	.set _ZN7rocprim17ROCPRIM_400000_NS6detail17trampoline_kernelINS0_14default_configENS1_27lower_bound_config_selectorIdlEEZNS1_14transform_implILb0ES3_S5_N6thrust23THRUST_200600_302600_NS6detail15normal_iteratorINS8_7pointerIdNS8_11hip_rocprim5par_tENS8_11use_defaultESE_EEEENSA_INSB_IlSD_SE_SE_EEEEZNS1_13binary_searchIS3_S5_PdSG_SI_NS1_21lower_bound_search_opENS9_16wrapped_functionI11custom_lessbEEEE10hipError_tPvRmT1_T2_T3_mmT4_T5_P12ihipStream_tbEUlRKdE_EESP_ST_SU_mSV_SY_bEUlT_E_NS1_11comp_targetILNS1_3genE8ELNS1_11target_archE1030ELNS1_3gpuE2ELNS1_3repE0EEENS1_30default_config_static_selectorELNS0_4arch9wavefront6targetE0EEEvSS_.num_named_barrier, 0
	.set _ZN7rocprim17ROCPRIM_400000_NS6detail17trampoline_kernelINS0_14default_configENS1_27lower_bound_config_selectorIdlEEZNS1_14transform_implILb0ES3_S5_N6thrust23THRUST_200600_302600_NS6detail15normal_iteratorINS8_7pointerIdNS8_11hip_rocprim5par_tENS8_11use_defaultESE_EEEENSA_INSB_IlSD_SE_SE_EEEEZNS1_13binary_searchIS3_S5_PdSG_SI_NS1_21lower_bound_search_opENS9_16wrapped_functionI11custom_lessbEEEE10hipError_tPvRmT1_T2_T3_mmT4_T5_P12ihipStream_tbEUlRKdE_EESP_ST_SU_mSV_SY_bEUlT_E_NS1_11comp_targetILNS1_3genE8ELNS1_11target_archE1030ELNS1_3gpuE2ELNS1_3repE0EEENS1_30default_config_static_selectorELNS0_4arch9wavefront6targetE0EEEvSS_.private_seg_size, 0
	.set _ZN7rocprim17ROCPRIM_400000_NS6detail17trampoline_kernelINS0_14default_configENS1_27lower_bound_config_selectorIdlEEZNS1_14transform_implILb0ES3_S5_N6thrust23THRUST_200600_302600_NS6detail15normal_iteratorINS8_7pointerIdNS8_11hip_rocprim5par_tENS8_11use_defaultESE_EEEENSA_INSB_IlSD_SE_SE_EEEEZNS1_13binary_searchIS3_S5_PdSG_SI_NS1_21lower_bound_search_opENS9_16wrapped_functionI11custom_lessbEEEE10hipError_tPvRmT1_T2_T3_mmT4_T5_P12ihipStream_tbEUlRKdE_EESP_ST_SU_mSV_SY_bEUlT_E_NS1_11comp_targetILNS1_3genE8ELNS1_11target_archE1030ELNS1_3gpuE2ELNS1_3repE0EEENS1_30default_config_static_selectorELNS0_4arch9wavefront6targetE0EEEvSS_.uses_vcc, 1
	.set _ZN7rocprim17ROCPRIM_400000_NS6detail17trampoline_kernelINS0_14default_configENS1_27lower_bound_config_selectorIdlEEZNS1_14transform_implILb0ES3_S5_N6thrust23THRUST_200600_302600_NS6detail15normal_iteratorINS8_7pointerIdNS8_11hip_rocprim5par_tENS8_11use_defaultESE_EEEENSA_INSB_IlSD_SE_SE_EEEEZNS1_13binary_searchIS3_S5_PdSG_SI_NS1_21lower_bound_search_opENS9_16wrapped_functionI11custom_lessbEEEE10hipError_tPvRmT1_T2_T3_mmT4_T5_P12ihipStream_tbEUlRKdE_EESP_ST_SU_mSV_SY_bEUlT_E_NS1_11comp_targetILNS1_3genE8ELNS1_11target_archE1030ELNS1_3gpuE2ELNS1_3repE0EEENS1_30default_config_static_selectorELNS0_4arch9wavefront6targetE0EEEvSS_.uses_flat_scratch, 0
	.set _ZN7rocprim17ROCPRIM_400000_NS6detail17trampoline_kernelINS0_14default_configENS1_27lower_bound_config_selectorIdlEEZNS1_14transform_implILb0ES3_S5_N6thrust23THRUST_200600_302600_NS6detail15normal_iteratorINS8_7pointerIdNS8_11hip_rocprim5par_tENS8_11use_defaultESE_EEEENSA_INSB_IlSD_SE_SE_EEEEZNS1_13binary_searchIS3_S5_PdSG_SI_NS1_21lower_bound_search_opENS9_16wrapped_functionI11custom_lessbEEEE10hipError_tPvRmT1_T2_T3_mmT4_T5_P12ihipStream_tbEUlRKdE_EESP_ST_SU_mSV_SY_bEUlT_E_NS1_11comp_targetILNS1_3genE8ELNS1_11target_archE1030ELNS1_3gpuE2ELNS1_3repE0EEENS1_30default_config_static_selectorELNS0_4arch9wavefront6targetE0EEEvSS_.has_dyn_sized_stack, 0
	.set _ZN7rocprim17ROCPRIM_400000_NS6detail17trampoline_kernelINS0_14default_configENS1_27lower_bound_config_selectorIdlEEZNS1_14transform_implILb0ES3_S5_N6thrust23THRUST_200600_302600_NS6detail15normal_iteratorINS8_7pointerIdNS8_11hip_rocprim5par_tENS8_11use_defaultESE_EEEENSA_INSB_IlSD_SE_SE_EEEEZNS1_13binary_searchIS3_S5_PdSG_SI_NS1_21lower_bound_search_opENS9_16wrapped_functionI11custom_lessbEEEE10hipError_tPvRmT1_T2_T3_mmT4_T5_P12ihipStream_tbEUlRKdE_EESP_ST_SU_mSV_SY_bEUlT_E_NS1_11comp_targetILNS1_3genE8ELNS1_11target_archE1030ELNS1_3gpuE2ELNS1_3repE0EEENS1_30default_config_static_selectorELNS0_4arch9wavefront6targetE0EEEvSS_.has_recursion, 0
	.set _ZN7rocprim17ROCPRIM_400000_NS6detail17trampoline_kernelINS0_14default_configENS1_27lower_bound_config_selectorIdlEEZNS1_14transform_implILb0ES3_S5_N6thrust23THRUST_200600_302600_NS6detail15normal_iteratorINS8_7pointerIdNS8_11hip_rocprim5par_tENS8_11use_defaultESE_EEEENSA_INSB_IlSD_SE_SE_EEEEZNS1_13binary_searchIS3_S5_PdSG_SI_NS1_21lower_bound_search_opENS9_16wrapped_functionI11custom_lessbEEEE10hipError_tPvRmT1_T2_T3_mmT4_T5_P12ihipStream_tbEUlRKdE_EESP_ST_SU_mSV_SY_bEUlT_E_NS1_11comp_targetILNS1_3genE8ELNS1_11target_archE1030ELNS1_3gpuE2ELNS1_3repE0EEENS1_30default_config_static_selectorELNS0_4arch9wavefront6targetE0EEEvSS_.has_indirect_call, 0
	.section	.AMDGPU.csdata,"",@progbits
; Kernel info:
; codeLenInByte = 820
; TotalNumSgprs: 22
; NumVgprs: 11
; ScratchSize: 0
; MemoryBound: 0
; FloatMode: 240
; IeeeMode: 1
; LDSByteSize: 0 bytes/workgroup (compile time only)
; SGPRBlocks: 0
; VGPRBlocks: 1
; NumSGPRsForWavesPerEU: 22
; NumVGPRsForWavesPerEU: 11
; Occupancy: 16
; WaveLimiterHint : 0
; COMPUTE_PGM_RSRC2:SCRATCH_EN: 0
; COMPUTE_PGM_RSRC2:USER_SGPR: 6
; COMPUTE_PGM_RSRC2:TRAP_HANDLER: 0
; COMPUTE_PGM_RSRC2:TGID_X_EN: 1
; COMPUTE_PGM_RSRC2:TGID_Y_EN: 0
; COMPUTE_PGM_RSRC2:TGID_Z_EN: 0
; COMPUTE_PGM_RSRC2:TIDIG_COMP_CNT: 0
	.section	.text._ZN7rocprim17ROCPRIM_400000_NS6detail17trampoline_kernelINS0_14default_configENS1_27lower_bound_config_selectorIdlEEZNS1_14transform_implILb0ES3_S5_N6thrust23THRUST_200600_302600_NS6detail15normal_iteratorINS8_7pointerIdNS8_11hip_rocprim5par_tENS8_11use_defaultESE_EEEENSA_INSB_IlSD_SE_SE_EEEEZNS1_13binary_searchIS3_S5_PdSG_SI_NS1_21lower_bound_search_opENS9_16wrapped_functionINS8_6system6detail7generic6detail18binary_search_lessEbEEEE10hipError_tPvRmT1_T2_T3_mmT4_T5_P12ihipStream_tbEUlRKdE_EEST_SX_SY_mSZ_S12_bEUlT_E_NS1_11comp_targetILNS1_3genE0ELNS1_11target_archE4294967295ELNS1_3gpuE0ELNS1_3repE0EEENS1_30default_config_static_selectorELNS0_4arch9wavefront6targetE0EEEvSW_,"axG",@progbits,_ZN7rocprim17ROCPRIM_400000_NS6detail17trampoline_kernelINS0_14default_configENS1_27lower_bound_config_selectorIdlEEZNS1_14transform_implILb0ES3_S5_N6thrust23THRUST_200600_302600_NS6detail15normal_iteratorINS8_7pointerIdNS8_11hip_rocprim5par_tENS8_11use_defaultESE_EEEENSA_INSB_IlSD_SE_SE_EEEEZNS1_13binary_searchIS3_S5_PdSG_SI_NS1_21lower_bound_search_opENS9_16wrapped_functionINS8_6system6detail7generic6detail18binary_search_lessEbEEEE10hipError_tPvRmT1_T2_T3_mmT4_T5_P12ihipStream_tbEUlRKdE_EEST_SX_SY_mSZ_S12_bEUlT_E_NS1_11comp_targetILNS1_3genE0ELNS1_11target_archE4294967295ELNS1_3gpuE0ELNS1_3repE0EEENS1_30default_config_static_selectorELNS0_4arch9wavefront6targetE0EEEvSW_,comdat
	.protected	_ZN7rocprim17ROCPRIM_400000_NS6detail17trampoline_kernelINS0_14default_configENS1_27lower_bound_config_selectorIdlEEZNS1_14transform_implILb0ES3_S5_N6thrust23THRUST_200600_302600_NS6detail15normal_iteratorINS8_7pointerIdNS8_11hip_rocprim5par_tENS8_11use_defaultESE_EEEENSA_INSB_IlSD_SE_SE_EEEEZNS1_13binary_searchIS3_S5_PdSG_SI_NS1_21lower_bound_search_opENS9_16wrapped_functionINS8_6system6detail7generic6detail18binary_search_lessEbEEEE10hipError_tPvRmT1_T2_T3_mmT4_T5_P12ihipStream_tbEUlRKdE_EEST_SX_SY_mSZ_S12_bEUlT_E_NS1_11comp_targetILNS1_3genE0ELNS1_11target_archE4294967295ELNS1_3gpuE0ELNS1_3repE0EEENS1_30default_config_static_selectorELNS0_4arch9wavefront6targetE0EEEvSW_ ; -- Begin function _ZN7rocprim17ROCPRIM_400000_NS6detail17trampoline_kernelINS0_14default_configENS1_27lower_bound_config_selectorIdlEEZNS1_14transform_implILb0ES3_S5_N6thrust23THRUST_200600_302600_NS6detail15normal_iteratorINS8_7pointerIdNS8_11hip_rocprim5par_tENS8_11use_defaultESE_EEEENSA_INSB_IlSD_SE_SE_EEEEZNS1_13binary_searchIS3_S5_PdSG_SI_NS1_21lower_bound_search_opENS9_16wrapped_functionINS8_6system6detail7generic6detail18binary_search_lessEbEEEE10hipError_tPvRmT1_T2_T3_mmT4_T5_P12ihipStream_tbEUlRKdE_EEST_SX_SY_mSZ_S12_bEUlT_E_NS1_11comp_targetILNS1_3genE0ELNS1_11target_archE4294967295ELNS1_3gpuE0ELNS1_3repE0EEENS1_30default_config_static_selectorELNS0_4arch9wavefront6targetE0EEEvSW_
	.globl	_ZN7rocprim17ROCPRIM_400000_NS6detail17trampoline_kernelINS0_14default_configENS1_27lower_bound_config_selectorIdlEEZNS1_14transform_implILb0ES3_S5_N6thrust23THRUST_200600_302600_NS6detail15normal_iteratorINS8_7pointerIdNS8_11hip_rocprim5par_tENS8_11use_defaultESE_EEEENSA_INSB_IlSD_SE_SE_EEEEZNS1_13binary_searchIS3_S5_PdSG_SI_NS1_21lower_bound_search_opENS9_16wrapped_functionINS8_6system6detail7generic6detail18binary_search_lessEbEEEE10hipError_tPvRmT1_T2_T3_mmT4_T5_P12ihipStream_tbEUlRKdE_EEST_SX_SY_mSZ_S12_bEUlT_E_NS1_11comp_targetILNS1_3genE0ELNS1_11target_archE4294967295ELNS1_3gpuE0ELNS1_3repE0EEENS1_30default_config_static_selectorELNS0_4arch9wavefront6targetE0EEEvSW_
	.p2align	8
	.type	_ZN7rocprim17ROCPRIM_400000_NS6detail17trampoline_kernelINS0_14default_configENS1_27lower_bound_config_selectorIdlEEZNS1_14transform_implILb0ES3_S5_N6thrust23THRUST_200600_302600_NS6detail15normal_iteratorINS8_7pointerIdNS8_11hip_rocprim5par_tENS8_11use_defaultESE_EEEENSA_INSB_IlSD_SE_SE_EEEEZNS1_13binary_searchIS3_S5_PdSG_SI_NS1_21lower_bound_search_opENS9_16wrapped_functionINS8_6system6detail7generic6detail18binary_search_lessEbEEEE10hipError_tPvRmT1_T2_T3_mmT4_T5_P12ihipStream_tbEUlRKdE_EEST_SX_SY_mSZ_S12_bEUlT_E_NS1_11comp_targetILNS1_3genE0ELNS1_11target_archE4294967295ELNS1_3gpuE0ELNS1_3repE0EEENS1_30default_config_static_selectorELNS0_4arch9wavefront6targetE0EEEvSW_,@function
_ZN7rocprim17ROCPRIM_400000_NS6detail17trampoline_kernelINS0_14default_configENS1_27lower_bound_config_selectorIdlEEZNS1_14transform_implILb0ES3_S5_N6thrust23THRUST_200600_302600_NS6detail15normal_iteratorINS8_7pointerIdNS8_11hip_rocprim5par_tENS8_11use_defaultESE_EEEENSA_INSB_IlSD_SE_SE_EEEEZNS1_13binary_searchIS3_S5_PdSG_SI_NS1_21lower_bound_search_opENS9_16wrapped_functionINS8_6system6detail7generic6detail18binary_search_lessEbEEEE10hipError_tPvRmT1_T2_T3_mmT4_T5_P12ihipStream_tbEUlRKdE_EEST_SX_SY_mSZ_S12_bEUlT_E_NS1_11comp_targetILNS1_3genE0ELNS1_11target_archE4294967295ELNS1_3gpuE0ELNS1_3repE0EEENS1_30default_config_static_selectorELNS0_4arch9wavefront6targetE0EEEvSW_: ; @_ZN7rocprim17ROCPRIM_400000_NS6detail17trampoline_kernelINS0_14default_configENS1_27lower_bound_config_selectorIdlEEZNS1_14transform_implILb0ES3_S5_N6thrust23THRUST_200600_302600_NS6detail15normal_iteratorINS8_7pointerIdNS8_11hip_rocprim5par_tENS8_11use_defaultESE_EEEENSA_INSB_IlSD_SE_SE_EEEEZNS1_13binary_searchIS3_S5_PdSG_SI_NS1_21lower_bound_search_opENS9_16wrapped_functionINS8_6system6detail7generic6detail18binary_search_lessEbEEEE10hipError_tPvRmT1_T2_T3_mmT4_T5_P12ihipStream_tbEUlRKdE_EEST_SX_SY_mSZ_S12_bEUlT_E_NS1_11comp_targetILNS1_3genE0ELNS1_11target_archE4294967295ELNS1_3gpuE0ELNS1_3repE0EEENS1_30default_config_static_selectorELNS0_4arch9wavefront6targetE0EEEvSW_
; %bb.0:
	.section	.rodata,"a",@progbits
	.p2align	6, 0x0
	.amdhsa_kernel _ZN7rocprim17ROCPRIM_400000_NS6detail17trampoline_kernelINS0_14default_configENS1_27lower_bound_config_selectorIdlEEZNS1_14transform_implILb0ES3_S5_N6thrust23THRUST_200600_302600_NS6detail15normal_iteratorINS8_7pointerIdNS8_11hip_rocprim5par_tENS8_11use_defaultESE_EEEENSA_INSB_IlSD_SE_SE_EEEEZNS1_13binary_searchIS3_S5_PdSG_SI_NS1_21lower_bound_search_opENS9_16wrapped_functionINS8_6system6detail7generic6detail18binary_search_lessEbEEEE10hipError_tPvRmT1_T2_T3_mmT4_T5_P12ihipStream_tbEUlRKdE_EEST_SX_SY_mSZ_S12_bEUlT_E_NS1_11comp_targetILNS1_3genE0ELNS1_11target_archE4294967295ELNS1_3gpuE0ELNS1_3repE0EEENS1_30default_config_static_selectorELNS0_4arch9wavefront6targetE0EEEvSW_
		.amdhsa_group_segment_fixed_size 0
		.amdhsa_private_segment_fixed_size 0
		.amdhsa_kernarg_size 56
		.amdhsa_user_sgpr_count 6
		.amdhsa_user_sgpr_private_segment_buffer 1
		.amdhsa_user_sgpr_dispatch_ptr 0
		.amdhsa_user_sgpr_queue_ptr 0
		.amdhsa_user_sgpr_kernarg_segment_ptr 1
		.amdhsa_user_sgpr_dispatch_id 0
		.amdhsa_user_sgpr_flat_scratch_init 0
		.amdhsa_user_sgpr_private_segment_size 0
		.amdhsa_wavefront_size32 1
		.amdhsa_uses_dynamic_stack 0
		.amdhsa_system_sgpr_private_segment_wavefront_offset 0
		.amdhsa_system_sgpr_workgroup_id_x 1
		.amdhsa_system_sgpr_workgroup_id_y 0
		.amdhsa_system_sgpr_workgroup_id_z 0
		.amdhsa_system_sgpr_workgroup_info 0
		.amdhsa_system_vgpr_workitem_id 0
		.amdhsa_next_free_vgpr 1
		.amdhsa_next_free_sgpr 1
		.amdhsa_reserve_vcc 0
		.amdhsa_reserve_flat_scratch 0
		.amdhsa_float_round_mode_32 0
		.amdhsa_float_round_mode_16_64 0
		.amdhsa_float_denorm_mode_32 3
		.amdhsa_float_denorm_mode_16_64 3
		.amdhsa_dx10_clamp 1
		.amdhsa_ieee_mode 1
		.amdhsa_fp16_overflow 0
		.amdhsa_workgroup_processor_mode 1
		.amdhsa_memory_ordered 1
		.amdhsa_forward_progress 1
		.amdhsa_shared_vgpr_count 0
		.amdhsa_exception_fp_ieee_invalid_op 0
		.amdhsa_exception_fp_denorm_src 0
		.amdhsa_exception_fp_ieee_div_zero 0
		.amdhsa_exception_fp_ieee_overflow 0
		.amdhsa_exception_fp_ieee_underflow 0
		.amdhsa_exception_fp_ieee_inexact 0
		.amdhsa_exception_int_div_zero 0
	.end_amdhsa_kernel
	.section	.text._ZN7rocprim17ROCPRIM_400000_NS6detail17trampoline_kernelINS0_14default_configENS1_27lower_bound_config_selectorIdlEEZNS1_14transform_implILb0ES3_S5_N6thrust23THRUST_200600_302600_NS6detail15normal_iteratorINS8_7pointerIdNS8_11hip_rocprim5par_tENS8_11use_defaultESE_EEEENSA_INSB_IlSD_SE_SE_EEEEZNS1_13binary_searchIS3_S5_PdSG_SI_NS1_21lower_bound_search_opENS9_16wrapped_functionINS8_6system6detail7generic6detail18binary_search_lessEbEEEE10hipError_tPvRmT1_T2_T3_mmT4_T5_P12ihipStream_tbEUlRKdE_EEST_SX_SY_mSZ_S12_bEUlT_E_NS1_11comp_targetILNS1_3genE0ELNS1_11target_archE4294967295ELNS1_3gpuE0ELNS1_3repE0EEENS1_30default_config_static_selectorELNS0_4arch9wavefront6targetE0EEEvSW_,"axG",@progbits,_ZN7rocprim17ROCPRIM_400000_NS6detail17trampoline_kernelINS0_14default_configENS1_27lower_bound_config_selectorIdlEEZNS1_14transform_implILb0ES3_S5_N6thrust23THRUST_200600_302600_NS6detail15normal_iteratorINS8_7pointerIdNS8_11hip_rocprim5par_tENS8_11use_defaultESE_EEEENSA_INSB_IlSD_SE_SE_EEEEZNS1_13binary_searchIS3_S5_PdSG_SI_NS1_21lower_bound_search_opENS9_16wrapped_functionINS8_6system6detail7generic6detail18binary_search_lessEbEEEE10hipError_tPvRmT1_T2_T3_mmT4_T5_P12ihipStream_tbEUlRKdE_EEST_SX_SY_mSZ_S12_bEUlT_E_NS1_11comp_targetILNS1_3genE0ELNS1_11target_archE4294967295ELNS1_3gpuE0ELNS1_3repE0EEENS1_30default_config_static_selectorELNS0_4arch9wavefront6targetE0EEEvSW_,comdat
.Lfunc_end13:
	.size	_ZN7rocprim17ROCPRIM_400000_NS6detail17trampoline_kernelINS0_14default_configENS1_27lower_bound_config_selectorIdlEEZNS1_14transform_implILb0ES3_S5_N6thrust23THRUST_200600_302600_NS6detail15normal_iteratorINS8_7pointerIdNS8_11hip_rocprim5par_tENS8_11use_defaultESE_EEEENSA_INSB_IlSD_SE_SE_EEEEZNS1_13binary_searchIS3_S5_PdSG_SI_NS1_21lower_bound_search_opENS9_16wrapped_functionINS8_6system6detail7generic6detail18binary_search_lessEbEEEE10hipError_tPvRmT1_T2_T3_mmT4_T5_P12ihipStream_tbEUlRKdE_EEST_SX_SY_mSZ_S12_bEUlT_E_NS1_11comp_targetILNS1_3genE0ELNS1_11target_archE4294967295ELNS1_3gpuE0ELNS1_3repE0EEENS1_30default_config_static_selectorELNS0_4arch9wavefront6targetE0EEEvSW_, .Lfunc_end13-_ZN7rocprim17ROCPRIM_400000_NS6detail17trampoline_kernelINS0_14default_configENS1_27lower_bound_config_selectorIdlEEZNS1_14transform_implILb0ES3_S5_N6thrust23THRUST_200600_302600_NS6detail15normal_iteratorINS8_7pointerIdNS8_11hip_rocprim5par_tENS8_11use_defaultESE_EEEENSA_INSB_IlSD_SE_SE_EEEEZNS1_13binary_searchIS3_S5_PdSG_SI_NS1_21lower_bound_search_opENS9_16wrapped_functionINS8_6system6detail7generic6detail18binary_search_lessEbEEEE10hipError_tPvRmT1_T2_T3_mmT4_T5_P12ihipStream_tbEUlRKdE_EEST_SX_SY_mSZ_S12_bEUlT_E_NS1_11comp_targetILNS1_3genE0ELNS1_11target_archE4294967295ELNS1_3gpuE0ELNS1_3repE0EEENS1_30default_config_static_selectorELNS0_4arch9wavefront6targetE0EEEvSW_
                                        ; -- End function
	.set _ZN7rocprim17ROCPRIM_400000_NS6detail17trampoline_kernelINS0_14default_configENS1_27lower_bound_config_selectorIdlEEZNS1_14transform_implILb0ES3_S5_N6thrust23THRUST_200600_302600_NS6detail15normal_iteratorINS8_7pointerIdNS8_11hip_rocprim5par_tENS8_11use_defaultESE_EEEENSA_INSB_IlSD_SE_SE_EEEEZNS1_13binary_searchIS3_S5_PdSG_SI_NS1_21lower_bound_search_opENS9_16wrapped_functionINS8_6system6detail7generic6detail18binary_search_lessEbEEEE10hipError_tPvRmT1_T2_T3_mmT4_T5_P12ihipStream_tbEUlRKdE_EEST_SX_SY_mSZ_S12_bEUlT_E_NS1_11comp_targetILNS1_3genE0ELNS1_11target_archE4294967295ELNS1_3gpuE0ELNS1_3repE0EEENS1_30default_config_static_selectorELNS0_4arch9wavefront6targetE0EEEvSW_.num_vgpr, 0
	.set _ZN7rocprim17ROCPRIM_400000_NS6detail17trampoline_kernelINS0_14default_configENS1_27lower_bound_config_selectorIdlEEZNS1_14transform_implILb0ES3_S5_N6thrust23THRUST_200600_302600_NS6detail15normal_iteratorINS8_7pointerIdNS8_11hip_rocprim5par_tENS8_11use_defaultESE_EEEENSA_INSB_IlSD_SE_SE_EEEEZNS1_13binary_searchIS3_S5_PdSG_SI_NS1_21lower_bound_search_opENS9_16wrapped_functionINS8_6system6detail7generic6detail18binary_search_lessEbEEEE10hipError_tPvRmT1_T2_T3_mmT4_T5_P12ihipStream_tbEUlRKdE_EEST_SX_SY_mSZ_S12_bEUlT_E_NS1_11comp_targetILNS1_3genE0ELNS1_11target_archE4294967295ELNS1_3gpuE0ELNS1_3repE0EEENS1_30default_config_static_selectorELNS0_4arch9wavefront6targetE0EEEvSW_.num_agpr, 0
	.set _ZN7rocprim17ROCPRIM_400000_NS6detail17trampoline_kernelINS0_14default_configENS1_27lower_bound_config_selectorIdlEEZNS1_14transform_implILb0ES3_S5_N6thrust23THRUST_200600_302600_NS6detail15normal_iteratorINS8_7pointerIdNS8_11hip_rocprim5par_tENS8_11use_defaultESE_EEEENSA_INSB_IlSD_SE_SE_EEEEZNS1_13binary_searchIS3_S5_PdSG_SI_NS1_21lower_bound_search_opENS9_16wrapped_functionINS8_6system6detail7generic6detail18binary_search_lessEbEEEE10hipError_tPvRmT1_T2_T3_mmT4_T5_P12ihipStream_tbEUlRKdE_EEST_SX_SY_mSZ_S12_bEUlT_E_NS1_11comp_targetILNS1_3genE0ELNS1_11target_archE4294967295ELNS1_3gpuE0ELNS1_3repE0EEENS1_30default_config_static_selectorELNS0_4arch9wavefront6targetE0EEEvSW_.numbered_sgpr, 0
	.set _ZN7rocprim17ROCPRIM_400000_NS6detail17trampoline_kernelINS0_14default_configENS1_27lower_bound_config_selectorIdlEEZNS1_14transform_implILb0ES3_S5_N6thrust23THRUST_200600_302600_NS6detail15normal_iteratorINS8_7pointerIdNS8_11hip_rocprim5par_tENS8_11use_defaultESE_EEEENSA_INSB_IlSD_SE_SE_EEEEZNS1_13binary_searchIS3_S5_PdSG_SI_NS1_21lower_bound_search_opENS9_16wrapped_functionINS8_6system6detail7generic6detail18binary_search_lessEbEEEE10hipError_tPvRmT1_T2_T3_mmT4_T5_P12ihipStream_tbEUlRKdE_EEST_SX_SY_mSZ_S12_bEUlT_E_NS1_11comp_targetILNS1_3genE0ELNS1_11target_archE4294967295ELNS1_3gpuE0ELNS1_3repE0EEENS1_30default_config_static_selectorELNS0_4arch9wavefront6targetE0EEEvSW_.num_named_barrier, 0
	.set _ZN7rocprim17ROCPRIM_400000_NS6detail17trampoline_kernelINS0_14default_configENS1_27lower_bound_config_selectorIdlEEZNS1_14transform_implILb0ES3_S5_N6thrust23THRUST_200600_302600_NS6detail15normal_iteratorINS8_7pointerIdNS8_11hip_rocprim5par_tENS8_11use_defaultESE_EEEENSA_INSB_IlSD_SE_SE_EEEEZNS1_13binary_searchIS3_S5_PdSG_SI_NS1_21lower_bound_search_opENS9_16wrapped_functionINS8_6system6detail7generic6detail18binary_search_lessEbEEEE10hipError_tPvRmT1_T2_T3_mmT4_T5_P12ihipStream_tbEUlRKdE_EEST_SX_SY_mSZ_S12_bEUlT_E_NS1_11comp_targetILNS1_3genE0ELNS1_11target_archE4294967295ELNS1_3gpuE0ELNS1_3repE0EEENS1_30default_config_static_selectorELNS0_4arch9wavefront6targetE0EEEvSW_.private_seg_size, 0
	.set _ZN7rocprim17ROCPRIM_400000_NS6detail17trampoline_kernelINS0_14default_configENS1_27lower_bound_config_selectorIdlEEZNS1_14transform_implILb0ES3_S5_N6thrust23THRUST_200600_302600_NS6detail15normal_iteratorINS8_7pointerIdNS8_11hip_rocprim5par_tENS8_11use_defaultESE_EEEENSA_INSB_IlSD_SE_SE_EEEEZNS1_13binary_searchIS3_S5_PdSG_SI_NS1_21lower_bound_search_opENS9_16wrapped_functionINS8_6system6detail7generic6detail18binary_search_lessEbEEEE10hipError_tPvRmT1_T2_T3_mmT4_T5_P12ihipStream_tbEUlRKdE_EEST_SX_SY_mSZ_S12_bEUlT_E_NS1_11comp_targetILNS1_3genE0ELNS1_11target_archE4294967295ELNS1_3gpuE0ELNS1_3repE0EEENS1_30default_config_static_selectorELNS0_4arch9wavefront6targetE0EEEvSW_.uses_vcc, 0
	.set _ZN7rocprim17ROCPRIM_400000_NS6detail17trampoline_kernelINS0_14default_configENS1_27lower_bound_config_selectorIdlEEZNS1_14transform_implILb0ES3_S5_N6thrust23THRUST_200600_302600_NS6detail15normal_iteratorINS8_7pointerIdNS8_11hip_rocprim5par_tENS8_11use_defaultESE_EEEENSA_INSB_IlSD_SE_SE_EEEEZNS1_13binary_searchIS3_S5_PdSG_SI_NS1_21lower_bound_search_opENS9_16wrapped_functionINS8_6system6detail7generic6detail18binary_search_lessEbEEEE10hipError_tPvRmT1_T2_T3_mmT4_T5_P12ihipStream_tbEUlRKdE_EEST_SX_SY_mSZ_S12_bEUlT_E_NS1_11comp_targetILNS1_3genE0ELNS1_11target_archE4294967295ELNS1_3gpuE0ELNS1_3repE0EEENS1_30default_config_static_selectorELNS0_4arch9wavefront6targetE0EEEvSW_.uses_flat_scratch, 0
	.set _ZN7rocprim17ROCPRIM_400000_NS6detail17trampoline_kernelINS0_14default_configENS1_27lower_bound_config_selectorIdlEEZNS1_14transform_implILb0ES3_S5_N6thrust23THRUST_200600_302600_NS6detail15normal_iteratorINS8_7pointerIdNS8_11hip_rocprim5par_tENS8_11use_defaultESE_EEEENSA_INSB_IlSD_SE_SE_EEEEZNS1_13binary_searchIS3_S5_PdSG_SI_NS1_21lower_bound_search_opENS9_16wrapped_functionINS8_6system6detail7generic6detail18binary_search_lessEbEEEE10hipError_tPvRmT1_T2_T3_mmT4_T5_P12ihipStream_tbEUlRKdE_EEST_SX_SY_mSZ_S12_bEUlT_E_NS1_11comp_targetILNS1_3genE0ELNS1_11target_archE4294967295ELNS1_3gpuE0ELNS1_3repE0EEENS1_30default_config_static_selectorELNS0_4arch9wavefront6targetE0EEEvSW_.has_dyn_sized_stack, 0
	.set _ZN7rocprim17ROCPRIM_400000_NS6detail17trampoline_kernelINS0_14default_configENS1_27lower_bound_config_selectorIdlEEZNS1_14transform_implILb0ES3_S5_N6thrust23THRUST_200600_302600_NS6detail15normal_iteratorINS8_7pointerIdNS8_11hip_rocprim5par_tENS8_11use_defaultESE_EEEENSA_INSB_IlSD_SE_SE_EEEEZNS1_13binary_searchIS3_S5_PdSG_SI_NS1_21lower_bound_search_opENS9_16wrapped_functionINS8_6system6detail7generic6detail18binary_search_lessEbEEEE10hipError_tPvRmT1_T2_T3_mmT4_T5_P12ihipStream_tbEUlRKdE_EEST_SX_SY_mSZ_S12_bEUlT_E_NS1_11comp_targetILNS1_3genE0ELNS1_11target_archE4294967295ELNS1_3gpuE0ELNS1_3repE0EEENS1_30default_config_static_selectorELNS0_4arch9wavefront6targetE0EEEvSW_.has_recursion, 0
	.set _ZN7rocprim17ROCPRIM_400000_NS6detail17trampoline_kernelINS0_14default_configENS1_27lower_bound_config_selectorIdlEEZNS1_14transform_implILb0ES3_S5_N6thrust23THRUST_200600_302600_NS6detail15normal_iteratorINS8_7pointerIdNS8_11hip_rocprim5par_tENS8_11use_defaultESE_EEEENSA_INSB_IlSD_SE_SE_EEEEZNS1_13binary_searchIS3_S5_PdSG_SI_NS1_21lower_bound_search_opENS9_16wrapped_functionINS8_6system6detail7generic6detail18binary_search_lessEbEEEE10hipError_tPvRmT1_T2_T3_mmT4_T5_P12ihipStream_tbEUlRKdE_EEST_SX_SY_mSZ_S12_bEUlT_E_NS1_11comp_targetILNS1_3genE0ELNS1_11target_archE4294967295ELNS1_3gpuE0ELNS1_3repE0EEENS1_30default_config_static_selectorELNS0_4arch9wavefront6targetE0EEEvSW_.has_indirect_call, 0
	.section	.AMDGPU.csdata,"",@progbits
; Kernel info:
; codeLenInByte = 0
; TotalNumSgprs: 0
; NumVgprs: 0
; ScratchSize: 0
; MemoryBound: 0
; FloatMode: 240
; IeeeMode: 1
; LDSByteSize: 0 bytes/workgroup (compile time only)
; SGPRBlocks: 0
; VGPRBlocks: 0
; NumSGPRsForWavesPerEU: 1
; NumVGPRsForWavesPerEU: 1
; Occupancy: 16
; WaveLimiterHint : 0
; COMPUTE_PGM_RSRC2:SCRATCH_EN: 0
; COMPUTE_PGM_RSRC2:USER_SGPR: 6
; COMPUTE_PGM_RSRC2:TRAP_HANDLER: 0
; COMPUTE_PGM_RSRC2:TGID_X_EN: 1
; COMPUTE_PGM_RSRC2:TGID_Y_EN: 0
; COMPUTE_PGM_RSRC2:TGID_Z_EN: 0
; COMPUTE_PGM_RSRC2:TIDIG_COMP_CNT: 0
	.section	.text._ZN7rocprim17ROCPRIM_400000_NS6detail17trampoline_kernelINS0_14default_configENS1_27lower_bound_config_selectorIdlEEZNS1_14transform_implILb0ES3_S5_N6thrust23THRUST_200600_302600_NS6detail15normal_iteratorINS8_7pointerIdNS8_11hip_rocprim5par_tENS8_11use_defaultESE_EEEENSA_INSB_IlSD_SE_SE_EEEEZNS1_13binary_searchIS3_S5_PdSG_SI_NS1_21lower_bound_search_opENS9_16wrapped_functionINS8_6system6detail7generic6detail18binary_search_lessEbEEEE10hipError_tPvRmT1_T2_T3_mmT4_T5_P12ihipStream_tbEUlRKdE_EEST_SX_SY_mSZ_S12_bEUlT_E_NS1_11comp_targetILNS1_3genE5ELNS1_11target_archE942ELNS1_3gpuE9ELNS1_3repE0EEENS1_30default_config_static_selectorELNS0_4arch9wavefront6targetE0EEEvSW_,"axG",@progbits,_ZN7rocprim17ROCPRIM_400000_NS6detail17trampoline_kernelINS0_14default_configENS1_27lower_bound_config_selectorIdlEEZNS1_14transform_implILb0ES3_S5_N6thrust23THRUST_200600_302600_NS6detail15normal_iteratorINS8_7pointerIdNS8_11hip_rocprim5par_tENS8_11use_defaultESE_EEEENSA_INSB_IlSD_SE_SE_EEEEZNS1_13binary_searchIS3_S5_PdSG_SI_NS1_21lower_bound_search_opENS9_16wrapped_functionINS8_6system6detail7generic6detail18binary_search_lessEbEEEE10hipError_tPvRmT1_T2_T3_mmT4_T5_P12ihipStream_tbEUlRKdE_EEST_SX_SY_mSZ_S12_bEUlT_E_NS1_11comp_targetILNS1_3genE5ELNS1_11target_archE942ELNS1_3gpuE9ELNS1_3repE0EEENS1_30default_config_static_selectorELNS0_4arch9wavefront6targetE0EEEvSW_,comdat
	.protected	_ZN7rocprim17ROCPRIM_400000_NS6detail17trampoline_kernelINS0_14default_configENS1_27lower_bound_config_selectorIdlEEZNS1_14transform_implILb0ES3_S5_N6thrust23THRUST_200600_302600_NS6detail15normal_iteratorINS8_7pointerIdNS8_11hip_rocprim5par_tENS8_11use_defaultESE_EEEENSA_INSB_IlSD_SE_SE_EEEEZNS1_13binary_searchIS3_S5_PdSG_SI_NS1_21lower_bound_search_opENS9_16wrapped_functionINS8_6system6detail7generic6detail18binary_search_lessEbEEEE10hipError_tPvRmT1_T2_T3_mmT4_T5_P12ihipStream_tbEUlRKdE_EEST_SX_SY_mSZ_S12_bEUlT_E_NS1_11comp_targetILNS1_3genE5ELNS1_11target_archE942ELNS1_3gpuE9ELNS1_3repE0EEENS1_30default_config_static_selectorELNS0_4arch9wavefront6targetE0EEEvSW_ ; -- Begin function _ZN7rocprim17ROCPRIM_400000_NS6detail17trampoline_kernelINS0_14default_configENS1_27lower_bound_config_selectorIdlEEZNS1_14transform_implILb0ES3_S5_N6thrust23THRUST_200600_302600_NS6detail15normal_iteratorINS8_7pointerIdNS8_11hip_rocprim5par_tENS8_11use_defaultESE_EEEENSA_INSB_IlSD_SE_SE_EEEEZNS1_13binary_searchIS3_S5_PdSG_SI_NS1_21lower_bound_search_opENS9_16wrapped_functionINS8_6system6detail7generic6detail18binary_search_lessEbEEEE10hipError_tPvRmT1_T2_T3_mmT4_T5_P12ihipStream_tbEUlRKdE_EEST_SX_SY_mSZ_S12_bEUlT_E_NS1_11comp_targetILNS1_3genE5ELNS1_11target_archE942ELNS1_3gpuE9ELNS1_3repE0EEENS1_30default_config_static_selectorELNS0_4arch9wavefront6targetE0EEEvSW_
	.globl	_ZN7rocprim17ROCPRIM_400000_NS6detail17trampoline_kernelINS0_14default_configENS1_27lower_bound_config_selectorIdlEEZNS1_14transform_implILb0ES3_S5_N6thrust23THRUST_200600_302600_NS6detail15normal_iteratorINS8_7pointerIdNS8_11hip_rocprim5par_tENS8_11use_defaultESE_EEEENSA_INSB_IlSD_SE_SE_EEEEZNS1_13binary_searchIS3_S5_PdSG_SI_NS1_21lower_bound_search_opENS9_16wrapped_functionINS8_6system6detail7generic6detail18binary_search_lessEbEEEE10hipError_tPvRmT1_T2_T3_mmT4_T5_P12ihipStream_tbEUlRKdE_EEST_SX_SY_mSZ_S12_bEUlT_E_NS1_11comp_targetILNS1_3genE5ELNS1_11target_archE942ELNS1_3gpuE9ELNS1_3repE0EEENS1_30default_config_static_selectorELNS0_4arch9wavefront6targetE0EEEvSW_
	.p2align	8
	.type	_ZN7rocprim17ROCPRIM_400000_NS6detail17trampoline_kernelINS0_14default_configENS1_27lower_bound_config_selectorIdlEEZNS1_14transform_implILb0ES3_S5_N6thrust23THRUST_200600_302600_NS6detail15normal_iteratorINS8_7pointerIdNS8_11hip_rocprim5par_tENS8_11use_defaultESE_EEEENSA_INSB_IlSD_SE_SE_EEEEZNS1_13binary_searchIS3_S5_PdSG_SI_NS1_21lower_bound_search_opENS9_16wrapped_functionINS8_6system6detail7generic6detail18binary_search_lessEbEEEE10hipError_tPvRmT1_T2_T3_mmT4_T5_P12ihipStream_tbEUlRKdE_EEST_SX_SY_mSZ_S12_bEUlT_E_NS1_11comp_targetILNS1_3genE5ELNS1_11target_archE942ELNS1_3gpuE9ELNS1_3repE0EEENS1_30default_config_static_selectorELNS0_4arch9wavefront6targetE0EEEvSW_,@function
_ZN7rocprim17ROCPRIM_400000_NS6detail17trampoline_kernelINS0_14default_configENS1_27lower_bound_config_selectorIdlEEZNS1_14transform_implILb0ES3_S5_N6thrust23THRUST_200600_302600_NS6detail15normal_iteratorINS8_7pointerIdNS8_11hip_rocprim5par_tENS8_11use_defaultESE_EEEENSA_INSB_IlSD_SE_SE_EEEEZNS1_13binary_searchIS3_S5_PdSG_SI_NS1_21lower_bound_search_opENS9_16wrapped_functionINS8_6system6detail7generic6detail18binary_search_lessEbEEEE10hipError_tPvRmT1_T2_T3_mmT4_T5_P12ihipStream_tbEUlRKdE_EEST_SX_SY_mSZ_S12_bEUlT_E_NS1_11comp_targetILNS1_3genE5ELNS1_11target_archE942ELNS1_3gpuE9ELNS1_3repE0EEENS1_30default_config_static_selectorELNS0_4arch9wavefront6targetE0EEEvSW_: ; @_ZN7rocprim17ROCPRIM_400000_NS6detail17trampoline_kernelINS0_14default_configENS1_27lower_bound_config_selectorIdlEEZNS1_14transform_implILb0ES3_S5_N6thrust23THRUST_200600_302600_NS6detail15normal_iteratorINS8_7pointerIdNS8_11hip_rocprim5par_tENS8_11use_defaultESE_EEEENSA_INSB_IlSD_SE_SE_EEEEZNS1_13binary_searchIS3_S5_PdSG_SI_NS1_21lower_bound_search_opENS9_16wrapped_functionINS8_6system6detail7generic6detail18binary_search_lessEbEEEE10hipError_tPvRmT1_T2_T3_mmT4_T5_P12ihipStream_tbEUlRKdE_EEST_SX_SY_mSZ_S12_bEUlT_E_NS1_11comp_targetILNS1_3genE5ELNS1_11target_archE942ELNS1_3gpuE9ELNS1_3repE0EEENS1_30default_config_static_selectorELNS0_4arch9wavefront6targetE0EEEvSW_
; %bb.0:
	.section	.rodata,"a",@progbits
	.p2align	6, 0x0
	.amdhsa_kernel _ZN7rocprim17ROCPRIM_400000_NS6detail17trampoline_kernelINS0_14default_configENS1_27lower_bound_config_selectorIdlEEZNS1_14transform_implILb0ES3_S5_N6thrust23THRUST_200600_302600_NS6detail15normal_iteratorINS8_7pointerIdNS8_11hip_rocprim5par_tENS8_11use_defaultESE_EEEENSA_INSB_IlSD_SE_SE_EEEEZNS1_13binary_searchIS3_S5_PdSG_SI_NS1_21lower_bound_search_opENS9_16wrapped_functionINS8_6system6detail7generic6detail18binary_search_lessEbEEEE10hipError_tPvRmT1_T2_T3_mmT4_T5_P12ihipStream_tbEUlRKdE_EEST_SX_SY_mSZ_S12_bEUlT_E_NS1_11comp_targetILNS1_3genE5ELNS1_11target_archE942ELNS1_3gpuE9ELNS1_3repE0EEENS1_30default_config_static_selectorELNS0_4arch9wavefront6targetE0EEEvSW_
		.amdhsa_group_segment_fixed_size 0
		.amdhsa_private_segment_fixed_size 0
		.amdhsa_kernarg_size 56
		.amdhsa_user_sgpr_count 6
		.amdhsa_user_sgpr_private_segment_buffer 1
		.amdhsa_user_sgpr_dispatch_ptr 0
		.amdhsa_user_sgpr_queue_ptr 0
		.amdhsa_user_sgpr_kernarg_segment_ptr 1
		.amdhsa_user_sgpr_dispatch_id 0
		.amdhsa_user_sgpr_flat_scratch_init 0
		.amdhsa_user_sgpr_private_segment_size 0
		.amdhsa_wavefront_size32 1
		.amdhsa_uses_dynamic_stack 0
		.amdhsa_system_sgpr_private_segment_wavefront_offset 0
		.amdhsa_system_sgpr_workgroup_id_x 1
		.amdhsa_system_sgpr_workgroup_id_y 0
		.amdhsa_system_sgpr_workgroup_id_z 0
		.amdhsa_system_sgpr_workgroup_info 0
		.amdhsa_system_vgpr_workitem_id 0
		.amdhsa_next_free_vgpr 1
		.amdhsa_next_free_sgpr 1
		.amdhsa_reserve_vcc 0
		.amdhsa_reserve_flat_scratch 0
		.amdhsa_float_round_mode_32 0
		.amdhsa_float_round_mode_16_64 0
		.amdhsa_float_denorm_mode_32 3
		.amdhsa_float_denorm_mode_16_64 3
		.amdhsa_dx10_clamp 1
		.amdhsa_ieee_mode 1
		.amdhsa_fp16_overflow 0
		.amdhsa_workgroup_processor_mode 1
		.amdhsa_memory_ordered 1
		.amdhsa_forward_progress 1
		.amdhsa_shared_vgpr_count 0
		.amdhsa_exception_fp_ieee_invalid_op 0
		.amdhsa_exception_fp_denorm_src 0
		.amdhsa_exception_fp_ieee_div_zero 0
		.amdhsa_exception_fp_ieee_overflow 0
		.amdhsa_exception_fp_ieee_underflow 0
		.amdhsa_exception_fp_ieee_inexact 0
		.amdhsa_exception_int_div_zero 0
	.end_amdhsa_kernel
	.section	.text._ZN7rocprim17ROCPRIM_400000_NS6detail17trampoline_kernelINS0_14default_configENS1_27lower_bound_config_selectorIdlEEZNS1_14transform_implILb0ES3_S5_N6thrust23THRUST_200600_302600_NS6detail15normal_iteratorINS8_7pointerIdNS8_11hip_rocprim5par_tENS8_11use_defaultESE_EEEENSA_INSB_IlSD_SE_SE_EEEEZNS1_13binary_searchIS3_S5_PdSG_SI_NS1_21lower_bound_search_opENS9_16wrapped_functionINS8_6system6detail7generic6detail18binary_search_lessEbEEEE10hipError_tPvRmT1_T2_T3_mmT4_T5_P12ihipStream_tbEUlRKdE_EEST_SX_SY_mSZ_S12_bEUlT_E_NS1_11comp_targetILNS1_3genE5ELNS1_11target_archE942ELNS1_3gpuE9ELNS1_3repE0EEENS1_30default_config_static_selectorELNS0_4arch9wavefront6targetE0EEEvSW_,"axG",@progbits,_ZN7rocprim17ROCPRIM_400000_NS6detail17trampoline_kernelINS0_14default_configENS1_27lower_bound_config_selectorIdlEEZNS1_14transform_implILb0ES3_S5_N6thrust23THRUST_200600_302600_NS6detail15normal_iteratorINS8_7pointerIdNS8_11hip_rocprim5par_tENS8_11use_defaultESE_EEEENSA_INSB_IlSD_SE_SE_EEEEZNS1_13binary_searchIS3_S5_PdSG_SI_NS1_21lower_bound_search_opENS9_16wrapped_functionINS8_6system6detail7generic6detail18binary_search_lessEbEEEE10hipError_tPvRmT1_T2_T3_mmT4_T5_P12ihipStream_tbEUlRKdE_EEST_SX_SY_mSZ_S12_bEUlT_E_NS1_11comp_targetILNS1_3genE5ELNS1_11target_archE942ELNS1_3gpuE9ELNS1_3repE0EEENS1_30default_config_static_selectorELNS0_4arch9wavefront6targetE0EEEvSW_,comdat
.Lfunc_end14:
	.size	_ZN7rocprim17ROCPRIM_400000_NS6detail17trampoline_kernelINS0_14default_configENS1_27lower_bound_config_selectorIdlEEZNS1_14transform_implILb0ES3_S5_N6thrust23THRUST_200600_302600_NS6detail15normal_iteratorINS8_7pointerIdNS8_11hip_rocprim5par_tENS8_11use_defaultESE_EEEENSA_INSB_IlSD_SE_SE_EEEEZNS1_13binary_searchIS3_S5_PdSG_SI_NS1_21lower_bound_search_opENS9_16wrapped_functionINS8_6system6detail7generic6detail18binary_search_lessEbEEEE10hipError_tPvRmT1_T2_T3_mmT4_T5_P12ihipStream_tbEUlRKdE_EEST_SX_SY_mSZ_S12_bEUlT_E_NS1_11comp_targetILNS1_3genE5ELNS1_11target_archE942ELNS1_3gpuE9ELNS1_3repE0EEENS1_30default_config_static_selectorELNS0_4arch9wavefront6targetE0EEEvSW_, .Lfunc_end14-_ZN7rocprim17ROCPRIM_400000_NS6detail17trampoline_kernelINS0_14default_configENS1_27lower_bound_config_selectorIdlEEZNS1_14transform_implILb0ES3_S5_N6thrust23THRUST_200600_302600_NS6detail15normal_iteratorINS8_7pointerIdNS8_11hip_rocprim5par_tENS8_11use_defaultESE_EEEENSA_INSB_IlSD_SE_SE_EEEEZNS1_13binary_searchIS3_S5_PdSG_SI_NS1_21lower_bound_search_opENS9_16wrapped_functionINS8_6system6detail7generic6detail18binary_search_lessEbEEEE10hipError_tPvRmT1_T2_T3_mmT4_T5_P12ihipStream_tbEUlRKdE_EEST_SX_SY_mSZ_S12_bEUlT_E_NS1_11comp_targetILNS1_3genE5ELNS1_11target_archE942ELNS1_3gpuE9ELNS1_3repE0EEENS1_30default_config_static_selectorELNS0_4arch9wavefront6targetE0EEEvSW_
                                        ; -- End function
	.set _ZN7rocprim17ROCPRIM_400000_NS6detail17trampoline_kernelINS0_14default_configENS1_27lower_bound_config_selectorIdlEEZNS1_14transform_implILb0ES3_S5_N6thrust23THRUST_200600_302600_NS6detail15normal_iteratorINS8_7pointerIdNS8_11hip_rocprim5par_tENS8_11use_defaultESE_EEEENSA_INSB_IlSD_SE_SE_EEEEZNS1_13binary_searchIS3_S5_PdSG_SI_NS1_21lower_bound_search_opENS9_16wrapped_functionINS8_6system6detail7generic6detail18binary_search_lessEbEEEE10hipError_tPvRmT1_T2_T3_mmT4_T5_P12ihipStream_tbEUlRKdE_EEST_SX_SY_mSZ_S12_bEUlT_E_NS1_11comp_targetILNS1_3genE5ELNS1_11target_archE942ELNS1_3gpuE9ELNS1_3repE0EEENS1_30default_config_static_selectorELNS0_4arch9wavefront6targetE0EEEvSW_.num_vgpr, 0
	.set _ZN7rocprim17ROCPRIM_400000_NS6detail17trampoline_kernelINS0_14default_configENS1_27lower_bound_config_selectorIdlEEZNS1_14transform_implILb0ES3_S5_N6thrust23THRUST_200600_302600_NS6detail15normal_iteratorINS8_7pointerIdNS8_11hip_rocprim5par_tENS8_11use_defaultESE_EEEENSA_INSB_IlSD_SE_SE_EEEEZNS1_13binary_searchIS3_S5_PdSG_SI_NS1_21lower_bound_search_opENS9_16wrapped_functionINS8_6system6detail7generic6detail18binary_search_lessEbEEEE10hipError_tPvRmT1_T2_T3_mmT4_T5_P12ihipStream_tbEUlRKdE_EEST_SX_SY_mSZ_S12_bEUlT_E_NS1_11comp_targetILNS1_3genE5ELNS1_11target_archE942ELNS1_3gpuE9ELNS1_3repE0EEENS1_30default_config_static_selectorELNS0_4arch9wavefront6targetE0EEEvSW_.num_agpr, 0
	.set _ZN7rocprim17ROCPRIM_400000_NS6detail17trampoline_kernelINS0_14default_configENS1_27lower_bound_config_selectorIdlEEZNS1_14transform_implILb0ES3_S5_N6thrust23THRUST_200600_302600_NS6detail15normal_iteratorINS8_7pointerIdNS8_11hip_rocprim5par_tENS8_11use_defaultESE_EEEENSA_INSB_IlSD_SE_SE_EEEEZNS1_13binary_searchIS3_S5_PdSG_SI_NS1_21lower_bound_search_opENS9_16wrapped_functionINS8_6system6detail7generic6detail18binary_search_lessEbEEEE10hipError_tPvRmT1_T2_T3_mmT4_T5_P12ihipStream_tbEUlRKdE_EEST_SX_SY_mSZ_S12_bEUlT_E_NS1_11comp_targetILNS1_3genE5ELNS1_11target_archE942ELNS1_3gpuE9ELNS1_3repE0EEENS1_30default_config_static_selectorELNS0_4arch9wavefront6targetE0EEEvSW_.numbered_sgpr, 0
	.set _ZN7rocprim17ROCPRIM_400000_NS6detail17trampoline_kernelINS0_14default_configENS1_27lower_bound_config_selectorIdlEEZNS1_14transform_implILb0ES3_S5_N6thrust23THRUST_200600_302600_NS6detail15normal_iteratorINS8_7pointerIdNS8_11hip_rocprim5par_tENS8_11use_defaultESE_EEEENSA_INSB_IlSD_SE_SE_EEEEZNS1_13binary_searchIS3_S5_PdSG_SI_NS1_21lower_bound_search_opENS9_16wrapped_functionINS8_6system6detail7generic6detail18binary_search_lessEbEEEE10hipError_tPvRmT1_T2_T3_mmT4_T5_P12ihipStream_tbEUlRKdE_EEST_SX_SY_mSZ_S12_bEUlT_E_NS1_11comp_targetILNS1_3genE5ELNS1_11target_archE942ELNS1_3gpuE9ELNS1_3repE0EEENS1_30default_config_static_selectorELNS0_4arch9wavefront6targetE0EEEvSW_.num_named_barrier, 0
	.set _ZN7rocprim17ROCPRIM_400000_NS6detail17trampoline_kernelINS0_14default_configENS1_27lower_bound_config_selectorIdlEEZNS1_14transform_implILb0ES3_S5_N6thrust23THRUST_200600_302600_NS6detail15normal_iteratorINS8_7pointerIdNS8_11hip_rocprim5par_tENS8_11use_defaultESE_EEEENSA_INSB_IlSD_SE_SE_EEEEZNS1_13binary_searchIS3_S5_PdSG_SI_NS1_21lower_bound_search_opENS9_16wrapped_functionINS8_6system6detail7generic6detail18binary_search_lessEbEEEE10hipError_tPvRmT1_T2_T3_mmT4_T5_P12ihipStream_tbEUlRKdE_EEST_SX_SY_mSZ_S12_bEUlT_E_NS1_11comp_targetILNS1_3genE5ELNS1_11target_archE942ELNS1_3gpuE9ELNS1_3repE0EEENS1_30default_config_static_selectorELNS0_4arch9wavefront6targetE0EEEvSW_.private_seg_size, 0
	.set _ZN7rocprim17ROCPRIM_400000_NS6detail17trampoline_kernelINS0_14default_configENS1_27lower_bound_config_selectorIdlEEZNS1_14transform_implILb0ES3_S5_N6thrust23THRUST_200600_302600_NS6detail15normal_iteratorINS8_7pointerIdNS8_11hip_rocprim5par_tENS8_11use_defaultESE_EEEENSA_INSB_IlSD_SE_SE_EEEEZNS1_13binary_searchIS3_S5_PdSG_SI_NS1_21lower_bound_search_opENS9_16wrapped_functionINS8_6system6detail7generic6detail18binary_search_lessEbEEEE10hipError_tPvRmT1_T2_T3_mmT4_T5_P12ihipStream_tbEUlRKdE_EEST_SX_SY_mSZ_S12_bEUlT_E_NS1_11comp_targetILNS1_3genE5ELNS1_11target_archE942ELNS1_3gpuE9ELNS1_3repE0EEENS1_30default_config_static_selectorELNS0_4arch9wavefront6targetE0EEEvSW_.uses_vcc, 0
	.set _ZN7rocprim17ROCPRIM_400000_NS6detail17trampoline_kernelINS0_14default_configENS1_27lower_bound_config_selectorIdlEEZNS1_14transform_implILb0ES3_S5_N6thrust23THRUST_200600_302600_NS6detail15normal_iteratorINS8_7pointerIdNS8_11hip_rocprim5par_tENS8_11use_defaultESE_EEEENSA_INSB_IlSD_SE_SE_EEEEZNS1_13binary_searchIS3_S5_PdSG_SI_NS1_21lower_bound_search_opENS9_16wrapped_functionINS8_6system6detail7generic6detail18binary_search_lessEbEEEE10hipError_tPvRmT1_T2_T3_mmT4_T5_P12ihipStream_tbEUlRKdE_EEST_SX_SY_mSZ_S12_bEUlT_E_NS1_11comp_targetILNS1_3genE5ELNS1_11target_archE942ELNS1_3gpuE9ELNS1_3repE0EEENS1_30default_config_static_selectorELNS0_4arch9wavefront6targetE0EEEvSW_.uses_flat_scratch, 0
	.set _ZN7rocprim17ROCPRIM_400000_NS6detail17trampoline_kernelINS0_14default_configENS1_27lower_bound_config_selectorIdlEEZNS1_14transform_implILb0ES3_S5_N6thrust23THRUST_200600_302600_NS6detail15normal_iteratorINS8_7pointerIdNS8_11hip_rocprim5par_tENS8_11use_defaultESE_EEEENSA_INSB_IlSD_SE_SE_EEEEZNS1_13binary_searchIS3_S5_PdSG_SI_NS1_21lower_bound_search_opENS9_16wrapped_functionINS8_6system6detail7generic6detail18binary_search_lessEbEEEE10hipError_tPvRmT1_T2_T3_mmT4_T5_P12ihipStream_tbEUlRKdE_EEST_SX_SY_mSZ_S12_bEUlT_E_NS1_11comp_targetILNS1_3genE5ELNS1_11target_archE942ELNS1_3gpuE9ELNS1_3repE0EEENS1_30default_config_static_selectorELNS0_4arch9wavefront6targetE0EEEvSW_.has_dyn_sized_stack, 0
	.set _ZN7rocprim17ROCPRIM_400000_NS6detail17trampoline_kernelINS0_14default_configENS1_27lower_bound_config_selectorIdlEEZNS1_14transform_implILb0ES3_S5_N6thrust23THRUST_200600_302600_NS6detail15normal_iteratorINS8_7pointerIdNS8_11hip_rocprim5par_tENS8_11use_defaultESE_EEEENSA_INSB_IlSD_SE_SE_EEEEZNS1_13binary_searchIS3_S5_PdSG_SI_NS1_21lower_bound_search_opENS9_16wrapped_functionINS8_6system6detail7generic6detail18binary_search_lessEbEEEE10hipError_tPvRmT1_T2_T3_mmT4_T5_P12ihipStream_tbEUlRKdE_EEST_SX_SY_mSZ_S12_bEUlT_E_NS1_11comp_targetILNS1_3genE5ELNS1_11target_archE942ELNS1_3gpuE9ELNS1_3repE0EEENS1_30default_config_static_selectorELNS0_4arch9wavefront6targetE0EEEvSW_.has_recursion, 0
	.set _ZN7rocprim17ROCPRIM_400000_NS6detail17trampoline_kernelINS0_14default_configENS1_27lower_bound_config_selectorIdlEEZNS1_14transform_implILb0ES3_S5_N6thrust23THRUST_200600_302600_NS6detail15normal_iteratorINS8_7pointerIdNS8_11hip_rocprim5par_tENS8_11use_defaultESE_EEEENSA_INSB_IlSD_SE_SE_EEEEZNS1_13binary_searchIS3_S5_PdSG_SI_NS1_21lower_bound_search_opENS9_16wrapped_functionINS8_6system6detail7generic6detail18binary_search_lessEbEEEE10hipError_tPvRmT1_T2_T3_mmT4_T5_P12ihipStream_tbEUlRKdE_EEST_SX_SY_mSZ_S12_bEUlT_E_NS1_11comp_targetILNS1_3genE5ELNS1_11target_archE942ELNS1_3gpuE9ELNS1_3repE0EEENS1_30default_config_static_selectorELNS0_4arch9wavefront6targetE0EEEvSW_.has_indirect_call, 0
	.section	.AMDGPU.csdata,"",@progbits
; Kernel info:
; codeLenInByte = 0
; TotalNumSgprs: 0
; NumVgprs: 0
; ScratchSize: 0
; MemoryBound: 0
; FloatMode: 240
; IeeeMode: 1
; LDSByteSize: 0 bytes/workgroup (compile time only)
; SGPRBlocks: 0
; VGPRBlocks: 0
; NumSGPRsForWavesPerEU: 1
; NumVGPRsForWavesPerEU: 1
; Occupancy: 16
; WaveLimiterHint : 0
; COMPUTE_PGM_RSRC2:SCRATCH_EN: 0
; COMPUTE_PGM_RSRC2:USER_SGPR: 6
; COMPUTE_PGM_RSRC2:TRAP_HANDLER: 0
; COMPUTE_PGM_RSRC2:TGID_X_EN: 1
; COMPUTE_PGM_RSRC2:TGID_Y_EN: 0
; COMPUTE_PGM_RSRC2:TGID_Z_EN: 0
; COMPUTE_PGM_RSRC2:TIDIG_COMP_CNT: 0
	.section	.text._ZN7rocprim17ROCPRIM_400000_NS6detail17trampoline_kernelINS0_14default_configENS1_27lower_bound_config_selectorIdlEEZNS1_14transform_implILb0ES3_S5_N6thrust23THRUST_200600_302600_NS6detail15normal_iteratorINS8_7pointerIdNS8_11hip_rocprim5par_tENS8_11use_defaultESE_EEEENSA_INSB_IlSD_SE_SE_EEEEZNS1_13binary_searchIS3_S5_PdSG_SI_NS1_21lower_bound_search_opENS9_16wrapped_functionINS8_6system6detail7generic6detail18binary_search_lessEbEEEE10hipError_tPvRmT1_T2_T3_mmT4_T5_P12ihipStream_tbEUlRKdE_EEST_SX_SY_mSZ_S12_bEUlT_E_NS1_11comp_targetILNS1_3genE4ELNS1_11target_archE910ELNS1_3gpuE8ELNS1_3repE0EEENS1_30default_config_static_selectorELNS0_4arch9wavefront6targetE0EEEvSW_,"axG",@progbits,_ZN7rocprim17ROCPRIM_400000_NS6detail17trampoline_kernelINS0_14default_configENS1_27lower_bound_config_selectorIdlEEZNS1_14transform_implILb0ES3_S5_N6thrust23THRUST_200600_302600_NS6detail15normal_iteratorINS8_7pointerIdNS8_11hip_rocprim5par_tENS8_11use_defaultESE_EEEENSA_INSB_IlSD_SE_SE_EEEEZNS1_13binary_searchIS3_S5_PdSG_SI_NS1_21lower_bound_search_opENS9_16wrapped_functionINS8_6system6detail7generic6detail18binary_search_lessEbEEEE10hipError_tPvRmT1_T2_T3_mmT4_T5_P12ihipStream_tbEUlRKdE_EEST_SX_SY_mSZ_S12_bEUlT_E_NS1_11comp_targetILNS1_3genE4ELNS1_11target_archE910ELNS1_3gpuE8ELNS1_3repE0EEENS1_30default_config_static_selectorELNS0_4arch9wavefront6targetE0EEEvSW_,comdat
	.protected	_ZN7rocprim17ROCPRIM_400000_NS6detail17trampoline_kernelINS0_14default_configENS1_27lower_bound_config_selectorIdlEEZNS1_14transform_implILb0ES3_S5_N6thrust23THRUST_200600_302600_NS6detail15normal_iteratorINS8_7pointerIdNS8_11hip_rocprim5par_tENS8_11use_defaultESE_EEEENSA_INSB_IlSD_SE_SE_EEEEZNS1_13binary_searchIS3_S5_PdSG_SI_NS1_21lower_bound_search_opENS9_16wrapped_functionINS8_6system6detail7generic6detail18binary_search_lessEbEEEE10hipError_tPvRmT1_T2_T3_mmT4_T5_P12ihipStream_tbEUlRKdE_EEST_SX_SY_mSZ_S12_bEUlT_E_NS1_11comp_targetILNS1_3genE4ELNS1_11target_archE910ELNS1_3gpuE8ELNS1_3repE0EEENS1_30default_config_static_selectorELNS0_4arch9wavefront6targetE0EEEvSW_ ; -- Begin function _ZN7rocprim17ROCPRIM_400000_NS6detail17trampoline_kernelINS0_14default_configENS1_27lower_bound_config_selectorIdlEEZNS1_14transform_implILb0ES3_S5_N6thrust23THRUST_200600_302600_NS6detail15normal_iteratorINS8_7pointerIdNS8_11hip_rocprim5par_tENS8_11use_defaultESE_EEEENSA_INSB_IlSD_SE_SE_EEEEZNS1_13binary_searchIS3_S5_PdSG_SI_NS1_21lower_bound_search_opENS9_16wrapped_functionINS8_6system6detail7generic6detail18binary_search_lessEbEEEE10hipError_tPvRmT1_T2_T3_mmT4_T5_P12ihipStream_tbEUlRKdE_EEST_SX_SY_mSZ_S12_bEUlT_E_NS1_11comp_targetILNS1_3genE4ELNS1_11target_archE910ELNS1_3gpuE8ELNS1_3repE0EEENS1_30default_config_static_selectorELNS0_4arch9wavefront6targetE0EEEvSW_
	.globl	_ZN7rocprim17ROCPRIM_400000_NS6detail17trampoline_kernelINS0_14default_configENS1_27lower_bound_config_selectorIdlEEZNS1_14transform_implILb0ES3_S5_N6thrust23THRUST_200600_302600_NS6detail15normal_iteratorINS8_7pointerIdNS8_11hip_rocprim5par_tENS8_11use_defaultESE_EEEENSA_INSB_IlSD_SE_SE_EEEEZNS1_13binary_searchIS3_S5_PdSG_SI_NS1_21lower_bound_search_opENS9_16wrapped_functionINS8_6system6detail7generic6detail18binary_search_lessEbEEEE10hipError_tPvRmT1_T2_T3_mmT4_T5_P12ihipStream_tbEUlRKdE_EEST_SX_SY_mSZ_S12_bEUlT_E_NS1_11comp_targetILNS1_3genE4ELNS1_11target_archE910ELNS1_3gpuE8ELNS1_3repE0EEENS1_30default_config_static_selectorELNS0_4arch9wavefront6targetE0EEEvSW_
	.p2align	8
	.type	_ZN7rocprim17ROCPRIM_400000_NS6detail17trampoline_kernelINS0_14default_configENS1_27lower_bound_config_selectorIdlEEZNS1_14transform_implILb0ES3_S5_N6thrust23THRUST_200600_302600_NS6detail15normal_iteratorINS8_7pointerIdNS8_11hip_rocprim5par_tENS8_11use_defaultESE_EEEENSA_INSB_IlSD_SE_SE_EEEEZNS1_13binary_searchIS3_S5_PdSG_SI_NS1_21lower_bound_search_opENS9_16wrapped_functionINS8_6system6detail7generic6detail18binary_search_lessEbEEEE10hipError_tPvRmT1_T2_T3_mmT4_T5_P12ihipStream_tbEUlRKdE_EEST_SX_SY_mSZ_S12_bEUlT_E_NS1_11comp_targetILNS1_3genE4ELNS1_11target_archE910ELNS1_3gpuE8ELNS1_3repE0EEENS1_30default_config_static_selectorELNS0_4arch9wavefront6targetE0EEEvSW_,@function
_ZN7rocprim17ROCPRIM_400000_NS6detail17trampoline_kernelINS0_14default_configENS1_27lower_bound_config_selectorIdlEEZNS1_14transform_implILb0ES3_S5_N6thrust23THRUST_200600_302600_NS6detail15normal_iteratorINS8_7pointerIdNS8_11hip_rocprim5par_tENS8_11use_defaultESE_EEEENSA_INSB_IlSD_SE_SE_EEEEZNS1_13binary_searchIS3_S5_PdSG_SI_NS1_21lower_bound_search_opENS9_16wrapped_functionINS8_6system6detail7generic6detail18binary_search_lessEbEEEE10hipError_tPvRmT1_T2_T3_mmT4_T5_P12ihipStream_tbEUlRKdE_EEST_SX_SY_mSZ_S12_bEUlT_E_NS1_11comp_targetILNS1_3genE4ELNS1_11target_archE910ELNS1_3gpuE8ELNS1_3repE0EEENS1_30default_config_static_selectorELNS0_4arch9wavefront6targetE0EEEvSW_: ; @_ZN7rocprim17ROCPRIM_400000_NS6detail17trampoline_kernelINS0_14default_configENS1_27lower_bound_config_selectorIdlEEZNS1_14transform_implILb0ES3_S5_N6thrust23THRUST_200600_302600_NS6detail15normal_iteratorINS8_7pointerIdNS8_11hip_rocprim5par_tENS8_11use_defaultESE_EEEENSA_INSB_IlSD_SE_SE_EEEEZNS1_13binary_searchIS3_S5_PdSG_SI_NS1_21lower_bound_search_opENS9_16wrapped_functionINS8_6system6detail7generic6detail18binary_search_lessEbEEEE10hipError_tPvRmT1_T2_T3_mmT4_T5_P12ihipStream_tbEUlRKdE_EEST_SX_SY_mSZ_S12_bEUlT_E_NS1_11comp_targetILNS1_3genE4ELNS1_11target_archE910ELNS1_3gpuE8ELNS1_3repE0EEENS1_30default_config_static_selectorELNS0_4arch9wavefront6targetE0EEEvSW_
; %bb.0:
	.section	.rodata,"a",@progbits
	.p2align	6, 0x0
	.amdhsa_kernel _ZN7rocprim17ROCPRIM_400000_NS6detail17trampoline_kernelINS0_14default_configENS1_27lower_bound_config_selectorIdlEEZNS1_14transform_implILb0ES3_S5_N6thrust23THRUST_200600_302600_NS6detail15normal_iteratorINS8_7pointerIdNS8_11hip_rocprim5par_tENS8_11use_defaultESE_EEEENSA_INSB_IlSD_SE_SE_EEEEZNS1_13binary_searchIS3_S5_PdSG_SI_NS1_21lower_bound_search_opENS9_16wrapped_functionINS8_6system6detail7generic6detail18binary_search_lessEbEEEE10hipError_tPvRmT1_T2_T3_mmT4_T5_P12ihipStream_tbEUlRKdE_EEST_SX_SY_mSZ_S12_bEUlT_E_NS1_11comp_targetILNS1_3genE4ELNS1_11target_archE910ELNS1_3gpuE8ELNS1_3repE0EEENS1_30default_config_static_selectorELNS0_4arch9wavefront6targetE0EEEvSW_
		.amdhsa_group_segment_fixed_size 0
		.amdhsa_private_segment_fixed_size 0
		.amdhsa_kernarg_size 56
		.amdhsa_user_sgpr_count 6
		.amdhsa_user_sgpr_private_segment_buffer 1
		.amdhsa_user_sgpr_dispatch_ptr 0
		.amdhsa_user_sgpr_queue_ptr 0
		.amdhsa_user_sgpr_kernarg_segment_ptr 1
		.amdhsa_user_sgpr_dispatch_id 0
		.amdhsa_user_sgpr_flat_scratch_init 0
		.amdhsa_user_sgpr_private_segment_size 0
		.amdhsa_wavefront_size32 1
		.amdhsa_uses_dynamic_stack 0
		.amdhsa_system_sgpr_private_segment_wavefront_offset 0
		.amdhsa_system_sgpr_workgroup_id_x 1
		.amdhsa_system_sgpr_workgroup_id_y 0
		.amdhsa_system_sgpr_workgroup_id_z 0
		.amdhsa_system_sgpr_workgroup_info 0
		.amdhsa_system_vgpr_workitem_id 0
		.amdhsa_next_free_vgpr 1
		.amdhsa_next_free_sgpr 1
		.amdhsa_reserve_vcc 0
		.amdhsa_reserve_flat_scratch 0
		.amdhsa_float_round_mode_32 0
		.amdhsa_float_round_mode_16_64 0
		.amdhsa_float_denorm_mode_32 3
		.amdhsa_float_denorm_mode_16_64 3
		.amdhsa_dx10_clamp 1
		.amdhsa_ieee_mode 1
		.amdhsa_fp16_overflow 0
		.amdhsa_workgroup_processor_mode 1
		.amdhsa_memory_ordered 1
		.amdhsa_forward_progress 1
		.amdhsa_shared_vgpr_count 0
		.amdhsa_exception_fp_ieee_invalid_op 0
		.amdhsa_exception_fp_denorm_src 0
		.amdhsa_exception_fp_ieee_div_zero 0
		.amdhsa_exception_fp_ieee_overflow 0
		.amdhsa_exception_fp_ieee_underflow 0
		.amdhsa_exception_fp_ieee_inexact 0
		.amdhsa_exception_int_div_zero 0
	.end_amdhsa_kernel
	.section	.text._ZN7rocprim17ROCPRIM_400000_NS6detail17trampoline_kernelINS0_14default_configENS1_27lower_bound_config_selectorIdlEEZNS1_14transform_implILb0ES3_S5_N6thrust23THRUST_200600_302600_NS6detail15normal_iteratorINS8_7pointerIdNS8_11hip_rocprim5par_tENS8_11use_defaultESE_EEEENSA_INSB_IlSD_SE_SE_EEEEZNS1_13binary_searchIS3_S5_PdSG_SI_NS1_21lower_bound_search_opENS9_16wrapped_functionINS8_6system6detail7generic6detail18binary_search_lessEbEEEE10hipError_tPvRmT1_T2_T3_mmT4_T5_P12ihipStream_tbEUlRKdE_EEST_SX_SY_mSZ_S12_bEUlT_E_NS1_11comp_targetILNS1_3genE4ELNS1_11target_archE910ELNS1_3gpuE8ELNS1_3repE0EEENS1_30default_config_static_selectorELNS0_4arch9wavefront6targetE0EEEvSW_,"axG",@progbits,_ZN7rocprim17ROCPRIM_400000_NS6detail17trampoline_kernelINS0_14default_configENS1_27lower_bound_config_selectorIdlEEZNS1_14transform_implILb0ES3_S5_N6thrust23THRUST_200600_302600_NS6detail15normal_iteratorINS8_7pointerIdNS8_11hip_rocprim5par_tENS8_11use_defaultESE_EEEENSA_INSB_IlSD_SE_SE_EEEEZNS1_13binary_searchIS3_S5_PdSG_SI_NS1_21lower_bound_search_opENS9_16wrapped_functionINS8_6system6detail7generic6detail18binary_search_lessEbEEEE10hipError_tPvRmT1_T2_T3_mmT4_T5_P12ihipStream_tbEUlRKdE_EEST_SX_SY_mSZ_S12_bEUlT_E_NS1_11comp_targetILNS1_3genE4ELNS1_11target_archE910ELNS1_3gpuE8ELNS1_3repE0EEENS1_30default_config_static_selectorELNS0_4arch9wavefront6targetE0EEEvSW_,comdat
.Lfunc_end15:
	.size	_ZN7rocprim17ROCPRIM_400000_NS6detail17trampoline_kernelINS0_14default_configENS1_27lower_bound_config_selectorIdlEEZNS1_14transform_implILb0ES3_S5_N6thrust23THRUST_200600_302600_NS6detail15normal_iteratorINS8_7pointerIdNS8_11hip_rocprim5par_tENS8_11use_defaultESE_EEEENSA_INSB_IlSD_SE_SE_EEEEZNS1_13binary_searchIS3_S5_PdSG_SI_NS1_21lower_bound_search_opENS9_16wrapped_functionINS8_6system6detail7generic6detail18binary_search_lessEbEEEE10hipError_tPvRmT1_T2_T3_mmT4_T5_P12ihipStream_tbEUlRKdE_EEST_SX_SY_mSZ_S12_bEUlT_E_NS1_11comp_targetILNS1_3genE4ELNS1_11target_archE910ELNS1_3gpuE8ELNS1_3repE0EEENS1_30default_config_static_selectorELNS0_4arch9wavefront6targetE0EEEvSW_, .Lfunc_end15-_ZN7rocprim17ROCPRIM_400000_NS6detail17trampoline_kernelINS0_14default_configENS1_27lower_bound_config_selectorIdlEEZNS1_14transform_implILb0ES3_S5_N6thrust23THRUST_200600_302600_NS6detail15normal_iteratorINS8_7pointerIdNS8_11hip_rocprim5par_tENS8_11use_defaultESE_EEEENSA_INSB_IlSD_SE_SE_EEEEZNS1_13binary_searchIS3_S5_PdSG_SI_NS1_21lower_bound_search_opENS9_16wrapped_functionINS8_6system6detail7generic6detail18binary_search_lessEbEEEE10hipError_tPvRmT1_T2_T3_mmT4_T5_P12ihipStream_tbEUlRKdE_EEST_SX_SY_mSZ_S12_bEUlT_E_NS1_11comp_targetILNS1_3genE4ELNS1_11target_archE910ELNS1_3gpuE8ELNS1_3repE0EEENS1_30default_config_static_selectorELNS0_4arch9wavefront6targetE0EEEvSW_
                                        ; -- End function
	.set _ZN7rocprim17ROCPRIM_400000_NS6detail17trampoline_kernelINS0_14default_configENS1_27lower_bound_config_selectorIdlEEZNS1_14transform_implILb0ES3_S5_N6thrust23THRUST_200600_302600_NS6detail15normal_iteratorINS8_7pointerIdNS8_11hip_rocprim5par_tENS8_11use_defaultESE_EEEENSA_INSB_IlSD_SE_SE_EEEEZNS1_13binary_searchIS3_S5_PdSG_SI_NS1_21lower_bound_search_opENS9_16wrapped_functionINS8_6system6detail7generic6detail18binary_search_lessEbEEEE10hipError_tPvRmT1_T2_T3_mmT4_T5_P12ihipStream_tbEUlRKdE_EEST_SX_SY_mSZ_S12_bEUlT_E_NS1_11comp_targetILNS1_3genE4ELNS1_11target_archE910ELNS1_3gpuE8ELNS1_3repE0EEENS1_30default_config_static_selectorELNS0_4arch9wavefront6targetE0EEEvSW_.num_vgpr, 0
	.set _ZN7rocprim17ROCPRIM_400000_NS6detail17trampoline_kernelINS0_14default_configENS1_27lower_bound_config_selectorIdlEEZNS1_14transform_implILb0ES3_S5_N6thrust23THRUST_200600_302600_NS6detail15normal_iteratorINS8_7pointerIdNS8_11hip_rocprim5par_tENS8_11use_defaultESE_EEEENSA_INSB_IlSD_SE_SE_EEEEZNS1_13binary_searchIS3_S5_PdSG_SI_NS1_21lower_bound_search_opENS9_16wrapped_functionINS8_6system6detail7generic6detail18binary_search_lessEbEEEE10hipError_tPvRmT1_T2_T3_mmT4_T5_P12ihipStream_tbEUlRKdE_EEST_SX_SY_mSZ_S12_bEUlT_E_NS1_11comp_targetILNS1_3genE4ELNS1_11target_archE910ELNS1_3gpuE8ELNS1_3repE0EEENS1_30default_config_static_selectorELNS0_4arch9wavefront6targetE0EEEvSW_.num_agpr, 0
	.set _ZN7rocprim17ROCPRIM_400000_NS6detail17trampoline_kernelINS0_14default_configENS1_27lower_bound_config_selectorIdlEEZNS1_14transform_implILb0ES3_S5_N6thrust23THRUST_200600_302600_NS6detail15normal_iteratorINS8_7pointerIdNS8_11hip_rocprim5par_tENS8_11use_defaultESE_EEEENSA_INSB_IlSD_SE_SE_EEEEZNS1_13binary_searchIS3_S5_PdSG_SI_NS1_21lower_bound_search_opENS9_16wrapped_functionINS8_6system6detail7generic6detail18binary_search_lessEbEEEE10hipError_tPvRmT1_T2_T3_mmT4_T5_P12ihipStream_tbEUlRKdE_EEST_SX_SY_mSZ_S12_bEUlT_E_NS1_11comp_targetILNS1_3genE4ELNS1_11target_archE910ELNS1_3gpuE8ELNS1_3repE0EEENS1_30default_config_static_selectorELNS0_4arch9wavefront6targetE0EEEvSW_.numbered_sgpr, 0
	.set _ZN7rocprim17ROCPRIM_400000_NS6detail17trampoline_kernelINS0_14default_configENS1_27lower_bound_config_selectorIdlEEZNS1_14transform_implILb0ES3_S5_N6thrust23THRUST_200600_302600_NS6detail15normal_iteratorINS8_7pointerIdNS8_11hip_rocprim5par_tENS8_11use_defaultESE_EEEENSA_INSB_IlSD_SE_SE_EEEEZNS1_13binary_searchIS3_S5_PdSG_SI_NS1_21lower_bound_search_opENS9_16wrapped_functionINS8_6system6detail7generic6detail18binary_search_lessEbEEEE10hipError_tPvRmT1_T2_T3_mmT4_T5_P12ihipStream_tbEUlRKdE_EEST_SX_SY_mSZ_S12_bEUlT_E_NS1_11comp_targetILNS1_3genE4ELNS1_11target_archE910ELNS1_3gpuE8ELNS1_3repE0EEENS1_30default_config_static_selectorELNS0_4arch9wavefront6targetE0EEEvSW_.num_named_barrier, 0
	.set _ZN7rocprim17ROCPRIM_400000_NS6detail17trampoline_kernelINS0_14default_configENS1_27lower_bound_config_selectorIdlEEZNS1_14transform_implILb0ES3_S5_N6thrust23THRUST_200600_302600_NS6detail15normal_iteratorINS8_7pointerIdNS8_11hip_rocprim5par_tENS8_11use_defaultESE_EEEENSA_INSB_IlSD_SE_SE_EEEEZNS1_13binary_searchIS3_S5_PdSG_SI_NS1_21lower_bound_search_opENS9_16wrapped_functionINS8_6system6detail7generic6detail18binary_search_lessEbEEEE10hipError_tPvRmT1_T2_T3_mmT4_T5_P12ihipStream_tbEUlRKdE_EEST_SX_SY_mSZ_S12_bEUlT_E_NS1_11comp_targetILNS1_3genE4ELNS1_11target_archE910ELNS1_3gpuE8ELNS1_3repE0EEENS1_30default_config_static_selectorELNS0_4arch9wavefront6targetE0EEEvSW_.private_seg_size, 0
	.set _ZN7rocprim17ROCPRIM_400000_NS6detail17trampoline_kernelINS0_14default_configENS1_27lower_bound_config_selectorIdlEEZNS1_14transform_implILb0ES3_S5_N6thrust23THRUST_200600_302600_NS6detail15normal_iteratorINS8_7pointerIdNS8_11hip_rocprim5par_tENS8_11use_defaultESE_EEEENSA_INSB_IlSD_SE_SE_EEEEZNS1_13binary_searchIS3_S5_PdSG_SI_NS1_21lower_bound_search_opENS9_16wrapped_functionINS8_6system6detail7generic6detail18binary_search_lessEbEEEE10hipError_tPvRmT1_T2_T3_mmT4_T5_P12ihipStream_tbEUlRKdE_EEST_SX_SY_mSZ_S12_bEUlT_E_NS1_11comp_targetILNS1_3genE4ELNS1_11target_archE910ELNS1_3gpuE8ELNS1_3repE0EEENS1_30default_config_static_selectorELNS0_4arch9wavefront6targetE0EEEvSW_.uses_vcc, 0
	.set _ZN7rocprim17ROCPRIM_400000_NS6detail17trampoline_kernelINS0_14default_configENS1_27lower_bound_config_selectorIdlEEZNS1_14transform_implILb0ES3_S5_N6thrust23THRUST_200600_302600_NS6detail15normal_iteratorINS8_7pointerIdNS8_11hip_rocprim5par_tENS8_11use_defaultESE_EEEENSA_INSB_IlSD_SE_SE_EEEEZNS1_13binary_searchIS3_S5_PdSG_SI_NS1_21lower_bound_search_opENS9_16wrapped_functionINS8_6system6detail7generic6detail18binary_search_lessEbEEEE10hipError_tPvRmT1_T2_T3_mmT4_T5_P12ihipStream_tbEUlRKdE_EEST_SX_SY_mSZ_S12_bEUlT_E_NS1_11comp_targetILNS1_3genE4ELNS1_11target_archE910ELNS1_3gpuE8ELNS1_3repE0EEENS1_30default_config_static_selectorELNS0_4arch9wavefront6targetE0EEEvSW_.uses_flat_scratch, 0
	.set _ZN7rocprim17ROCPRIM_400000_NS6detail17trampoline_kernelINS0_14default_configENS1_27lower_bound_config_selectorIdlEEZNS1_14transform_implILb0ES3_S5_N6thrust23THRUST_200600_302600_NS6detail15normal_iteratorINS8_7pointerIdNS8_11hip_rocprim5par_tENS8_11use_defaultESE_EEEENSA_INSB_IlSD_SE_SE_EEEEZNS1_13binary_searchIS3_S5_PdSG_SI_NS1_21lower_bound_search_opENS9_16wrapped_functionINS8_6system6detail7generic6detail18binary_search_lessEbEEEE10hipError_tPvRmT1_T2_T3_mmT4_T5_P12ihipStream_tbEUlRKdE_EEST_SX_SY_mSZ_S12_bEUlT_E_NS1_11comp_targetILNS1_3genE4ELNS1_11target_archE910ELNS1_3gpuE8ELNS1_3repE0EEENS1_30default_config_static_selectorELNS0_4arch9wavefront6targetE0EEEvSW_.has_dyn_sized_stack, 0
	.set _ZN7rocprim17ROCPRIM_400000_NS6detail17trampoline_kernelINS0_14default_configENS1_27lower_bound_config_selectorIdlEEZNS1_14transform_implILb0ES3_S5_N6thrust23THRUST_200600_302600_NS6detail15normal_iteratorINS8_7pointerIdNS8_11hip_rocprim5par_tENS8_11use_defaultESE_EEEENSA_INSB_IlSD_SE_SE_EEEEZNS1_13binary_searchIS3_S5_PdSG_SI_NS1_21lower_bound_search_opENS9_16wrapped_functionINS8_6system6detail7generic6detail18binary_search_lessEbEEEE10hipError_tPvRmT1_T2_T3_mmT4_T5_P12ihipStream_tbEUlRKdE_EEST_SX_SY_mSZ_S12_bEUlT_E_NS1_11comp_targetILNS1_3genE4ELNS1_11target_archE910ELNS1_3gpuE8ELNS1_3repE0EEENS1_30default_config_static_selectorELNS0_4arch9wavefront6targetE0EEEvSW_.has_recursion, 0
	.set _ZN7rocprim17ROCPRIM_400000_NS6detail17trampoline_kernelINS0_14default_configENS1_27lower_bound_config_selectorIdlEEZNS1_14transform_implILb0ES3_S5_N6thrust23THRUST_200600_302600_NS6detail15normal_iteratorINS8_7pointerIdNS8_11hip_rocprim5par_tENS8_11use_defaultESE_EEEENSA_INSB_IlSD_SE_SE_EEEEZNS1_13binary_searchIS3_S5_PdSG_SI_NS1_21lower_bound_search_opENS9_16wrapped_functionINS8_6system6detail7generic6detail18binary_search_lessEbEEEE10hipError_tPvRmT1_T2_T3_mmT4_T5_P12ihipStream_tbEUlRKdE_EEST_SX_SY_mSZ_S12_bEUlT_E_NS1_11comp_targetILNS1_3genE4ELNS1_11target_archE910ELNS1_3gpuE8ELNS1_3repE0EEENS1_30default_config_static_selectorELNS0_4arch9wavefront6targetE0EEEvSW_.has_indirect_call, 0
	.section	.AMDGPU.csdata,"",@progbits
; Kernel info:
; codeLenInByte = 0
; TotalNumSgprs: 0
; NumVgprs: 0
; ScratchSize: 0
; MemoryBound: 0
; FloatMode: 240
; IeeeMode: 1
; LDSByteSize: 0 bytes/workgroup (compile time only)
; SGPRBlocks: 0
; VGPRBlocks: 0
; NumSGPRsForWavesPerEU: 1
; NumVGPRsForWavesPerEU: 1
; Occupancy: 16
; WaveLimiterHint : 0
; COMPUTE_PGM_RSRC2:SCRATCH_EN: 0
; COMPUTE_PGM_RSRC2:USER_SGPR: 6
; COMPUTE_PGM_RSRC2:TRAP_HANDLER: 0
; COMPUTE_PGM_RSRC2:TGID_X_EN: 1
; COMPUTE_PGM_RSRC2:TGID_Y_EN: 0
; COMPUTE_PGM_RSRC2:TGID_Z_EN: 0
; COMPUTE_PGM_RSRC2:TIDIG_COMP_CNT: 0
	.section	.text._ZN7rocprim17ROCPRIM_400000_NS6detail17trampoline_kernelINS0_14default_configENS1_27lower_bound_config_selectorIdlEEZNS1_14transform_implILb0ES3_S5_N6thrust23THRUST_200600_302600_NS6detail15normal_iteratorINS8_7pointerIdNS8_11hip_rocprim5par_tENS8_11use_defaultESE_EEEENSA_INSB_IlSD_SE_SE_EEEEZNS1_13binary_searchIS3_S5_PdSG_SI_NS1_21lower_bound_search_opENS9_16wrapped_functionINS8_6system6detail7generic6detail18binary_search_lessEbEEEE10hipError_tPvRmT1_T2_T3_mmT4_T5_P12ihipStream_tbEUlRKdE_EEST_SX_SY_mSZ_S12_bEUlT_E_NS1_11comp_targetILNS1_3genE3ELNS1_11target_archE908ELNS1_3gpuE7ELNS1_3repE0EEENS1_30default_config_static_selectorELNS0_4arch9wavefront6targetE0EEEvSW_,"axG",@progbits,_ZN7rocprim17ROCPRIM_400000_NS6detail17trampoline_kernelINS0_14default_configENS1_27lower_bound_config_selectorIdlEEZNS1_14transform_implILb0ES3_S5_N6thrust23THRUST_200600_302600_NS6detail15normal_iteratorINS8_7pointerIdNS8_11hip_rocprim5par_tENS8_11use_defaultESE_EEEENSA_INSB_IlSD_SE_SE_EEEEZNS1_13binary_searchIS3_S5_PdSG_SI_NS1_21lower_bound_search_opENS9_16wrapped_functionINS8_6system6detail7generic6detail18binary_search_lessEbEEEE10hipError_tPvRmT1_T2_T3_mmT4_T5_P12ihipStream_tbEUlRKdE_EEST_SX_SY_mSZ_S12_bEUlT_E_NS1_11comp_targetILNS1_3genE3ELNS1_11target_archE908ELNS1_3gpuE7ELNS1_3repE0EEENS1_30default_config_static_selectorELNS0_4arch9wavefront6targetE0EEEvSW_,comdat
	.protected	_ZN7rocprim17ROCPRIM_400000_NS6detail17trampoline_kernelINS0_14default_configENS1_27lower_bound_config_selectorIdlEEZNS1_14transform_implILb0ES3_S5_N6thrust23THRUST_200600_302600_NS6detail15normal_iteratorINS8_7pointerIdNS8_11hip_rocprim5par_tENS8_11use_defaultESE_EEEENSA_INSB_IlSD_SE_SE_EEEEZNS1_13binary_searchIS3_S5_PdSG_SI_NS1_21lower_bound_search_opENS9_16wrapped_functionINS8_6system6detail7generic6detail18binary_search_lessEbEEEE10hipError_tPvRmT1_T2_T3_mmT4_T5_P12ihipStream_tbEUlRKdE_EEST_SX_SY_mSZ_S12_bEUlT_E_NS1_11comp_targetILNS1_3genE3ELNS1_11target_archE908ELNS1_3gpuE7ELNS1_3repE0EEENS1_30default_config_static_selectorELNS0_4arch9wavefront6targetE0EEEvSW_ ; -- Begin function _ZN7rocprim17ROCPRIM_400000_NS6detail17trampoline_kernelINS0_14default_configENS1_27lower_bound_config_selectorIdlEEZNS1_14transform_implILb0ES3_S5_N6thrust23THRUST_200600_302600_NS6detail15normal_iteratorINS8_7pointerIdNS8_11hip_rocprim5par_tENS8_11use_defaultESE_EEEENSA_INSB_IlSD_SE_SE_EEEEZNS1_13binary_searchIS3_S5_PdSG_SI_NS1_21lower_bound_search_opENS9_16wrapped_functionINS8_6system6detail7generic6detail18binary_search_lessEbEEEE10hipError_tPvRmT1_T2_T3_mmT4_T5_P12ihipStream_tbEUlRKdE_EEST_SX_SY_mSZ_S12_bEUlT_E_NS1_11comp_targetILNS1_3genE3ELNS1_11target_archE908ELNS1_3gpuE7ELNS1_3repE0EEENS1_30default_config_static_selectorELNS0_4arch9wavefront6targetE0EEEvSW_
	.globl	_ZN7rocprim17ROCPRIM_400000_NS6detail17trampoline_kernelINS0_14default_configENS1_27lower_bound_config_selectorIdlEEZNS1_14transform_implILb0ES3_S5_N6thrust23THRUST_200600_302600_NS6detail15normal_iteratorINS8_7pointerIdNS8_11hip_rocprim5par_tENS8_11use_defaultESE_EEEENSA_INSB_IlSD_SE_SE_EEEEZNS1_13binary_searchIS3_S5_PdSG_SI_NS1_21lower_bound_search_opENS9_16wrapped_functionINS8_6system6detail7generic6detail18binary_search_lessEbEEEE10hipError_tPvRmT1_T2_T3_mmT4_T5_P12ihipStream_tbEUlRKdE_EEST_SX_SY_mSZ_S12_bEUlT_E_NS1_11comp_targetILNS1_3genE3ELNS1_11target_archE908ELNS1_3gpuE7ELNS1_3repE0EEENS1_30default_config_static_selectorELNS0_4arch9wavefront6targetE0EEEvSW_
	.p2align	8
	.type	_ZN7rocprim17ROCPRIM_400000_NS6detail17trampoline_kernelINS0_14default_configENS1_27lower_bound_config_selectorIdlEEZNS1_14transform_implILb0ES3_S5_N6thrust23THRUST_200600_302600_NS6detail15normal_iteratorINS8_7pointerIdNS8_11hip_rocprim5par_tENS8_11use_defaultESE_EEEENSA_INSB_IlSD_SE_SE_EEEEZNS1_13binary_searchIS3_S5_PdSG_SI_NS1_21lower_bound_search_opENS9_16wrapped_functionINS8_6system6detail7generic6detail18binary_search_lessEbEEEE10hipError_tPvRmT1_T2_T3_mmT4_T5_P12ihipStream_tbEUlRKdE_EEST_SX_SY_mSZ_S12_bEUlT_E_NS1_11comp_targetILNS1_3genE3ELNS1_11target_archE908ELNS1_3gpuE7ELNS1_3repE0EEENS1_30default_config_static_selectorELNS0_4arch9wavefront6targetE0EEEvSW_,@function
_ZN7rocprim17ROCPRIM_400000_NS6detail17trampoline_kernelINS0_14default_configENS1_27lower_bound_config_selectorIdlEEZNS1_14transform_implILb0ES3_S5_N6thrust23THRUST_200600_302600_NS6detail15normal_iteratorINS8_7pointerIdNS8_11hip_rocprim5par_tENS8_11use_defaultESE_EEEENSA_INSB_IlSD_SE_SE_EEEEZNS1_13binary_searchIS3_S5_PdSG_SI_NS1_21lower_bound_search_opENS9_16wrapped_functionINS8_6system6detail7generic6detail18binary_search_lessEbEEEE10hipError_tPvRmT1_T2_T3_mmT4_T5_P12ihipStream_tbEUlRKdE_EEST_SX_SY_mSZ_S12_bEUlT_E_NS1_11comp_targetILNS1_3genE3ELNS1_11target_archE908ELNS1_3gpuE7ELNS1_3repE0EEENS1_30default_config_static_selectorELNS0_4arch9wavefront6targetE0EEEvSW_: ; @_ZN7rocprim17ROCPRIM_400000_NS6detail17trampoline_kernelINS0_14default_configENS1_27lower_bound_config_selectorIdlEEZNS1_14transform_implILb0ES3_S5_N6thrust23THRUST_200600_302600_NS6detail15normal_iteratorINS8_7pointerIdNS8_11hip_rocprim5par_tENS8_11use_defaultESE_EEEENSA_INSB_IlSD_SE_SE_EEEEZNS1_13binary_searchIS3_S5_PdSG_SI_NS1_21lower_bound_search_opENS9_16wrapped_functionINS8_6system6detail7generic6detail18binary_search_lessEbEEEE10hipError_tPvRmT1_T2_T3_mmT4_T5_P12ihipStream_tbEUlRKdE_EEST_SX_SY_mSZ_S12_bEUlT_E_NS1_11comp_targetILNS1_3genE3ELNS1_11target_archE908ELNS1_3gpuE7ELNS1_3repE0EEENS1_30default_config_static_selectorELNS0_4arch9wavefront6targetE0EEEvSW_
; %bb.0:
	.section	.rodata,"a",@progbits
	.p2align	6, 0x0
	.amdhsa_kernel _ZN7rocprim17ROCPRIM_400000_NS6detail17trampoline_kernelINS0_14default_configENS1_27lower_bound_config_selectorIdlEEZNS1_14transform_implILb0ES3_S5_N6thrust23THRUST_200600_302600_NS6detail15normal_iteratorINS8_7pointerIdNS8_11hip_rocprim5par_tENS8_11use_defaultESE_EEEENSA_INSB_IlSD_SE_SE_EEEEZNS1_13binary_searchIS3_S5_PdSG_SI_NS1_21lower_bound_search_opENS9_16wrapped_functionINS8_6system6detail7generic6detail18binary_search_lessEbEEEE10hipError_tPvRmT1_T2_T3_mmT4_T5_P12ihipStream_tbEUlRKdE_EEST_SX_SY_mSZ_S12_bEUlT_E_NS1_11comp_targetILNS1_3genE3ELNS1_11target_archE908ELNS1_3gpuE7ELNS1_3repE0EEENS1_30default_config_static_selectorELNS0_4arch9wavefront6targetE0EEEvSW_
		.amdhsa_group_segment_fixed_size 0
		.amdhsa_private_segment_fixed_size 0
		.amdhsa_kernarg_size 56
		.amdhsa_user_sgpr_count 6
		.amdhsa_user_sgpr_private_segment_buffer 1
		.amdhsa_user_sgpr_dispatch_ptr 0
		.amdhsa_user_sgpr_queue_ptr 0
		.amdhsa_user_sgpr_kernarg_segment_ptr 1
		.amdhsa_user_sgpr_dispatch_id 0
		.amdhsa_user_sgpr_flat_scratch_init 0
		.amdhsa_user_sgpr_private_segment_size 0
		.amdhsa_wavefront_size32 1
		.amdhsa_uses_dynamic_stack 0
		.amdhsa_system_sgpr_private_segment_wavefront_offset 0
		.amdhsa_system_sgpr_workgroup_id_x 1
		.amdhsa_system_sgpr_workgroup_id_y 0
		.amdhsa_system_sgpr_workgroup_id_z 0
		.amdhsa_system_sgpr_workgroup_info 0
		.amdhsa_system_vgpr_workitem_id 0
		.amdhsa_next_free_vgpr 1
		.amdhsa_next_free_sgpr 1
		.amdhsa_reserve_vcc 0
		.amdhsa_reserve_flat_scratch 0
		.amdhsa_float_round_mode_32 0
		.amdhsa_float_round_mode_16_64 0
		.amdhsa_float_denorm_mode_32 3
		.amdhsa_float_denorm_mode_16_64 3
		.amdhsa_dx10_clamp 1
		.amdhsa_ieee_mode 1
		.amdhsa_fp16_overflow 0
		.amdhsa_workgroup_processor_mode 1
		.amdhsa_memory_ordered 1
		.amdhsa_forward_progress 1
		.amdhsa_shared_vgpr_count 0
		.amdhsa_exception_fp_ieee_invalid_op 0
		.amdhsa_exception_fp_denorm_src 0
		.amdhsa_exception_fp_ieee_div_zero 0
		.amdhsa_exception_fp_ieee_overflow 0
		.amdhsa_exception_fp_ieee_underflow 0
		.amdhsa_exception_fp_ieee_inexact 0
		.amdhsa_exception_int_div_zero 0
	.end_amdhsa_kernel
	.section	.text._ZN7rocprim17ROCPRIM_400000_NS6detail17trampoline_kernelINS0_14default_configENS1_27lower_bound_config_selectorIdlEEZNS1_14transform_implILb0ES3_S5_N6thrust23THRUST_200600_302600_NS6detail15normal_iteratorINS8_7pointerIdNS8_11hip_rocprim5par_tENS8_11use_defaultESE_EEEENSA_INSB_IlSD_SE_SE_EEEEZNS1_13binary_searchIS3_S5_PdSG_SI_NS1_21lower_bound_search_opENS9_16wrapped_functionINS8_6system6detail7generic6detail18binary_search_lessEbEEEE10hipError_tPvRmT1_T2_T3_mmT4_T5_P12ihipStream_tbEUlRKdE_EEST_SX_SY_mSZ_S12_bEUlT_E_NS1_11comp_targetILNS1_3genE3ELNS1_11target_archE908ELNS1_3gpuE7ELNS1_3repE0EEENS1_30default_config_static_selectorELNS0_4arch9wavefront6targetE0EEEvSW_,"axG",@progbits,_ZN7rocprim17ROCPRIM_400000_NS6detail17trampoline_kernelINS0_14default_configENS1_27lower_bound_config_selectorIdlEEZNS1_14transform_implILb0ES3_S5_N6thrust23THRUST_200600_302600_NS6detail15normal_iteratorINS8_7pointerIdNS8_11hip_rocprim5par_tENS8_11use_defaultESE_EEEENSA_INSB_IlSD_SE_SE_EEEEZNS1_13binary_searchIS3_S5_PdSG_SI_NS1_21lower_bound_search_opENS9_16wrapped_functionINS8_6system6detail7generic6detail18binary_search_lessEbEEEE10hipError_tPvRmT1_T2_T3_mmT4_T5_P12ihipStream_tbEUlRKdE_EEST_SX_SY_mSZ_S12_bEUlT_E_NS1_11comp_targetILNS1_3genE3ELNS1_11target_archE908ELNS1_3gpuE7ELNS1_3repE0EEENS1_30default_config_static_selectorELNS0_4arch9wavefront6targetE0EEEvSW_,comdat
.Lfunc_end16:
	.size	_ZN7rocprim17ROCPRIM_400000_NS6detail17trampoline_kernelINS0_14default_configENS1_27lower_bound_config_selectorIdlEEZNS1_14transform_implILb0ES3_S5_N6thrust23THRUST_200600_302600_NS6detail15normal_iteratorINS8_7pointerIdNS8_11hip_rocprim5par_tENS8_11use_defaultESE_EEEENSA_INSB_IlSD_SE_SE_EEEEZNS1_13binary_searchIS3_S5_PdSG_SI_NS1_21lower_bound_search_opENS9_16wrapped_functionINS8_6system6detail7generic6detail18binary_search_lessEbEEEE10hipError_tPvRmT1_T2_T3_mmT4_T5_P12ihipStream_tbEUlRKdE_EEST_SX_SY_mSZ_S12_bEUlT_E_NS1_11comp_targetILNS1_3genE3ELNS1_11target_archE908ELNS1_3gpuE7ELNS1_3repE0EEENS1_30default_config_static_selectorELNS0_4arch9wavefront6targetE0EEEvSW_, .Lfunc_end16-_ZN7rocprim17ROCPRIM_400000_NS6detail17trampoline_kernelINS0_14default_configENS1_27lower_bound_config_selectorIdlEEZNS1_14transform_implILb0ES3_S5_N6thrust23THRUST_200600_302600_NS6detail15normal_iteratorINS8_7pointerIdNS8_11hip_rocprim5par_tENS8_11use_defaultESE_EEEENSA_INSB_IlSD_SE_SE_EEEEZNS1_13binary_searchIS3_S5_PdSG_SI_NS1_21lower_bound_search_opENS9_16wrapped_functionINS8_6system6detail7generic6detail18binary_search_lessEbEEEE10hipError_tPvRmT1_T2_T3_mmT4_T5_P12ihipStream_tbEUlRKdE_EEST_SX_SY_mSZ_S12_bEUlT_E_NS1_11comp_targetILNS1_3genE3ELNS1_11target_archE908ELNS1_3gpuE7ELNS1_3repE0EEENS1_30default_config_static_selectorELNS0_4arch9wavefront6targetE0EEEvSW_
                                        ; -- End function
	.set _ZN7rocprim17ROCPRIM_400000_NS6detail17trampoline_kernelINS0_14default_configENS1_27lower_bound_config_selectorIdlEEZNS1_14transform_implILb0ES3_S5_N6thrust23THRUST_200600_302600_NS6detail15normal_iteratorINS8_7pointerIdNS8_11hip_rocprim5par_tENS8_11use_defaultESE_EEEENSA_INSB_IlSD_SE_SE_EEEEZNS1_13binary_searchIS3_S5_PdSG_SI_NS1_21lower_bound_search_opENS9_16wrapped_functionINS8_6system6detail7generic6detail18binary_search_lessEbEEEE10hipError_tPvRmT1_T2_T3_mmT4_T5_P12ihipStream_tbEUlRKdE_EEST_SX_SY_mSZ_S12_bEUlT_E_NS1_11comp_targetILNS1_3genE3ELNS1_11target_archE908ELNS1_3gpuE7ELNS1_3repE0EEENS1_30default_config_static_selectorELNS0_4arch9wavefront6targetE0EEEvSW_.num_vgpr, 0
	.set _ZN7rocprim17ROCPRIM_400000_NS6detail17trampoline_kernelINS0_14default_configENS1_27lower_bound_config_selectorIdlEEZNS1_14transform_implILb0ES3_S5_N6thrust23THRUST_200600_302600_NS6detail15normal_iteratorINS8_7pointerIdNS8_11hip_rocprim5par_tENS8_11use_defaultESE_EEEENSA_INSB_IlSD_SE_SE_EEEEZNS1_13binary_searchIS3_S5_PdSG_SI_NS1_21lower_bound_search_opENS9_16wrapped_functionINS8_6system6detail7generic6detail18binary_search_lessEbEEEE10hipError_tPvRmT1_T2_T3_mmT4_T5_P12ihipStream_tbEUlRKdE_EEST_SX_SY_mSZ_S12_bEUlT_E_NS1_11comp_targetILNS1_3genE3ELNS1_11target_archE908ELNS1_3gpuE7ELNS1_3repE0EEENS1_30default_config_static_selectorELNS0_4arch9wavefront6targetE0EEEvSW_.num_agpr, 0
	.set _ZN7rocprim17ROCPRIM_400000_NS6detail17trampoline_kernelINS0_14default_configENS1_27lower_bound_config_selectorIdlEEZNS1_14transform_implILb0ES3_S5_N6thrust23THRUST_200600_302600_NS6detail15normal_iteratorINS8_7pointerIdNS8_11hip_rocprim5par_tENS8_11use_defaultESE_EEEENSA_INSB_IlSD_SE_SE_EEEEZNS1_13binary_searchIS3_S5_PdSG_SI_NS1_21lower_bound_search_opENS9_16wrapped_functionINS8_6system6detail7generic6detail18binary_search_lessEbEEEE10hipError_tPvRmT1_T2_T3_mmT4_T5_P12ihipStream_tbEUlRKdE_EEST_SX_SY_mSZ_S12_bEUlT_E_NS1_11comp_targetILNS1_3genE3ELNS1_11target_archE908ELNS1_3gpuE7ELNS1_3repE0EEENS1_30default_config_static_selectorELNS0_4arch9wavefront6targetE0EEEvSW_.numbered_sgpr, 0
	.set _ZN7rocprim17ROCPRIM_400000_NS6detail17trampoline_kernelINS0_14default_configENS1_27lower_bound_config_selectorIdlEEZNS1_14transform_implILb0ES3_S5_N6thrust23THRUST_200600_302600_NS6detail15normal_iteratorINS8_7pointerIdNS8_11hip_rocprim5par_tENS8_11use_defaultESE_EEEENSA_INSB_IlSD_SE_SE_EEEEZNS1_13binary_searchIS3_S5_PdSG_SI_NS1_21lower_bound_search_opENS9_16wrapped_functionINS8_6system6detail7generic6detail18binary_search_lessEbEEEE10hipError_tPvRmT1_T2_T3_mmT4_T5_P12ihipStream_tbEUlRKdE_EEST_SX_SY_mSZ_S12_bEUlT_E_NS1_11comp_targetILNS1_3genE3ELNS1_11target_archE908ELNS1_3gpuE7ELNS1_3repE0EEENS1_30default_config_static_selectorELNS0_4arch9wavefront6targetE0EEEvSW_.num_named_barrier, 0
	.set _ZN7rocprim17ROCPRIM_400000_NS6detail17trampoline_kernelINS0_14default_configENS1_27lower_bound_config_selectorIdlEEZNS1_14transform_implILb0ES3_S5_N6thrust23THRUST_200600_302600_NS6detail15normal_iteratorINS8_7pointerIdNS8_11hip_rocprim5par_tENS8_11use_defaultESE_EEEENSA_INSB_IlSD_SE_SE_EEEEZNS1_13binary_searchIS3_S5_PdSG_SI_NS1_21lower_bound_search_opENS9_16wrapped_functionINS8_6system6detail7generic6detail18binary_search_lessEbEEEE10hipError_tPvRmT1_T2_T3_mmT4_T5_P12ihipStream_tbEUlRKdE_EEST_SX_SY_mSZ_S12_bEUlT_E_NS1_11comp_targetILNS1_3genE3ELNS1_11target_archE908ELNS1_3gpuE7ELNS1_3repE0EEENS1_30default_config_static_selectorELNS0_4arch9wavefront6targetE0EEEvSW_.private_seg_size, 0
	.set _ZN7rocprim17ROCPRIM_400000_NS6detail17trampoline_kernelINS0_14default_configENS1_27lower_bound_config_selectorIdlEEZNS1_14transform_implILb0ES3_S5_N6thrust23THRUST_200600_302600_NS6detail15normal_iteratorINS8_7pointerIdNS8_11hip_rocprim5par_tENS8_11use_defaultESE_EEEENSA_INSB_IlSD_SE_SE_EEEEZNS1_13binary_searchIS3_S5_PdSG_SI_NS1_21lower_bound_search_opENS9_16wrapped_functionINS8_6system6detail7generic6detail18binary_search_lessEbEEEE10hipError_tPvRmT1_T2_T3_mmT4_T5_P12ihipStream_tbEUlRKdE_EEST_SX_SY_mSZ_S12_bEUlT_E_NS1_11comp_targetILNS1_3genE3ELNS1_11target_archE908ELNS1_3gpuE7ELNS1_3repE0EEENS1_30default_config_static_selectorELNS0_4arch9wavefront6targetE0EEEvSW_.uses_vcc, 0
	.set _ZN7rocprim17ROCPRIM_400000_NS6detail17trampoline_kernelINS0_14default_configENS1_27lower_bound_config_selectorIdlEEZNS1_14transform_implILb0ES3_S5_N6thrust23THRUST_200600_302600_NS6detail15normal_iteratorINS8_7pointerIdNS8_11hip_rocprim5par_tENS8_11use_defaultESE_EEEENSA_INSB_IlSD_SE_SE_EEEEZNS1_13binary_searchIS3_S5_PdSG_SI_NS1_21lower_bound_search_opENS9_16wrapped_functionINS8_6system6detail7generic6detail18binary_search_lessEbEEEE10hipError_tPvRmT1_T2_T3_mmT4_T5_P12ihipStream_tbEUlRKdE_EEST_SX_SY_mSZ_S12_bEUlT_E_NS1_11comp_targetILNS1_3genE3ELNS1_11target_archE908ELNS1_3gpuE7ELNS1_3repE0EEENS1_30default_config_static_selectorELNS0_4arch9wavefront6targetE0EEEvSW_.uses_flat_scratch, 0
	.set _ZN7rocprim17ROCPRIM_400000_NS6detail17trampoline_kernelINS0_14default_configENS1_27lower_bound_config_selectorIdlEEZNS1_14transform_implILb0ES3_S5_N6thrust23THRUST_200600_302600_NS6detail15normal_iteratorINS8_7pointerIdNS8_11hip_rocprim5par_tENS8_11use_defaultESE_EEEENSA_INSB_IlSD_SE_SE_EEEEZNS1_13binary_searchIS3_S5_PdSG_SI_NS1_21lower_bound_search_opENS9_16wrapped_functionINS8_6system6detail7generic6detail18binary_search_lessEbEEEE10hipError_tPvRmT1_T2_T3_mmT4_T5_P12ihipStream_tbEUlRKdE_EEST_SX_SY_mSZ_S12_bEUlT_E_NS1_11comp_targetILNS1_3genE3ELNS1_11target_archE908ELNS1_3gpuE7ELNS1_3repE0EEENS1_30default_config_static_selectorELNS0_4arch9wavefront6targetE0EEEvSW_.has_dyn_sized_stack, 0
	.set _ZN7rocprim17ROCPRIM_400000_NS6detail17trampoline_kernelINS0_14default_configENS1_27lower_bound_config_selectorIdlEEZNS1_14transform_implILb0ES3_S5_N6thrust23THRUST_200600_302600_NS6detail15normal_iteratorINS8_7pointerIdNS8_11hip_rocprim5par_tENS8_11use_defaultESE_EEEENSA_INSB_IlSD_SE_SE_EEEEZNS1_13binary_searchIS3_S5_PdSG_SI_NS1_21lower_bound_search_opENS9_16wrapped_functionINS8_6system6detail7generic6detail18binary_search_lessEbEEEE10hipError_tPvRmT1_T2_T3_mmT4_T5_P12ihipStream_tbEUlRKdE_EEST_SX_SY_mSZ_S12_bEUlT_E_NS1_11comp_targetILNS1_3genE3ELNS1_11target_archE908ELNS1_3gpuE7ELNS1_3repE0EEENS1_30default_config_static_selectorELNS0_4arch9wavefront6targetE0EEEvSW_.has_recursion, 0
	.set _ZN7rocprim17ROCPRIM_400000_NS6detail17trampoline_kernelINS0_14default_configENS1_27lower_bound_config_selectorIdlEEZNS1_14transform_implILb0ES3_S5_N6thrust23THRUST_200600_302600_NS6detail15normal_iteratorINS8_7pointerIdNS8_11hip_rocprim5par_tENS8_11use_defaultESE_EEEENSA_INSB_IlSD_SE_SE_EEEEZNS1_13binary_searchIS3_S5_PdSG_SI_NS1_21lower_bound_search_opENS9_16wrapped_functionINS8_6system6detail7generic6detail18binary_search_lessEbEEEE10hipError_tPvRmT1_T2_T3_mmT4_T5_P12ihipStream_tbEUlRKdE_EEST_SX_SY_mSZ_S12_bEUlT_E_NS1_11comp_targetILNS1_3genE3ELNS1_11target_archE908ELNS1_3gpuE7ELNS1_3repE0EEENS1_30default_config_static_selectorELNS0_4arch9wavefront6targetE0EEEvSW_.has_indirect_call, 0
	.section	.AMDGPU.csdata,"",@progbits
; Kernel info:
; codeLenInByte = 0
; TotalNumSgprs: 0
; NumVgprs: 0
; ScratchSize: 0
; MemoryBound: 0
; FloatMode: 240
; IeeeMode: 1
; LDSByteSize: 0 bytes/workgroup (compile time only)
; SGPRBlocks: 0
; VGPRBlocks: 0
; NumSGPRsForWavesPerEU: 1
; NumVGPRsForWavesPerEU: 1
; Occupancy: 16
; WaveLimiterHint : 0
; COMPUTE_PGM_RSRC2:SCRATCH_EN: 0
; COMPUTE_PGM_RSRC2:USER_SGPR: 6
; COMPUTE_PGM_RSRC2:TRAP_HANDLER: 0
; COMPUTE_PGM_RSRC2:TGID_X_EN: 1
; COMPUTE_PGM_RSRC2:TGID_Y_EN: 0
; COMPUTE_PGM_RSRC2:TGID_Z_EN: 0
; COMPUTE_PGM_RSRC2:TIDIG_COMP_CNT: 0
	.section	.text._ZN7rocprim17ROCPRIM_400000_NS6detail17trampoline_kernelINS0_14default_configENS1_27lower_bound_config_selectorIdlEEZNS1_14transform_implILb0ES3_S5_N6thrust23THRUST_200600_302600_NS6detail15normal_iteratorINS8_7pointerIdNS8_11hip_rocprim5par_tENS8_11use_defaultESE_EEEENSA_INSB_IlSD_SE_SE_EEEEZNS1_13binary_searchIS3_S5_PdSG_SI_NS1_21lower_bound_search_opENS9_16wrapped_functionINS8_6system6detail7generic6detail18binary_search_lessEbEEEE10hipError_tPvRmT1_T2_T3_mmT4_T5_P12ihipStream_tbEUlRKdE_EEST_SX_SY_mSZ_S12_bEUlT_E_NS1_11comp_targetILNS1_3genE2ELNS1_11target_archE906ELNS1_3gpuE6ELNS1_3repE0EEENS1_30default_config_static_selectorELNS0_4arch9wavefront6targetE0EEEvSW_,"axG",@progbits,_ZN7rocprim17ROCPRIM_400000_NS6detail17trampoline_kernelINS0_14default_configENS1_27lower_bound_config_selectorIdlEEZNS1_14transform_implILb0ES3_S5_N6thrust23THRUST_200600_302600_NS6detail15normal_iteratorINS8_7pointerIdNS8_11hip_rocprim5par_tENS8_11use_defaultESE_EEEENSA_INSB_IlSD_SE_SE_EEEEZNS1_13binary_searchIS3_S5_PdSG_SI_NS1_21lower_bound_search_opENS9_16wrapped_functionINS8_6system6detail7generic6detail18binary_search_lessEbEEEE10hipError_tPvRmT1_T2_T3_mmT4_T5_P12ihipStream_tbEUlRKdE_EEST_SX_SY_mSZ_S12_bEUlT_E_NS1_11comp_targetILNS1_3genE2ELNS1_11target_archE906ELNS1_3gpuE6ELNS1_3repE0EEENS1_30default_config_static_selectorELNS0_4arch9wavefront6targetE0EEEvSW_,comdat
	.protected	_ZN7rocprim17ROCPRIM_400000_NS6detail17trampoline_kernelINS0_14default_configENS1_27lower_bound_config_selectorIdlEEZNS1_14transform_implILb0ES3_S5_N6thrust23THRUST_200600_302600_NS6detail15normal_iteratorINS8_7pointerIdNS8_11hip_rocprim5par_tENS8_11use_defaultESE_EEEENSA_INSB_IlSD_SE_SE_EEEEZNS1_13binary_searchIS3_S5_PdSG_SI_NS1_21lower_bound_search_opENS9_16wrapped_functionINS8_6system6detail7generic6detail18binary_search_lessEbEEEE10hipError_tPvRmT1_T2_T3_mmT4_T5_P12ihipStream_tbEUlRKdE_EEST_SX_SY_mSZ_S12_bEUlT_E_NS1_11comp_targetILNS1_3genE2ELNS1_11target_archE906ELNS1_3gpuE6ELNS1_3repE0EEENS1_30default_config_static_selectorELNS0_4arch9wavefront6targetE0EEEvSW_ ; -- Begin function _ZN7rocprim17ROCPRIM_400000_NS6detail17trampoline_kernelINS0_14default_configENS1_27lower_bound_config_selectorIdlEEZNS1_14transform_implILb0ES3_S5_N6thrust23THRUST_200600_302600_NS6detail15normal_iteratorINS8_7pointerIdNS8_11hip_rocprim5par_tENS8_11use_defaultESE_EEEENSA_INSB_IlSD_SE_SE_EEEEZNS1_13binary_searchIS3_S5_PdSG_SI_NS1_21lower_bound_search_opENS9_16wrapped_functionINS8_6system6detail7generic6detail18binary_search_lessEbEEEE10hipError_tPvRmT1_T2_T3_mmT4_T5_P12ihipStream_tbEUlRKdE_EEST_SX_SY_mSZ_S12_bEUlT_E_NS1_11comp_targetILNS1_3genE2ELNS1_11target_archE906ELNS1_3gpuE6ELNS1_3repE0EEENS1_30default_config_static_selectorELNS0_4arch9wavefront6targetE0EEEvSW_
	.globl	_ZN7rocprim17ROCPRIM_400000_NS6detail17trampoline_kernelINS0_14default_configENS1_27lower_bound_config_selectorIdlEEZNS1_14transform_implILb0ES3_S5_N6thrust23THRUST_200600_302600_NS6detail15normal_iteratorINS8_7pointerIdNS8_11hip_rocprim5par_tENS8_11use_defaultESE_EEEENSA_INSB_IlSD_SE_SE_EEEEZNS1_13binary_searchIS3_S5_PdSG_SI_NS1_21lower_bound_search_opENS9_16wrapped_functionINS8_6system6detail7generic6detail18binary_search_lessEbEEEE10hipError_tPvRmT1_T2_T3_mmT4_T5_P12ihipStream_tbEUlRKdE_EEST_SX_SY_mSZ_S12_bEUlT_E_NS1_11comp_targetILNS1_3genE2ELNS1_11target_archE906ELNS1_3gpuE6ELNS1_3repE0EEENS1_30default_config_static_selectorELNS0_4arch9wavefront6targetE0EEEvSW_
	.p2align	8
	.type	_ZN7rocprim17ROCPRIM_400000_NS6detail17trampoline_kernelINS0_14default_configENS1_27lower_bound_config_selectorIdlEEZNS1_14transform_implILb0ES3_S5_N6thrust23THRUST_200600_302600_NS6detail15normal_iteratorINS8_7pointerIdNS8_11hip_rocprim5par_tENS8_11use_defaultESE_EEEENSA_INSB_IlSD_SE_SE_EEEEZNS1_13binary_searchIS3_S5_PdSG_SI_NS1_21lower_bound_search_opENS9_16wrapped_functionINS8_6system6detail7generic6detail18binary_search_lessEbEEEE10hipError_tPvRmT1_T2_T3_mmT4_T5_P12ihipStream_tbEUlRKdE_EEST_SX_SY_mSZ_S12_bEUlT_E_NS1_11comp_targetILNS1_3genE2ELNS1_11target_archE906ELNS1_3gpuE6ELNS1_3repE0EEENS1_30default_config_static_selectorELNS0_4arch9wavefront6targetE0EEEvSW_,@function
_ZN7rocprim17ROCPRIM_400000_NS6detail17trampoline_kernelINS0_14default_configENS1_27lower_bound_config_selectorIdlEEZNS1_14transform_implILb0ES3_S5_N6thrust23THRUST_200600_302600_NS6detail15normal_iteratorINS8_7pointerIdNS8_11hip_rocprim5par_tENS8_11use_defaultESE_EEEENSA_INSB_IlSD_SE_SE_EEEEZNS1_13binary_searchIS3_S5_PdSG_SI_NS1_21lower_bound_search_opENS9_16wrapped_functionINS8_6system6detail7generic6detail18binary_search_lessEbEEEE10hipError_tPvRmT1_T2_T3_mmT4_T5_P12ihipStream_tbEUlRKdE_EEST_SX_SY_mSZ_S12_bEUlT_E_NS1_11comp_targetILNS1_3genE2ELNS1_11target_archE906ELNS1_3gpuE6ELNS1_3repE0EEENS1_30default_config_static_selectorELNS0_4arch9wavefront6targetE0EEEvSW_: ; @_ZN7rocprim17ROCPRIM_400000_NS6detail17trampoline_kernelINS0_14default_configENS1_27lower_bound_config_selectorIdlEEZNS1_14transform_implILb0ES3_S5_N6thrust23THRUST_200600_302600_NS6detail15normal_iteratorINS8_7pointerIdNS8_11hip_rocprim5par_tENS8_11use_defaultESE_EEEENSA_INSB_IlSD_SE_SE_EEEEZNS1_13binary_searchIS3_S5_PdSG_SI_NS1_21lower_bound_search_opENS9_16wrapped_functionINS8_6system6detail7generic6detail18binary_search_lessEbEEEE10hipError_tPvRmT1_T2_T3_mmT4_T5_P12ihipStream_tbEUlRKdE_EEST_SX_SY_mSZ_S12_bEUlT_E_NS1_11comp_targetILNS1_3genE2ELNS1_11target_archE906ELNS1_3gpuE6ELNS1_3repE0EEENS1_30default_config_static_selectorELNS0_4arch9wavefront6targetE0EEEvSW_
; %bb.0:
	.section	.rodata,"a",@progbits
	.p2align	6, 0x0
	.amdhsa_kernel _ZN7rocprim17ROCPRIM_400000_NS6detail17trampoline_kernelINS0_14default_configENS1_27lower_bound_config_selectorIdlEEZNS1_14transform_implILb0ES3_S5_N6thrust23THRUST_200600_302600_NS6detail15normal_iteratorINS8_7pointerIdNS8_11hip_rocprim5par_tENS8_11use_defaultESE_EEEENSA_INSB_IlSD_SE_SE_EEEEZNS1_13binary_searchIS3_S5_PdSG_SI_NS1_21lower_bound_search_opENS9_16wrapped_functionINS8_6system6detail7generic6detail18binary_search_lessEbEEEE10hipError_tPvRmT1_T2_T3_mmT4_T5_P12ihipStream_tbEUlRKdE_EEST_SX_SY_mSZ_S12_bEUlT_E_NS1_11comp_targetILNS1_3genE2ELNS1_11target_archE906ELNS1_3gpuE6ELNS1_3repE0EEENS1_30default_config_static_selectorELNS0_4arch9wavefront6targetE0EEEvSW_
		.amdhsa_group_segment_fixed_size 0
		.amdhsa_private_segment_fixed_size 0
		.amdhsa_kernarg_size 56
		.amdhsa_user_sgpr_count 6
		.amdhsa_user_sgpr_private_segment_buffer 1
		.amdhsa_user_sgpr_dispatch_ptr 0
		.amdhsa_user_sgpr_queue_ptr 0
		.amdhsa_user_sgpr_kernarg_segment_ptr 1
		.amdhsa_user_sgpr_dispatch_id 0
		.amdhsa_user_sgpr_flat_scratch_init 0
		.amdhsa_user_sgpr_private_segment_size 0
		.amdhsa_wavefront_size32 1
		.amdhsa_uses_dynamic_stack 0
		.amdhsa_system_sgpr_private_segment_wavefront_offset 0
		.amdhsa_system_sgpr_workgroup_id_x 1
		.amdhsa_system_sgpr_workgroup_id_y 0
		.amdhsa_system_sgpr_workgroup_id_z 0
		.amdhsa_system_sgpr_workgroup_info 0
		.amdhsa_system_vgpr_workitem_id 0
		.amdhsa_next_free_vgpr 1
		.amdhsa_next_free_sgpr 1
		.amdhsa_reserve_vcc 0
		.amdhsa_reserve_flat_scratch 0
		.amdhsa_float_round_mode_32 0
		.amdhsa_float_round_mode_16_64 0
		.amdhsa_float_denorm_mode_32 3
		.amdhsa_float_denorm_mode_16_64 3
		.amdhsa_dx10_clamp 1
		.amdhsa_ieee_mode 1
		.amdhsa_fp16_overflow 0
		.amdhsa_workgroup_processor_mode 1
		.amdhsa_memory_ordered 1
		.amdhsa_forward_progress 1
		.amdhsa_shared_vgpr_count 0
		.amdhsa_exception_fp_ieee_invalid_op 0
		.amdhsa_exception_fp_denorm_src 0
		.amdhsa_exception_fp_ieee_div_zero 0
		.amdhsa_exception_fp_ieee_overflow 0
		.amdhsa_exception_fp_ieee_underflow 0
		.amdhsa_exception_fp_ieee_inexact 0
		.amdhsa_exception_int_div_zero 0
	.end_amdhsa_kernel
	.section	.text._ZN7rocprim17ROCPRIM_400000_NS6detail17trampoline_kernelINS0_14default_configENS1_27lower_bound_config_selectorIdlEEZNS1_14transform_implILb0ES3_S5_N6thrust23THRUST_200600_302600_NS6detail15normal_iteratorINS8_7pointerIdNS8_11hip_rocprim5par_tENS8_11use_defaultESE_EEEENSA_INSB_IlSD_SE_SE_EEEEZNS1_13binary_searchIS3_S5_PdSG_SI_NS1_21lower_bound_search_opENS9_16wrapped_functionINS8_6system6detail7generic6detail18binary_search_lessEbEEEE10hipError_tPvRmT1_T2_T3_mmT4_T5_P12ihipStream_tbEUlRKdE_EEST_SX_SY_mSZ_S12_bEUlT_E_NS1_11comp_targetILNS1_3genE2ELNS1_11target_archE906ELNS1_3gpuE6ELNS1_3repE0EEENS1_30default_config_static_selectorELNS0_4arch9wavefront6targetE0EEEvSW_,"axG",@progbits,_ZN7rocprim17ROCPRIM_400000_NS6detail17trampoline_kernelINS0_14default_configENS1_27lower_bound_config_selectorIdlEEZNS1_14transform_implILb0ES3_S5_N6thrust23THRUST_200600_302600_NS6detail15normal_iteratorINS8_7pointerIdNS8_11hip_rocprim5par_tENS8_11use_defaultESE_EEEENSA_INSB_IlSD_SE_SE_EEEEZNS1_13binary_searchIS3_S5_PdSG_SI_NS1_21lower_bound_search_opENS9_16wrapped_functionINS8_6system6detail7generic6detail18binary_search_lessEbEEEE10hipError_tPvRmT1_T2_T3_mmT4_T5_P12ihipStream_tbEUlRKdE_EEST_SX_SY_mSZ_S12_bEUlT_E_NS1_11comp_targetILNS1_3genE2ELNS1_11target_archE906ELNS1_3gpuE6ELNS1_3repE0EEENS1_30default_config_static_selectorELNS0_4arch9wavefront6targetE0EEEvSW_,comdat
.Lfunc_end17:
	.size	_ZN7rocprim17ROCPRIM_400000_NS6detail17trampoline_kernelINS0_14default_configENS1_27lower_bound_config_selectorIdlEEZNS1_14transform_implILb0ES3_S5_N6thrust23THRUST_200600_302600_NS6detail15normal_iteratorINS8_7pointerIdNS8_11hip_rocprim5par_tENS8_11use_defaultESE_EEEENSA_INSB_IlSD_SE_SE_EEEEZNS1_13binary_searchIS3_S5_PdSG_SI_NS1_21lower_bound_search_opENS9_16wrapped_functionINS8_6system6detail7generic6detail18binary_search_lessEbEEEE10hipError_tPvRmT1_T2_T3_mmT4_T5_P12ihipStream_tbEUlRKdE_EEST_SX_SY_mSZ_S12_bEUlT_E_NS1_11comp_targetILNS1_3genE2ELNS1_11target_archE906ELNS1_3gpuE6ELNS1_3repE0EEENS1_30default_config_static_selectorELNS0_4arch9wavefront6targetE0EEEvSW_, .Lfunc_end17-_ZN7rocprim17ROCPRIM_400000_NS6detail17trampoline_kernelINS0_14default_configENS1_27lower_bound_config_selectorIdlEEZNS1_14transform_implILb0ES3_S5_N6thrust23THRUST_200600_302600_NS6detail15normal_iteratorINS8_7pointerIdNS8_11hip_rocprim5par_tENS8_11use_defaultESE_EEEENSA_INSB_IlSD_SE_SE_EEEEZNS1_13binary_searchIS3_S5_PdSG_SI_NS1_21lower_bound_search_opENS9_16wrapped_functionINS8_6system6detail7generic6detail18binary_search_lessEbEEEE10hipError_tPvRmT1_T2_T3_mmT4_T5_P12ihipStream_tbEUlRKdE_EEST_SX_SY_mSZ_S12_bEUlT_E_NS1_11comp_targetILNS1_3genE2ELNS1_11target_archE906ELNS1_3gpuE6ELNS1_3repE0EEENS1_30default_config_static_selectorELNS0_4arch9wavefront6targetE0EEEvSW_
                                        ; -- End function
	.set _ZN7rocprim17ROCPRIM_400000_NS6detail17trampoline_kernelINS0_14default_configENS1_27lower_bound_config_selectorIdlEEZNS1_14transform_implILb0ES3_S5_N6thrust23THRUST_200600_302600_NS6detail15normal_iteratorINS8_7pointerIdNS8_11hip_rocprim5par_tENS8_11use_defaultESE_EEEENSA_INSB_IlSD_SE_SE_EEEEZNS1_13binary_searchIS3_S5_PdSG_SI_NS1_21lower_bound_search_opENS9_16wrapped_functionINS8_6system6detail7generic6detail18binary_search_lessEbEEEE10hipError_tPvRmT1_T2_T3_mmT4_T5_P12ihipStream_tbEUlRKdE_EEST_SX_SY_mSZ_S12_bEUlT_E_NS1_11comp_targetILNS1_3genE2ELNS1_11target_archE906ELNS1_3gpuE6ELNS1_3repE0EEENS1_30default_config_static_selectorELNS0_4arch9wavefront6targetE0EEEvSW_.num_vgpr, 0
	.set _ZN7rocprim17ROCPRIM_400000_NS6detail17trampoline_kernelINS0_14default_configENS1_27lower_bound_config_selectorIdlEEZNS1_14transform_implILb0ES3_S5_N6thrust23THRUST_200600_302600_NS6detail15normal_iteratorINS8_7pointerIdNS8_11hip_rocprim5par_tENS8_11use_defaultESE_EEEENSA_INSB_IlSD_SE_SE_EEEEZNS1_13binary_searchIS3_S5_PdSG_SI_NS1_21lower_bound_search_opENS9_16wrapped_functionINS8_6system6detail7generic6detail18binary_search_lessEbEEEE10hipError_tPvRmT1_T2_T3_mmT4_T5_P12ihipStream_tbEUlRKdE_EEST_SX_SY_mSZ_S12_bEUlT_E_NS1_11comp_targetILNS1_3genE2ELNS1_11target_archE906ELNS1_3gpuE6ELNS1_3repE0EEENS1_30default_config_static_selectorELNS0_4arch9wavefront6targetE0EEEvSW_.num_agpr, 0
	.set _ZN7rocprim17ROCPRIM_400000_NS6detail17trampoline_kernelINS0_14default_configENS1_27lower_bound_config_selectorIdlEEZNS1_14transform_implILb0ES3_S5_N6thrust23THRUST_200600_302600_NS6detail15normal_iteratorINS8_7pointerIdNS8_11hip_rocprim5par_tENS8_11use_defaultESE_EEEENSA_INSB_IlSD_SE_SE_EEEEZNS1_13binary_searchIS3_S5_PdSG_SI_NS1_21lower_bound_search_opENS9_16wrapped_functionINS8_6system6detail7generic6detail18binary_search_lessEbEEEE10hipError_tPvRmT1_T2_T3_mmT4_T5_P12ihipStream_tbEUlRKdE_EEST_SX_SY_mSZ_S12_bEUlT_E_NS1_11comp_targetILNS1_3genE2ELNS1_11target_archE906ELNS1_3gpuE6ELNS1_3repE0EEENS1_30default_config_static_selectorELNS0_4arch9wavefront6targetE0EEEvSW_.numbered_sgpr, 0
	.set _ZN7rocprim17ROCPRIM_400000_NS6detail17trampoline_kernelINS0_14default_configENS1_27lower_bound_config_selectorIdlEEZNS1_14transform_implILb0ES3_S5_N6thrust23THRUST_200600_302600_NS6detail15normal_iteratorINS8_7pointerIdNS8_11hip_rocprim5par_tENS8_11use_defaultESE_EEEENSA_INSB_IlSD_SE_SE_EEEEZNS1_13binary_searchIS3_S5_PdSG_SI_NS1_21lower_bound_search_opENS9_16wrapped_functionINS8_6system6detail7generic6detail18binary_search_lessEbEEEE10hipError_tPvRmT1_T2_T3_mmT4_T5_P12ihipStream_tbEUlRKdE_EEST_SX_SY_mSZ_S12_bEUlT_E_NS1_11comp_targetILNS1_3genE2ELNS1_11target_archE906ELNS1_3gpuE6ELNS1_3repE0EEENS1_30default_config_static_selectorELNS0_4arch9wavefront6targetE0EEEvSW_.num_named_barrier, 0
	.set _ZN7rocprim17ROCPRIM_400000_NS6detail17trampoline_kernelINS0_14default_configENS1_27lower_bound_config_selectorIdlEEZNS1_14transform_implILb0ES3_S5_N6thrust23THRUST_200600_302600_NS6detail15normal_iteratorINS8_7pointerIdNS8_11hip_rocprim5par_tENS8_11use_defaultESE_EEEENSA_INSB_IlSD_SE_SE_EEEEZNS1_13binary_searchIS3_S5_PdSG_SI_NS1_21lower_bound_search_opENS9_16wrapped_functionINS8_6system6detail7generic6detail18binary_search_lessEbEEEE10hipError_tPvRmT1_T2_T3_mmT4_T5_P12ihipStream_tbEUlRKdE_EEST_SX_SY_mSZ_S12_bEUlT_E_NS1_11comp_targetILNS1_3genE2ELNS1_11target_archE906ELNS1_3gpuE6ELNS1_3repE0EEENS1_30default_config_static_selectorELNS0_4arch9wavefront6targetE0EEEvSW_.private_seg_size, 0
	.set _ZN7rocprim17ROCPRIM_400000_NS6detail17trampoline_kernelINS0_14default_configENS1_27lower_bound_config_selectorIdlEEZNS1_14transform_implILb0ES3_S5_N6thrust23THRUST_200600_302600_NS6detail15normal_iteratorINS8_7pointerIdNS8_11hip_rocprim5par_tENS8_11use_defaultESE_EEEENSA_INSB_IlSD_SE_SE_EEEEZNS1_13binary_searchIS3_S5_PdSG_SI_NS1_21lower_bound_search_opENS9_16wrapped_functionINS8_6system6detail7generic6detail18binary_search_lessEbEEEE10hipError_tPvRmT1_T2_T3_mmT4_T5_P12ihipStream_tbEUlRKdE_EEST_SX_SY_mSZ_S12_bEUlT_E_NS1_11comp_targetILNS1_3genE2ELNS1_11target_archE906ELNS1_3gpuE6ELNS1_3repE0EEENS1_30default_config_static_selectorELNS0_4arch9wavefront6targetE0EEEvSW_.uses_vcc, 0
	.set _ZN7rocprim17ROCPRIM_400000_NS6detail17trampoline_kernelINS0_14default_configENS1_27lower_bound_config_selectorIdlEEZNS1_14transform_implILb0ES3_S5_N6thrust23THRUST_200600_302600_NS6detail15normal_iteratorINS8_7pointerIdNS8_11hip_rocprim5par_tENS8_11use_defaultESE_EEEENSA_INSB_IlSD_SE_SE_EEEEZNS1_13binary_searchIS3_S5_PdSG_SI_NS1_21lower_bound_search_opENS9_16wrapped_functionINS8_6system6detail7generic6detail18binary_search_lessEbEEEE10hipError_tPvRmT1_T2_T3_mmT4_T5_P12ihipStream_tbEUlRKdE_EEST_SX_SY_mSZ_S12_bEUlT_E_NS1_11comp_targetILNS1_3genE2ELNS1_11target_archE906ELNS1_3gpuE6ELNS1_3repE0EEENS1_30default_config_static_selectorELNS0_4arch9wavefront6targetE0EEEvSW_.uses_flat_scratch, 0
	.set _ZN7rocprim17ROCPRIM_400000_NS6detail17trampoline_kernelINS0_14default_configENS1_27lower_bound_config_selectorIdlEEZNS1_14transform_implILb0ES3_S5_N6thrust23THRUST_200600_302600_NS6detail15normal_iteratorINS8_7pointerIdNS8_11hip_rocprim5par_tENS8_11use_defaultESE_EEEENSA_INSB_IlSD_SE_SE_EEEEZNS1_13binary_searchIS3_S5_PdSG_SI_NS1_21lower_bound_search_opENS9_16wrapped_functionINS8_6system6detail7generic6detail18binary_search_lessEbEEEE10hipError_tPvRmT1_T2_T3_mmT4_T5_P12ihipStream_tbEUlRKdE_EEST_SX_SY_mSZ_S12_bEUlT_E_NS1_11comp_targetILNS1_3genE2ELNS1_11target_archE906ELNS1_3gpuE6ELNS1_3repE0EEENS1_30default_config_static_selectorELNS0_4arch9wavefront6targetE0EEEvSW_.has_dyn_sized_stack, 0
	.set _ZN7rocprim17ROCPRIM_400000_NS6detail17trampoline_kernelINS0_14default_configENS1_27lower_bound_config_selectorIdlEEZNS1_14transform_implILb0ES3_S5_N6thrust23THRUST_200600_302600_NS6detail15normal_iteratorINS8_7pointerIdNS8_11hip_rocprim5par_tENS8_11use_defaultESE_EEEENSA_INSB_IlSD_SE_SE_EEEEZNS1_13binary_searchIS3_S5_PdSG_SI_NS1_21lower_bound_search_opENS9_16wrapped_functionINS8_6system6detail7generic6detail18binary_search_lessEbEEEE10hipError_tPvRmT1_T2_T3_mmT4_T5_P12ihipStream_tbEUlRKdE_EEST_SX_SY_mSZ_S12_bEUlT_E_NS1_11comp_targetILNS1_3genE2ELNS1_11target_archE906ELNS1_3gpuE6ELNS1_3repE0EEENS1_30default_config_static_selectorELNS0_4arch9wavefront6targetE0EEEvSW_.has_recursion, 0
	.set _ZN7rocprim17ROCPRIM_400000_NS6detail17trampoline_kernelINS0_14default_configENS1_27lower_bound_config_selectorIdlEEZNS1_14transform_implILb0ES3_S5_N6thrust23THRUST_200600_302600_NS6detail15normal_iteratorINS8_7pointerIdNS8_11hip_rocprim5par_tENS8_11use_defaultESE_EEEENSA_INSB_IlSD_SE_SE_EEEEZNS1_13binary_searchIS3_S5_PdSG_SI_NS1_21lower_bound_search_opENS9_16wrapped_functionINS8_6system6detail7generic6detail18binary_search_lessEbEEEE10hipError_tPvRmT1_T2_T3_mmT4_T5_P12ihipStream_tbEUlRKdE_EEST_SX_SY_mSZ_S12_bEUlT_E_NS1_11comp_targetILNS1_3genE2ELNS1_11target_archE906ELNS1_3gpuE6ELNS1_3repE0EEENS1_30default_config_static_selectorELNS0_4arch9wavefront6targetE0EEEvSW_.has_indirect_call, 0
	.section	.AMDGPU.csdata,"",@progbits
; Kernel info:
; codeLenInByte = 0
; TotalNumSgprs: 0
; NumVgprs: 0
; ScratchSize: 0
; MemoryBound: 0
; FloatMode: 240
; IeeeMode: 1
; LDSByteSize: 0 bytes/workgroup (compile time only)
; SGPRBlocks: 0
; VGPRBlocks: 0
; NumSGPRsForWavesPerEU: 1
; NumVGPRsForWavesPerEU: 1
; Occupancy: 16
; WaveLimiterHint : 0
; COMPUTE_PGM_RSRC2:SCRATCH_EN: 0
; COMPUTE_PGM_RSRC2:USER_SGPR: 6
; COMPUTE_PGM_RSRC2:TRAP_HANDLER: 0
; COMPUTE_PGM_RSRC2:TGID_X_EN: 1
; COMPUTE_PGM_RSRC2:TGID_Y_EN: 0
; COMPUTE_PGM_RSRC2:TGID_Z_EN: 0
; COMPUTE_PGM_RSRC2:TIDIG_COMP_CNT: 0
	.section	.text._ZN7rocprim17ROCPRIM_400000_NS6detail17trampoline_kernelINS0_14default_configENS1_27lower_bound_config_selectorIdlEEZNS1_14transform_implILb0ES3_S5_N6thrust23THRUST_200600_302600_NS6detail15normal_iteratorINS8_7pointerIdNS8_11hip_rocprim5par_tENS8_11use_defaultESE_EEEENSA_INSB_IlSD_SE_SE_EEEEZNS1_13binary_searchIS3_S5_PdSG_SI_NS1_21lower_bound_search_opENS9_16wrapped_functionINS8_6system6detail7generic6detail18binary_search_lessEbEEEE10hipError_tPvRmT1_T2_T3_mmT4_T5_P12ihipStream_tbEUlRKdE_EEST_SX_SY_mSZ_S12_bEUlT_E_NS1_11comp_targetILNS1_3genE10ELNS1_11target_archE1201ELNS1_3gpuE5ELNS1_3repE0EEENS1_30default_config_static_selectorELNS0_4arch9wavefront6targetE0EEEvSW_,"axG",@progbits,_ZN7rocprim17ROCPRIM_400000_NS6detail17trampoline_kernelINS0_14default_configENS1_27lower_bound_config_selectorIdlEEZNS1_14transform_implILb0ES3_S5_N6thrust23THRUST_200600_302600_NS6detail15normal_iteratorINS8_7pointerIdNS8_11hip_rocprim5par_tENS8_11use_defaultESE_EEEENSA_INSB_IlSD_SE_SE_EEEEZNS1_13binary_searchIS3_S5_PdSG_SI_NS1_21lower_bound_search_opENS9_16wrapped_functionINS8_6system6detail7generic6detail18binary_search_lessEbEEEE10hipError_tPvRmT1_T2_T3_mmT4_T5_P12ihipStream_tbEUlRKdE_EEST_SX_SY_mSZ_S12_bEUlT_E_NS1_11comp_targetILNS1_3genE10ELNS1_11target_archE1201ELNS1_3gpuE5ELNS1_3repE0EEENS1_30default_config_static_selectorELNS0_4arch9wavefront6targetE0EEEvSW_,comdat
	.protected	_ZN7rocprim17ROCPRIM_400000_NS6detail17trampoline_kernelINS0_14default_configENS1_27lower_bound_config_selectorIdlEEZNS1_14transform_implILb0ES3_S5_N6thrust23THRUST_200600_302600_NS6detail15normal_iteratorINS8_7pointerIdNS8_11hip_rocprim5par_tENS8_11use_defaultESE_EEEENSA_INSB_IlSD_SE_SE_EEEEZNS1_13binary_searchIS3_S5_PdSG_SI_NS1_21lower_bound_search_opENS9_16wrapped_functionINS8_6system6detail7generic6detail18binary_search_lessEbEEEE10hipError_tPvRmT1_T2_T3_mmT4_T5_P12ihipStream_tbEUlRKdE_EEST_SX_SY_mSZ_S12_bEUlT_E_NS1_11comp_targetILNS1_3genE10ELNS1_11target_archE1201ELNS1_3gpuE5ELNS1_3repE0EEENS1_30default_config_static_selectorELNS0_4arch9wavefront6targetE0EEEvSW_ ; -- Begin function _ZN7rocprim17ROCPRIM_400000_NS6detail17trampoline_kernelINS0_14default_configENS1_27lower_bound_config_selectorIdlEEZNS1_14transform_implILb0ES3_S5_N6thrust23THRUST_200600_302600_NS6detail15normal_iteratorINS8_7pointerIdNS8_11hip_rocprim5par_tENS8_11use_defaultESE_EEEENSA_INSB_IlSD_SE_SE_EEEEZNS1_13binary_searchIS3_S5_PdSG_SI_NS1_21lower_bound_search_opENS9_16wrapped_functionINS8_6system6detail7generic6detail18binary_search_lessEbEEEE10hipError_tPvRmT1_T2_T3_mmT4_T5_P12ihipStream_tbEUlRKdE_EEST_SX_SY_mSZ_S12_bEUlT_E_NS1_11comp_targetILNS1_3genE10ELNS1_11target_archE1201ELNS1_3gpuE5ELNS1_3repE0EEENS1_30default_config_static_selectorELNS0_4arch9wavefront6targetE0EEEvSW_
	.globl	_ZN7rocprim17ROCPRIM_400000_NS6detail17trampoline_kernelINS0_14default_configENS1_27lower_bound_config_selectorIdlEEZNS1_14transform_implILb0ES3_S5_N6thrust23THRUST_200600_302600_NS6detail15normal_iteratorINS8_7pointerIdNS8_11hip_rocprim5par_tENS8_11use_defaultESE_EEEENSA_INSB_IlSD_SE_SE_EEEEZNS1_13binary_searchIS3_S5_PdSG_SI_NS1_21lower_bound_search_opENS9_16wrapped_functionINS8_6system6detail7generic6detail18binary_search_lessEbEEEE10hipError_tPvRmT1_T2_T3_mmT4_T5_P12ihipStream_tbEUlRKdE_EEST_SX_SY_mSZ_S12_bEUlT_E_NS1_11comp_targetILNS1_3genE10ELNS1_11target_archE1201ELNS1_3gpuE5ELNS1_3repE0EEENS1_30default_config_static_selectorELNS0_4arch9wavefront6targetE0EEEvSW_
	.p2align	8
	.type	_ZN7rocprim17ROCPRIM_400000_NS6detail17trampoline_kernelINS0_14default_configENS1_27lower_bound_config_selectorIdlEEZNS1_14transform_implILb0ES3_S5_N6thrust23THRUST_200600_302600_NS6detail15normal_iteratorINS8_7pointerIdNS8_11hip_rocprim5par_tENS8_11use_defaultESE_EEEENSA_INSB_IlSD_SE_SE_EEEEZNS1_13binary_searchIS3_S5_PdSG_SI_NS1_21lower_bound_search_opENS9_16wrapped_functionINS8_6system6detail7generic6detail18binary_search_lessEbEEEE10hipError_tPvRmT1_T2_T3_mmT4_T5_P12ihipStream_tbEUlRKdE_EEST_SX_SY_mSZ_S12_bEUlT_E_NS1_11comp_targetILNS1_3genE10ELNS1_11target_archE1201ELNS1_3gpuE5ELNS1_3repE0EEENS1_30default_config_static_selectorELNS0_4arch9wavefront6targetE0EEEvSW_,@function
_ZN7rocprim17ROCPRIM_400000_NS6detail17trampoline_kernelINS0_14default_configENS1_27lower_bound_config_selectorIdlEEZNS1_14transform_implILb0ES3_S5_N6thrust23THRUST_200600_302600_NS6detail15normal_iteratorINS8_7pointerIdNS8_11hip_rocprim5par_tENS8_11use_defaultESE_EEEENSA_INSB_IlSD_SE_SE_EEEEZNS1_13binary_searchIS3_S5_PdSG_SI_NS1_21lower_bound_search_opENS9_16wrapped_functionINS8_6system6detail7generic6detail18binary_search_lessEbEEEE10hipError_tPvRmT1_T2_T3_mmT4_T5_P12ihipStream_tbEUlRKdE_EEST_SX_SY_mSZ_S12_bEUlT_E_NS1_11comp_targetILNS1_3genE10ELNS1_11target_archE1201ELNS1_3gpuE5ELNS1_3repE0EEENS1_30default_config_static_selectorELNS0_4arch9wavefront6targetE0EEEvSW_: ; @_ZN7rocprim17ROCPRIM_400000_NS6detail17trampoline_kernelINS0_14default_configENS1_27lower_bound_config_selectorIdlEEZNS1_14transform_implILb0ES3_S5_N6thrust23THRUST_200600_302600_NS6detail15normal_iteratorINS8_7pointerIdNS8_11hip_rocprim5par_tENS8_11use_defaultESE_EEEENSA_INSB_IlSD_SE_SE_EEEEZNS1_13binary_searchIS3_S5_PdSG_SI_NS1_21lower_bound_search_opENS9_16wrapped_functionINS8_6system6detail7generic6detail18binary_search_lessEbEEEE10hipError_tPvRmT1_T2_T3_mmT4_T5_P12ihipStream_tbEUlRKdE_EEST_SX_SY_mSZ_S12_bEUlT_E_NS1_11comp_targetILNS1_3genE10ELNS1_11target_archE1201ELNS1_3gpuE5ELNS1_3repE0EEENS1_30default_config_static_selectorELNS0_4arch9wavefront6targetE0EEEvSW_
; %bb.0:
	.section	.rodata,"a",@progbits
	.p2align	6, 0x0
	.amdhsa_kernel _ZN7rocprim17ROCPRIM_400000_NS6detail17trampoline_kernelINS0_14default_configENS1_27lower_bound_config_selectorIdlEEZNS1_14transform_implILb0ES3_S5_N6thrust23THRUST_200600_302600_NS6detail15normal_iteratorINS8_7pointerIdNS8_11hip_rocprim5par_tENS8_11use_defaultESE_EEEENSA_INSB_IlSD_SE_SE_EEEEZNS1_13binary_searchIS3_S5_PdSG_SI_NS1_21lower_bound_search_opENS9_16wrapped_functionINS8_6system6detail7generic6detail18binary_search_lessEbEEEE10hipError_tPvRmT1_T2_T3_mmT4_T5_P12ihipStream_tbEUlRKdE_EEST_SX_SY_mSZ_S12_bEUlT_E_NS1_11comp_targetILNS1_3genE10ELNS1_11target_archE1201ELNS1_3gpuE5ELNS1_3repE0EEENS1_30default_config_static_selectorELNS0_4arch9wavefront6targetE0EEEvSW_
		.amdhsa_group_segment_fixed_size 0
		.amdhsa_private_segment_fixed_size 0
		.amdhsa_kernarg_size 56
		.amdhsa_user_sgpr_count 6
		.amdhsa_user_sgpr_private_segment_buffer 1
		.amdhsa_user_sgpr_dispatch_ptr 0
		.amdhsa_user_sgpr_queue_ptr 0
		.amdhsa_user_sgpr_kernarg_segment_ptr 1
		.amdhsa_user_sgpr_dispatch_id 0
		.amdhsa_user_sgpr_flat_scratch_init 0
		.amdhsa_user_sgpr_private_segment_size 0
		.amdhsa_wavefront_size32 1
		.amdhsa_uses_dynamic_stack 0
		.amdhsa_system_sgpr_private_segment_wavefront_offset 0
		.amdhsa_system_sgpr_workgroup_id_x 1
		.amdhsa_system_sgpr_workgroup_id_y 0
		.amdhsa_system_sgpr_workgroup_id_z 0
		.amdhsa_system_sgpr_workgroup_info 0
		.amdhsa_system_vgpr_workitem_id 0
		.amdhsa_next_free_vgpr 1
		.amdhsa_next_free_sgpr 1
		.amdhsa_reserve_vcc 0
		.amdhsa_reserve_flat_scratch 0
		.amdhsa_float_round_mode_32 0
		.amdhsa_float_round_mode_16_64 0
		.amdhsa_float_denorm_mode_32 3
		.amdhsa_float_denorm_mode_16_64 3
		.amdhsa_dx10_clamp 1
		.amdhsa_ieee_mode 1
		.amdhsa_fp16_overflow 0
		.amdhsa_workgroup_processor_mode 1
		.amdhsa_memory_ordered 1
		.amdhsa_forward_progress 1
		.amdhsa_shared_vgpr_count 0
		.amdhsa_exception_fp_ieee_invalid_op 0
		.amdhsa_exception_fp_denorm_src 0
		.amdhsa_exception_fp_ieee_div_zero 0
		.amdhsa_exception_fp_ieee_overflow 0
		.amdhsa_exception_fp_ieee_underflow 0
		.amdhsa_exception_fp_ieee_inexact 0
		.amdhsa_exception_int_div_zero 0
	.end_amdhsa_kernel
	.section	.text._ZN7rocprim17ROCPRIM_400000_NS6detail17trampoline_kernelINS0_14default_configENS1_27lower_bound_config_selectorIdlEEZNS1_14transform_implILb0ES3_S5_N6thrust23THRUST_200600_302600_NS6detail15normal_iteratorINS8_7pointerIdNS8_11hip_rocprim5par_tENS8_11use_defaultESE_EEEENSA_INSB_IlSD_SE_SE_EEEEZNS1_13binary_searchIS3_S5_PdSG_SI_NS1_21lower_bound_search_opENS9_16wrapped_functionINS8_6system6detail7generic6detail18binary_search_lessEbEEEE10hipError_tPvRmT1_T2_T3_mmT4_T5_P12ihipStream_tbEUlRKdE_EEST_SX_SY_mSZ_S12_bEUlT_E_NS1_11comp_targetILNS1_3genE10ELNS1_11target_archE1201ELNS1_3gpuE5ELNS1_3repE0EEENS1_30default_config_static_selectorELNS0_4arch9wavefront6targetE0EEEvSW_,"axG",@progbits,_ZN7rocprim17ROCPRIM_400000_NS6detail17trampoline_kernelINS0_14default_configENS1_27lower_bound_config_selectorIdlEEZNS1_14transform_implILb0ES3_S5_N6thrust23THRUST_200600_302600_NS6detail15normal_iteratorINS8_7pointerIdNS8_11hip_rocprim5par_tENS8_11use_defaultESE_EEEENSA_INSB_IlSD_SE_SE_EEEEZNS1_13binary_searchIS3_S5_PdSG_SI_NS1_21lower_bound_search_opENS9_16wrapped_functionINS8_6system6detail7generic6detail18binary_search_lessEbEEEE10hipError_tPvRmT1_T2_T3_mmT4_T5_P12ihipStream_tbEUlRKdE_EEST_SX_SY_mSZ_S12_bEUlT_E_NS1_11comp_targetILNS1_3genE10ELNS1_11target_archE1201ELNS1_3gpuE5ELNS1_3repE0EEENS1_30default_config_static_selectorELNS0_4arch9wavefront6targetE0EEEvSW_,comdat
.Lfunc_end18:
	.size	_ZN7rocprim17ROCPRIM_400000_NS6detail17trampoline_kernelINS0_14default_configENS1_27lower_bound_config_selectorIdlEEZNS1_14transform_implILb0ES3_S5_N6thrust23THRUST_200600_302600_NS6detail15normal_iteratorINS8_7pointerIdNS8_11hip_rocprim5par_tENS8_11use_defaultESE_EEEENSA_INSB_IlSD_SE_SE_EEEEZNS1_13binary_searchIS3_S5_PdSG_SI_NS1_21lower_bound_search_opENS9_16wrapped_functionINS8_6system6detail7generic6detail18binary_search_lessEbEEEE10hipError_tPvRmT1_T2_T3_mmT4_T5_P12ihipStream_tbEUlRKdE_EEST_SX_SY_mSZ_S12_bEUlT_E_NS1_11comp_targetILNS1_3genE10ELNS1_11target_archE1201ELNS1_3gpuE5ELNS1_3repE0EEENS1_30default_config_static_selectorELNS0_4arch9wavefront6targetE0EEEvSW_, .Lfunc_end18-_ZN7rocprim17ROCPRIM_400000_NS6detail17trampoline_kernelINS0_14default_configENS1_27lower_bound_config_selectorIdlEEZNS1_14transform_implILb0ES3_S5_N6thrust23THRUST_200600_302600_NS6detail15normal_iteratorINS8_7pointerIdNS8_11hip_rocprim5par_tENS8_11use_defaultESE_EEEENSA_INSB_IlSD_SE_SE_EEEEZNS1_13binary_searchIS3_S5_PdSG_SI_NS1_21lower_bound_search_opENS9_16wrapped_functionINS8_6system6detail7generic6detail18binary_search_lessEbEEEE10hipError_tPvRmT1_T2_T3_mmT4_T5_P12ihipStream_tbEUlRKdE_EEST_SX_SY_mSZ_S12_bEUlT_E_NS1_11comp_targetILNS1_3genE10ELNS1_11target_archE1201ELNS1_3gpuE5ELNS1_3repE0EEENS1_30default_config_static_selectorELNS0_4arch9wavefront6targetE0EEEvSW_
                                        ; -- End function
	.set _ZN7rocprim17ROCPRIM_400000_NS6detail17trampoline_kernelINS0_14default_configENS1_27lower_bound_config_selectorIdlEEZNS1_14transform_implILb0ES3_S5_N6thrust23THRUST_200600_302600_NS6detail15normal_iteratorINS8_7pointerIdNS8_11hip_rocprim5par_tENS8_11use_defaultESE_EEEENSA_INSB_IlSD_SE_SE_EEEEZNS1_13binary_searchIS3_S5_PdSG_SI_NS1_21lower_bound_search_opENS9_16wrapped_functionINS8_6system6detail7generic6detail18binary_search_lessEbEEEE10hipError_tPvRmT1_T2_T3_mmT4_T5_P12ihipStream_tbEUlRKdE_EEST_SX_SY_mSZ_S12_bEUlT_E_NS1_11comp_targetILNS1_3genE10ELNS1_11target_archE1201ELNS1_3gpuE5ELNS1_3repE0EEENS1_30default_config_static_selectorELNS0_4arch9wavefront6targetE0EEEvSW_.num_vgpr, 0
	.set _ZN7rocprim17ROCPRIM_400000_NS6detail17trampoline_kernelINS0_14default_configENS1_27lower_bound_config_selectorIdlEEZNS1_14transform_implILb0ES3_S5_N6thrust23THRUST_200600_302600_NS6detail15normal_iteratorINS8_7pointerIdNS8_11hip_rocprim5par_tENS8_11use_defaultESE_EEEENSA_INSB_IlSD_SE_SE_EEEEZNS1_13binary_searchIS3_S5_PdSG_SI_NS1_21lower_bound_search_opENS9_16wrapped_functionINS8_6system6detail7generic6detail18binary_search_lessEbEEEE10hipError_tPvRmT1_T2_T3_mmT4_T5_P12ihipStream_tbEUlRKdE_EEST_SX_SY_mSZ_S12_bEUlT_E_NS1_11comp_targetILNS1_3genE10ELNS1_11target_archE1201ELNS1_3gpuE5ELNS1_3repE0EEENS1_30default_config_static_selectorELNS0_4arch9wavefront6targetE0EEEvSW_.num_agpr, 0
	.set _ZN7rocprim17ROCPRIM_400000_NS6detail17trampoline_kernelINS0_14default_configENS1_27lower_bound_config_selectorIdlEEZNS1_14transform_implILb0ES3_S5_N6thrust23THRUST_200600_302600_NS6detail15normal_iteratorINS8_7pointerIdNS8_11hip_rocprim5par_tENS8_11use_defaultESE_EEEENSA_INSB_IlSD_SE_SE_EEEEZNS1_13binary_searchIS3_S5_PdSG_SI_NS1_21lower_bound_search_opENS9_16wrapped_functionINS8_6system6detail7generic6detail18binary_search_lessEbEEEE10hipError_tPvRmT1_T2_T3_mmT4_T5_P12ihipStream_tbEUlRKdE_EEST_SX_SY_mSZ_S12_bEUlT_E_NS1_11comp_targetILNS1_3genE10ELNS1_11target_archE1201ELNS1_3gpuE5ELNS1_3repE0EEENS1_30default_config_static_selectorELNS0_4arch9wavefront6targetE0EEEvSW_.numbered_sgpr, 0
	.set _ZN7rocprim17ROCPRIM_400000_NS6detail17trampoline_kernelINS0_14default_configENS1_27lower_bound_config_selectorIdlEEZNS1_14transform_implILb0ES3_S5_N6thrust23THRUST_200600_302600_NS6detail15normal_iteratorINS8_7pointerIdNS8_11hip_rocprim5par_tENS8_11use_defaultESE_EEEENSA_INSB_IlSD_SE_SE_EEEEZNS1_13binary_searchIS3_S5_PdSG_SI_NS1_21lower_bound_search_opENS9_16wrapped_functionINS8_6system6detail7generic6detail18binary_search_lessEbEEEE10hipError_tPvRmT1_T2_T3_mmT4_T5_P12ihipStream_tbEUlRKdE_EEST_SX_SY_mSZ_S12_bEUlT_E_NS1_11comp_targetILNS1_3genE10ELNS1_11target_archE1201ELNS1_3gpuE5ELNS1_3repE0EEENS1_30default_config_static_selectorELNS0_4arch9wavefront6targetE0EEEvSW_.num_named_barrier, 0
	.set _ZN7rocprim17ROCPRIM_400000_NS6detail17trampoline_kernelINS0_14default_configENS1_27lower_bound_config_selectorIdlEEZNS1_14transform_implILb0ES3_S5_N6thrust23THRUST_200600_302600_NS6detail15normal_iteratorINS8_7pointerIdNS8_11hip_rocprim5par_tENS8_11use_defaultESE_EEEENSA_INSB_IlSD_SE_SE_EEEEZNS1_13binary_searchIS3_S5_PdSG_SI_NS1_21lower_bound_search_opENS9_16wrapped_functionINS8_6system6detail7generic6detail18binary_search_lessEbEEEE10hipError_tPvRmT1_T2_T3_mmT4_T5_P12ihipStream_tbEUlRKdE_EEST_SX_SY_mSZ_S12_bEUlT_E_NS1_11comp_targetILNS1_3genE10ELNS1_11target_archE1201ELNS1_3gpuE5ELNS1_3repE0EEENS1_30default_config_static_selectorELNS0_4arch9wavefront6targetE0EEEvSW_.private_seg_size, 0
	.set _ZN7rocprim17ROCPRIM_400000_NS6detail17trampoline_kernelINS0_14default_configENS1_27lower_bound_config_selectorIdlEEZNS1_14transform_implILb0ES3_S5_N6thrust23THRUST_200600_302600_NS6detail15normal_iteratorINS8_7pointerIdNS8_11hip_rocprim5par_tENS8_11use_defaultESE_EEEENSA_INSB_IlSD_SE_SE_EEEEZNS1_13binary_searchIS3_S5_PdSG_SI_NS1_21lower_bound_search_opENS9_16wrapped_functionINS8_6system6detail7generic6detail18binary_search_lessEbEEEE10hipError_tPvRmT1_T2_T3_mmT4_T5_P12ihipStream_tbEUlRKdE_EEST_SX_SY_mSZ_S12_bEUlT_E_NS1_11comp_targetILNS1_3genE10ELNS1_11target_archE1201ELNS1_3gpuE5ELNS1_3repE0EEENS1_30default_config_static_selectorELNS0_4arch9wavefront6targetE0EEEvSW_.uses_vcc, 0
	.set _ZN7rocprim17ROCPRIM_400000_NS6detail17trampoline_kernelINS0_14default_configENS1_27lower_bound_config_selectorIdlEEZNS1_14transform_implILb0ES3_S5_N6thrust23THRUST_200600_302600_NS6detail15normal_iteratorINS8_7pointerIdNS8_11hip_rocprim5par_tENS8_11use_defaultESE_EEEENSA_INSB_IlSD_SE_SE_EEEEZNS1_13binary_searchIS3_S5_PdSG_SI_NS1_21lower_bound_search_opENS9_16wrapped_functionINS8_6system6detail7generic6detail18binary_search_lessEbEEEE10hipError_tPvRmT1_T2_T3_mmT4_T5_P12ihipStream_tbEUlRKdE_EEST_SX_SY_mSZ_S12_bEUlT_E_NS1_11comp_targetILNS1_3genE10ELNS1_11target_archE1201ELNS1_3gpuE5ELNS1_3repE0EEENS1_30default_config_static_selectorELNS0_4arch9wavefront6targetE0EEEvSW_.uses_flat_scratch, 0
	.set _ZN7rocprim17ROCPRIM_400000_NS6detail17trampoline_kernelINS0_14default_configENS1_27lower_bound_config_selectorIdlEEZNS1_14transform_implILb0ES3_S5_N6thrust23THRUST_200600_302600_NS6detail15normal_iteratorINS8_7pointerIdNS8_11hip_rocprim5par_tENS8_11use_defaultESE_EEEENSA_INSB_IlSD_SE_SE_EEEEZNS1_13binary_searchIS3_S5_PdSG_SI_NS1_21lower_bound_search_opENS9_16wrapped_functionINS8_6system6detail7generic6detail18binary_search_lessEbEEEE10hipError_tPvRmT1_T2_T3_mmT4_T5_P12ihipStream_tbEUlRKdE_EEST_SX_SY_mSZ_S12_bEUlT_E_NS1_11comp_targetILNS1_3genE10ELNS1_11target_archE1201ELNS1_3gpuE5ELNS1_3repE0EEENS1_30default_config_static_selectorELNS0_4arch9wavefront6targetE0EEEvSW_.has_dyn_sized_stack, 0
	.set _ZN7rocprim17ROCPRIM_400000_NS6detail17trampoline_kernelINS0_14default_configENS1_27lower_bound_config_selectorIdlEEZNS1_14transform_implILb0ES3_S5_N6thrust23THRUST_200600_302600_NS6detail15normal_iteratorINS8_7pointerIdNS8_11hip_rocprim5par_tENS8_11use_defaultESE_EEEENSA_INSB_IlSD_SE_SE_EEEEZNS1_13binary_searchIS3_S5_PdSG_SI_NS1_21lower_bound_search_opENS9_16wrapped_functionINS8_6system6detail7generic6detail18binary_search_lessEbEEEE10hipError_tPvRmT1_T2_T3_mmT4_T5_P12ihipStream_tbEUlRKdE_EEST_SX_SY_mSZ_S12_bEUlT_E_NS1_11comp_targetILNS1_3genE10ELNS1_11target_archE1201ELNS1_3gpuE5ELNS1_3repE0EEENS1_30default_config_static_selectorELNS0_4arch9wavefront6targetE0EEEvSW_.has_recursion, 0
	.set _ZN7rocprim17ROCPRIM_400000_NS6detail17trampoline_kernelINS0_14default_configENS1_27lower_bound_config_selectorIdlEEZNS1_14transform_implILb0ES3_S5_N6thrust23THRUST_200600_302600_NS6detail15normal_iteratorINS8_7pointerIdNS8_11hip_rocprim5par_tENS8_11use_defaultESE_EEEENSA_INSB_IlSD_SE_SE_EEEEZNS1_13binary_searchIS3_S5_PdSG_SI_NS1_21lower_bound_search_opENS9_16wrapped_functionINS8_6system6detail7generic6detail18binary_search_lessEbEEEE10hipError_tPvRmT1_T2_T3_mmT4_T5_P12ihipStream_tbEUlRKdE_EEST_SX_SY_mSZ_S12_bEUlT_E_NS1_11comp_targetILNS1_3genE10ELNS1_11target_archE1201ELNS1_3gpuE5ELNS1_3repE0EEENS1_30default_config_static_selectorELNS0_4arch9wavefront6targetE0EEEvSW_.has_indirect_call, 0
	.section	.AMDGPU.csdata,"",@progbits
; Kernel info:
; codeLenInByte = 0
; TotalNumSgprs: 0
; NumVgprs: 0
; ScratchSize: 0
; MemoryBound: 0
; FloatMode: 240
; IeeeMode: 1
; LDSByteSize: 0 bytes/workgroup (compile time only)
; SGPRBlocks: 0
; VGPRBlocks: 0
; NumSGPRsForWavesPerEU: 1
; NumVGPRsForWavesPerEU: 1
; Occupancy: 16
; WaveLimiterHint : 0
; COMPUTE_PGM_RSRC2:SCRATCH_EN: 0
; COMPUTE_PGM_RSRC2:USER_SGPR: 6
; COMPUTE_PGM_RSRC2:TRAP_HANDLER: 0
; COMPUTE_PGM_RSRC2:TGID_X_EN: 1
; COMPUTE_PGM_RSRC2:TGID_Y_EN: 0
; COMPUTE_PGM_RSRC2:TGID_Z_EN: 0
; COMPUTE_PGM_RSRC2:TIDIG_COMP_CNT: 0
	.section	.text._ZN7rocprim17ROCPRIM_400000_NS6detail17trampoline_kernelINS0_14default_configENS1_27lower_bound_config_selectorIdlEEZNS1_14transform_implILb0ES3_S5_N6thrust23THRUST_200600_302600_NS6detail15normal_iteratorINS8_7pointerIdNS8_11hip_rocprim5par_tENS8_11use_defaultESE_EEEENSA_INSB_IlSD_SE_SE_EEEEZNS1_13binary_searchIS3_S5_PdSG_SI_NS1_21lower_bound_search_opENS9_16wrapped_functionINS8_6system6detail7generic6detail18binary_search_lessEbEEEE10hipError_tPvRmT1_T2_T3_mmT4_T5_P12ihipStream_tbEUlRKdE_EEST_SX_SY_mSZ_S12_bEUlT_E_NS1_11comp_targetILNS1_3genE10ELNS1_11target_archE1200ELNS1_3gpuE4ELNS1_3repE0EEENS1_30default_config_static_selectorELNS0_4arch9wavefront6targetE0EEEvSW_,"axG",@progbits,_ZN7rocprim17ROCPRIM_400000_NS6detail17trampoline_kernelINS0_14default_configENS1_27lower_bound_config_selectorIdlEEZNS1_14transform_implILb0ES3_S5_N6thrust23THRUST_200600_302600_NS6detail15normal_iteratorINS8_7pointerIdNS8_11hip_rocprim5par_tENS8_11use_defaultESE_EEEENSA_INSB_IlSD_SE_SE_EEEEZNS1_13binary_searchIS3_S5_PdSG_SI_NS1_21lower_bound_search_opENS9_16wrapped_functionINS8_6system6detail7generic6detail18binary_search_lessEbEEEE10hipError_tPvRmT1_T2_T3_mmT4_T5_P12ihipStream_tbEUlRKdE_EEST_SX_SY_mSZ_S12_bEUlT_E_NS1_11comp_targetILNS1_3genE10ELNS1_11target_archE1200ELNS1_3gpuE4ELNS1_3repE0EEENS1_30default_config_static_selectorELNS0_4arch9wavefront6targetE0EEEvSW_,comdat
	.protected	_ZN7rocprim17ROCPRIM_400000_NS6detail17trampoline_kernelINS0_14default_configENS1_27lower_bound_config_selectorIdlEEZNS1_14transform_implILb0ES3_S5_N6thrust23THRUST_200600_302600_NS6detail15normal_iteratorINS8_7pointerIdNS8_11hip_rocprim5par_tENS8_11use_defaultESE_EEEENSA_INSB_IlSD_SE_SE_EEEEZNS1_13binary_searchIS3_S5_PdSG_SI_NS1_21lower_bound_search_opENS9_16wrapped_functionINS8_6system6detail7generic6detail18binary_search_lessEbEEEE10hipError_tPvRmT1_T2_T3_mmT4_T5_P12ihipStream_tbEUlRKdE_EEST_SX_SY_mSZ_S12_bEUlT_E_NS1_11comp_targetILNS1_3genE10ELNS1_11target_archE1200ELNS1_3gpuE4ELNS1_3repE0EEENS1_30default_config_static_selectorELNS0_4arch9wavefront6targetE0EEEvSW_ ; -- Begin function _ZN7rocprim17ROCPRIM_400000_NS6detail17trampoline_kernelINS0_14default_configENS1_27lower_bound_config_selectorIdlEEZNS1_14transform_implILb0ES3_S5_N6thrust23THRUST_200600_302600_NS6detail15normal_iteratorINS8_7pointerIdNS8_11hip_rocprim5par_tENS8_11use_defaultESE_EEEENSA_INSB_IlSD_SE_SE_EEEEZNS1_13binary_searchIS3_S5_PdSG_SI_NS1_21lower_bound_search_opENS9_16wrapped_functionINS8_6system6detail7generic6detail18binary_search_lessEbEEEE10hipError_tPvRmT1_T2_T3_mmT4_T5_P12ihipStream_tbEUlRKdE_EEST_SX_SY_mSZ_S12_bEUlT_E_NS1_11comp_targetILNS1_3genE10ELNS1_11target_archE1200ELNS1_3gpuE4ELNS1_3repE0EEENS1_30default_config_static_selectorELNS0_4arch9wavefront6targetE0EEEvSW_
	.globl	_ZN7rocprim17ROCPRIM_400000_NS6detail17trampoline_kernelINS0_14default_configENS1_27lower_bound_config_selectorIdlEEZNS1_14transform_implILb0ES3_S5_N6thrust23THRUST_200600_302600_NS6detail15normal_iteratorINS8_7pointerIdNS8_11hip_rocprim5par_tENS8_11use_defaultESE_EEEENSA_INSB_IlSD_SE_SE_EEEEZNS1_13binary_searchIS3_S5_PdSG_SI_NS1_21lower_bound_search_opENS9_16wrapped_functionINS8_6system6detail7generic6detail18binary_search_lessEbEEEE10hipError_tPvRmT1_T2_T3_mmT4_T5_P12ihipStream_tbEUlRKdE_EEST_SX_SY_mSZ_S12_bEUlT_E_NS1_11comp_targetILNS1_3genE10ELNS1_11target_archE1200ELNS1_3gpuE4ELNS1_3repE0EEENS1_30default_config_static_selectorELNS0_4arch9wavefront6targetE0EEEvSW_
	.p2align	8
	.type	_ZN7rocprim17ROCPRIM_400000_NS6detail17trampoline_kernelINS0_14default_configENS1_27lower_bound_config_selectorIdlEEZNS1_14transform_implILb0ES3_S5_N6thrust23THRUST_200600_302600_NS6detail15normal_iteratorINS8_7pointerIdNS8_11hip_rocprim5par_tENS8_11use_defaultESE_EEEENSA_INSB_IlSD_SE_SE_EEEEZNS1_13binary_searchIS3_S5_PdSG_SI_NS1_21lower_bound_search_opENS9_16wrapped_functionINS8_6system6detail7generic6detail18binary_search_lessEbEEEE10hipError_tPvRmT1_T2_T3_mmT4_T5_P12ihipStream_tbEUlRKdE_EEST_SX_SY_mSZ_S12_bEUlT_E_NS1_11comp_targetILNS1_3genE10ELNS1_11target_archE1200ELNS1_3gpuE4ELNS1_3repE0EEENS1_30default_config_static_selectorELNS0_4arch9wavefront6targetE0EEEvSW_,@function
_ZN7rocprim17ROCPRIM_400000_NS6detail17trampoline_kernelINS0_14default_configENS1_27lower_bound_config_selectorIdlEEZNS1_14transform_implILb0ES3_S5_N6thrust23THRUST_200600_302600_NS6detail15normal_iteratorINS8_7pointerIdNS8_11hip_rocprim5par_tENS8_11use_defaultESE_EEEENSA_INSB_IlSD_SE_SE_EEEEZNS1_13binary_searchIS3_S5_PdSG_SI_NS1_21lower_bound_search_opENS9_16wrapped_functionINS8_6system6detail7generic6detail18binary_search_lessEbEEEE10hipError_tPvRmT1_T2_T3_mmT4_T5_P12ihipStream_tbEUlRKdE_EEST_SX_SY_mSZ_S12_bEUlT_E_NS1_11comp_targetILNS1_3genE10ELNS1_11target_archE1200ELNS1_3gpuE4ELNS1_3repE0EEENS1_30default_config_static_selectorELNS0_4arch9wavefront6targetE0EEEvSW_: ; @_ZN7rocprim17ROCPRIM_400000_NS6detail17trampoline_kernelINS0_14default_configENS1_27lower_bound_config_selectorIdlEEZNS1_14transform_implILb0ES3_S5_N6thrust23THRUST_200600_302600_NS6detail15normal_iteratorINS8_7pointerIdNS8_11hip_rocprim5par_tENS8_11use_defaultESE_EEEENSA_INSB_IlSD_SE_SE_EEEEZNS1_13binary_searchIS3_S5_PdSG_SI_NS1_21lower_bound_search_opENS9_16wrapped_functionINS8_6system6detail7generic6detail18binary_search_lessEbEEEE10hipError_tPvRmT1_T2_T3_mmT4_T5_P12ihipStream_tbEUlRKdE_EEST_SX_SY_mSZ_S12_bEUlT_E_NS1_11comp_targetILNS1_3genE10ELNS1_11target_archE1200ELNS1_3gpuE4ELNS1_3repE0EEENS1_30default_config_static_selectorELNS0_4arch9wavefront6targetE0EEEvSW_
; %bb.0:
	.section	.rodata,"a",@progbits
	.p2align	6, 0x0
	.amdhsa_kernel _ZN7rocprim17ROCPRIM_400000_NS6detail17trampoline_kernelINS0_14default_configENS1_27lower_bound_config_selectorIdlEEZNS1_14transform_implILb0ES3_S5_N6thrust23THRUST_200600_302600_NS6detail15normal_iteratorINS8_7pointerIdNS8_11hip_rocprim5par_tENS8_11use_defaultESE_EEEENSA_INSB_IlSD_SE_SE_EEEEZNS1_13binary_searchIS3_S5_PdSG_SI_NS1_21lower_bound_search_opENS9_16wrapped_functionINS8_6system6detail7generic6detail18binary_search_lessEbEEEE10hipError_tPvRmT1_T2_T3_mmT4_T5_P12ihipStream_tbEUlRKdE_EEST_SX_SY_mSZ_S12_bEUlT_E_NS1_11comp_targetILNS1_3genE10ELNS1_11target_archE1200ELNS1_3gpuE4ELNS1_3repE0EEENS1_30default_config_static_selectorELNS0_4arch9wavefront6targetE0EEEvSW_
		.amdhsa_group_segment_fixed_size 0
		.amdhsa_private_segment_fixed_size 0
		.amdhsa_kernarg_size 56
		.amdhsa_user_sgpr_count 6
		.amdhsa_user_sgpr_private_segment_buffer 1
		.amdhsa_user_sgpr_dispatch_ptr 0
		.amdhsa_user_sgpr_queue_ptr 0
		.amdhsa_user_sgpr_kernarg_segment_ptr 1
		.amdhsa_user_sgpr_dispatch_id 0
		.amdhsa_user_sgpr_flat_scratch_init 0
		.amdhsa_user_sgpr_private_segment_size 0
		.amdhsa_wavefront_size32 1
		.amdhsa_uses_dynamic_stack 0
		.amdhsa_system_sgpr_private_segment_wavefront_offset 0
		.amdhsa_system_sgpr_workgroup_id_x 1
		.amdhsa_system_sgpr_workgroup_id_y 0
		.amdhsa_system_sgpr_workgroup_id_z 0
		.amdhsa_system_sgpr_workgroup_info 0
		.amdhsa_system_vgpr_workitem_id 0
		.amdhsa_next_free_vgpr 1
		.amdhsa_next_free_sgpr 1
		.amdhsa_reserve_vcc 0
		.amdhsa_reserve_flat_scratch 0
		.amdhsa_float_round_mode_32 0
		.amdhsa_float_round_mode_16_64 0
		.amdhsa_float_denorm_mode_32 3
		.amdhsa_float_denorm_mode_16_64 3
		.amdhsa_dx10_clamp 1
		.amdhsa_ieee_mode 1
		.amdhsa_fp16_overflow 0
		.amdhsa_workgroup_processor_mode 1
		.amdhsa_memory_ordered 1
		.amdhsa_forward_progress 1
		.amdhsa_shared_vgpr_count 0
		.amdhsa_exception_fp_ieee_invalid_op 0
		.amdhsa_exception_fp_denorm_src 0
		.amdhsa_exception_fp_ieee_div_zero 0
		.amdhsa_exception_fp_ieee_overflow 0
		.amdhsa_exception_fp_ieee_underflow 0
		.amdhsa_exception_fp_ieee_inexact 0
		.amdhsa_exception_int_div_zero 0
	.end_amdhsa_kernel
	.section	.text._ZN7rocprim17ROCPRIM_400000_NS6detail17trampoline_kernelINS0_14default_configENS1_27lower_bound_config_selectorIdlEEZNS1_14transform_implILb0ES3_S5_N6thrust23THRUST_200600_302600_NS6detail15normal_iteratorINS8_7pointerIdNS8_11hip_rocprim5par_tENS8_11use_defaultESE_EEEENSA_INSB_IlSD_SE_SE_EEEEZNS1_13binary_searchIS3_S5_PdSG_SI_NS1_21lower_bound_search_opENS9_16wrapped_functionINS8_6system6detail7generic6detail18binary_search_lessEbEEEE10hipError_tPvRmT1_T2_T3_mmT4_T5_P12ihipStream_tbEUlRKdE_EEST_SX_SY_mSZ_S12_bEUlT_E_NS1_11comp_targetILNS1_3genE10ELNS1_11target_archE1200ELNS1_3gpuE4ELNS1_3repE0EEENS1_30default_config_static_selectorELNS0_4arch9wavefront6targetE0EEEvSW_,"axG",@progbits,_ZN7rocprim17ROCPRIM_400000_NS6detail17trampoline_kernelINS0_14default_configENS1_27lower_bound_config_selectorIdlEEZNS1_14transform_implILb0ES3_S5_N6thrust23THRUST_200600_302600_NS6detail15normal_iteratorINS8_7pointerIdNS8_11hip_rocprim5par_tENS8_11use_defaultESE_EEEENSA_INSB_IlSD_SE_SE_EEEEZNS1_13binary_searchIS3_S5_PdSG_SI_NS1_21lower_bound_search_opENS9_16wrapped_functionINS8_6system6detail7generic6detail18binary_search_lessEbEEEE10hipError_tPvRmT1_T2_T3_mmT4_T5_P12ihipStream_tbEUlRKdE_EEST_SX_SY_mSZ_S12_bEUlT_E_NS1_11comp_targetILNS1_3genE10ELNS1_11target_archE1200ELNS1_3gpuE4ELNS1_3repE0EEENS1_30default_config_static_selectorELNS0_4arch9wavefront6targetE0EEEvSW_,comdat
.Lfunc_end19:
	.size	_ZN7rocprim17ROCPRIM_400000_NS6detail17trampoline_kernelINS0_14default_configENS1_27lower_bound_config_selectorIdlEEZNS1_14transform_implILb0ES3_S5_N6thrust23THRUST_200600_302600_NS6detail15normal_iteratorINS8_7pointerIdNS8_11hip_rocprim5par_tENS8_11use_defaultESE_EEEENSA_INSB_IlSD_SE_SE_EEEEZNS1_13binary_searchIS3_S5_PdSG_SI_NS1_21lower_bound_search_opENS9_16wrapped_functionINS8_6system6detail7generic6detail18binary_search_lessEbEEEE10hipError_tPvRmT1_T2_T3_mmT4_T5_P12ihipStream_tbEUlRKdE_EEST_SX_SY_mSZ_S12_bEUlT_E_NS1_11comp_targetILNS1_3genE10ELNS1_11target_archE1200ELNS1_3gpuE4ELNS1_3repE0EEENS1_30default_config_static_selectorELNS0_4arch9wavefront6targetE0EEEvSW_, .Lfunc_end19-_ZN7rocprim17ROCPRIM_400000_NS6detail17trampoline_kernelINS0_14default_configENS1_27lower_bound_config_selectorIdlEEZNS1_14transform_implILb0ES3_S5_N6thrust23THRUST_200600_302600_NS6detail15normal_iteratorINS8_7pointerIdNS8_11hip_rocprim5par_tENS8_11use_defaultESE_EEEENSA_INSB_IlSD_SE_SE_EEEEZNS1_13binary_searchIS3_S5_PdSG_SI_NS1_21lower_bound_search_opENS9_16wrapped_functionINS8_6system6detail7generic6detail18binary_search_lessEbEEEE10hipError_tPvRmT1_T2_T3_mmT4_T5_P12ihipStream_tbEUlRKdE_EEST_SX_SY_mSZ_S12_bEUlT_E_NS1_11comp_targetILNS1_3genE10ELNS1_11target_archE1200ELNS1_3gpuE4ELNS1_3repE0EEENS1_30default_config_static_selectorELNS0_4arch9wavefront6targetE0EEEvSW_
                                        ; -- End function
	.set _ZN7rocprim17ROCPRIM_400000_NS6detail17trampoline_kernelINS0_14default_configENS1_27lower_bound_config_selectorIdlEEZNS1_14transform_implILb0ES3_S5_N6thrust23THRUST_200600_302600_NS6detail15normal_iteratorINS8_7pointerIdNS8_11hip_rocprim5par_tENS8_11use_defaultESE_EEEENSA_INSB_IlSD_SE_SE_EEEEZNS1_13binary_searchIS3_S5_PdSG_SI_NS1_21lower_bound_search_opENS9_16wrapped_functionINS8_6system6detail7generic6detail18binary_search_lessEbEEEE10hipError_tPvRmT1_T2_T3_mmT4_T5_P12ihipStream_tbEUlRKdE_EEST_SX_SY_mSZ_S12_bEUlT_E_NS1_11comp_targetILNS1_3genE10ELNS1_11target_archE1200ELNS1_3gpuE4ELNS1_3repE0EEENS1_30default_config_static_selectorELNS0_4arch9wavefront6targetE0EEEvSW_.num_vgpr, 0
	.set _ZN7rocprim17ROCPRIM_400000_NS6detail17trampoline_kernelINS0_14default_configENS1_27lower_bound_config_selectorIdlEEZNS1_14transform_implILb0ES3_S5_N6thrust23THRUST_200600_302600_NS6detail15normal_iteratorINS8_7pointerIdNS8_11hip_rocprim5par_tENS8_11use_defaultESE_EEEENSA_INSB_IlSD_SE_SE_EEEEZNS1_13binary_searchIS3_S5_PdSG_SI_NS1_21lower_bound_search_opENS9_16wrapped_functionINS8_6system6detail7generic6detail18binary_search_lessEbEEEE10hipError_tPvRmT1_T2_T3_mmT4_T5_P12ihipStream_tbEUlRKdE_EEST_SX_SY_mSZ_S12_bEUlT_E_NS1_11comp_targetILNS1_3genE10ELNS1_11target_archE1200ELNS1_3gpuE4ELNS1_3repE0EEENS1_30default_config_static_selectorELNS0_4arch9wavefront6targetE0EEEvSW_.num_agpr, 0
	.set _ZN7rocprim17ROCPRIM_400000_NS6detail17trampoline_kernelINS0_14default_configENS1_27lower_bound_config_selectorIdlEEZNS1_14transform_implILb0ES3_S5_N6thrust23THRUST_200600_302600_NS6detail15normal_iteratorINS8_7pointerIdNS8_11hip_rocprim5par_tENS8_11use_defaultESE_EEEENSA_INSB_IlSD_SE_SE_EEEEZNS1_13binary_searchIS3_S5_PdSG_SI_NS1_21lower_bound_search_opENS9_16wrapped_functionINS8_6system6detail7generic6detail18binary_search_lessEbEEEE10hipError_tPvRmT1_T2_T3_mmT4_T5_P12ihipStream_tbEUlRKdE_EEST_SX_SY_mSZ_S12_bEUlT_E_NS1_11comp_targetILNS1_3genE10ELNS1_11target_archE1200ELNS1_3gpuE4ELNS1_3repE0EEENS1_30default_config_static_selectorELNS0_4arch9wavefront6targetE0EEEvSW_.numbered_sgpr, 0
	.set _ZN7rocprim17ROCPRIM_400000_NS6detail17trampoline_kernelINS0_14default_configENS1_27lower_bound_config_selectorIdlEEZNS1_14transform_implILb0ES3_S5_N6thrust23THRUST_200600_302600_NS6detail15normal_iteratorINS8_7pointerIdNS8_11hip_rocprim5par_tENS8_11use_defaultESE_EEEENSA_INSB_IlSD_SE_SE_EEEEZNS1_13binary_searchIS3_S5_PdSG_SI_NS1_21lower_bound_search_opENS9_16wrapped_functionINS8_6system6detail7generic6detail18binary_search_lessEbEEEE10hipError_tPvRmT1_T2_T3_mmT4_T5_P12ihipStream_tbEUlRKdE_EEST_SX_SY_mSZ_S12_bEUlT_E_NS1_11comp_targetILNS1_3genE10ELNS1_11target_archE1200ELNS1_3gpuE4ELNS1_3repE0EEENS1_30default_config_static_selectorELNS0_4arch9wavefront6targetE0EEEvSW_.num_named_barrier, 0
	.set _ZN7rocprim17ROCPRIM_400000_NS6detail17trampoline_kernelINS0_14default_configENS1_27lower_bound_config_selectorIdlEEZNS1_14transform_implILb0ES3_S5_N6thrust23THRUST_200600_302600_NS6detail15normal_iteratorINS8_7pointerIdNS8_11hip_rocprim5par_tENS8_11use_defaultESE_EEEENSA_INSB_IlSD_SE_SE_EEEEZNS1_13binary_searchIS3_S5_PdSG_SI_NS1_21lower_bound_search_opENS9_16wrapped_functionINS8_6system6detail7generic6detail18binary_search_lessEbEEEE10hipError_tPvRmT1_T2_T3_mmT4_T5_P12ihipStream_tbEUlRKdE_EEST_SX_SY_mSZ_S12_bEUlT_E_NS1_11comp_targetILNS1_3genE10ELNS1_11target_archE1200ELNS1_3gpuE4ELNS1_3repE0EEENS1_30default_config_static_selectorELNS0_4arch9wavefront6targetE0EEEvSW_.private_seg_size, 0
	.set _ZN7rocprim17ROCPRIM_400000_NS6detail17trampoline_kernelINS0_14default_configENS1_27lower_bound_config_selectorIdlEEZNS1_14transform_implILb0ES3_S5_N6thrust23THRUST_200600_302600_NS6detail15normal_iteratorINS8_7pointerIdNS8_11hip_rocprim5par_tENS8_11use_defaultESE_EEEENSA_INSB_IlSD_SE_SE_EEEEZNS1_13binary_searchIS3_S5_PdSG_SI_NS1_21lower_bound_search_opENS9_16wrapped_functionINS8_6system6detail7generic6detail18binary_search_lessEbEEEE10hipError_tPvRmT1_T2_T3_mmT4_T5_P12ihipStream_tbEUlRKdE_EEST_SX_SY_mSZ_S12_bEUlT_E_NS1_11comp_targetILNS1_3genE10ELNS1_11target_archE1200ELNS1_3gpuE4ELNS1_3repE0EEENS1_30default_config_static_selectorELNS0_4arch9wavefront6targetE0EEEvSW_.uses_vcc, 0
	.set _ZN7rocprim17ROCPRIM_400000_NS6detail17trampoline_kernelINS0_14default_configENS1_27lower_bound_config_selectorIdlEEZNS1_14transform_implILb0ES3_S5_N6thrust23THRUST_200600_302600_NS6detail15normal_iteratorINS8_7pointerIdNS8_11hip_rocprim5par_tENS8_11use_defaultESE_EEEENSA_INSB_IlSD_SE_SE_EEEEZNS1_13binary_searchIS3_S5_PdSG_SI_NS1_21lower_bound_search_opENS9_16wrapped_functionINS8_6system6detail7generic6detail18binary_search_lessEbEEEE10hipError_tPvRmT1_T2_T3_mmT4_T5_P12ihipStream_tbEUlRKdE_EEST_SX_SY_mSZ_S12_bEUlT_E_NS1_11comp_targetILNS1_3genE10ELNS1_11target_archE1200ELNS1_3gpuE4ELNS1_3repE0EEENS1_30default_config_static_selectorELNS0_4arch9wavefront6targetE0EEEvSW_.uses_flat_scratch, 0
	.set _ZN7rocprim17ROCPRIM_400000_NS6detail17trampoline_kernelINS0_14default_configENS1_27lower_bound_config_selectorIdlEEZNS1_14transform_implILb0ES3_S5_N6thrust23THRUST_200600_302600_NS6detail15normal_iteratorINS8_7pointerIdNS8_11hip_rocprim5par_tENS8_11use_defaultESE_EEEENSA_INSB_IlSD_SE_SE_EEEEZNS1_13binary_searchIS3_S5_PdSG_SI_NS1_21lower_bound_search_opENS9_16wrapped_functionINS8_6system6detail7generic6detail18binary_search_lessEbEEEE10hipError_tPvRmT1_T2_T3_mmT4_T5_P12ihipStream_tbEUlRKdE_EEST_SX_SY_mSZ_S12_bEUlT_E_NS1_11comp_targetILNS1_3genE10ELNS1_11target_archE1200ELNS1_3gpuE4ELNS1_3repE0EEENS1_30default_config_static_selectorELNS0_4arch9wavefront6targetE0EEEvSW_.has_dyn_sized_stack, 0
	.set _ZN7rocprim17ROCPRIM_400000_NS6detail17trampoline_kernelINS0_14default_configENS1_27lower_bound_config_selectorIdlEEZNS1_14transform_implILb0ES3_S5_N6thrust23THRUST_200600_302600_NS6detail15normal_iteratorINS8_7pointerIdNS8_11hip_rocprim5par_tENS8_11use_defaultESE_EEEENSA_INSB_IlSD_SE_SE_EEEEZNS1_13binary_searchIS3_S5_PdSG_SI_NS1_21lower_bound_search_opENS9_16wrapped_functionINS8_6system6detail7generic6detail18binary_search_lessEbEEEE10hipError_tPvRmT1_T2_T3_mmT4_T5_P12ihipStream_tbEUlRKdE_EEST_SX_SY_mSZ_S12_bEUlT_E_NS1_11comp_targetILNS1_3genE10ELNS1_11target_archE1200ELNS1_3gpuE4ELNS1_3repE0EEENS1_30default_config_static_selectorELNS0_4arch9wavefront6targetE0EEEvSW_.has_recursion, 0
	.set _ZN7rocprim17ROCPRIM_400000_NS6detail17trampoline_kernelINS0_14default_configENS1_27lower_bound_config_selectorIdlEEZNS1_14transform_implILb0ES3_S5_N6thrust23THRUST_200600_302600_NS6detail15normal_iteratorINS8_7pointerIdNS8_11hip_rocprim5par_tENS8_11use_defaultESE_EEEENSA_INSB_IlSD_SE_SE_EEEEZNS1_13binary_searchIS3_S5_PdSG_SI_NS1_21lower_bound_search_opENS9_16wrapped_functionINS8_6system6detail7generic6detail18binary_search_lessEbEEEE10hipError_tPvRmT1_T2_T3_mmT4_T5_P12ihipStream_tbEUlRKdE_EEST_SX_SY_mSZ_S12_bEUlT_E_NS1_11comp_targetILNS1_3genE10ELNS1_11target_archE1200ELNS1_3gpuE4ELNS1_3repE0EEENS1_30default_config_static_selectorELNS0_4arch9wavefront6targetE0EEEvSW_.has_indirect_call, 0
	.section	.AMDGPU.csdata,"",@progbits
; Kernel info:
; codeLenInByte = 0
; TotalNumSgprs: 0
; NumVgprs: 0
; ScratchSize: 0
; MemoryBound: 0
; FloatMode: 240
; IeeeMode: 1
; LDSByteSize: 0 bytes/workgroup (compile time only)
; SGPRBlocks: 0
; VGPRBlocks: 0
; NumSGPRsForWavesPerEU: 1
; NumVGPRsForWavesPerEU: 1
; Occupancy: 16
; WaveLimiterHint : 0
; COMPUTE_PGM_RSRC2:SCRATCH_EN: 0
; COMPUTE_PGM_RSRC2:USER_SGPR: 6
; COMPUTE_PGM_RSRC2:TRAP_HANDLER: 0
; COMPUTE_PGM_RSRC2:TGID_X_EN: 1
; COMPUTE_PGM_RSRC2:TGID_Y_EN: 0
; COMPUTE_PGM_RSRC2:TGID_Z_EN: 0
; COMPUTE_PGM_RSRC2:TIDIG_COMP_CNT: 0
	.section	.text._ZN7rocprim17ROCPRIM_400000_NS6detail17trampoline_kernelINS0_14default_configENS1_27lower_bound_config_selectorIdlEEZNS1_14transform_implILb0ES3_S5_N6thrust23THRUST_200600_302600_NS6detail15normal_iteratorINS8_7pointerIdNS8_11hip_rocprim5par_tENS8_11use_defaultESE_EEEENSA_INSB_IlSD_SE_SE_EEEEZNS1_13binary_searchIS3_S5_PdSG_SI_NS1_21lower_bound_search_opENS9_16wrapped_functionINS8_6system6detail7generic6detail18binary_search_lessEbEEEE10hipError_tPvRmT1_T2_T3_mmT4_T5_P12ihipStream_tbEUlRKdE_EEST_SX_SY_mSZ_S12_bEUlT_E_NS1_11comp_targetILNS1_3genE9ELNS1_11target_archE1100ELNS1_3gpuE3ELNS1_3repE0EEENS1_30default_config_static_selectorELNS0_4arch9wavefront6targetE0EEEvSW_,"axG",@progbits,_ZN7rocprim17ROCPRIM_400000_NS6detail17trampoline_kernelINS0_14default_configENS1_27lower_bound_config_selectorIdlEEZNS1_14transform_implILb0ES3_S5_N6thrust23THRUST_200600_302600_NS6detail15normal_iteratorINS8_7pointerIdNS8_11hip_rocprim5par_tENS8_11use_defaultESE_EEEENSA_INSB_IlSD_SE_SE_EEEEZNS1_13binary_searchIS3_S5_PdSG_SI_NS1_21lower_bound_search_opENS9_16wrapped_functionINS8_6system6detail7generic6detail18binary_search_lessEbEEEE10hipError_tPvRmT1_T2_T3_mmT4_T5_P12ihipStream_tbEUlRKdE_EEST_SX_SY_mSZ_S12_bEUlT_E_NS1_11comp_targetILNS1_3genE9ELNS1_11target_archE1100ELNS1_3gpuE3ELNS1_3repE0EEENS1_30default_config_static_selectorELNS0_4arch9wavefront6targetE0EEEvSW_,comdat
	.protected	_ZN7rocprim17ROCPRIM_400000_NS6detail17trampoline_kernelINS0_14default_configENS1_27lower_bound_config_selectorIdlEEZNS1_14transform_implILb0ES3_S5_N6thrust23THRUST_200600_302600_NS6detail15normal_iteratorINS8_7pointerIdNS8_11hip_rocprim5par_tENS8_11use_defaultESE_EEEENSA_INSB_IlSD_SE_SE_EEEEZNS1_13binary_searchIS3_S5_PdSG_SI_NS1_21lower_bound_search_opENS9_16wrapped_functionINS8_6system6detail7generic6detail18binary_search_lessEbEEEE10hipError_tPvRmT1_T2_T3_mmT4_T5_P12ihipStream_tbEUlRKdE_EEST_SX_SY_mSZ_S12_bEUlT_E_NS1_11comp_targetILNS1_3genE9ELNS1_11target_archE1100ELNS1_3gpuE3ELNS1_3repE0EEENS1_30default_config_static_selectorELNS0_4arch9wavefront6targetE0EEEvSW_ ; -- Begin function _ZN7rocprim17ROCPRIM_400000_NS6detail17trampoline_kernelINS0_14default_configENS1_27lower_bound_config_selectorIdlEEZNS1_14transform_implILb0ES3_S5_N6thrust23THRUST_200600_302600_NS6detail15normal_iteratorINS8_7pointerIdNS8_11hip_rocprim5par_tENS8_11use_defaultESE_EEEENSA_INSB_IlSD_SE_SE_EEEEZNS1_13binary_searchIS3_S5_PdSG_SI_NS1_21lower_bound_search_opENS9_16wrapped_functionINS8_6system6detail7generic6detail18binary_search_lessEbEEEE10hipError_tPvRmT1_T2_T3_mmT4_T5_P12ihipStream_tbEUlRKdE_EEST_SX_SY_mSZ_S12_bEUlT_E_NS1_11comp_targetILNS1_3genE9ELNS1_11target_archE1100ELNS1_3gpuE3ELNS1_3repE0EEENS1_30default_config_static_selectorELNS0_4arch9wavefront6targetE0EEEvSW_
	.globl	_ZN7rocprim17ROCPRIM_400000_NS6detail17trampoline_kernelINS0_14default_configENS1_27lower_bound_config_selectorIdlEEZNS1_14transform_implILb0ES3_S5_N6thrust23THRUST_200600_302600_NS6detail15normal_iteratorINS8_7pointerIdNS8_11hip_rocprim5par_tENS8_11use_defaultESE_EEEENSA_INSB_IlSD_SE_SE_EEEEZNS1_13binary_searchIS3_S5_PdSG_SI_NS1_21lower_bound_search_opENS9_16wrapped_functionINS8_6system6detail7generic6detail18binary_search_lessEbEEEE10hipError_tPvRmT1_T2_T3_mmT4_T5_P12ihipStream_tbEUlRKdE_EEST_SX_SY_mSZ_S12_bEUlT_E_NS1_11comp_targetILNS1_3genE9ELNS1_11target_archE1100ELNS1_3gpuE3ELNS1_3repE0EEENS1_30default_config_static_selectorELNS0_4arch9wavefront6targetE0EEEvSW_
	.p2align	8
	.type	_ZN7rocprim17ROCPRIM_400000_NS6detail17trampoline_kernelINS0_14default_configENS1_27lower_bound_config_selectorIdlEEZNS1_14transform_implILb0ES3_S5_N6thrust23THRUST_200600_302600_NS6detail15normal_iteratorINS8_7pointerIdNS8_11hip_rocprim5par_tENS8_11use_defaultESE_EEEENSA_INSB_IlSD_SE_SE_EEEEZNS1_13binary_searchIS3_S5_PdSG_SI_NS1_21lower_bound_search_opENS9_16wrapped_functionINS8_6system6detail7generic6detail18binary_search_lessEbEEEE10hipError_tPvRmT1_T2_T3_mmT4_T5_P12ihipStream_tbEUlRKdE_EEST_SX_SY_mSZ_S12_bEUlT_E_NS1_11comp_targetILNS1_3genE9ELNS1_11target_archE1100ELNS1_3gpuE3ELNS1_3repE0EEENS1_30default_config_static_selectorELNS0_4arch9wavefront6targetE0EEEvSW_,@function
_ZN7rocprim17ROCPRIM_400000_NS6detail17trampoline_kernelINS0_14default_configENS1_27lower_bound_config_selectorIdlEEZNS1_14transform_implILb0ES3_S5_N6thrust23THRUST_200600_302600_NS6detail15normal_iteratorINS8_7pointerIdNS8_11hip_rocprim5par_tENS8_11use_defaultESE_EEEENSA_INSB_IlSD_SE_SE_EEEEZNS1_13binary_searchIS3_S5_PdSG_SI_NS1_21lower_bound_search_opENS9_16wrapped_functionINS8_6system6detail7generic6detail18binary_search_lessEbEEEE10hipError_tPvRmT1_T2_T3_mmT4_T5_P12ihipStream_tbEUlRKdE_EEST_SX_SY_mSZ_S12_bEUlT_E_NS1_11comp_targetILNS1_3genE9ELNS1_11target_archE1100ELNS1_3gpuE3ELNS1_3repE0EEENS1_30default_config_static_selectorELNS0_4arch9wavefront6targetE0EEEvSW_: ; @_ZN7rocprim17ROCPRIM_400000_NS6detail17trampoline_kernelINS0_14default_configENS1_27lower_bound_config_selectorIdlEEZNS1_14transform_implILb0ES3_S5_N6thrust23THRUST_200600_302600_NS6detail15normal_iteratorINS8_7pointerIdNS8_11hip_rocprim5par_tENS8_11use_defaultESE_EEEENSA_INSB_IlSD_SE_SE_EEEEZNS1_13binary_searchIS3_S5_PdSG_SI_NS1_21lower_bound_search_opENS9_16wrapped_functionINS8_6system6detail7generic6detail18binary_search_lessEbEEEE10hipError_tPvRmT1_T2_T3_mmT4_T5_P12ihipStream_tbEUlRKdE_EEST_SX_SY_mSZ_S12_bEUlT_E_NS1_11comp_targetILNS1_3genE9ELNS1_11target_archE1100ELNS1_3gpuE3ELNS1_3repE0EEENS1_30default_config_static_selectorELNS0_4arch9wavefront6targetE0EEEvSW_
; %bb.0:
	.section	.rodata,"a",@progbits
	.p2align	6, 0x0
	.amdhsa_kernel _ZN7rocprim17ROCPRIM_400000_NS6detail17trampoline_kernelINS0_14default_configENS1_27lower_bound_config_selectorIdlEEZNS1_14transform_implILb0ES3_S5_N6thrust23THRUST_200600_302600_NS6detail15normal_iteratorINS8_7pointerIdNS8_11hip_rocprim5par_tENS8_11use_defaultESE_EEEENSA_INSB_IlSD_SE_SE_EEEEZNS1_13binary_searchIS3_S5_PdSG_SI_NS1_21lower_bound_search_opENS9_16wrapped_functionINS8_6system6detail7generic6detail18binary_search_lessEbEEEE10hipError_tPvRmT1_T2_T3_mmT4_T5_P12ihipStream_tbEUlRKdE_EEST_SX_SY_mSZ_S12_bEUlT_E_NS1_11comp_targetILNS1_3genE9ELNS1_11target_archE1100ELNS1_3gpuE3ELNS1_3repE0EEENS1_30default_config_static_selectorELNS0_4arch9wavefront6targetE0EEEvSW_
		.amdhsa_group_segment_fixed_size 0
		.amdhsa_private_segment_fixed_size 0
		.amdhsa_kernarg_size 56
		.amdhsa_user_sgpr_count 6
		.amdhsa_user_sgpr_private_segment_buffer 1
		.amdhsa_user_sgpr_dispatch_ptr 0
		.amdhsa_user_sgpr_queue_ptr 0
		.amdhsa_user_sgpr_kernarg_segment_ptr 1
		.amdhsa_user_sgpr_dispatch_id 0
		.amdhsa_user_sgpr_flat_scratch_init 0
		.amdhsa_user_sgpr_private_segment_size 0
		.amdhsa_wavefront_size32 1
		.amdhsa_uses_dynamic_stack 0
		.amdhsa_system_sgpr_private_segment_wavefront_offset 0
		.amdhsa_system_sgpr_workgroup_id_x 1
		.amdhsa_system_sgpr_workgroup_id_y 0
		.amdhsa_system_sgpr_workgroup_id_z 0
		.amdhsa_system_sgpr_workgroup_info 0
		.amdhsa_system_vgpr_workitem_id 0
		.amdhsa_next_free_vgpr 1
		.amdhsa_next_free_sgpr 1
		.amdhsa_reserve_vcc 0
		.amdhsa_reserve_flat_scratch 0
		.amdhsa_float_round_mode_32 0
		.amdhsa_float_round_mode_16_64 0
		.amdhsa_float_denorm_mode_32 3
		.amdhsa_float_denorm_mode_16_64 3
		.amdhsa_dx10_clamp 1
		.amdhsa_ieee_mode 1
		.amdhsa_fp16_overflow 0
		.amdhsa_workgroup_processor_mode 1
		.amdhsa_memory_ordered 1
		.amdhsa_forward_progress 1
		.amdhsa_shared_vgpr_count 0
		.amdhsa_exception_fp_ieee_invalid_op 0
		.amdhsa_exception_fp_denorm_src 0
		.amdhsa_exception_fp_ieee_div_zero 0
		.amdhsa_exception_fp_ieee_overflow 0
		.amdhsa_exception_fp_ieee_underflow 0
		.amdhsa_exception_fp_ieee_inexact 0
		.amdhsa_exception_int_div_zero 0
	.end_amdhsa_kernel
	.section	.text._ZN7rocprim17ROCPRIM_400000_NS6detail17trampoline_kernelINS0_14default_configENS1_27lower_bound_config_selectorIdlEEZNS1_14transform_implILb0ES3_S5_N6thrust23THRUST_200600_302600_NS6detail15normal_iteratorINS8_7pointerIdNS8_11hip_rocprim5par_tENS8_11use_defaultESE_EEEENSA_INSB_IlSD_SE_SE_EEEEZNS1_13binary_searchIS3_S5_PdSG_SI_NS1_21lower_bound_search_opENS9_16wrapped_functionINS8_6system6detail7generic6detail18binary_search_lessEbEEEE10hipError_tPvRmT1_T2_T3_mmT4_T5_P12ihipStream_tbEUlRKdE_EEST_SX_SY_mSZ_S12_bEUlT_E_NS1_11comp_targetILNS1_3genE9ELNS1_11target_archE1100ELNS1_3gpuE3ELNS1_3repE0EEENS1_30default_config_static_selectorELNS0_4arch9wavefront6targetE0EEEvSW_,"axG",@progbits,_ZN7rocprim17ROCPRIM_400000_NS6detail17trampoline_kernelINS0_14default_configENS1_27lower_bound_config_selectorIdlEEZNS1_14transform_implILb0ES3_S5_N6thrust23THRUST_200600_302600_NS6detail15normal_iteratorINS8_7pointerIdNS8_11hip_rocprim5par_tENS8_11use_defaultESE_EEEENSA_INSB_IlSD_SE_SE_EEEEZNS1_13binary_searchIS3_S5_PdSG_SI_NS1_21lower_bound_search_opENS9_16wrapped_functionINS8_6system6detail7generic6detail18binary_search_lessEbEEEE10hipError_tPvRmT1_T2_T3_mmT4_T5_P12ihipStream_tbEUlRKdE_EEST_SX_SY_mSZ_S12_bEUlT_E_NS1_11comp_targetILNS1_3genE9ELNS1_11target_archE1100ELNS1_3gpuE3ELNS1_3repE0EEENS1_30default_config_static_selectorELNS0_4arch9wavefront6targetE0EEEvSW_,comdat
.Lfunc_end20:
	.size	_ZN7rocprim17ROCPRIM_400000_NS6detail17trampoline_kernelINS0_14default_configENS1_27lower_bound_config_selectorIdlEEZNS1_14transform_implILb0ES3_S5_N6thrust23THRUST_200600_302600_NS6detail15normal_iteratorINS8_7pointerIdNS8_11hip_rocprim5par_tENS8_11use_defaultESE_EEEENSA_INSB_IlSD_SE_SE_EEEEZNS1_13binary_searchIS3_S5_PdSG_SI_NS1_21lower_bound_search_opENS9_16wrapped_functionINS8_6system6detail7generic6detail18binary_search_lessEbEEEE10hipError_tPvRmT1_T2_T3_mmT4_T5_P12ihipStream_tbEUlRKdE_EEST_SX_SY_mSZ_S12_bEUlT_E_NS1_11comp_targetILNS1_3genE9ELNS1_11target_archE1100ELNS1_3gpuE3ELNS1_3repE0EEENS1_30default_config_static_selectorELNS0_4arch9wavefront6targetE0EEEvSW_, .Lfunc_end20-_ZN7rocprim17ROCPRIM_400000_NS6detail17trampoline_kernelINS0_14default_configENS1_27lower_bound_config_selectorIdlEEZNS1_14transform_implILb0ES3_S5_N6thrust23THRUST_200600_302600_NS6detail15normal_iteratorINS8_7pointerIdNS8_11hip_rocprim5par_tENS8_11use_defaultESE_EEEENSA_INSB_IlSD_SE_SE_EEEEZNS1_13binary_searchIS3_S5_PdSG_SI_NS1_21lower_bound_search_opENS9_16wrapped_functionINS8_6system6detail7generic6detail18binary_search_lessEbEEEE10hipError_tPvRmT1_T2_T3_mmT4_T5_P12ihipStream_tbEUlRKdE_EEST_SX_SY_mSZ_S12_bEUlT_E_NS1_11comp_targetILNS1_3genE9ELNS1_11target_archE1100ELNS1_3gpuE3ELNS1_3repE0EEENS1_30default_config_static_selectorELNS0_4arch9wavefront6targetE0EEEvSW_
                                        ; -- End function
	.set _ZN7rocprim17ROCPRIM_400000_NS6detail17trampoline_kernelINS0_14default_configENS1_27lower_bound_config_selectorIdlEEZNS1_14transform_implILb0ES3_S5_N6thrust23THRUST_200600_302600_NS6detail15normal_iteratorINS8_7pointerIdNS8_11hip_rocprim5par_tENS8_11use_defaultESE_EEEENSA_INSB_IlSD_SE_SE_EEEEZNS1_13binary_searchIS3_S5_PdSG_SI_NS1_21lower_bound_search_opENS9_16wrapped_functionINS8_6system6detail7generic6detail18binary_search_lessEbEEEE10hipError_tPvRmT1_T2_T3_mmT4_T5_P12ihipStream_tbEUlRKdE_EEST_SX_SY_mSZ_S12_bEUlT_E_NS1_11comp_targetILNS1_3genE9ELNS1_11target_archE1100ELNS1_3gpuE3ELNS1_3repE0EEENS1_30default_config_static_selectorELNS0_4arch9wavefront6targetE0EEEvSW_.num_vgpr, 0
	.set _ZN7rocprim17ROCPRIM_400000_NS6detail17trampoline_kernelINS0_14default_configENS1_27lower_bound_config_selectorIdlEEZNS1_14transform_implILb0ES3_S5_N6thrust23THRUST_200600_302600_NS6detail15normal_iteratorINS8_7pointerIdNS8_11hip_rocprim5par_tENS8_11use_defaultESE_EEEENSA_INSB_IlSD_SE_SE_EEEEZNS1_13binary_searchIS3_S5_PdSG_SI_NS1_21lower_bound_search_opENS9_16wrapped_functionINS8_6system6detail7generic6detail18binary_search_lessEbEEEE10hipError_tPvRmT1_T2_T3_mmT4_T5_P12ihipStream_tbEUlRKdE_EEST_SX_SY_mSZ_S12_bEUlT_E_NS1_11comp_targetILNS1_3genE9ELNS1_11target_archE1100ELNS1_3gpuE3ELNS1_3repE0EEENS1_30default_config_static_selectorELNS0_4arch9wavefront6targetE0EEEvSW_.num_agpr, 0
	.set _ZN7rocprim17ROCPRIM_400000_NS6detail17trampoline_kernelINS0_14default_configENS1_27lower_bound_config_selectorIdlEEZNS1_14transform_implILb0ES3_S5_N6thrust23THRUST_200600_302600_NS6detail15normal_iteratorINS8_7pointerIdNS8_11hip_rocprim5par_tENS8_11use_defaultESE_EEEENSA_INSB_IlSD_SE_SE_EEEEZNS1_13binary_searchIS3_S5_PdSG_SI_NS1_21lower_bound_search_opENS9_16wrapped_functionINS8_6system6detail7generic6detail18binary_search_lessEbEEEE10hipError_tPvRmT1_T2_T3_mmT4_T5_P12ihipStream_tbEUlRKdE_EEST_SX_SY_mSZ_S12_bEUlT_E_NS1_11comp_targetILNS1_3genE9ELNS1_11target_archE1100ELNS1_3gpuE3ELNS1_3repE0EEENS1_30default_config_static_selectorELNS0_4arch9wavefront6targetE0EEEvSW_.numbered_sgpr, 0
	.set _ZN7rocprim17ROCPRIM_400000_NS6detail17trampoline_kernelINS0_14default_configENS1_27lower_bound_config_selectorIdlEEZNS1_14transform_implILb0ES3_S5_N6thrust23THRUST_200600_302600_NS6detail15normal_iteratorINS8_7pointerIdNS8_11hip_rocprim5par_tENS8_11use_defaultESE_EEEENSA_INSB_IlSD_SE_SE_EEEEZNS1_13binary_searchIS3_S5_PdSG_SI_NS1_21lower_bound_search_opENS9_16wrapped_functionINS8_6system6detail7generic6detail18binary_search_lessEbEEEE10hipError_tPvRmT1_T2_T3_mmT4_T5_P12ihipStream_tbEUlRKdE_EEST_SX_SY_mSZ_S12_bEUlT_E_NS1_11comp_targetILNS1_3genE9ELNS1_11target_archE1100ELNS1_3gpuE3ELNS1_3repE0EEENS1_30default_config_static_selectorELNS0_4arch9wavefront6targetE0EEEvSW_.num_named_barrier, 0
	.set _ZN7rocprim17ROCPRIM_400000_NS6detail17trampoline_kernelINS0_14default_configENS1_27lower_bound_config_selectorIdlEEZNS1_14transform_implILb0ES3_S5_N6thrust23THRUST_200600_302600_NS6detail15normal_iteratorINS8_7pointerIdNS8_11hip_rocprim5par_tENS8_11use_defaultESE_EEEENSA_INSB_IlSD_SE_SE_EEEEZNS1_13binary_searchIS3_S5_PdSG_SI_NS1_21lower_bound_search_opENS9_16wrapped_functionINS8_6system6detail7generic6detail18binary_search_lessEbEEEE10hipError_tPvRmT1_T2_T3_mmT4_T5_P12ihipStream_tbEUlRKdE_EEST_SX_SY_mSZ_S12_bEUlT_E_NS1_11comp_targetILNS1_3genE9ELNS1_11target_archE1100ELNS1_3gpuE3ELNS1_3repE0EEENS1_30default_config_static_selectorELNS0_4arch9wavefront6targetE0EEEvSW_.private_seg_size, 0
	.set _ZN7rocprim17ROCPRIM_400000_NS6detail17trampoline_kernelINS0_14default_configENS1_27lower_bound_config_selectorIdlEEZNS1_14transform_implILb0ES3_S5_N6thrust23THRUST_200600_302600_NS6detail15normal_iteratorINS8_7pointerIdNS8_11hip_rocprim5par_tENS8_11use_defaultESE_EEEENSA_INSB_IlSD_SE_SE_EEEEZNS1_13binary_searchIS3_S5_PdSG_SI_NS1_21lower_bound_search_opENS9_16wrapped_functionINS8_6system6detail7generic6detail18binary_search_lessEbEEEE10hipError_tPvRmT1_T2_T3_mmT4_T5_P12ihipStream_tbEUlRKdE_EEST_SX_SY_mSZ_S12_bEUlT_E_NS1_11comp_targetILNS1_3genE9ELNS1_11target_archE1100ELNS1_3gpuE3ELNS1_3repE0EEENS1_30default_config_static_selectorELNS0_4arch9wavefront6targetE0EEEvSW_.uses_vcc, 0
	.set _ZN7rocprim17ROCPRIM_400000_NS6detail17trampoline_kernelINS0_14default_configENS1_27lower_bound_config_selectorIdlEEZNS1_14transform_implILb0ES3_S5_N6thrust23THRUST_200600_302600_NS6detail15normal_iteratorINS8_7pointerIdNS8_11hip_rocprim5par_tENS8_11use_defaultESE_EEEENSA_INSB_IlSD_SE_SE_EEEEZNS1_13binary_searchIS3_S5_PdSG_SI_NS1_21lower_bound_search_opENS9_16wrapped_functionINS8_6system6detail7generic6detail18binary_search_lessEbEEEE10hipError_tPvRmT1_T2_T3_mmT4_T5_P12ihipStream_tbEUlRKdE_EEST_SX_SY_mSZ_S12_bEUlT_E_NS1_11comp_targetILNS1_3genE9ELNS1_11target_archE1100ELNS1_3gpuE3ELNS1_3repE0EEENS1_30default_config_static_selectorELNS0_4arch9wavefront6targetE0EEEvSW_.uses_flat_scratch, 0
	.set _ZN7rocprim17ROCPRIM_400000_NS6detail17trampoline_kernelINS0_14default_configENS1_27lower_bound_config_selectorIdlEEZNS1_14transform_implILb0ES3_S5_N6thrust23THRUST_200600_302600_NS6detail15normal_iteratorINS8_7pointerIdNS8_11hip_rocprim5par_tENS8_11use_defaultESE_EEEENSA_INSB_IlSD_SE_SE_EEEEZNS1_13binary_searchIS3_S5_PdSG_SI_NS1_21lower_bound_search_opENS9_16wrapped_functionINS8_6system6detail7generic6detail18binary_search_lessEbEEEE10hipError_tPvRmT1_T2_T3_mmT4_T5_P12ihipStream_tbEUlRKdE_EEST_SX_SY_mSZ_S12_bEUlT_E_NS1_11comp_targetILNS1_3genE9ELNS1_11target_archE1100ELNS1_3gpuE3ELNS1_3repE0EEENS1_30default_config_static_selectorELNS0_4arch9wavefront6targetE0EEEvSW_.has_dyn_sized_stack, 0
	.set _ZN7rocprim17ROCPRIM_400000_NS6detail17trampoline_kernelINS0_14default_configENS1_27lower_bound_config_selectorIdlEEZNS1_14transform_implILb0ES3_S5_N6thrust23THRUST_200600_302600_NS6detail15normal_iteratorINS8_7pointerIdNS8_11hip_rocprim5par_tENS8_11use_defaultESE_EEEENSA_INSB_IlSD_SE_SE_EEEEZNS1_13binary_searchIS3_S5_PdSG_SI_NS1_21lower_bound_search_opENS9_16wrapped_functionINS8_6system6detail7generic6detail18binary_search_lessEbEEEE10hipError_tPvRmT1_T2_T3_mmT4_T5_P12ihipStream_tbEUlRKdE_EEST_SX_SY_mSZ_S12_bEUlT_E_NS1_11comp_targetILNS1_3genE9ELNS1_11target_archE1100ELNS1_3gpuE3ELNS1_3repE0EEENS1_30default_config_static_selectorELNS0_4arch9wavefront6targetE0EEEvSW_.has_recursion, 0
	.set _ZN7rocprim17ROCPRIM_400000_NS6detail17trampoline_kernelINS0_14default_configENS1_27lower_bound_config_selectorIdlEEZNS1_14transform_implILb0ES3_S5_N6thrust23THRUST_200600_302600_NS6detail15normal_iteratorINS8_7pointerIdNS8_11hip_rocprim5par_tENS8_11use_defaultESE_EEEENSA_INSB_IlSD_SE_SE_EEEEZNS1_13binary_searchIS3_S5_PdSG_SI_NS1_21lower_bound_search_opENS9_16wrapped_functionINS8_6system6detail7generic6detail18binary_search_lessEbEEEE10hipError_tPvRmT1_T2_T3_mmT4_T5_P12ihipStream_tbEUlRKdE_EEST_SX_SY_mSZ_S12_bEUlT_E_NS1_11comp_targetILNS1_3genE9ELNS1_11target_archE1100ELNS1_3gpuE3ELNS1_3repE0EEENS1_30default_config_static_selectorELNS0_4arch9wavefront6targetE0EEEvSW_.has_indirect_call, 0
	.section	.AMDGPU.csdata,"",@progbits
; Kernel info:
; codeLenInByte = 0
; TotalNumSgprs: 0
; NumVgprs: 0
; ScratchSize: 0
; MemoryBound: 0
; FloatMode: 240
; IeeeMode: 1
; LDSByteSize: 0 bytes/workgroup (compile time only)
; SGPRBlocks: 0
; VGPRBlocks: 0
; NumSGPRsForWavesPerEU: 1
; NumVGPRsForWavesPerEU: 1
; Occupancy: 16
; WaveLimiterHint : 0
; COMPUTE_PGM_RSRC2:SCRATCH_EN: 0
; COMPUTE_PGM_RSRC2:USER_SGPR: 6
; COMPUTE_PGM_RSRC2:TRAP_HANDLER: 0
; COMPUTE_PGM_RSRC2:TGID_X_EN: 1
; COMPUTE_PGM_RSRC2:TGID_Y_EN: 0
; COMPUTE_PGM_RSRC2:TGID_Z_EN: 0
; COMPUTE_PGM_RSRC2:TIDIG_COMP_CNT: 0
	.section	.text._ZN7rocprim17ROCPRIM_400000_NS6detail17trampoline_kernelINS0_14default_configENS1_27lower_bound_config_selectorIdlEEZNS1_14transform_implILb0ES3_S5_N6thrust23THRUST_200600_302600_NS6detail15normal_iteratorINS8_7pointerIdNS8_11hip_rocprim5par_tENS8_11use_defaultESE_EEEENSA_INSB_IlSD_SE_SE_EEEEZNS1_13binary_searchIS3_S5_PdSG_SI_NS1_21lower_bound_search_opENS9_16wrapped_functionINS8_6system6detail7generic6detail18binary_search_lessEbEEEE10hipError_tPvRmT1_T2_T3_mmT4_T5_P12ihipStream_tbEUlRKdE_EEST_SX_SY_mSZ_S12_bEUlT_E_NS1_11comp_targetILNS1_3genE8ELNS1_11target_archE1030ELNS1_3gpuE2ELNS1_3repE0EEENS1_30default_config_static_selectorELNS0_4arch9wavefront6targetE0EEEvSW_,"axG",@progbits,_ZN7rocprim17ROCPRIM_400000_NS6detail17trampoline_kernelINS0_14default_configENS1_27lower_bound_config_selectorIdlEEZNS1_14transform_implILb0ES3_S5_N6thrust23THRUST_200600_302600_NS6detail15normal_iteratorINS8_7pointerIdNS8_11hip_rocprim5par_tENS8_11use_defaultESE_EEEENSA_INSB_IlSD_SE_SE_EEEEZNS1_13binary_searchIS3_S5_PdSG_SI_NS1_21lower_bound_search_opENS9_16wrapped_functionINS8_6system6detail7generic6detail18binary_search_lessEbEEEE10hipError_tPvRmT1_T2_T3_mmT4_T5_P12ihipStream_tbEUlRKdE_EEST_SX_SY_mSZ_S12_bEUlT_E_NS1_11comp_targetILNS1_3genE8ELNS1_11target_archE1030ELNS1_3gpuE2ELNS1_3repE0EEENS1_30default_config_static_selectorELNS0_4arch9wavefront6targetE0EEEvSW_,comdat
	.protected	_ZN7rocprim17ROCPRIM_400000_NS6detail17trampoline_kernelINS0_14default_configENS1_27lower_bound_config_selectorIdlEEZNS1_14transform_implILb0ES3_S5_N6thrust23THRUST_200600_302600_NS6detail15normal_iteratorINS8_7pointerIdNS8_11hip_rocprim5par_tENS8_11use_defaultESE_EEEENSA_INSB_IlSD_SE_SE_EEEEZNS1_13binary_searchIS3_S5_PdSG_SI_NS1_21lower_bound_search_opENS9_16wrapped_functionINS8_6system6detail7generic6detail18binary_search_lessEbEEEE10hipError_tPvRmT1_T2_T3_mmT4_T5_P12ihipStream_tbEUlRKdE_EEST_SX_SY_mSZ_S12_bEUlT_E_NS1_11comp_targetILNS1_3genE8ELNS1_11target_archE1030ELNS1_3gpuE2ELNS1_3repE0EEENS1_30default_config_static_selectorELNS0_4arch9wavefront6targetE0EEEvSW_ ; -- Begin function _ZN7rocprim17ROCPRIM_400000_NS6detail17trampoline_kernelINS0_14default_configENS1_27lower_bound_config_selectorIdlEEZNS1_14transform_implILb0ES3_S5_N6thrust23THRUST_200600_302600_NS6detail15normal_iteratorINS8_7pointerIdNS8_11hip_rocprim5par_tENS8_11use_defaultESE_EEEENSA_INSB_IlSD_SE_SE_EEEEZNS1_13binary_searchIS3_S5_PdSG_SI_NS1_21lower_bound_search_opENS9_16wrapped_functionINS8_6system6detail7generic6detail18binary_search_lessEbEEEE10hipError_tPvRmT1_T2_T3_mmT4_T5_P12ihipStream_tbEUlRKdE_EEST_SX_SY_mSZ_S12_bEUlT_E_NS1_11comp_targetILNS1_3genE8ELNS1_11target_archE1030ELNS1_3gpuE2ELNS1_3repE0EEENS1_30default_config_static_selectorELNS0_4arch9wavefront6targetE0EEEvSW_
	.globl	_ZN7rocprim17ROCPRIM_400000_NS6detail17trampoline_kernelINS0_14default_configENS1_27lower_bound_config_selectorIdlEEZNS1_14transform_implILb0ES3_S5_N6thrust23THRUST_200600_302600_NS6detail15normal_iteratorINS8_7pointerIdNS8_11hip_rocprim5par_tENS8_11use_defaultESE_EEEENSA_INSB_IlSD_SE_SE_EEEEZNS1_13binary_searchIS3_S5_PdSG_SI_NS1_21lower_bound_search_opENS9_16wrapped_functionINS8_6system6detail7generic6detail18binary_search_lessEbEEEE10hipError_tPvRmT1_T2_T3_mmT4_T5_P12ihipStream_tbEUlRKdE_EEST_SX_SY_mSZ_S12_bEUlT_E_NS1_11comp_targetILNS1_3genE8ELNS1_11target_archE1030ELNS1_3gpuE2ELNS1_3repE0EEENS1_30default_config_static_selectorELNS0_4arch9wavefront6targetE0EEEvSW_
	.p2align	8
	.type	_ZN7rocprim17ROCPRIM_400000_NS6detail17trampoline_kernelINS0_14default_configENS1_27lower_bound_config_selectorIdlEEZNS1_14transform_implILb0ES3_S5_N6thrust23THRUST_200600_302600_NS6detail15normal_iteratorINS8_7pointerIdNS8_11hip_rocprim5par_tENS8_11use_defaultESE_EEEENSA_INSB_IlSD_SE_SE_EEEEZNS1_13binary_searchIS3_S5_PdSG_SI_NS1_21lower_bound_search_opENS9_16wrapped_functionINS8_6system6detail7generic6detail18binary_search_lessEbEEEE10hipError_tPvRmT1_T2_T3_mmT4_T5_P12ihipStream_tbEUlRKdE_EEST_SX_SY_mSZ_S12_bEUlT_E_NS1_11comp_targetILNS1_3genE8ELNS1_11target_archE1030ELNS1_3gpuE2ELNS1_3repE0EEENS1_30default_config_static_selectorELNS0_4arch9wavefront6targetE0EEEvSW_,@function
_ZN7rocprim17ROCPRIM_400000_NS6detail17trampoline_kernelINS0_14default_configENS1_27lower_bound_config_selectorIdlEEZNS1_14transform_implILb0ES3_S5_N6thrust23THRUST_200600_302600_NS6detail15normal_iteratorINS8_7pointerIdNS8_11hip_rocprim5par_tENS8_11use_defaultESE_EEEENSA_INSB_IlSD_SE_SE_EEEEZNS1_13binary_searchIS3_S5_PdSG_SI_NS1_21lower_bound_search_opENS9_16wrapped_functionINS8_6system6detail7generic6detail18binary_search_lessEbEEEE10hipError_tPvRmT1_T2_T3_mmT4_T5_P12ihipStream_tbEUlRKdE_EEST_SX_SY_mSZ_S12_bEUlT_E_NS1_11comp_targetILNS1_3genE8ELNS1_11target_archE1030ELNS1_3gpuE2ELNS1_3repE0EEENS1_30default_config_static_selectorELNS0_4arch9wavefront6targetE0EEEvSW_: ; @_ZN7rocprim17ROCPRIM_400000_NS6detail17trampoline_kernelINS0_14default_configENS1_27lower_bound_config_selectorIdlEEZNS1_14transform_implILb0ES3_S5_N6thrust23THRUST_200600_302600_NS6detail15normal_iteratorINS8_7pointerIdNS8_11hip_rocprim5par_tENS8_11use_defaultESE_EEEENSA_INSB_IlSD_SE_SE_EEEEZNS1_13binary_searchIS3_S5_PdSG_SI_NS1_21lower_bound_search_opENS9_16wrapped_functionINS8_6system6detail7generic6detail18binary_search_lessEbEEEE10hipError_tPvRmT1_T2_T3_mmT4_T5_P12ihipStream_tbEUlRKdE_EEST_SX_SY_mSZ_S12_bEUlT_E_NS1_11comp_targetILNS1_3genE8ELNS1_11target_archE1030ELNS1_3gpuE2ELNS1_3repE0EEENS1_30default_config_static_selectorELNS0_4arch9wavefront6targetE0EEEvSW_
; %bb.0:
	s_clause 0x3
	s_load_dwordx4 s[16:19], s[4:5], 0x0
	s_load_dwordx4 s[0:3], s[4:5], 0x18
	s_load_dword s15, s[4:5], 0x38
	s_load_dwordx2 s[10:11], s[4:5], 0x28
	s_waitcnt lgkmcnt(0)
	s_lshl_b64 s[8:9], s[18:19], 3
	s_add_u32 s13, s16, s8
	s_addc_u32 s14, s17, s9
	s_add_u32 s7, s0, s8
	s_addc_u32 s12, s1, s9
	s_add_i32 s15, s15, -1
	s_lshl_b32 s8, s6, 8
	s_mov_b32 s9, 0
	s_cmp_lg_u32 s6, s15
	s_mov_b32 s0, -1
	s_cbranch_scc0 .LBB21_7
; %bb.1:
	s_cmp_eq_u64 s[10:11], 0
	s_cbranch_scc1 .LBB21_5
; %bb.2:
	v_lshlrev_b32_e32 v1, 3, v0
	s_lshl_b64 s[0:1], s[8:9], 3
	v_mov_b32_e32 v5, s10
	s_add_u32 s0, s13, s0
	s_addc_u32 s1, s14, s1
	v_add_co_u32 v1, s0, s0, v1
	v_add_co_ci_u32_e64 v2, null, s1, 0, s0
	v_mov_b32_e32 v6, s11
	s_mov_b32 s1, 0
	flat_load_dwordx2 v[3:4], v[1:2]
	v_mov_b32_e32 v1, 0
	v_mov_b32_e32 v2, 0
	s_inst_prefetch 0x1
	.p2align	6
.LBB21_3:                               ; =>This Inner Loop Header: Depth=1
	v_sub_co_u32 v7, vcc_lo, v5, v1
	v_sub_co_ci_u32_e64 v8, null, v6, v2, vcc_lo
	v_lshrrev_b64 v[9:10], 1, v[7:8]
	v_lshrrev_b64 v[7:8], 6, v[7:8]
	v_add_co_u32 v9, vcc_lo, v9, v1
	v_add_co_ci_u32_e64 v10, null, v10, v2, vcc_lo
	v_add_co_u32 v7, vcc_lo, v9, v7
	v_add_co_ci_u32_e64 v8, null, v10, v8, vcc_lo
	v_lshlrev_b64 v[9:10], 3, v[7:8]
	v_add_co_u32 v9, vcc_lo, s2, v9
	v_add_co_ci_u32_e64 v10, null, s3, v10, vcc_lo
	global_load_dwordx2 v[9:10], v[9:10], off
	s_waitcnt vmcnt(0) lgkmcnt(0)
	v_cmp_lt_f64_e32 vcc_lo, v[9:10], v[3:4]
	v_add_co_u32 v9, s0, v7, 1
	v_add_co_ci_u32_e64 v10, null, 0, v8, s0
	v_cndmask_b32_e32 v6, v8, v6, vcc_lo
	v_cndmask_b32_e32 v5, v7, v5, vcc_lo
	;; [unrolled: 1-line block ×4, first 2 shown]
	v_cmp_ge_u64_e32 vcc_lo, v[1:2], v[5:6]
	s_or_b32 s1, vcc_lo, s1
	s_andn2_b32 exec_lo, exec_lo, s1
	s_cbranch_execnz .LBB21_3
; %bb.4:
	s_inst_prefetch 0x2
	s_or_b32 exec_lo, exec_lo, s1
	s_branch .LBB21_6
.LBB21_5:
	v_mov_b32_e32 v1, 0
	v_mov_b32_e32 v2, 0
.LBB21_6:
	v_lshlrev_b32_e32 v3, 3, v0
	s_lshl_b64 s[0:1], s[8:9], 3
	s_add_u32 s0, s7, s0
	s_addc_u32 s1, s12, s1
	v_add_co_u32 v3, s0, s0, v3
	v_add_co_ci_u32_e64 v4, null, s1, 0, s0
	s_mov_b32 s0, 0
	flat_store_dwordx2 v[3:4], v[1:2]
.LBB21_7:
	s_and_b32 vcc_lo, exec_lo, s0
	s_cbranch_vccz .LBB21_16
; %bb.8:
	s_load_dword s0, s[4:5], 0x10
                                        ; implicit-def: $vgpr3_vgpr4
	s_waitcnt lgkmcnt(0)
	s_sub_i32 s1, s0, s8
	v_cmp_le_u32_e64 s0, s1, v0
	v_cmp_gt_u32_e32 vcc_lo, s1, v0
	s_and_saveexec_b32 s1, vcc_lo
	s_cbranch_execz .LBB21_10
; %bb.9:
	v_lshlrev_b32_e32 v1, 3, v0
	s_lshl_b64 s[4:5], s[8:9], 3
	s_add_u32 s4, s13, s4
	s_addc_u32 s5, s14, s5
	v_add_co_u32 v1, s4, s4, v1
	v_add_co_ci_u32_e64 v2, null, s5, 0, s4
	flat_load_dwordx2 v[3:4], v[1:2]
.LBB21_10:
	s_or_b32 exec_lo, exec_lo, s1
	s_cmp_lg_u64 s[10:11], 0
	v_mov_b32_e32 v1, 0
	v_mov_b32_e32 v2, 0
	s_cselect_b32 s1, -1, 0
	s_xor_b32 s0, s0, -1
	s_and_b32 s0, s0, s1
	s_and_saveexec_b32 s4, s0
	s_cbranch_execz .LBB21_14
; %bb.11:
	v_mov_b32_e32 v1, 0
	v_mov_b32_e32 v5, s10
	;; [unrolled: 1-line block ×4, first 2 shown]
	s_mov_b32 s5, 0
	s_inst_prefetch 0x1
	.p2align	6
.LBB21_12:                              ; =>This Inner Loop Header: Depth=1
	v_sub_co_u32 v7, s0, v5, v1
	v_sub_co_ci_u32_e64 v8, null, v6, v2, s0
	v_lshrrev_b64 v[9:10], 1, v[7:8]
	v_lshrrev_b64 v[7:8], 6, v[7:8]
	v_add_co_u32 v9, s0, v9, v1
	v_add_co_ci_u32_e64 v10, null, v10, v2, s0
	v_add_co_u32 v7, s0, v9, v7
	v_add_co_ci_u32_e64 v8, null, v10, v8, s0
	v_lshlrev_b64 v[9:10], 3, v[7:8]
	v_add_co_u32 v9, s0, s2, v9
	v_add_co_ci_u32_e64 v10, null, s3, v10, s0
	global_load_dwordx2 v[9:10], v[9:10], off
	s_waitcnt vmcnt(0) lgkmcnt(0)
	v_cmp_lt_f64_e64 s0, v[9:10], v[3:4]
	v_add_co_u32 v9, s1, v7, 1
	v_add_co_ci_u32_e64 v10, null, 0, v8, s1
	v_cndmask_b32_e64 v6, v8, v6, s0
	v_cndmask_b32_e64 v5, v7, v5, s0
	;; [unrolled: 1-line block ×4, first 2 shown]
	v_cmp_ge_u64_e64 s0, v[1:2], v[5:6]
	s_or_b32 s5, s0, s5
	s_andn2_b32 exec_lo, exec_lo, s5
	s_cbranch_execnz .LBB21_12
; %bb.13:
	s_inst_prefetch 0x2
	s_or_b32 exec_lo, exec_lo, s5
.LBB21_14:
	s_or_b32 exec_lo, exec_lo, s4
	s_and_saveexec_b32 s0, vcc_lo
	s_cbranch_execz .LBB21_16
; %bb.15:
	v_lshlrev_b32_e32 v0, 3, v0
	s_lshl_b64 s[0:1], s[8:9], 3
	s_add_u32 s0, s7, s0
	s_addc_u32 s1, s12, s1
	s_waitcnt vmcnt(0) lgkmcnt(0)
	v_add_co_u32 v3, s0, s0, v0
	v_add_co_ci_u32_e64 v4, null, s1, 0, s0
	flat_store_dwordx2 v[3:4], v[1:2]
.LBB21_16:
	s_endpgm
	.section	.rodata,"a",@progbits
	.p2align	6, 0x0
	.amdhsa_kernel _ZN7rocprim17ROCPRIM_400000_NS6detail17trampoline_kernelINS0_14default_configENS1_27lower_bound_config_selectorIdlEEZNS1_14transform_implILb0ES3_S5_N6thrust23THRUST_200600_302600_NS6detail15normal_iteratorINS8_7pointerIdNS8_11hip_rocprim5par_tENS8_11use_defaultESE_EEEENSA_INSB_IlSD_SE_SE_EEEEZNS1_13binary_searchIS3_S5_PdSG_SI_NS1_21lower_bound_search_opENS9_16wrapped_functionINS8_6system6detail7generic6detail18binary_search_lessEbEEEE10hipError_tPvRmT1_T2_T3_mmT4_T5_P12ihipStream_tbEUlRKdE_EEST_SX_SY_mSZ_S12_bEUlT_E_NS1_11comp_targetILNS1_3genE8ELNS1_11target_archE1030ELNS1_3gpuE2ELNS1_3repE0EEENS1_30default_config_static_selectorELNS0_4arch9wavefront6targetE0EEEvSW_
		.amdhsa_group_segment_fixed_size 0
		.amdhsa_private_segment_fixed_size 0
		.amdhsa_kernarg_size 312
		.amdhsa_user_sgpr_count 6
		.amdhsa_user_sgpr_private_segment_buffer 1
		.amdhsa_user_sgpr_dispatch_ptr 0
		.amdhsa_user_sgpr_queue_ptr 0
		.amdhsa_user_sgpr_kernarg_segment_ptr 1
		.amdhsa_user_sgpr_dispatch_id 0
		.amdhsa_user_sgpr_flat_scratch_init 0
		.amdhsa_user_sgpr_private_segment_size 0
		.amdhsa_wavefront_size32 1
		.amdhsa_uses_dynamic_stack 0
		.amdhsa_system_sgpr_private_segment_wavefront_offset 0
		.amdhsa_system_sgpr_workgroup_id_x 1
		.amdhsa_system_sgpr_workgroup_id_y 0
		.amdhsa_system_sgpr_workgroup_id_z 0
		.amdhsa_system_sgpr_workgroup_info 0
		.amdhsa_system_vgpr_workitem_id 0
		.amdhsa_next_free_vgpr 11
		.amdhsa_next_free_sgpr 20
		.amdhsa_reserve_vcc 1
		.amdhsa_reserve_flat_scratch 0
		.amdhsa_float_round_mode_32 0
		.amdhsa_float_round_mode_16_64 0
		.amdhsa_float_denorm_mode_32 3
		.amdhsa_float_denorm_mode_16_64 3
		.amdhsa_dx10_clamp 1
		.amdhsa_ieee_mode 1
		.amdhsa_fp16_overflow 0
		.amdhsa_workgroup_processor_mode 1
		.amdhsa_memory_ordered 1
		.amdhsa_forward_progress 1
		.amdhsa_shared_vgpr_count 0
		.amdhsa_exception_fp_ieee_invalid_op 0
		.amdhsa_exception_fp_denorm_src 0
		.amdhsa_exception_fp_ieee_div_zero 0
		.amdhsa_exception_fp_ieee_overflow 0
		.amdhsa_exception_fp_ieee_underflow 0
		.amdhsa_exception_fp_ieee_inexact 0
		.amdhsa_exception_int_div_zero 0
	.end_amdhsa_kernel
	.section	.text._ZN7rocprim17ROCPRIM_400000_NS6detail17trampoline_kernelINS0_14default_configENS1_27lower_bound_config_selectorIdlEEZNS1_14transform_implILb0ES3_S5_N6thrust23THRUST_200600_302600_NS6detail15normal_iteratorINS8_7pointerIdNS8_11hip_rocprim5par_tENS8_11use_defaultESE_EEEENSA_INSB_IlSD_SE_SE_EEEEZNS1_13binary_searchIS3_S5_PdSG_SI_NS1_21lower_bound_search_opENS9_16wrapped_functionINS8_6system6detail7generic6detail18binary_search_lessEbEEEE10hipError_tPvRmT1_T2_T3_mmT4_T5_P12ihipStream_tbEUlRKdE_EEST_SX_SY_mSZ_S12_bEUlT_E_NS1_11comp_targetILNS1_3genE8ELNS1_11target_archE1030ELNS1_3gpuE2ELNS1_3repE0EEENS1_30default_config_static_selectorELNS0_4arch9wavefront6targetE0EEEvSW_,"axG",@progbits,_ZN7rocprim17ROCPRIM_400000_NS6detail17trampoline_kernelINS0_14default_configENS1_27lower_bound_config_selectorIdlEEZNS1_14transform_implILb0ES3_S5_N6thrust23THRUST_200600_302600_NS6detail15normal_iteratorINS8_7pointerIdNS8_11hip_rocprim5par_tENS8_11use_defaultESE_EEEENSA_INSB_IlSD_SE_SE_EEEEZNS1_13binary_searchIS3_S5_PdSG_SI_NS1_21lower_bound_search_opENS9_16wrapped_functionINS8_6system6detail7generic6detail18binary_search_lessEbEEEE10hipError_tPvRmT1_T2_T3_mmT4_T5_P12ihipStream_tbEUlRKdE_EEST_SX_SY_mSZ_S12_bEUlT_E_NS1_11comp_targetILNS1_3genE8ELNS1_11target_archE1030ELNS1_3gpuE2ELNS1_3repE0EEENS1_30default_config_static_selectorELNS0_4arch9wavefront6targetE0EEEvSW_,comdat
.Lfunc_end21:
	.size	_ZN7rocprim17ROCPRIM_400000_NS6detail17trampoline_kernelINS0_14default_configENS1_27lower_bound_config_selectorIdlEEZNS1_14transform_implILb0ES3_S5_N6thrust23THRUST_200600_302600_NS6detail15normal_iteratorINS8_7pointerIdNS8_11hip_rocprim5par_tENS8_11use_defaultESE_EEEENSA_INSB_IlSD_SE_SE_EEEEZNS1_13binary_searchIS3_S5_PdSG_SI_NS1_21lower_bound_search_opENS9_16wrapped_functionINS8_6system6detail7generic6detail18binary_search_lessEbEEEE10hipError_tPvRmT1_T2_T3_mmT4_T5_P12ihipStream_tbEUlRKdE_EEST_SX_SY_mSZ_S12_bEUlT_E_NS1_11comp_targetILNS1_3genE8ELNS1_11target_archE1030ELNS1_3gpuE2ELNS1_3repE0EEENS1_30default_config_static_selectorELNS0_4arch9wavefront6targetE0EEEvSW_, .Lfunc_end21-_ZN7rocprim17ROCPRIM_400000_NS6detail17trampoline_kernelINS0_14default_configENS1_27lower_bound_config_selectorIdlEEZNS1_14transform_implILb0ES3_S5_N6thrust23THRUST_200600_302600_NS6detail15normal_iteratorINS8_7pointerIdNS8_11hip_rocprim5par_tENS8_11use_defaultESE_EEEENSA_INSB_IlSD_SE_SE_EEEEZNS1_13binary_searchIS3_S5_PdSG_SI_NS1_21lower_bound_search_opENS9_16wrapped_functionINS8_6system6detail7generic6detail18binary_search_lessEbEEEE10hipError_tPvRmT1_T2_T3_mmT4_T5_P12ihipStream_tbEUlRKdE_EEST_SX_SY_mSZ_S12_bEUlT_E_NS1_11comp_targetILNS1_3genE8ELNS1_11target_archE1030ELNS1_3gpuE2ELNS1_3repE0EEENS1_30default_config_static_selectorELNS0_4arch9wavefront6targetE0EEEvSW_
                                        ; -- End function
	.set _ZN7rocprim17ROCPRIM_400000_NS6detail17trampoline_kernelINS0_14default_configENS1_27lower_bound_config_selectorIdlEEZNS1_14transform_implILb0ES3_S5_N6thrust23THRUST_200600_302600_NS6detail15normal_iteratorINS8_7pointerIdNS8_11hip_rocprim5par_tENS8_11use_defaultESE_EEEENSA_INSB_IlSD_SE_SE_EEEEZNS1_13binary_searchIS3_S5_PdSG_SI_NS1_21lower_bound_search_opENS9_16wrapped_functionINS8_6system6detail7generic6detail18binary_search_lessEbEEEE10hipError_tPvRmT1_T2_T3_mmT4_T5_P12ihipStream_tbEUlRKdE_EEST_SX_SY_mSZ_S12_bEUlT_E_NS1_11comp_targetILNS1_3genE8ELNS1_11target_archE1030ELNS1_3gpuE2ELNS1_3repE0EEENS1_30default_config_static_selectorELNS0_4arch9wavefront6targetE0EEEvSW_.num_vgpr, 11
	.set _ZN7rocprim17ROCPRIM_400000_NS6detail17trampoline_kernelINS0_14default_configENS1_27lower_bound_config_selectorIdlEEZNS1_14transform_implILb0ES3_S5_N6thrust23THRUST_200600_302600_NS6detail15normal_iteratorINS8_7pointerIdNS8_11hip_rocprim5par_tENS8_11use_defaultESE_EEEENSA_INSB_IlSD_SE_SE_EEEEZNS1_13binary_searchIS3_S5_PdSG_SI_NS1_21lower_bound_search_opENS9_16wrapped_functionINS8_6system6detail7generic6detail18binary_search_lessEbEEEE10hipError_tPvRmT1_T2_T3_mmT4_T5_P12ihipStream_tbEUlRKdE_EEST_SX_SY_mSZ_S12_bEUlT_E_NS1_11comp_targetILNS1_3genE8ELNS1_11target_archE1030ELNS1_3gpuE2ELNS1_3repE0EEENS1_30default_config_static_selectorELNS0_4arch9wavefront6targetE0EEEvSW_.num_agpr, 0
	.set _ZN7rocprim17ROCPRIM_400000_NS6detail17trampoline_kernelINS0_14default_configENS1_27lower_bound_config_selectorIdlEEZNS1_14transform_implILb0ES3_S5_N6thrust23THRUST_200600_302600_NS6detail15normal_iteratorINS8_7pointerIdNS8_11hip_rocprim5par_tENS8_11use_defaultESE_EEEENSA_INSB_IlSD_SE_SE_EEEEZNS1_13binary_searchIS3_S5_PdSG_SI_NS1_21lower_bound_search_opENS9_16wrapped_functionINS8_6system6detail7generic6detail18binary_search_lessEbEEEE10hipError_tPvRmT1_T2_T3_mmT4_T5_P12ihipStream_tbEUlRKdE_EEST_SX_SY_mSZ_S12_bEUlT_E_NS1_11comp_targetILNS1_3genE8ELNS1_11target_archE1030ELNS1_3gpuE2ELNS1_3repE0EEENS1_30default_config_static_selectorELNS0_4arch9wavefront6targetE0EEEvSW_.numbered_sgpr, 20
	.set _ZN7rocprim17ROCPRIM_400000_NS6detail17trampoline_kernelINS0_14default_configENS1_27lower_bound_config_selectorIdlEEZNS1_14transform_implILb0ES3_S5_N6thrust23THRUST_200600_302600_NS6detail15normal_iteratorINS8_7pointerIdNS8_11hip_rocprim5par_tENS8_11use_defaultESE_EEEENSA_INSB_IlSD_SE_SE_EEEEZNS1_13binary_searchIS3_S5_PdSG_SI_NS1_21lower_bound_search_opENS9_16wrapped_functionINS8_6system6detail7generic6detail18binary_search_lessEbEEEE10hipError_tPvRmT1_T2_T3_mmT4_T5_P12ihipStream_tbEUlRKdE_EEST_SX_SY_mSZ_S12_bEUlT_E_NS1_11comp_targetILNS1_3genE8ELNS1_11target_archE1030ELNS1_3gpuE2ELNS1_3repE0EEENS1_30default_config_static_selectorELNS0_4arch9wavefront6targetE0EEEvSW_.num_named_barrier, 0
	.set _ZN7rocprim17ROCPRIM_400000_NS6detail17trampoline_kernelINS0_14default_configENS1_27lower_bound_config_selectorIdlEEZNS1_14transform_implILb0ES3_S5_N6thrust23THRUST_200600_302600_NS6detail15normal_iteratorINS8_7pointerIdNS8_11hip_rocprim5par_tENS8_11use_defaultESE_EEEENSA_INSB_IlSD_SE_SE_EEEEZNS1_13binary_searchIS3_S5_PdSG_SI_NS1_21lower_bound_search_opENS9_16wrapped_functionINS8_6system6detail7generic6detail18binary_search_lessEbEEEE10hipError_tPvRmT1_T2_T3_mmT4_T5_P12ihipStream_tbEUlRKdE_EEST_SX_SY_mSZ_S12_bEUlT_E_NS1_11comp_targetILNS1_3genE8ELNS1_11target_archE1030ELNS1_3gpuE2ELNS1_3repE0EEENS1_30default_config_static_selectorELNS0_4arch9wavefront6targetE0EEEvSW_.private_seg_size, 0
	.set _ZN7rocprim17ROCPRIM_400000_NS6detail17trampoline_kernelINS0_14default_configENS1_27lower_bound_config_selectorIdlEEZNS1_14transform_implILb0ES3_S5_N6thrust23THRUST_200600_302600_NS6detail15normal_iteratorINS8_7pointerIdNS8_11hip_rocprim5par_tENS8_11use_defaultESE_EEEENSA_INSB_IlSD_SE_SE_EEEEZNS1_13binary_searchIS3_S5_PdSG_SI_NS1_21lower_bound_search_opENS9_16wrapped_functionINS8_6system6detail7generic6detail18binary_search_lessEbEEEE10hipError_tPvRmT1_T2_T3_mmT4_T5_P12ihipStream_tbEUlRKdE_EEST_SX_SY_mSZ_S12_bEUlT_E_NS1_11comp_targetILNS1_3genE8ELNS1_11target_archE1030ELNS1_3gpuE2ELNS1_3repE0EEENS1_30default_config_static_selectorELNS0_4arch9wavefront6targetE0EEEvSW_.uses_vcc, 1
	.set _ZN7rocprim17ROCPRIM_400000_NS6detail17trampoline_kernelINS0_14default_configENS1_27lower_bound_config_selectorIdlEEZNS1_14transform_implILb0ES3_S5_N6thrust23THRUST_200600_302600_NS6detail15normal_iteratorINS8_7pointerIdNS8_11hip_rocprim5par_tENS8_11use_defaultESE_EEEENSA_INSB_IlSD_SE_SE_EEEEZNS1_13binary_searchIS3_S5_PdSG_SI_NS1_21lower_bound_search_opENS9_16wrapped_functionINS8_6system6detail7generic6detail18binary_search_lessEbEEEE10hipError_tPvRmT1_T2_T3_mmT4_T5_P12ihipStream_tbEUlRKdE_EEST_SX_SY_mSZ_S12_bEUlT_E_NS1_11comp_targetILNS1_3genE8ELNS1_11target_archE1030ELNS1_3gpuE2ELNS1_3repE0EEENS1_30default_config_static_selectorELNS0_4arch9wavefront6targetE0EEEvSW_.uses_flat_scratch, 0
	.set _ZN7rocprim17ROCPRIM_400000_NS6detail17trampoline_kernelINS0_14default_configENS1_27lower_bound_config_selectorIdlEEZNS1_14transform_implILb0ES3_S5_N6thrust23THRUST_200600_302600_NS6detail15normal_iteratorINS8_7pointerIdNS8_11hip_rocprim5par_tENS8_11use_defaultESE_EEEENSA_INSB_IlSD_SE_SE_EEEEZNS1_13binary_searchIS3_S5_PdSG_SI_NS1_21lower_bound_search_opENS9_16wrapped_functionINS8_6system6detail7generic6detail18binary_search_lessEbEEEE10hipError_tPvRmT1_T2_T3_mmT4_T5_P12ihipStream_tbEUlRKdE_EEST_SX_SY_mSZ_S12_bEUlT_E_NS1_11comp_targetILNS1_3genE8ELNS1_11target_archE1030ELNS1_3gpuE2ELNS1_3repE0EEENS1_30default_config_static_selectorELNS0_4arch9wavefront6targetE0EEEvSW_.has_dyn_sized_stack, 0
	.set _ZN7rocprim17ROCPRIM_400000_NS6detail17trampoline_kernelINS0_14default_configENS1_27lower_bound_config_selectorIdlEEZNS1_14transform_implILb0ES3_S5_N6thrust23THRUST_200600_302600_NS6detail15normal_iteratorINS8_7pointerIdNS8_11hip_rocprim5par_tENS8_11use_defaultESE_EEEENSA_INSB_IlSD_SE_SE_EEEEZNS1_13binary_searchIS3_S5_PdSG_SI_NS1_21lower_bound_search_opENS9_16wrapped_functionINS8_6system6detail7generic6detail18binary_search_lessEbEEEE10hipError_tPvRmT1_T2_T3_mmT4_T5_P12ihipStream_tbEUlRKdE_EEST_SX_SY_mSZ_S12_bEUlT_E_NS1_11comp_targetILNS1_3genE8ELNS1_11target_archE1030ELNS1_3gpuE2ELNS1_3repE0EEENS1_30default_config_static_selectorELNS0_4arch9wavefront6targetE0EEEvSW_.has_recursion, 0
	.set _ZN7rocprim17ROCPRIM_400000_NS6detail17trampoline_kernelINS0_14default_configENS1_27lower_bound_config_selectorIdlEEZNS1_14transform_implILb0ES3_S5_N6thrust23THRUST_200600_302600_NS6detail15normal_iteratorINS8_7pointerIdNS8_11hip_rocprim5par_tENS8_11use_defaultESE_EEEENSA_INSB_IlSD_SE_SE_EEEEZNS1_13binary_searchIS3_S5_PdSG_SI_NS1_21lower_bound_search_opENS9_16wrapped_functionINS8_6system6detail7generic6detail18binary_search_lessEbEEEE10hipError_tPvRmT1_T2_T3_mmT4_T5_P12ihipStream_tbEUlRKdE_EEST_SX_SY_mSZ_S12_bEUlT_E_NS1_11comp_targetILNS1_3genE8ELNS1_11target_archE1030ELNS1_3gpuE2ELNS1_3repE0EEENS1_30default_config_static_selectorELNS0_4arch9wavefront6targetE0EEEvSW_.has_indirect_call, 0
	.section	.AMDGPU.csdata,"",@progbits
; Kernel info:
; codeLenInByte = 820
; TotalNumSgprs: 22
; NumVgprs: 11
; ScratchSize: 0
; MemoryBound: 0
; FloatMode: 240
; IeeeMode: 1
; LDSByteSize: 0 bytes/workgroup (compile time only)
; SGPRBlocks: 0
; VGPRBlocks: 1
; NumSGPRsForWavesPerEU: 22
; NumVGPRsForWavesPerEU: 11
; Occupancy: 16
; WaveLimiterHint : 0
; COMPUTE_PGM_RSRC2:SCRATCH_EN: 0
; COMPUTE_PGM_RSRC2:USER_SGPR: 6
; COMPUTE_PGM_RSRC2:TRAP_HANDLER: 0
; COMPUTE_PGM_RSRC2:TGID_X_EN: 1
; COMPUTE_PGM_RSRC2:TGID_Y_EN: 0
; COMPUTE_PGM_RSRC2:TGID_Z_EN: 0
; COMPUTE_PGM_RSRC2:TIDIG_COMP_CNT: 0
	.section	.text._ZN6thrust23THRUST_200600_302600_NS11hip_rocprim14__parallel_for6kernelILj256ENS1_20__uninitialized_fill7functorINS0_10device_ptrIfEEfEEmLj1EEEvT0_T1_SA_,"axG",@progbits,_ZN6thrust23THRUST_200600_302600_NS11hip_rocprim14__parallel_for6kernelILj256ENS1_20__uninitialized_fill7functorINS0_10device_ptrIfEEfEEmLj1EEEvT0_T1_SA_,comdat
	.protected	_ZN6thrust23THRUST_200600_302600_NS11hip_rocprim14__parallel_for6kernelILj256ENS1_20__uninitialized_fill7functorINS0_10device_ptrIfEEfEEmLj1EEEvT0_T1_SA_ ; -- Begin function _ZN6thrust23THRUST_200600_302600_NS11hip_rocprim14__parallel_for6kernelILj256ENS1_20__uninitialized_fill7functorINS0_10device_ptrIfEEfEEmLj1EEEvT0_T1_SA_
	.globl	_ZN6thrust23THRUST_200600_302600_NS11hip_rocprim14__parallel_for6kernelILj256ENS1_20__uninitialized_fill7functorINS0_10device_ptrIfEEfEEmLj1EEEvT0_T1_SA_
	.p2align	8
	.type	_ZN6thrust23THRUST_200600_302600_NS11hip_rocprim14__parallel_for6kernelILj256ENS1_20__uninitialized_fill7functorINS0_10device_ptrIfEEfEEmLj1EEEvT0_T1_SA_,@function
_ZN6thrust23THRUST_200600_302600_NS11hip_rocprim14__parallel_for6kernelILj256ENS1_20__uninitialized_fill7functorINS0_10device_ptrIfEEfEEmLj1EEEvT0_T1_SA_: ; @_ZN6thrust23THRUST_200600_302600_NS11hip_rocprim14__parallel_for6kernelILj256ENS1_20__uninitialized_fill7functorINS0_10device_ptrIfEEfEEmLj1EEEvT0_T1_SA_
; %bb.0:
	s_clause 0x2
	s_load_dwordx4 s[8:11], s[4:5], 0x10
	s_load_dwordx2 s[0:1], s[4:5], 0x0
	s_load_dword s7, s[4:5], 0x8
	s_lshl_b32 s2, s6, 8
	s_waitcnt lgkmcnt(0)
	s_add_u32 s2, s10, s2
	s_addc_u32 s3, s11, 0
	s_sub_u32 s4, s8, s2
	s_subb_u32 s5, s9, s3
	v_cmp_lt_u64_e64 s5, 0xff, s[4:5]
	s_and_b32 vcc_lo, exec_lo, s5
	s_mov_b32 s5, -1
	s_cbranch_vccz .LBB22_3
; %bb.1:
	s_andn2_b32 vcc_lo, exec_lo, s5
	s_cbranch_vccz .LBB22_6
.LBB22_2:
	s_endpgm
.LBB22_3:
	v_cmp_gt_u32_e32 vcc_lo, s4, v0
	s_and_saveexec_b32 s4, vcc_lo
	s_cbranch_execz .LBB22_5
; %bb.4:
	v_lshlrev_b32_e32 v1, 2, v0
	s_lshl_b64 s[8:9], s[2:3], 2
	v_mov_b32_e32 v3, s7
	s_add_u32 s5, s0, s8
	s_addc_u32 s6, s1, s9
	v_add_co_u32 v1, s5, s5, v1
	v_add_co_ci_u32_e64 v2, null, s6, 0, s5
	flat_store_dword v[1:2], v3
.LBB22_5:
	s_or_b32 exec_lo, exec_lo, s4
	s_cbranch_execnz .LBB22_2
.LBB22_6:
	v_lshlrev_b32_e32 v0, 2, v0
	s_lshl_b64 s[2:3], s[2:3], 2
	v_mov_b32_e32 v2, s7
	s_add_u32 s0, s0, s2
	s_addc_u32 s1, s1, s3
	v_add_co_u32 v0, s0, s0, v0
	v_add_co_ci_u32_e64 v1, null, s1, 0, s0
	flat_store_dword v[0:1], v2
	s_endpgm
	.section	.rodata,"a",@progbits
	.p2align	6, 0x0
	.amdhsa_kernel _ZN6thrust23THRUST_200600_302600_NS11hip_rocprim14__parallel_for6kernelILj256ENS1_20__uninitialized_fill7functorINS0_10device_ptrIfEEfEEmLj1EEEvT0_T1_SA_
		.amdhsa_group_segment_fixed_size 0
		.amdhsa_private_segment_fixed_size 0
		.amdhsa_kernarg_size 32
		.amdhsa_user_sgpr_count 6
		.amdhsa_user_sgpr_private_segment_buffer 1
		.amdhsa_user_sgpr_dispatch_ptr 0
		.amdhsa_user_sgpr_queue_ptr 0
		.amdhsa_user_sgpr_kernarg_segment_ptr 1
		.amdhsa_user_sgpr_dispatch_id 0
		.amdhsa_user_sgpr_flat_scratch_init 0
		.amdhsa_user_sgpr_private_segment_size 0
		.amdhsa_wavefront_size32 1
		.amdhsa_uses_dynamic_stack 0
		.amdhsa_system_sgpr_private_segment_wavefront_offset 0
		.amdhsa_system_sgpr_workgroup_id_x 1
		.amdhsa_system_sgpr_workgroup_id_y 0
		.amdhsa_system_sgpr_workgroup_id_z 0
		.amdhsa_system_sgpr_workgroup_info 0
		.amdhsa_system_vgpr_workitem_id 0
		.amdhsa_next_free_vgpr 4
		.amdhsa_next_free_sgpr 12
		.amdhsa_reserve_vcc 1
		.amdhsa_reserve_flat_scratch 0
		.amdhsa_float_round_mode_32 0
		.amdhsa_float_round_mode_16_64 0
		.amdhsa_float_denorm_mode_32 3
		.amdhsa_float_denorm_mode_16_64 3
		.amdhsa_dx10_clamp 1
		.amdhsa_ieee_mode 1
		.amdhsa_fp16_overflow 0
		.amdhsa_workgroup_processor_mode 1
		.amdhsa_memory_ordered 1
		.amdhsa_forward_progress 1
		.amdhsa_shared_vgpr_count 0
		.amdhsa_exception_fp_ieee_invalid_op 0
		.amdhsa_exception_fp_denorm_src 0
		.amdhsa_exception_fp_ieee_div_zero 0
		.amdhsa_exception_fp_ieee_overflow 0
		.amdhsa_exception_fp_ieee_underflow 0
		.amdhsa_exception_fp_ieee_inexact 0
		.amdhsa_exception_int_div_zero 0
	.end_amdhsa_kernel
	.section	.text._ZN6thrust23THRUST_200600_302600_NS11hip_rocprim14__parallel_for6kernelILj256ENS1_20__uninitialized_fill7functorINS0_10device_ptrIfEEfEEmLj1EEEvT0_T1_SA_,"axG",@progbits,_ZN6thrust23THRUST_200600_302600_NS11hip_rocprim14__parallel_for6kernelILj256ENS1_20__uninitialized_fill7functorINS0_10device_ptrIfEEfEEmLj1EEEvT0_T1_SA_,comdat
.Lfunc_end22:
	.size	_ZN6thrust23THRUST_200600_302600_NS11hip_rocprim14__parallel_for6kernelILj256ENS1_20__uninitialized_fill7functorINS0_10device_ptrIfEEfEEmLj1EEEvT0_T1_SA_, .Lfunc_end22-_ZN6thrust23THRUST_200600_302600_NS11hip_rocprim14__parallel_for6kernelILj256ENS1_20__uninitialized_fill7functorINS0_10device_ptrIfEEfEEmLj1EEEvT0_T1_SA_
                                        ; -- End function
	.set _ZN6thrust23THRUST_200600_302600_NS11hip_rocprim14__parallel_for6kernelILj256ENS1_20__uninitialized_fill7functorINS0_10device_ptrIfEEfEEmLj1EEEvT0_T1_SA_.num_vgpr, 4
	.set _ZN6thrust23THRUST_200600_302600_NS11hip_rocprim14__parallel_for6kernelILj256ENS1_20__uninitialized_fill7functorINS0_10device_ptrIfEEfEEmLj1EEEvT0_T1_SA_.num_agpr, 0
	.set _ZN6thrust23THRUST_200600_302600_NS11hip_rocprim14__parallel_for6kernelILj256ENS1_20__uninitialized_fill7functorINS0_10device_ptrIfEEfEEmLj1EEEvT0_T1_SA_.numbered_sgpr, 12
	.set _ZN6thrust23THRUST_200600_302600_NS11hip_rocprim14__parallel_for6kernelILj256ENS1_20__uninitialized_fill7functorINS0_10device_ptrIfEEfEEmLj1EEEvT0_T1_SA_.num_named_barrier, 0
	.set _ZN6thrust23THRUST_200600_302600_NS11hip_rocprim14__parallel_for6kernelILj256ENS1_20__uninitialized_fill7functorINS0_10device_ptrIfEEfEEmLj1EEEvT0_T1_SA_.private_seg_size, 0
	.set _ZN6thrust23THRUST_200600_302600_NS11hip_rocprim14__parallel_for6kernelILj256ENS1_20__uninitialized_fill7functorINS0_10device_ptrIfEEfEEmLj1EEEvT0_T1_SA_.uses_vcc, 1
	.set _ZN6thrust23THRUST_200600_302600_NS11hip_rocprim14__parallel_for6kernelILj256ENS1_20__uninitialized_fill7functorINS0_10device_ptrIfEEfEEmLj1EEEvT0_T1_SA_.uses_flat_scratch, 0
	.set _ZN6thrust23THRUST_200600_302600_NS11hip_rocprim14__parallel_for6kernelILj256ENS1_20__uninitialized_fill7functorINS0_10device_ptrIfEEfEEmLj1EEEvT0_T1_SA_.has_dyn_sized_stack, 0
	.set _ZN6thrust23THRUST_200600_302600_NS11hip_rocprim14__parallel_for6kernelILj256ENS1_20__uninitialized_fill7functorINS0_10device_ptrIfEEfEEmLj1EEEvT0_T1_SA_.has_recursion, 0
	.set _ZN6thrust23THRUST_200600_302600_NS11hip_rocprim14__parallel_for6kernelILj256ENS1_20__uninitialized_fill7functorINS0_10device_ptrIfEEfEEmLj1EEEvT0_T1_SA_.has_indirect_call, 0
	.section	.AMDGPU.csdata,"",@progbits
; Kernel info:
; codeLenInByte = 200
; TotalNumSgprs: 14
; NumVgprs: 4
; ScratchSize: 0
; MemoryBound: 0
; FloatMode: 240
; IeeeMode: 1
; LDSByteSize: 0 bytes/workgroup (compile time only)
; SGPRBlocks: 0
; VGPRBlocks: 0
; NumSGPRsForWavesPerEU: 14
; NumVGPRsForWavesPerEU: 4
; Occupancy: 16
; WaveLimiterHint : 0
; COMPUTE_PGM_RSRC2:SCRATCH_EN: 0
; COMPUTE_PGM_RSRC2:USER_SGPR: 6
; COMPUTE_PGM_RSRC2:TRAP_HANDLER: 0
; COMPUTE_PGM_RSRC2:TGID_X_EN: 1
; COMPUTE_PGM_RSRC2:TGID_Y_EN: 0
; COMPUTE_PGM_RSRC2:TGID_Z_EN: 0
; COMPUTE_PGM_RSRC2:TIDIG_COMP_CNT: 0
	.section	.text._Z18lower_bound_kernelIfEvmPT_Pl,"axG",@progbits,_Z18lower_bound_kernelIfEvmPT_Pl,comdat
	.protected	_Z18lower_bound_kernelIfEvmPT_Pl ; -- Begin function _Z18lower_bound_kernelIfEvmPT_Pl
	.globl	_Z18lower_bound_kernelIfEvmPT_Pl
	.p2align	8
	.type	_Z18lower_bound_kernelIfEvmPT_Pl,@function
_Z18lower_bound_kernelIfEvmPT_Pl:       ; @_Z18lower_bound_kernelIfEvmPT_Pl
; %bb.0:
	s_clause 0x1
	s_load_dwordx4 s[0:3], s[4:5], 0x0
	s_load_dwordx2 s[4:5], s[4:5], 0x10
	s_waitcnt lgkmcnt(0)
	s_lshl_b64 s[0:1], s[0:1], 2
	s_add_u32 s0, s2, s0
	s_addc_u32 s1, s3, s1
	s_sub_u32 s0, s0, s2
	s_subb_u32 s1, s1, s3
	s_ashr_i64 s[6:7], s[0:1], 2
	s_mov_b32 s1, -1
	v_cmp_lt_i64_e64 s0, s[6:7], 1
	s_and_b32 s0, exec_lo, s0
	s_mov_b32 vcc_lo, s0
	s_cbranch_vccz .LBB23_2
; %bb.1:
	v_mov_b32_e32 v0, 0
	s_mov_b32 s1, 0
	v_mov_b32_e32 v1, v0
	global_store_dwordx2 v0, v[0:1], s[4:5]
.LBB23_2:
	s_andn2_b32 vcc_lo, exec_lo, s1
	s_mov_b64 s[8:9], 0
	s_cbranch_vccnz .LBB23_7
; %bb.3:
	s_mov_b64 s[10:11], s[6:7]
	.p2align	6
.LBB23_4:                               ; =>This Inner Loop Header: Depth=1
	s_sub_u32 s12, s10, s8
	s_subb_u32 s13, s11, s9
	s_lshr_b64 s[12:13], s[12:13], 1
	s_add_u32 s12, s12, s8
	s_addc_u32 s13, s13, s9
	s_lshl_b64 s[14:15], s[12:13], 2
	s_add_u32 s14, s2, s14
	s_addc_u32 s15, s3, s15
	s_load_dword s1, s[14:15], 0x0
	s_add_u32 s14, s12, 1
	s_addc_u32 s15, s13, 0
	s_waitcnt lgkmcnt(0)
	v_cmp_lt_f32_e64 s1, s1, 0
	s_and_b32 s1, s1, exec_lo
	s_cselect_b32 s9, s15, s9
	s_cselect_b32 s8, s14, s8
	;; [unrolled: 1-line block ×4, first 2 shown]
	v_cmp_lt_i64_e64 s1, s[8:9], s[10:11]
	s_and_b32 vcc_lo, exec_lo, s1
	s_cbranch_vccnz .LBB23_4
; %bb.5:
	s_lshl_b64 s[8:9], s[8:9], 2
	v_mov_b32_e32 v2, 0
	s_add_u32 s1, s2, s8
	s_addc_u32 s9, s3, s9
	s_sub_u32 s8, s1, s2
	s_subb_u32 s9, s9, s3
	s_mov_b64 s[10:11], s[6:7]
	s_ashr_i64 s[8:9], s[8:9], 2
	v_mov_b32_e32 v0, s8
	v_mov_b32_e32 v1, s9
	s_mov_b64 s[8:9], 0
	global_store_dwordx2 v2, v[0:1], s[4:5]
	.p2align	6
.LBB23_6:                               ; =>This Inner Loop Header: Depth=1
	s_sub_u32 s12, s10, s8
	s_subb_u32 s13, s11, s9
	s_lshr_b64 s[12:13], s[12:13], 1
	s_add_u32 s12, s12, s8
	s_addc_u32 s13, s13, s9
	s_lshl_b64 s[14:15], s[12:13], 2
	s_add_u32 s14, s2, s14
	s_addc_u32 s15, s3, s15
	s_load_dword s1, s[14:15], 0x0
	s_add_u32 s14, s12, 1
	s_addc_u32 s15, s13, 0
	s_waitcnt lgkmcnt(0)
	v_cmp_lt_f32_e64 s1, s1, 1.0
	s_and_b32 s1, s1, exec_lo
	s_cselect_b32 s9, s15, s9
	s_cselect_b32 s8, s14, s8
	;; [unrolled: 1-line block ×4, first 2 shown]
	v_cmp_ge_i64_e64 s1, s[8:9], s[10:11]
	s_and_b32 vcc_lo, exec_lo, s1
	s_cbranch_vccz .LBB23_6
.LBB23_7:
	s_lshl_b64 s[8:9], s[8:9], 2
	v_mov_b32_e32 v0, 0
	s_add_u32 s1, s2, s8
	s_addc_u32 s9, s3, s9
	s_sub_u32 s8, s1, s2
	s_subb_u32 s9, s9, s3
	s_mov_b32 s1, -1
	s_ashr_i64 s[8:9], s[8:9], 2
	s_mov_b32 vcc_lo, s0
	v_mov_b32_e32 v1, s8
	v_mov_b32_e32 v2, s9
	global_store_dwordx2 v0, v[1:2], s[4:5] offset:8
	s_cbranch_vccz .LBB23_9
; %bb.8:
	v_mov_b32_e32 v1, v0
	s_mov_b32 s1, 0
	global_store_dwordx2 v0, v[0:1], s[4:5] offset:16
.LBB23_9:
	s_andn2_b32 vcc_lo, exec_lo, s1
	s_mov_b64 s[8:9], 0
	s_cbranch_vccnz .LBB23_14
; %bb.10:
	s_mov_b64 s[10:11], s[6:7]
	.p2align	6
.LBB23_11:                              ; =>This Inner Loop Header: Depth=1
	s_sub_u32 s12, s10, s8
	s_subb_u32 s13, s11, s9
	s_lshr_b64 s[12:13], s[12:13], 1
	s_add_u32 s12, s12, s8
	s_addc_u32 s13, s13, s9
	s_lshl_b64 s[14:15], s[12:13], 2
	s_add_u32 s14, s2, s14
	s_addc_u32 s15, s3, s15
	s_load_dword s1, s[14:15], 0x0
	s_add_u32 s14, s12, 1
	s_addc_u32 s15, s13, 0
	s_waitcnt lgkmcnt(0)
	v_cmp_lt_f32_e64 s1, s1, 2.0
	s_and_b32 s1, s1, exec_lo
	s_cselect_b32 s9, s15, s9
	s_cselect_b32 s8, s14, s8
	;; [unrolled: 1-line block ×4, first 2 shown]
	v_cmp_lt_i64_e64 s1, s[8:9], s[10:11]
	s_and_b32 vcc_lo, exec_lo, s1
	s_cbranch_vccnz .LBB23_11
; %bb.12:
	s_lshl_b64 s[8:9], s[8:9], 2
	v_mov_b32_e32 v2, 0
	s_add_u32 s1, s2, s8
	s_addc_u32 s9, s3, s9
	s_sub_u32 s8, s1, s2
	s_subb_u32 s9, s9, s3
	s_mov_b64 s[10:11], s[6:7]
	s_ashr_i64 s[8:9], s[8:9], 2
	v_mov_b32_e32 v0, s8
	v_mov_b32_e32 v1, s9
	s_mov_b64 s[8:9], 0
	global_store_dwordx2 v2, v[0:1], s[4:5] offset:16
	.p2align	6
.LBB23_13:                              ; =>This Inner Loop Header: Depth=1
	s_sub_u32 s12, s10, s8
	s_subb_u32 s13, s11, s9
	s_lshr_b64 s[12:13], s[12:13], 1
	s_add_u32 s12, s12, s8
	s_addc_u32 s13, s13, s9
	s_lshl_b64 s[14:15], s[12:13], 2
	s_add_u32 s14, s2, s14
	s_addc_u32 s15, s3, s15
	s_load_dword s1, s[14:15], 0x0
	s_add_u32 s14, s12, 1
	s_addc_u32 s15, s13, 0
	s_waitcnt lgkmcnt(0)
	v_cmp_gt_f32_e64 s1, 0x40400000, s1
	s_and_b32 s1, s1, exec_lo
	s_cselect_b32 s9, s15, s9
	s_cselect_b32 s8, s14, s8
	;; [unrolled: 1-line block ×4, first 2 shown]
	v_cmp_ge_i64_e64 s1, s[8:9], s[10:11]
	s_and_b32 vcc_lo, exec_lo, s1
	s_cbranch_vccz .LBB23_13
.LBB23_14:
	s_lshl_b64 s[8:9], s[8:9], 2
	v_mov_b32_e32 v0, 0
	s_add_u32 s1, s2, s8
	s_addc_u32 s9, s3, s9
	s_sub_u32 s8, s1, s2
	s_subb_u32 s9, s9, s3
	s_mov_b32 s1, -1
	s_ashr_i64 s[8:9], s[8:9], 2
	s_mov_b32 vcc_lo, s0
	v_mov_b32_e32 v1, s8
	v_mov_b32_e32 v2, s9
	global_store_dwordx2 v0, v[1:2], s[4:5] offset:24
	s_cbranch_vccz .LBB23_16
; %bb.15:
	v_mov_b32_e32 v1, v0
	s_mov_b32 s1, 0
	global_store_dwordx2 v0, v[0:1], s[4:5] offset:32
.LBB23_16:
	s_andn2_b32 vcc_lo, exec_lo, s1
	s_mov_b64 s[8:9], 0
	s_cbranch_vccnz .LBB23_21
; %bb.17:
	s_mov_b64 s[10:11], s[6:7]
	.p2align	6
.LBB23_18:                              ; =>This Inner Loop Header: Depth=1
	s_sub_u32 s12, s10, s8
	s_subb_u32 s13, s11, s9
	s_lshr_b64 s[12:13], s[12:13], 1
	s_add_u32 s12, s12, s8
	s_addc_u32 s13, s13, s9
	s_lshl_b64 s[14:15], s[12:13], 2
	s_add_u32 s14, s2, s14
	s_addc_u32 s15, s3, s15
	s_load_dword s1, s[14:15], 0x0
	s_add_u32 s14, s12, 1
	s_addc_u32 s15, s13, 0
	s_waitcnt lgkmcnt(0)
	v_cmp_lt_f32_e64 s1, s1, 4.0
	s_and_b32 s1, s1, exec_lo
	s_cselect_b32 s9, s15, s9
	s_cselect_b32 s8, s14, s8
	;; [unrolled: 1-line block ×4, first 2 shown]
	v_cmp_lt_i64_e64 s1, s[8:9], s[10:11]
	s_and_b32 vcc_lo, exec_lo, s1
	s_cbranch_vccnz .LBB23_18
; %bb.19:
	s_lshl_b64 s[8:9], s[8:9], 2
	v_mov_b32_e32 v2, 0
	s_add_u32 s1, s2, s8
	s_addc_u32 s9, s3, s9
	s_sub_u32 s8, s1, s2
	s_subb_u32 s9, s9, s3
	s_mov_b64 s[10:11], s[6:7]
	s_ashr_i64 s[8:9], s[8:9], 2
	v_mov_b32_e32 v0, s8
	v_mov_b32_e32 v1, s9
	s_mov_b64 s[8:9], 0
	global_store_dwordx2 v2, v[0:1], s[4:5] offset:32
	.p2align	6
.LBB23_20:                              ; =>This Inner Loop Header: Depth=1
	s_sub_u32 s12, s10, s8
	s_subb_u32 s13, s11, s9
	s_lshr_b64 s[12:13], s[12:13], 1
	s_add_u32 s12, s12, s8
	s_addc_u32 s13, s13, s9
	s_lshl_b64 s[14:15], s[12:13], 2
	s_add_u32 s14, s2, s14
	s_addc_u32 s15, s3, s15
	s_load_dword s1, s[14:15], 0x0
	s_add_u32 s14, s12, 1
	s_addc_u32 s15, s13, 0
	s_waitcnt lgkmcnt(0)
	v_cmp_gt_f32_e64 s1, 0x40a00000, s1
	s_and_b32 s1, s1, exec_lo
	s_cselect_b32 s9, s15, s9
	s_cselect_b32 s8, s14, s8
	;; [unrolled: 1-line block ×4, first 2 shown]
	v_cmp_ge_i64_e64 s1, s[8:9], s[10:11]
	s_and_b32 vcc_lo, exec_lo, s1
	s_cbranch_vccz .LBB23_20
.LBB23_21:
	s_lshl_b64 s[8:9], s[8:9], 2
	v_mov_b32_e32 v0, 0
	s_add_u32 s1, s2, s8
	s_addc_u32 s9, s3, s9
	s_sub_u32 s8, s1, s2
	s_subb_u32 s9, s9, s3
	s_mov_b32 s1, -1
	s_ashr_i64 s[8:9], s[8:9], 2
	s_mov_b32 vcc_lo, s0
	v_mov_b32_e32 v1, s8
	v_mov_b32_e32 v2, s9
	global_store_dwordx2 v0, v[1:2], s[4:5] offset:40
	s_cbranch_vccz .LBB23_23
; %bb.22:
	v_mov_b32_e32 v1, v0
	s_mov_b32 s1, 0
	global_store_dwordx2 v0, v[0:1], s[4:5] offset:48
.LBB23_23:
	s_andn2_b32 vcc_lo, exec_lo, s1
	s_mov_b64 s[8:9], 0
	s_cbranch_vccnz .LBB23_28
; %bb.24:
	s_mov_b64 s[10:11], s[6:7]
	.p2align	6
.LBB23_25:                              ; =>This Inner Loop Header: Depth=1
	s_sub_u32 s12, s10, s8
	s_subb_u32 s13, s11, s9
	s_lshr_b64 s[12:13], s[12:13], 1
	s_add_u32 s12, s12, s8
	s_addc_u32 s13, s13, s9
	s_lshl_b64 s[14:15], s[12:13], 2
	s_add_u32 s14, s2, s14
	s_addc_u32 s15, s3, s15
	s_load_dword s1, s[14:15], 0x0
	s_add_u32 s14, s12, 1
	s_addc_u32 s15, s13, 0
	s_waitcnt lgkmcnt(0)
	v_cmp_gt_f32_e64 s1, 0x40c00000, s1
	s_and_b32 s1, s1, exec_lo
	s_cselect_b32 s9, s15, s9
	s_cselect_b32 s8, s14, s8
	;; [unrolled: 1-line block ×4, first 2 shown]
	v_cmp_lt_i64_e64 s1, s[8:9], s[10:11]
	s_and_b32 vcc_lo, exec_lo, s1
	s_cbranch_vccnz .LBB23_25
; %bb.26:
	s_lshl_b64 s[8:9], s[8:9], 2
	v_mov_b32_e32 v2, 0
	s_add_u32 s1, s2, s8
	s_addc_u32 s9, s3, s9
	s_sub_u32 s8, s1, s2
	s_subb_u32 s9, s9, s3
	s_mov_b64 s[10:11], s[6:7]
	s_ashr_i64 s[8:9], s[8:9], 2
	v_mov_b32_e32 v0, s8
	v_mov_b32_e32 v1, s9
	s_mov_b64 s[8:9], 0
	global_store_dwordx2 v2, v[0:1], s[4:5] offset:48
	.p2align	6
.LBB23_27:                              ; =>This Inner Loop Header: Depth=1
	s_sub_u32 s12, s10, s8
	s_subb_u32 s13, s11, s9
	s_lshr_b64 s[12:13], s[12:13], 1
	s_add_u32 s12, s12, s8
	s_addc_u32 s13, s13, s9
	s_lshl_b64 s[14:15], s[12:13], 2
	s_add_u32 s14, s2, s14
	s_addc_u32 s15, s3, s15
	s_load_dword s1, s[14:15], 0x0
	s_add_u32 s14, s12, 1
	s_addc_u32 s15, s13, 0
	s_waitcnt lgkmcnt(0)
	v_cmp_gt_f32_e64 s1, 0x40e00000, s1
	s_and_b32 s1, s1, exec_lo
	s_cselect_b32 s9, s15, s9
	s_cselect_b32 s8, s14, s8
	;; [unrolled: 1-line block ×4, first 2 shown]
	v_cmp_ge_i64_e64 s1, s[8:9], s[10:11]
	s_and_b32 vcc_lo, exec_lo, s1
	s_cbranch_vccz .LBB23_27
.LBB23_28:
	s_lshl_b64 s[8:9], s[8:9], 2
	v_mov_b32_e32 v0, 0
	s_add_u32 s1, s2, s8
	s_addc_u32 s9, s3, s9
	s_sub_u32 s8, s1, s2
	s_subb_u32 s9, s9, s3
	s_mov_b32 s1, -1
	s_ashr_i64 s[8:9], s[8:9], 2
	s_mov_b32 vcc_lo, s0
	v_mov_b32_e32 v1, s8
	v_mov_b32_e32 v2, s9
	global_store_dwordx2 v0, v[1:2], s[4:5] offset:56
	s_cbranch_vccz .LBB23_30
; %bb.29:
	v_mov_b32_e32 v1, v0
	s_mov_b32 s1, 0
	global_store_dwordx2 v0, v[0:1], s[4:5] offset:64
.LBB23_30:
	s_andn2_b32 vcc_lo, exec_lo, s1
	s_mov_b64 s[0:1], 0
	s_cbranch_vccnz .LBB23_35
; %bb.31:
	s_mov_b64 s[8:9], s[6:7]
	.p2align	6
.LBB23_32:                              ; =>This Inner Loop Header: Depth=1
	s_sub_u32 s10, s8, s0
	s_subb_u32 s11, s9, s1
	s_lshr_b64 s[10:11], s[10:11], 1
	s_add_u32 s10, s10, s0
	s_addc_u32 s11, s11, s1
	s_lshl_b64 s[12:13], s[10:11], 2
	s_add_u32 s12, s2, s12
	s_addc_u32 s13, s3, s13
	s_load_dword s12, s[12:13], 0x0
	s_add_u32 s13, s10, 1
	s_addc_u32 s14, s11, 0
	s_waitcnt lgkmcnt(0)
	v_cmp_gt_f32_e64 s12, 0x41000000, s12
	s_and_b32 s12, s12, exec_lo
	s_cselect_b32 s1, s14, s1
	s_cselect_b32 s0, s13, s0
	s_cselect_b32 s9, s9, s11
	s_cselect_b32 s8, s8, s10
	v_cmp_lt_i64_e64 s10, s[0:1], s[8:9]
	s_and_b32 vcc_lo, exec_lo, s10
	s_cbranch_vccnz .LBB23_32
; %bb.33:
	s_lshl_b64 s[0:1], s[0:1], 2
	v_mov_b32_e32 v2, 0
	s_add_u32 s0, s2, s0
	s_addc_u32 s1, s3, s1
	s_sub_u32 s0, s0, s2
	s_subb_u32 s1, s1, s3
	s_ashr_i64 s[0:1], s[0:1], 2
	v_mov_b32_e32 v0, s0
	v_mov_b32_e32 v1, s1
	s_mov_b64 s[0:1], 0
	global_store_dwordx2 v2, v[0:1], s[4:5] offset:64
	.p2align	6
.LBB23_34:                              ; =>This Inner Loop Header: Depth=1
	s_sub_u32 s8, s6, s0
	s_subb_u32 s9, s7, s1
	s_lshr_b64 s[8:9], s[8:9], 1
	s_add_u32 s8, s8, s0
	s_addc_u32 s9, s9, s1
	s_lshl_b64 s[10:11], s[8:9], 2
	s_add_u32 s10, s2, s10
	s_addc_u32 s11, s3, s11
	s_load_dword s10, s[10:11], 0x0
	s_add_u32 s11, s8, 1
	s_addc_u32 s12, s9, 0
	s_waitcnt lgkmcnt(0)
	v_cmp_gt_f32_e64 s10, 0x41100000, s10
	s_and_b32 s10, s10, exec_lo
	s_cselect_b32 s1, s12, s1
	s_cselect_b32 s0, s11, s0
	;; [unrolled: 1-line block ×4, first 2 shown]
	v_cmp_ge_i64_e64 s8, s[0:1], s[6:7]
	s_and_b32 vcc_lo, exec_lo, s8
	s_cbranch_vccz .LBB23_34
.LBB23_35:
	s_lshl_b64 s[0:1], s[0:1], 2
	v_mov_b32_e32 v2, 0
	s_add_u32 s0, s2, s0
	s_addc_u32 s1, s3, s1
	s_sub_u32 s0, s0, s2
	s_subb_u32 s1, s1, s3
	s_ashr_i64 s[0:1], s[0:1], 2
	v_mov_b32_e32 v0, s0
	v_mov_b32_e32 v1, s1
	global_store_dwordx2 v2, v[0:1], s[4:5] offset:72
	s_endpgm
	.section	.rodata,"a",@progbits
	.p2align	6, 0x0
	.amdhsa_kernel _Z18lower_bound_kernelIfEvmPT_Pl
		.amdhsa_group_segment_fixed_size 0
		.amdhsa_private_segment_fixed_size 0
		.amdhsa_kernarg_size 24
		.amdhsa_user_sgpr_count 6
		.amdhsa_user_sgpr_private_segment_buffer 1
		.amdhsa_user_sgpr_dispatch_ptr 0
		.amdhsa_user_sgpr_queue_ptr 0
		.amdhsa_user_sgpr_kernarg_segment_ptr 1
		.amdhsa_user_sgpr_dispatch_id 0
		.amdhsa_user_sgpr_flat_scratch_init 0
		.amdhsa_user_sgpr_private_segment_size 0
		.amdhsa_wavefront_size32 1
		.amdhsa_uses_dynamic_stack 0
		.amdhsa_system_sgpr_private_segment_wavefront_offset 0
		.amdhsa_system_sgpr_workgroup_id_x 1
		.amdhsa_system_sgpr_workgroup_id_y 0
		.amdhsa_system_sgpr_workgroup_id_z 0
		.amdhsa_system_sgpr_workgroup_info 0
		.amdhsa_system_vgpr_workitem_id 0
		.amdhsa_next_free_vgpr 3
		.amdhsa_next_free_sgpr 16
		.amdhsa_reserve_vcc 1
		.amdhsa_reserve_flat_scratch 0
		.amdhsa_float_round_mode_32 0
		.amdhsa_float_round_mode_16_64 0
		.amdhsa_float_denorm_mode_32 3
		.amdhsa_float_denorm_mode_16_64 3
		.amdhsa_dx10_clamp 1
		.amdhsa_ieee_mode 1
		.amdhsa_fp16_overflow 0
		.amdhsa_workgroup_processor_mode 1
		.amdhsa_memory_ordered 1
		.amdhsa_forward_progress 1
		.amdhsa_shared_vgpr_count 0
		.amdhsa_exception_fp_ieee_invalid_op 0
		.amdhsa_exception_fp_denorm_src 0
		.amdhsa_exception_fp_ieee_div_zero 0
		.amdhsa_exception_fp_ieee_overflow 0
		.amdhsa_exception_fp_ieee_underflow 0
		.amdhsa_exception_fp_ieee_inexact 0
		.amdhsa_exception_int_div_zero 0
	.end_amdhsa_kernel
	.section	.text._Z18lower_bound_kernelIfEvmPT_Pl,"axG",@progbits,_Z18lower_bound_kernelIfEvmPT_Pl,comdat
.Lfunc_end23:
	.size	_Z18lower_bound_kernelIfEvmPT_Pl, .Lfunc_end23-_Z18lower_bound_kernelIfEvmPT_Pl
                                        ; -- End function
	.set _Z18lower_bound_kernelIfEvmPT_Pl.num_vgpr, 3
	.set _Z18lower_bound_kernelIfEvmPT_Pl.num_agpr, 0
	.set _Z18lower_bound_kernelIfEvmPT_Pl.numbered_sgpr, 16
	.set _Z18lower_bound_kernelIfEvmPT_Pl.num_named_barrier, 0
	.set _Z18lower_bound_kernelIfEvmPT_Pl.private_seg_size, 0
	.set _Z18lower_bound_kernelIfEvmPT_Pl.uses_vcc, 1
	.set _Z18lower_bound_kernelIfEvmPT_Pl.uses_flat_scratch, 0
	.set _Z18lower_bound_kernelIfEvmPT_Pl.has_dyn_sized_stack, 0
	.set _Z18lower_bound_kernelIfEvmPT_Pl.has_recursion, 0
	.set _Z18lower_bound_kernelIfEvmPT_Pl.has_indirect_call, 0
	.section	.AMDGPU.csdata,"",@progbits
; Kernel info:
; codeLenInByte = 2004
; TotalNumSgprs: 18
; NumVgprs: 3
; ScratchSize: 0
; MemoryBound: 0
; FloatMode: 240
; IeeeMode: 1
; LDSByteSize: 0 bytes/workgroup (compile time only)
; SGPRBlocks: 0
; VGPRBlocks: 0
; NumSGPRsForWavesPerEU: 18
; NumVGPRsForWavesPerEU: 3
; Occupancy: 16
; WaveLimiterHint : 0
; COMPUTE_PGM_RSRC2:SCRATCH_EN: 0
; COMPUTE_PGM_RSRC2:USER_SGPR: 6
; COMPUTE_PGM_RSRC2:TRAP_HANDLER: 0
; COMPUTE_PGM_RSRC2:TGID_X_EN: 1
; COMPUTE_PGM_RSRC2:TGID_Y_EN: 0
; COMPUTE_PGM_RSRC2:TGID_Z_EN: 0
; COMPUTE_PGM_RSRC2:TIDIG_COMP_CNT: 0
	.section	.text._ZN7rocprim17ROCPRIM_400000_NS6detail17trampoline_kernelINS0_14default_configENS1_27lower_bound_config_selectorIflEEZNS1_14transform_implILb0ES3_S5_N6thrust23THRUST_200600_302600_NS6detail15normal_iteratorINS8_7pointerIfNS8_11hip_rocprim5par_tENS8_11use_defaultESE_EEEENSA_INSB_IlSD_SE_SE_EEEEZNS1_13binary_searchIS3_S5_PfSG_SI_NS1_21lower_bound_search_opENS9_16wrapped_functionI11custom_lessbEEEE10hipError_tPvRmT1_T2_T3_mmT4_T5_P12ihipStream_tbEUlRKfE_EESP_ST_SU_mSV_SY_bEUlT_E_NS1_11comp_targetILNS1_3genE0ELNS1_11target_archE4294967295ELNS1_3gpuE0ELNS1_3repE0EEENS1_30default_config_static_selectorELNS0_4arch9wavefront6targetE0EEEvSS_,"axG",@progbits,_ZN7rocprim17ROCPRIM_400000_NS6detail17trampoline_kernelINS0_14default_configENS1_27lower_bound_config_selectorIflEEZNS1_14transform_implILb0ES3_S5_N6thrust23THRUST_200600_302600_NS6detail15normal_iteratorINS8_7pointerIfNS8_11hip_rocprim5par_tENS8_11use_defaultESE_EEEENSA_INSB_IlSD_SE_SE_EEEEZNS1_13binary_searchIS3_S5_PfSG_SI_NS1_21lower_bound_search_opENS9_16wrapped_functionI11custom_lessbEEEE10hipError_tPvRmT1_T2_T3_mmT4_T5_P12ihipStream_tbEUlRKfE_EESP_ST_SU_mSV_SY_bEUlT_E_NS1_11comp_targetILNS1_3genE0ELNS1_11target_archE4294967295ELNS1_3gpuE0ELNS1_3repE0EEENS1_30default_config_static_selectorELNS0_4arch9wavefront6targetE0EEEvSS_,comdat
	.protected	_ZN7rocprim17ROCPRIM_400000_NS6detail17trampoline_kernelINS0_14default_configENS1_27lower_bound_config_selectorIflEEZNS1_14transform_implILb0ES3_S5_N6thrust23THRUST_200600_302600_NS6detail15normal_iteratorINS8_7pointerIfNS8_11hip_rocprim5par_tENS8_11use_defaultESE_EEEENSA_INSB_IlSD_SE_SE_EEEEZNS1_13binary_searchIS3_S5_PfSG_SI_NS1_21lower_bound_search_opENS9_16wrapped_functionI11custom_lessbEEEE10hipError_tPvRmT1_T2_T3_mmT4_T5_P12ihipStream_tbEUlRKfE_EESP_ST_SU_mSV_SY_bEUlT_E_NS1_11comp_targetILNS1_3genE0ELNS1_11target_archE4294967295ELNS1_3gpuE0ELNS1_3repE0EEENS1_30default_config_static_selectorELNS0_4arch9wavefront6targetE0EEEvSS_ ; -- Begin function _ZN7rocprim17ROCPRIM_400000_NS6detail17trampoline_kernelINS0_14default_configENS1_27lower_bound_config_selectorIflEEZNS1_14transform_implILb0ES3_S5_N6thrust23THRUST_200600_302600_NS6detail15normal_iteratorINS8_7pointerIfNS8_11hip_rocprim5par_tENS8_11use_defaultESE_EEEENSA_INSB_IlSD_SE_SE_EEEEZNS1_13binary_searchIS3_S5_PfSG_SI_NS1_21lower_bound_search_opENS9_16wrapped_functionI11custom_lessbEEEE10hipError_tPvRmT1_T2_T3_mmT4_T5_P12ihipStream_tbEUlRKfE_EESP_ST_SU_mSV_SY_bEUlT_E_NS1_11comp_targetILNS1_3genE0ELNS1_11target_archE4294967295ELNS1_3gpuE0ELNS1_3repE0EEENS1_30default_config_static_selectorELNS0_4arch9wavefront6targetE0EEEvSS_
	.globl	_ZN7rocprim17ROCPRIM_400000_NS6detail17trampoline_kernelINS0_14default_configENS1_27lower_bound_config_selectorIflEEZNS1_14transform_implILb0ES3_S5_N6thrust23THRUST_200600_302600_NS6detail15normal_iteratorINS8_7pointerIfNS8_11hip_rocprim5par_tENS8_11use_defaultESE_EEEENSA_INSB_IlSD_SE_SE_EEEEZNS1_13binary_searchIS3_S5_PfSG_SI_NS1_21lower_bound_search_opENS9_16wrapped_functionI11custom_lessbEEEE10hipError_tPvRmT1_T2_T3_mmT4_T5_P12ihipStream_tbEUlRKfE_EESP_ST_SU_mSV_SY_bEUlT_E_NS1_11comp_targetILNS1_3genE0ELNS1_11target_archE4294967295ELNS1_3gpuE0ELNS1_3repE0EEENS1_30default_config_static_selectorELNS0_4arch9wavefront6targetE0EEEvSS_
	.p2align	8
	.type	_ZN7rocprim17ROCPRIM_400000_NS6detail17trampoline_kernelINS0_14default_configENS1_27lower_bound_config_selectorIflEEZNS1_14transform_implILb0ES3_S5_N6thrust23THRUST_200600_302600_NS6detail15normal_iteratorINS8_7pointerIfNS8_11hip_rocprim5par_tENS8_11use_defaultESE_EEEENSA_INSB_IlSD_SE_SE_EEEEZNS1_13binary_searchIS3_S5_PfSG_SI_NS1_21lower_bound_search_opENS9_16wrapped_functionI11custom_lessbEEEE10hipError_tPvRmT1_T2_T3_mmT4_T5_P12ihipStream_tbEUlRKfE_EESP_ST_SU_mSV_SY_bEUlT_E_NS1_11comp_targetILNS1_3genE0ELNS1_11target_archE4294967295ELNS1_3gpuE0ELNS1_3repE0EEENS1_30default_config_static_selectorELNS0_4arch9wavefront6targetE0EEEvSS_,@function
_ZN7rocprim17ROCPRIM_400000_NS6detail17trampoline_kernelINS0_14default_configENS1_27lower_bound_config_selectorIflEEZNS1_14transform_implILb0ES3_S5_N6thrust23THRUST_200600_302600_NS6detail15normal_iteratorINS8_7pointerIfNS8_11hip_rocprim5par_tENS8_11use_defaultESE_EEEENSA_INSB_IlSD_SE_SE_EEEEZNS1_13binary_searchIS3_S5_PfSG_SI_NS1_21lower_bound_search_opENS9_16wrapped_functionI11custom_lessbEEEE10hipError_tPvRmT1_T2_T3_mmT4_T5_P12ihipStream_tbEUlRKfE_EESP_ST_SU_mSV_SY_bEUlT_E_NS1_11comp_targetILNS1_3genE0ELNS1_11target_archE4294967295ELNS1_3gpuE0ELNS1_3repE0EEENS1_30default_config_static_selectorELNS0_4arch9wavefront6targetE0EEEvSS_: ; @_ZN7rocprim17ROCPRIM_400000_NS6detail17trampoline_kernelINS0_14default_configENS1_27lower_bound_config_selectorIflEEZNS1_14transform_implILb0ES3_S5_N6thrust23THRUST_200600_302600_NS6detail15normal_iteratorINS8_7pointerIfNS8_11hip_rocprim5par_tENS8_11use_defaultESE_EEEENSA_INSB_IlSD_SE_SE_EEEEZNS1_13binary_searchIS3_S5_PfSG_SI_NS1_21lower_bound_search_opENS9_16wrapped_functionI11custom_lessbEEEE10hipError_tPvRmT1_T2_T3_mmT4_T5_P12ihipStream_tbEUlRKfE_EESP_ST_SU_mSV_SY_bEUlT_E_NS1_11comp_targetILNS1_3genE0ELNS1_11target_archE4294967295ELNS1_3gpuE0ELNS1_3repE0EEENS1_30default_config_static_selectorELNS0_4arch9wavefront6targetE0EEEvSS_
; %bb.0:
	.section	.rodata,"a",@progbits
	.p2align	6, 0x0
	.amdhsa_kernel _ZN7rocprim17ROCPRIM_400000_NS6detail17trampoline_kernelINS0_14default_configENS1_27lower_bound_config_selectorIflEEZNS1_14transform_implILb0ES3_S5_N6thrust23THRUST_200600_302600_NS6detail15normal_iteratorINS8_7pointerIfNS8_11hip_rocprim5par_tENS8_11use_defaultESE_EEEENSA_INSB_IlSD_SE_SE_EEEEZNS1_13binary_searchIS3_S5_PfSG_SI_NS1_21lower_bound_search_opENS9_16wrapped_functionI11custom_lessbEEEE10hipError_tPvRmT1_T2_T3_mmT4_T5_P12ihipStream_tbEUlRKfE_EESP_ST_SU_mSV_SY_bEUlT_E_NS1_11comp_targetILNS1_3genE0ELNS1_11target_archE4294967295ELNS1_3gpuE0ELNS1_3repE0EEENS1_30default_config_static_selectorELNS0_4arch9wavefront6targetE0EEEvSS_
		.amdhsa_group_segment_fixed_size 0
		.amdhsa_private_segment_fixed_size 0
		.amdhsa_kernarg_size 56
		.amdhsa_user_sgpr_count 6
		.amdhsa_user_sgpr_private_segment_buffer 1
		.amdhsa_user_sgpr_dispatch_ptr 0
		.amdhsa_user_sgpr_queue_ptr 0
		.amdhsa_user_sgpr_kernarg_segment_ptr 1
		.amdhsa_user_sgpr_dispatch_id 0
		.amdhsa_user_sgpr_flat_scratch_init 0
		.amdhsa_user_sgpr_private_segment_size 0
		.amdhsa_wavefront_size32 1
		.amdhsa_uses_dynamic_stack 0
		.amdhsa_system_sgpr_private_segment_wavefront_offset 0
		.amdhsa_system_sgpr_workgroup_id_x 1
		.amdhsa_system_sgpr_workgroup_id_y 0
		.amdhsa_system_sgpr_workgroup_id_z 0
		.amdhsa_system_sgpr_workgroup_info 0
		.amdhsa_system_vgpr_workitem_id 0
		.amdhsa_next_free_vgpr 1
		.amdhsa_next_free_sgpr 1
		.amdhsa_reserve_vcc 0
		.amdhsa_reserve_flat_scratch 0
		.amdhsa_float_round_mode_32 0
		.amdhsa_float_round_mode_16_64 0
		.amdhsa_float_denorm_mode_32 3
		.amdhsa_float_denorm_mode_16_64 3
		.amdhsa_dx10_clamp 1
		.amdhsa_ieee_mode 1
		.amdhsa_fp16_overflow 0
		.amdhsa_workgroup_processor_mode 1
		.amdhsa_memory_ordered 1
		.amdhsa_forward_progress 1
		.amdhsa_shared_vgpr_count 0
		.amdhsa_exception_fp_ieee_invalid_op 0
		.amdhsa_exception_fp_denorm_src 0
		.amdhsa_exception_fp_ieee_div_zero 0
		.amdhsa_exception_fp_ieee_overflow 0
		.amdhsa_exception_fp_ieee_underflow 0
		.amdhsa_exception_fp_ieee_inexact 0
		.amdhsa_exception_int_div_zero 0
	.end_amdhsa_kernel
	.section	.text._ZN7rocprim17ROCPRIM_400000_NS6detail17trampoline_kernelINS0_14default_configENS1_27lower_bound_config_selectorIflEEZNS1_14transform_implILb0ES3_S5_N6thrust23THRUST_200600_302600_NS6detail15normal_iteratorINS8_7pointerIfNS8_11hip_rocprim5par_tENS8_11use_defaultESE_EEEENSA_INSB_IlSD_SE_SE_EEEEZNS1_13binary_searchIS3_S5_PfSG_SI_NS1_21lower_bound_search_opENS9_16wrapped_functionI11custom_lessbEEEE10hipError_tPvRmT1_T2_T3_mmT4_T5_P12ihipStream_tbEUlRKfE_EESP_ST_SU_mSV_SY_bEUlT_E_NS1_11comp_targetILNS1_3genE0ELNS1_11target_archE4294967295ELNS1_3gpuE0ELNS1_3repE0EEENS1_30default_config_static_selectorELNS0_4arch9wavefront6targetE0EEEvSS_,"axG",@progbits,_ZN7rocprim17ROCPRIM_400000_NS6detail17trampoline_kernelINS0_14default_configENS1_27lower_bound_config_selectorIflEEZNS1_14transform_implILb0ES3_S5_N6thrust23THRUST_200600_302600_NS6detail15normal_iteratorINS8_7pointerIfNS8_11hip_rocprim5par_tENS8_11use_defaultESE_EEEENSA_INSB_IlSD_SE_SE_EEEEZNS1_13binary_searchIS3_S5_PfSG_SI_NS1_21lower_bound_search_opENS9_16wrapped_functionI11custom_lessbEEEE10hipError_tPvRmT1_T2_T3_mmT4_T5_P12ihipStream_tbEUlRKfE_EESP_ST_SU_mSV_SY_bEUlT_E_NS1_11comp_targetILNS1_3genE0ELNS1_11target_archE4294967295ELNS1_3gpuE0ELNS1_3repE0EEENS1_30default_config_static_selectorELNS0_4arch9wavefront6targetE0EEEvSS_,comdat
.Lfunc_end24:
	.size	_ZN7rocprim17ROCPRIM_400000_NS6detail17trampoline_kernelINS0_14default_configENS1_27lower_bound_config_selectorIflEEZNS1_14transform_implILb0ES3_S5_N6thrust23THRUST_200600_302600_NS6detail15normal_iteratorINS8_7pointerIfNS8_11hip_rocprim5par_tENS8_11use_defaultESE_EEEENSA_INSB_IlSD_SE_SE_EEEEZNS1_13binary_searchIS3_S5_PfSG_SI_NS1_21lower_bound_search_opENS9_16wrapped_functionI11custom_lessbEEEE10hipError_tPvRmT1_T2_T3_mmT4_T5_P12ihipStream_tbEUlRKfE_EESP_ST_SU_mSV_SY_bEUlT_E_NS1_11comp_targetILNS1_3genE0ELNS1_11target_archE4294967295ELNS1_3gpuE0ELNS1_3repE0EEENS1_30default_config_static_selectorELNS0_4arch9wavefront6targetE0EEEvSS_, .Lfunc_end24-_ZN7rocprim17ROCPRIM_400000_NS6detail17trampoline_kernelINS0_14default_configENS1_27lower_bound_config_selectorIflEEZNS1_14transform_implILb0ES3_S5_N6thrust23THRUST_200600_302600_NS6detail15normal_iteratorINS8_7pointerIfNS8_11hip_rocprim5par_tENS8_11use_defaultESE_EEEENSA_INSB_IlSD_SE_SE_EEEEZNS1_13binary_searchIS3_S5_PfSG_SI_NS1_21lower_bound_search_opENS9_16wrapped_functionI11custom_lessbEEEE10hipError_tPvRmT1_T2_T3_mmT4_T5_P12ihipStream_tbEUlRKfE_EESP_ST_SU_mSV_SY_bEUlT_E_NS1_11comp_targetILNS1_3genE0ELNS1_11target_archE4294967295ELNS1_3gpuE0ELNS1_3repE0EEENS1_30default_config_static_selectorELNS0_4arch9wavefront6targetE0EEEvSS_
                                        ; -- End function
	.set _ZN7rocprim17ROCPRIM_400000_NS6detail17trampoline_kernelINS0_14default_configENS1_27lower_bound_config_selectorIflEEZNS1_14transform_implILb0ES3_S5_N6thrust23THRUST_200600_302600_NS6detail15normal_iteratorINS8_7pointerIfNS8_11hip_rocprim5par_tENS8_11use_defaultESE_EEEENSA_INSB_IlSD_SE_SE_EEEEZNS1_13binary_searchIS3_S5_PfSG_SI_NS1_21lower_bound_search_opENS9_16wrapped_functionI11custom_lessbEEEE10hipError_tPvRmT1_T2_T3_mmT4_T5_P12ihipStream_tbEUlRKfE_EESP_ST_SU_mSV_SY_bEUlT_E_NS1_11comp_targetILNS1_3genE0ELNS1_11target_archE4294967295ELNS1_3gpuE0ELNS1_3repE0EEENS1_30default_config_static_selectorELNS0_4arch9wavefront6targetE0EEEvSS_.num_vgpr, 0
	.set _ZN7rocprim17ROCPRIM_400000_NS6detail17trampoline_kernelINS0_14default_configENS1_27lower_bound_config_selectorIflEEZNS1_14transform_implILb0ES3_S5_N6thrust23THRUST_200600_302600_NS6detail15normal_iteratorINS8_7pointerIfNS8_11hip_rocprim5par_tENS8_11use_defaultESE_EEEENSA_INSB_IlSD_SE_SE_EEEEZNS1_13binary_searchIS3_S5_PfSG_SI_NS1_21lower_bound_search_opENS9_16wrapped_functionI11custom_lessbEEEE10hipError_tPvRmT1_T2_T3_mmT4_T5_P12ihipStream_tbEUlRKfE_EESP_ST_SU_mSV_SY_bEUlT_E_NS1_11comp_targetILNS1_3genE0ELNS1_11target_archE4294967295ELNS1_3gpuE0ELNS1_3repE0EEENS1_30default_config_static_selectorELNS0_4arch9wavefront6targetE0EEEvSS_.num_agpr, 0
	.set _ZN7rocprim17ROCPRIM_400000_NS6detail17trampoline_kernelINS0_14default_configENS1_27lower_bound_config_selectorIflEEZNS1_14transform_implILb0ES3_S5_N6thrust23THRUST_200600_302600_NS6detail15normal_iteratorINS8_7pointerIfNS8_11hip_rocprim5par_tENS8_11use_defaultESE_EEEENSA_INSB_IlSD_SE_SE_EEEEZNS1_13binary_searchIS3_S5_PfSG_SI_NS1_21lower_bound_search_opENS9_16wrapped_functionI11custom_lessbEEEE10hipError_tPvRmT1_T2_T3_mmT4_T5_P12ihipStream_tbEUlRKfE_EESP_ST_SU_mSV_SY_bEUlT_E_NS1_11comp_targetILNS1_3genE0ELNS1_11target_archE4294967295ELNS1_3gpuE0ELNS1_3repE0EEENS1_30default_config_static_selectorELNS0_4arch9wavefront6targetE0EEEvSS_.numbered_sgpr, 0
	.set _ZN7rocprim17ROCPRIM_400000_NS6detail17trampoline_kernelINS0_14default_configENS1_27lower_bound_config_selectorIflEEZNS1_14transform_implILb0ES3_S5_N6thrust23THRUST_200600_302600_NS6detail15normal_iteratorINS8_7pointerIfNS8_11hip_rocprim5par_tENS8_11use_defaultESE_EEEENSA_INSB_IlSD_SE_SE_EEEEZNS1_13binary_searchIS3_S5_PfSG_SI_NS1_21lower_bound_search_opENS9_16wrapped_functionI11custom_lessbEEEE10hipError_tPvRmT1_T2_T3_mmT4_T5_P12ihipStream_tbEUlRKfE_EESP_ST_SU_mSV_SY_bEUlT_E_NS1_11comp_targetILNS1_3genE0ELNS1_11target_archE4294967295ELNS1_3gpuE0ELNS1_3repE0EEENS1_30default_config_static_selectorELNS0_4arch9wavefront6targetE0EEEvSS_.num_named_barrier, 0
	.set _ZN7rocprim17ROCPRIM_400000_NS6detail17trampoline_kernelINS0_14default_configENS1_27lower_bound_config_selectorIflEEZNS1_14transform_implILb0ES3_S5_N6thrust23THRUST_200600_302600_NS6detail15normal_iteratorINS8_7pointerIfNS8_11hip_rocprim5par_tENS8_11use_defaultESE_EEEENSA_INSB_IlSD_SE_SE_EEEEZNS1_13binary_searchIS3_S5_PfSG_SI_NS1_21lower_bound_search_opENS9_16wrapped_functionI11custom_lessbEEEE10hipError_tPvRmT1_T2_T3_mmT4_T5_P12ihipStream_tbEUlRKfE_EESP_ST_SU_mSV_SY_bEUlT_E_NS1_11comp_targetILNS1_3genE0ELNS1_11target_archE4294967295ELNS1_3gpuE0ELNS1_3repE0EEENS1_30default_config_static_selectorELNS0_4arch9wavefront6targetE0EEEvSS_.private_seg_size, 0
	.set _ZN7rocprim17ROCPRIM_400000_NS6detail17trampoline_kernelINS0_14default_configENS1_27lower_bound_config_selectorIflEEZNS1_14transform_implILb0ES3_S5_N6thrust23THRUST_200600_302600_NS6detail15normal_iteratorINS8_7pointerIfNS8_11hip_rocprim5par_tENS8_11use_defaultESE_EEEENSA_INSB_IlSD_SE_SE_EEEEZNS1_13binary_searchIS3_S5_PfSG_SI_NS1_21lower_bound_search_opENS9_16wrapped_functionI11custom_lessbEEEE10hipError_tPvRmT1_T2_T3_mmT4_T5_P12ihipStream_tbEUlRKfE_EESP_ST_SU_mSV_SY_bEUlT_E_NS1_11comp_targetILNS1_3genE0ELNS1_11target_archE4294967295ELNS1_3gpuE0ELNS1_3repE0EEENS1_30default_config_static_selectorELNS0_4arch9wavefront6targetE0EEEvSS_.uses_vcc, 0
	.set _ZN7rocprim17ROCPRIM_400000_NS6detail17trampoline_kernelINS0_14default_configENS1_27lower_bound_config_selectorIflEEZNS1_14transform_implILb0ES3_S5_N6thrust23THRUST_200600_302600_NS6detail15normal_iteratorINS8_7pointerIfNS8_11hip_rocprim5par_tENS8_11use_defaultESE_EEEENSA_INSB_IlSD_SE_SE_EEEEZNS1_13binary_searchIS3_S5_PfSG_SI_NS1_21lower_bound_search_opENS9_16wrapped_functionI11custom_lessbEEEE10hipError_tPvRmT1_T2_T3_mmT4_T5_P12ihipStream_tbEUlRKfE_EESP_ST_SU_mSV_SY_bEUlT_E_NS1_11comp_targetILNS1_3genE0ELNS1_11target_archE4294967295ELNS1_3gpuE0ELNS1_3repE0EEENS1_30default_config_static_selectorELNS0_4arch9wavefront6targetE0EEEvSS_.uses_flat_scratch, 0
	.set _ZN7rocprim17ROCPRIM_400000_NS6detail17trampoline_kernelINS0_14default_configENS1_27lower_bound_config_selectorIflEEZNS1_14transform_implILb0ES3_S5_N6thrust23THRUST_200600_302600_NS6detail15normal_iteratorINS8_7pointerIfNS8_11hip_rocprim5par_tENS8_11use_defaultESE_EEEENSA_INSB_IlSD_SE_SE_EEEEZNS1_13binary_searchIS3_S5_PfSG_SI_NS1_21lower_bound_search_opENS9_16wrapped_functionI11custom_lessbEEEE10hipError_tPvRmT1_T2_T3_mmT4_T5_P12ihipStream_tbEUlRKfE_EESP_ST_SU_mSV_SY_bEUlT_E_NS1_11comp_targetILNS1_3genE0ELNS1_11target_archE4294967295ELNS1_3gpuE0ELNS1_3repE0EEENS1_30default_config_static_selectorELNS0_4arch9wavefront6targetE0EEEvSS_.has_dyn_sized_stack, 0
	.set _ZN7rocprim17ROCPRIM_400000_NS6detail17trampoline_kernelINS0_14default_configENS1_27lower_bound_config_selectorIflEEZNS1_14transform_implILb0ES3_S5_N6thrust23THRUST_200600_302600_NS6detail15normal_iteratorINS8_7pointerIfNS8_11hip_rocprim5par_tENS8_11use_defaultESE_EEEENSA_INSB_IlSD_SE_SE_EEEEZNS1_13binary_searchIS3_S5_PfSG_SI_NS1_21lower_bound_search_opENS9_16wrapped_functionI11custom_lessbEEEE10hipError_tPvRmT1_T2_T3_mmT4_T5_P12ihipStream_tbEUlRKfE_EESP_ST_SU_mSV_SY_bEUlT_E_NS1_11comp_targetILNS1_3genE0ELNS1_11target_archE4294967295ELNS1_3gpuE0ELNS1_3repE0EEENS1_30default_config_static_selectorELNS0_4arch9wavefront6targetE0EEEvSS_.has_recursion, 0
	.set _ZN7rocprim17ROCPRIM_400000_NS6detail17trampoline_kernelINS0_14default_configENS1_27lower_bound_config_selectorIflEEZNS1_14transform_implILb0ES3_S5_N6thrust23THRUST_200600_302600_NS6detail15normal_iteratorINS8_7pointerIfNS8_11hip_rocprim5par_tENS8_11use_defaultESE_EEEENSA_INSB_IlSD_SE_SE_EEEEZNS1_13binary_searchIS3_S5_PfSG_SI_NS1_21lower_bound_search_opENS9_16wrapped_functionI11custom_lessbEEEE10hipError_tPvRmT1_T2_T3_mmT4_T5_P12ihipStream_tbEUlRKfE_EESP_ST_SU_mSV_SY_bEUlT_E_NS1_11comp_targetILNS1_3genE0ELNS1_11target_archE4294967295ELNS1_3gpuE0ELNS1_3repE0EEENS1_30default_config_static_selectorELNS0_4arch9wavefront6targetE0EEEvSS_.has_indirect_call, 0
	.section	.AMDGPU.csdata,"",@progbits
; Kernel info:
; codeLenInByte = 0
; TotalNumSgprs: 0
; NumVgprs: 0
; ScratchSize: 0
; MemoryBound: 0
; FloatMode: 240
; IeeeMode: 1
; LDSByteSize: 0 bytes/workgroup (compile time only)
; SGPRBlocks: 0
; VGPRBlocks: 0
; NumSGPRsForWavesPerEU: 1
; NumVGPRsForWavesPerEU: 1
; Occupancy: 16
; WaveLimiterHint : 0
; COMPUTE_PGM_RSRC2:SCRATCH_EN: 0
; COMPUTE_PGM_RSRC2:USER_SGPR: 6
; COMPUTE_PGM_RSRC2:TRAP_HANDLER: 0
; COMPUTE_PGM_RSRC2:TGID_X_EN: 1
; COMPUTE_PGM_RSRC2:TGID_Y_EN: 0
; COMPUTE_PGM_RSRC2:TGID_Z_EN: 0
; COMPUTE_PGM_RSRC2:TIDIG_COMP_CNT: 0
	.section	.text._ZN7rocprim17ROCPRIM_400000_NS6detail17trampoline_kernelINS0_14default_configENS1_27lower_bound_config_selectorIflEEZNS1_14transform_implILb0ES3_S5_N6thrust23THRUST_200600_302600_NS6detail15normal_iteratorINS8_7pointerIfNS8_11hip_rocprim5par_tENS8_11use_defaultESE_EEEENSA_INSB_IlSD_SE_SE_EEEEZNS1_13binary_searchIS3_S5_PfSG_SI_NS1_21lower_bound_search_opENS9_16wrapped_functionI11custom_lessbEEEE10hipError_tPvRmT1_T2_T3_mmT4_T5_P12ihipStream_tbEUlRKfE_EESP_ST_SU_mSV_SY_bEUlT_E_NS1_11comp_targetILNS1_3genE5ELNS1_11target_archE942ELNS1_3gpuE9ELNS1_3repE0EEENS1_30default_config_static_selectorELNS0_4arch9wavefront6targetE0EEEvSS_,"axG",@progbits,_ZN7rocprim17ROCPRIM_400000_NS6detail17trampoline_kernelINS0_14default_configENS1_27lower_bound_config_selectorIflEEZNS1_14transform_implILb0ES3_S5_N6thrust23THRUST_200600_302600_NS6detail15normal_iteratorINS8_7pointerIfNS8_11hip_rocprim5par_tENS8_11use_defaultESE_EEEENSA_INSB_IlSD_SE_SE_EEEEZNS1_13binary_searchIS3_S5_PfSG_SI_NS1_21lower_bound_search_opENS9_16wrapped_functionI11custom_lessbEEEE10hipError_tPvRmT1_T2_T3_mmT4_T5_P12ihipStream_tbEUlRKfE_EESP_ST_SU_mSV_SY_bEUlT_E_NS1_11comp_targetILNS1_3genE5ELNS1_11target_archE942ELNS1_3gpuE9ELNS1_3repE0EEENS1_30default_config_static_selectorELNS0_4arch9wavefront6targetE0EEEvSS_,comdat
	.protected	_ZN7rocprim17ROCPRIM_400000_NS6detail17trampoline_kernelINS0_14default_configENS1_27lower_bound_config_selectorIflEEZNS1_14transform_implILb0ES3_S5_N6thrust23THRUST_200600_302600_NS6detail15normal_iteratorINS8_7pointerIfNS8_11hip_rocprim5par_tENS8_11use_defaultESE_EEEENSA_INSB_IlSD_SE_SE_EEEEZNS1_13binary_searchIS3_S5_PfSG_SI_NS1_21lower_bound_search_opENS9_16wrapped_functionI11custom_lessbEEEE10hipError_tPvRmT1_T2_T3_mmT4_T5_P12ihipStream_tbEUlRKfE_EESP_ST_SU_mSV_SY_bEUlT_E_NS1_11comp_targetILNS1_3genE5ELNS1_11target_archE942ELNS1_3gpuE9ELNS1_3repE0EEENS1_30default_config_static_selectorELNS0_4arch9wavefront6targetE0EEEvSS_ ; -- Begin function _ZN7rocprim17ROCPRIM_400000_NS6detail17trampoline_kernelINS0_14default_configENS1_27lower_bound_config_selectorIflEEZNS1_14transform_implILb0ES3_S5_N6thrust23THRUST_200600_302600_NS6detail15normal_iteratorINS8_7pointerIfNS8_11hip_rocprim5par_tENS8_11use_defaultESE_EEEENSA_INSB_IlSD_SE_SE_EEEEZNS1_13binary_searchIS3_S5_PfSG_SI_NS1_21lower_bound_search_opENS9_16wrapped_functionI11custom_lessbEEEE10hipError_tPvRmT1_T2_T3_mmT4_T5_P12ihipStream_tbEUlRKfE_EESP_ST_SU_mSV_SY_bEUlT_E_NS1_11comp_targetILNS1_3genE5ELNS1_11target_archE942ELNS1_3gpuE9ELNS1_3repE0EEENS1_30default_config_static_selectorELNS0_4arch9wavefront6targetE0EEEvSS_
	.globl	_ZN7rocprim17ROCPRIM_400000_NS6detail17trampoline_kernelINS0_14default_configENS1_27lower_bound_config_selectorIflEEZNS1_14transform_implILb0ES3_S5_N6thrust23THRUST_200600_302600_NS6detail15normal_iteratorINS8_7pointerIfNS8_11hip_rocprim5par_tENS8_11use_defaultESE_EEEENSA_INSB_IlSD_SE_SE_EEEEZNS1_13binary_searchIS3_S5_PfSG_SI_NS1_21lower_bound_search_opENS9_16wrapped_functionI11custom_lessbEEEE10hipError_tPvRmT1_T2_T3_mmT4_T5_P12ihipStream_tbEUlRKfE_EESP_ST_SU_mSV_SY_bEUlT_E_NS1_11comp_targetILNS1_3genE5ELNS1_11target_archE942ELNS1_3gpuE9ELNS1_3repE0EEENS1_30default_config_static_selectorELNS0_4arch9wavefront6targetE0EEEvSS_
	.p2align	8
	.type	_ZN7rocprim17ROCPRIM_400000_NS6detail17trampoline_kernelINS0_14default_configENS1_27lower_bound_config_selectorIflEEZNS1_14transform_implILb0ES3_S5_N6thrust23THRUST_200600_302600_NS6detail15normal_iteratorINS8_7pointerIfNS8_11hip_rocprim5par_tENS8_11use_defaultESE_EEEENSA_INSB_IlSD_SE_SE_EEEEZNS1_13binary_searchIS3_S5_PfSG_SI_NS1_21lower_bound_search_opENS9_16wrapped_functionI11custom_lessbEEEE10hipError_tPvRmT1_T2_T3_mmT4_T5_P12ihipStream_tbEUlRKfE_EESP_ST_SU_mSV_SY_bEUlT_E_NS1_11comp_targetILNS1_3genE5ELNS1_11target_archE942ELNS1_3gpuE9ELNS1_3repE0EEENS1_30default_config_static_selectorELNS0_4arch9wavefront6targetE0EEEvSS_,@function
_ZN7rocprim17ROCPRIM_400000_NS6detail17trampoline_kernelINS0_14default_configENS1_27lower_bound_config_selectorIflEEZNS1_14transform_implILb0ES3_S5_N6thrust23THRUST_200600_302600_NS6detail15normal_iteratorINS8_7pointerIfNS8_11hip_rocprim5par_tENS8_11use_defaultESE_EEEENSA_INSB_IlSD_SE_SE_EEEEZNS1_13binary_searchIS3_S5_PfSG_SI_NS1_21lower_bound_search_opENS9_16wrapped_functionI11custom_lessbEEEE10hipError_tPvRmT1_T2_T3_mmT4_T5_P12ihipStream_tbEUlRKfE_EESP_ST_SU_mSV_SY_bEUlT_E_NS1_11comp_targetILNS1_3genE5ELNS1_11target_archE942ELNS1_3gpuE9ELNS1_3repE0EEENS1_30default_config_static_selectorELNS0_4arch9wavefront6targetE0EEEvSS_: ; @_ZN7rocprim17ROCPRIM_400000_NS6detail17trampoline_kernelINS0_14default_configENS1_27lower_bound_config_selectorIflEEZNS1_14transform_implILb0ES3_S5_N6thrust23THRUST_200600_302600_NS6detail15normal_iteratorINS8_7pointerIfNS8_11hip_rocprim5par_tENS8_11use_defaultESE_EEEENSA_INSB_IlSD_SE_SE_EEEEZNS1_13binary_searchIS3_S5_PfSG_SI_NS1_21lower_bound_search_opENS9_16wrapped_functionI11custom_lessbEEEE10hipError_tPvRmT1_T2_T3_mmT4_T5_P12ihipStream_tbEUlRKfE_EESP_ST_SU_mSV_SY_bEUlT_E_NS1_11comp_targetILNS1_3genE5ELNS1_11target_archE942ELNS1_3gpuE9ELNS1_3repE0EEENS1_30default_config_static_selectorELNS0_4arch9wavefront6targetE0EEEvSS_
; %bb.0:
	.section	.rodata,"a",@progbits
	.p2align	6, 0x0
	.amdhsa_kernel _ZN7rocprim17ROCPRIM_400000_NS6detail17trampoline_kernelINS0_14default_configENS1_27lower_bound_config_selectorIflEEZNS1_14transform_implILb0ES3_S5_N6thrust23THRUST_200600_302600_NS6detail15normal_iteratorINS8_7pointerIfNS8_11hip_rocprim5par_tENS8_11use_defaultESE_EEEENSA_INSB_IlSD_SE_SE_EEEEZNS1_13binary_searchIS3_S5_PfSG_SI_NS1_21lower_bound_search_opENS9_16wrapped_functionI11custom_lessbEEEE10hipError_tPvRmT1_T2_T3_mmT4_T5_P12ihipStream_tbEUlRKfE_EESP_ST_SU_mSV_SY_bEUlT_E_NS1_11comp_targetILNS1_3genE5ELNS1_11target_archE942ELNS1_3gpuE9ELNS1_3repE0EEENS1_30default_config_static_selectorELNS0_4arch9wavefront6targetE0EEEvSS_
		.amdhsa_group_segment_fixed_size 0
		.amdhsa_private_segment_fixed_size 0
		.amdhsa_kernarg_size 56
		.amdhsa_user_sgpr_count 6
		.amdhsa_user_sgpr_private_segment_buffer 1
		.amdhsa_user_sgpr_dispatch_ptr 0
		.amdhsa_user_sgpr_queue_ptr 0
		.amdhsa_user_sgpr_kernarg_segment_ptr 1
		.amdhsa_user_sgpr_dispatch_id 0
		.amdhsa_user_sgpr_flat_scratch_init 0
		.amdhsa_user_sgpr_private_segment_size 0
		.amdhsa_wavefront_size32 1
		.amdhsa_uses_dynamic_stack 0
		.amdhsa_system_sgpr_private_segment_wavefront_offset 0
		.amdhsa_system_sgpr_workgroup_id_x 1
		.amdhsa_system_sgpr_workgroup_id_y 0
		.amdhsa_system_sgpr_workgroup_id_z 0
		.amdhsa_system_sgpr_workgroup_info 0
		.amdhsa_system_vgpr_workitem_id 0
		.amdhsa_next_free_vgpr 1
		.amdhsa_next_free_sgpr 1
		.amdhsa_reserve_vcc 0
		.amdhsa_reserve_flat_scratch 0
		.amdhsa_float_round_mode_32 0
		.amdhsa_float_round_mode_16_64 0
		.amdhsa_float_denorm_mode_32 3
		.amdhsa_float_denorm_mode_16_64 3
		.amdhsa_dx10_clamp 1
		.amdhsa_ieee_mode 1
		.amdhsa_fp16_overflow 0
		.amdhsa_workgroup_processor_mode 1
		.amdhsa_memory_ordered 1
		.amdhsa_forward_progress 1
		.amdhsa_shared_vgpr_count 0
		.amdhsa_exception_fp_ieee_invalid_op 0
		.amdhsa_exception_fp_denorm_src 0
		.amdhsa_exception_fp_ieee_div_zero 0
		.amdhsa_exception_fp_ieee_overflow 0
		.amdhsa_exception_fp_ieee_underflow 0
		.amdhsa_exception_fp_ieee_inexact 0
		.amdhsa_exception_int_div_zero 0
	.end_amdhsa_kernel
	.section	.text._ZN7rocprim17ROCPRIM_400000_NS6detail17trampoline_kernelINS0_14default_configENS1_27lower_bound_config_selectorIflEEZNS1_14transform_implILb0ES3_S5_N6thrust23THRUST_200600_302600_NS6detail15normal_iteratorINS8_7pointerIfNS8_11hip_rocprim5par_tENS8_11use_defaultESE_EEEENSA_INSB_IlSD_SE_SE_EEEEZNS1_13binary_searchIS3_S5_PfSG_SI_NS1_21lower_bound_search_opENS9_16wrapped_functionI11custom_lessbEEEE10hipError_tPvRmT1_T2_T3_mmT4_T5_P12ihipStream_tbEUlRKfE_EESP_ST_SU_mSV_SY_bEUlT_E_NS1_11comp_targetILNS1_3genE5ELNS1_11target_archE942ELNS1_3gpuE9ELNS1_3repE0EEENS1_30default_config_static_selectorELNS0_4arch9wavefront6targetE0EEEvSS_,"axG",@progbits,_ZN7rocprim17ROCPRIM_400000_NS6detail17trampoline_kernelINS0_14default_configENS1_27lower_bound_config_selectorIflEEZNS1_14transform_implILb0ES3_S5_N6thrust23THRUST_200600_302600_NS6detail15normal_iteratorINS8_7pointerIfNS8_11hip_rocprim5par_tENS8_11use_defaultESE_EEEENSA_INSB_IlSD_SE_SE_EEEEZNS1_13binary_searchIS3_S5_PfSG_SI_NS1_21lower_bound_search_opENS9_16wrapped_functionI11custom_lessbEEEE10hipError_tPvRmT1_T2_T3_mmT4_T5_P12ihipStream_tbEUlRKfE_EESP_ST_SU_mSV_SY_bEUlT_E_NS1_11comp_targetILNS1_3genE5ELNS1_11target_archE942ELNS1_3gpuE9ELNS1_3repE0EEENS1_30default_config_static_selectorELNS0_4arch9wavefront6targetE0EEEvSS_,comdat
.Lfunc_end25:
	.size	_ZN7rocprim17ROCPRIM_400000_NS6detail17trampoline_kernelINS0_14default_configENS1_27lower_bound_config_selectorIflEEZNS1_14transform_implILb0ES3_S5_N6thrust23THRUST_200600_302600_NS6detail15normal_iteratorINS8_7pointerIfNS8_11hip_rocprim5par_tENS8_11use_defaultESE_EEEENSA_INSB_IlSD_SE_SE_EEEEZNS1_13binary_searchIS3_S5_PfSG_SI_NS1_21lower_bound_search_opENS9_16wrapped_functionI11custom_lessbEEEE10hipError_tPvRmT1_T2_T3_mmT4_T5_P12ihipStream_tbEUlRKfE_EESP_ST_SU_mSV_SY_bEUlT_E_NS1_11comp_targetILNS1_3genE5ELNS1_11target_archE942ELNS1_3gpuE9ELNS1_3repE0EEENS1_30default_config_static_selectorELNS0_4arch9wavefront6targetE0EEEvSS_, .Lfunc_end25-_ZN7rocprim17ROCPRIM_400000_NS6detail17trampoline_kernelINS0_14default_configENS1_27lower_bound_config_selectorIflEEZNS1_14transform_implILb0ES3_S5_N6thrust23THRUST_200600_302600_NS6detail15normal_iteratorINS8_7pointerIfNS8_11hip_rocprim5par_tENS8_11use_defaultESE_EEEENSA_INSB_IlSD_SE_SE_EEEEZNS1_13binary_searchIS3_S5_PfSG_SI_NS1_21lower_bound_search_opENS9_16wrapped_functionI11custom_lessbEEEE10hipError_tPvRmT1_T2_T3_mmT4_T5_P12ihipStream_tbEUlRKfE_EESP_ST_SU_mSV_SY_bEUlT_E_NS1_11comp_targetILNS1_3genE5ELNS1_11target_archE942ELNS1_3gpuE9ELNS1_3repE0EEENS1_30default_config_static_selectorELNS0_4arch9wavefront6targetE0EEEvSS_
                                        ; -- End function
	.set _ZN7rocprim17ROCPRIM_400000_NS6detail17trampoline_kernelINS0_14default_configENS1_27lower_bound_config_selectorIflEEZNS1_14transform_implILb0ES3_S5_N6thrust23THRUST_200600_302600_NS6detail15normal_iteratorINS8_7pointerIfNS8_11hip_rocprim5par_tENS8_11use_defaultESE_EEEENSA_INSB_IlSD_SE_SE_EEEEZNS1_13binary_searchIS3_S5_PfSG_SI_NS1_21lower_bound_search_opENS9_16wrapped_functionI11custom_lessbEEEE10hipError_tPvRmT1_T2_T3_mmT4_T5_P12ihipStream_tbEUlRKfE_EESP_ST_SU_mSV_SY_bEUlT_E_NS1_11comp_targetILNS1_3genE5ELNS1_11target_archE942ELNS1_3gpuE9ELNS1_3repE0EEENS1_30default_config_static_selectorELNS0_4arch9wavefront6targetE0EEEvSS_.num_vgpr, 0
	.set _ZN7rocprim17ROCPRIM_400000_NS6detail17trampoline_kernelINS0_14default_configENS1_27lower_bound_config_selectorIflEEZNS1_14transform_implILb0ES3_S5_N6thrust23THRUST_200600_302600_NS6detail15normal_iteratorINS8_7pointerIfNS8_11hip_rocprim5par_tENS8_11use_defaultESE_EEEENSA_INSB_IlSD_SE_SE_EEEEZNS1_13binary_searchIS3_S5_PfSG_SI_NS1_21lower_bound_search_opENS9_16wrapped_functionI11custom_lessbEEEE10hipError_tPvRmT1_T2_T3_mmT4_T5_P12ihipStream_tbEUlRKfE_EESP_ST_SU_mSV_SY_bEUlT_E_NS1_11comp_targetILNS1_3genE5ELNS1_11target_archE942ELNS1_3gpuE9ELNS1_3repE0EEENS1_30default_config_static_selectorELNS0_4arch9wavefront6targetE0EEEvSS_.num_agpr, 0
	.set _ZN7rocprim17ROCPRIM_400000_NS6detail17trampoline_kernelINS0_14default_configENS1_27lower_bound_config_selectorIflEEZNS1_14transform_implILb0ES3_S5_N6thrust23THRUST_200600_302600_NS6detail15normal_iteratorINS8_7pointerIfNS8_11hip_rocprim5par_tENS8_11use_defaultESE_EEEENSA_INSB_IlSD_SE_SE_EEEEZNS1_13binary_searchIS3_S5_PfSG_SI_NS1_21lower_bound_search_opENS9_16wrapped_functionI11custom_lessbEEEE10hipError_tPvRmT1_T2_T3_mmT4_T5_P12ihipStream_tbEUlRKfE_EESP_ST_SU_mSV_SY_bEUlT_E_NS1_11comp_targetILNS1_3genE5ELNS1_11target_archE942ELNS1_3gpuE9ELNS1_3repE0EEENS1_30default_config_static_selectorELNS0_4arch9wavefront6targetE0EEEvSS_.numbered_sgpr, 0
	.set _ZN7rocprim17ROCPRIM_400000_NS6detail17trampoline_kernelINS0_14default_configENS1_27lower_bound_config_selectorIflEEZNS1_14transform_implILb0ES3_S5_N6thrust23THRUST_200600_302600_NS6detail15normal_iteratorINS8_7pointerIfNS8_11hip_rocprim5par_tENS8_11use_defaultESE_EEEENSA_INSB_IlSD_SE_SE_EEEEZNS1_13binary_searchIS3_S5_PfSG_SI_NS1_21lower_bound_search_opENS9_16wrapped_functionI11custom_lessbEEEE10hipError_tPvRmT1_T2_T3_mmT4_T5_P12ihipStream_tbEUlRKfE_EESP_ST_SU_mSV_SY_bEUlT_E_NS1_11comp_targetILNS1_3genE5ELNS1_11target_archE942ELNS1_3gpuE9ELNS1_3repE0EEENS1_30default_config_static_selectorELNS0_4arch9wavefront6targetE0EEEvSS_.num_named_barrier, 0
	.set _ZN7rocprim17ROCPRIM_400000_NS6detail17trampoline_kernelINS0_14default_configENS1_27lower_bound_config_selectorIflEEZNS1_14transform_implILb0ES3_S5_N6thrust23THRUST_200600_302600_NS6detail15normal_iteratorINS8_7pointerIfNS8_11hip_rocprim5par_tENS8_11use_defaultESE_EEEENSA_INSB_IlSD_SE_SE_EEEEZNS1_13binary_searchIS3_S5_PfSG_SI_NS1_21lower_bound_search_opENS9_16wrapped_functionI11custom_lessbEEEE10hipError_tPvRmT1_T2_T3_mmT4_T5_P12ihipStream_tbEUlRKfE_EESP_ST_SU_mSV_SY_bEUlT_E_NS1_11comp_targetILNS1_3genE5ELNS1_11target_archE942ELNS1_3gpuE9ELNS1_3repE0EEENS1_30default_config_static_selectorELNS0_4arch9wavefront6targetE0EEEvSS_.private_seg_size, 0
	.set _ZN7rocprim17ROCPRIM_400000_NS6detail17trampoline_kernelINS0_14default_configENS1_27lower_bound_config_selectorIflEEZNS1_14transform_implILb0ES3_S5_N6thrust23THRUST_200600_302600_NS6detail15normal_iteratorINS8_7pointerIfNS8_11hip_rocprim5par_tENS8_11use_defaultESE_EEEENSA_INSB_IlSD_SE_SE_EEEEZNS1_13binary_searchIS3_S5_PfSG_SI_NS1_21lower_bound_search_opENS9_16wrapped_functionI11custom_lessbEEEE10hipError_tPvRmT1_T2_T3_mmT4_T5_P12ihipStream_tbEUlRKfE_EESP_ST_SU_mSV_SY_bEUlT_E_NS1_11comp_targetILNS1_3genE5ELNS1_11target_archE942ELNS1_3gpuE9ELNS1_3repE0EEENS1_30default_config_static_selectorELNS0_4arch9wavefront6targetE0EEEvSS_.uses_vcc, 0
	.set _ZN7rocprim17ROCPRIM_400000_NS6detail17trampoline_kernelINS0_14default_configENS1_27lower_bound_config_selectorIflEEZNS1_14transform_implILb0ES3_S5_N6thrust23THRUST_200600_302600_NS6detail15normal_iteratorINS8_7pointerIfNS8_11hip_rocprim5par_tENS8_11use_defaultESE_EEEENSA_INSB_IlSD_SE_SE_EEEEZNS1_13binary_searchIS3_S5_PfSG_SI_NS1_21lower_bound_search_opENS9_16wrapped_functionI11custom_lessbEEEE10hipError_tPvRmT1_T2_T3_mmT4_T5_P12ihipStream_tbEUlRKfE_EESP_ST_SU_mSV_SY_bEUlT_E_NS1_11comp_targetILNS1_3genE5ELNS1_11target_archE942ELNS1_3gpuE9ELNS1_3repE0EEENS1_30default_config_static_selectorELNS0_4arch9wavefront6targetE0EEEvSS_.uses_flat_scratch, 0
	.set _ZN7rocprim17ROCPRIM_400000_NS6detail17trampoline_kernelINS0_14default_configENS1_27lower_bound_config_selectorIflEEZNS1_14transform_implILb0ES3_S5_N6thrust23THRUST_200600_302600_NS6detail15normal_iteratorINS8_7pointerIfNS8_11hip_rocprim5par_tENS8_11use_defaultESE_EEEENSA_INSB_IlSD_SE_SE_EEEEZNS1_13binary_searchIS3_S5_PfSG_SI_NS1_21lower_bound_search_opENS9_16wrapped_functionI11custom_lessbEEEE10hipError_tPvRmT1_T2_T3_mmT4_T5_P12ihipStream_tbEUlRKfE_EESP_ST_SU_mSV_SY_bEUlT_E_NS1_11comp_targetILNS1_3genE5ELNS1_11target_archE942ELNS1_3gpuE9ELNS1_3repE0EEENS1_30default_config_static_selectorELNS0_4arch9wavefront6targetE0EEEvSS_.has_dyn_sized_stack, 0
	.set _ZN7rocprim17ROCPRIM_400000_NS6detail17trampoline_kernelINS0_14default_configENS1_27lower_bound_config_selectorIflEEZNS1_14transform_implILb0ES3_S5_N6thrust23THRUST_200600_302600_NS6detail15normal_iteratorINS8_7pointerIfNS8_11hip_rocprim5par_tENS8_11use_defaultESE_EEEENSA_INSB_IlSD_SE_SE_EEEEZNS1_13binary_searchIS3_S5_PfSG_SI_NS1_21lower_bound_search_opENS9_16wrapped_functionI11custom_lessbEEEE10hipError_tPvRmT1_T2_T3_mmT4_T5_P12ihipStream_tbEUlRKfE_EESP_ST_SU_mSV_SY_bEUlT_E_NS1_11comp_targetILNS1_3genE5ELNS1_11target_archE942ELNS1_3gpuE9ELNS1_3repE0EEENS1_30default_config_static_selectorELNS0_4arch9wavefront6targetE0EEEvSS_.has_recursion, 0
	.set _ZN7rocprim17ROCPRIM_400000_NS6detail17trampoline_kernelINS0_14default_configENS1_27lower_bound_config_selectorIflEEZNS1_14transform_implILb0ES3_S5_N6thrust23THRUST_200600_302600_NS6detail15normal_iteratorINS8_7pointerIfNS8_11hip_rocprim5par_tENS8_11use_defaultESE_EEEENSA_INSB_IlSD_SE_SE_EEEEZNS1_13binary_searchIS3_S5_PfSG_SI_NS1_21lower_bound_search_opENS9_16wrapped_functionI11custom_lessbEEEE10hipError_tPvRmT1_T2_T3_mmT4_T5_P12ihipStream_tbEUlRKfE_EESP_ST_SU_mSV_SY_bEUlT_E_NS1_11comp_targetILNS1_3genE5ELNS1_11target_archE942ELNS1_3gpuE9ELNS1_3repE0EEENS1_30default_config_static_selectorELNS0_4arch9wavefront6targetE0EEEvSS_.has_indirect_call, 0
	.section	.AMDGPU.csdata,"",@progbits
; Kernel info:
; codeLenInByte = 0
; TotalNumSgprs: 0
; NumVgprs: 0
; ScratchSize: 0
; MemoryBound: 0
; FloatMode: 240
; IeeeMode: 1
; LDSByteSize: 0 bytes/workgroup (compile time only)
; SGPRBlocks: 0
; VGPRBlocks: 0
; NumSGPRsForWavesPerEU: 1
; NumVGPRsForWavesPerEU: 1
; Occupancy: 16
; WaveLimiterHint : 0
; COMPUTE_PGM_RSRC2:SCRATCH_EN: 0
; COMPUTE_PGM_RSRC2:USER_SGPR: 6
; COMPUTE_PGM_RSRC2:TRAP_HANDLER: 0
; COMPUTE_PGM_RSRC2:TGID_X_EN: 1
; COMPUTE_PGM_RSRC2:TGID_Y_EN: 0
; COMPUTE_PGM_RSRC2:TGID_Z_EN: 0
; COMPUTE_PGM_RSRC2:TIDIG_COMP_CNT: 0
	.section	.text._ZN7rocprim17ROCPRIM_400000_NS6detail17trampoline_kernelINS0_14default_configENS1_27lower_bound_config_selectorIflEEZNS1_14transform_implILb0ES3_S5_N6thrust23THRUST_200600_302600_NS6detail15normal_iteratorINS8_7pointerIfNS8_11hip_rocprim5par_tENS8_11use_defaultESE_EEEENSA_INSB_IlSD_SE_SE_EEEEZNS1_13binary_searchIS3_S5_PfSG_SI_NS1_21lower_bound_search_opENS9_16wrapped_functionI11custom_lessbEEEE10hipError_tPvRmT1_T2_T3_mmT4_T5_P12ihipStream_tbEUlRKfE_EESP_ST_SU_mSV_SY_bEUlT_E_NS1_11comp_targetILNS1_3genE4ELNS1_11target_archE910ELNS1_3gpuE8ELNS1_3repE0EEENS1_30default_config_static_selectorELNS0_4arch9wavefront6targetE0EEEvSS_,"axG",@progbits,_ZN7rocprim17ROCPRIM_400000_NS6detail17trampoline_kernelINS0_14default_configENS1_27lower_bound_config_selectorIflEEZNS1_14transform_implILb0ES3_S5_N6thrust23THRUST_200600_302600_NS6detail15normal_iteratorINS8_7pointerIfNS8_11hip_rocprim5par_tENS8_11use_defaultESE_EEEENSA_INSB_IlSD_SE_SE_EEEEZNS1_13binary_searchIS3_S5_PfSG_SI_NS1_21lower_bound_search_opENS9_16wrapped_functionI11custom_lessbEEEE10hipError_tPvRmT1_T2_T3_mmT4_T5_P12ihipStream_tbEUlRKfE_EESP_ST_SU_mSV_SY_bEUlT_E_NS1_11comp_targetILNS1_3genE4ELNS1_11target_archE910ELNS1_3gpuE8ELNS1_3repE0EEENS1_30default_config_static_selectorELNS0_4arch9wavefront6targetE0EEEvSS_,comdat
	.protected	_ZN7rocprim17ROCPRIM_400000_NS6detail17trampoline_kernelINS0_14default_configENS1_27lower_bound_config_selectorIflEEZNS1_14transform_implILb0ES3_S5_N6thrust23THRUST_200600_302600_NS6detail15normal_iteratorINS8_7pointerIfNS8_11hip_rocprim5par_tENS8_11use_defaultESE_EEEENSA_INSB_IlSD_SE_SE_EEEEZNS1_13binary_searchIS3_S5_PfSG_SI_NS1_21lower_bound_search_opENS9_16wrapped_functionI11custom_lessbEEEE10hipError_tPvRmT1_T2_T3_mmT4_T5_P12ihipStream_tbEUlRKfE_EESP_ST_SU_mSV_SY_bEUlT_E_NS1_11comp_targetILNS1_3genE4ELNS1_11target_archE910ELNS1_3gpuE8ELNS1_3repE0EEENS1_30default_config_static_selectorELNS0_4arch9wavefront6targetE0EEEvSS_ ; -- Begin function _ZN7rocprim17ROCPRIM_400000_NS6detail17trampoline_kernelINS0_14default_configENS1_27lower_bound_config_selectorIflEEZNS1_14transform_implILb0ES3_S5_N6thrust23THRUST_200600_302600_NS6detail15normal_iteratorINS8_7pointerIfNS8_11hip_rocprim5par_tENS8_11use_defaultESE_EEEENSA_INSB_IlSD_SE_SE_EEEEZNS1_13binary_searchIS3_S5_PfSG_SI_NS1_21lower_bound_search_opENS9_16wrapped_functionI11custom_lessbEEEE10hipError_tPvRmT1_T2_T3_mmT4_T5_P12ihipStream_tbEUlRKfE_EESP_ST_SU_mSV_SY_bEUlT_E_NS1_11comp_targetILNS1_3genE4ELNS1_11target_archE910ELNS1_3gpuE8ELNS1_3repE0EEENS1_30default_config_static_selectorELNS0_4arch9wavefront6targetE0EEEvSS_
	.globl	_ZN7rocprim17ROCPRIM_400000_NS6detail17trampoline_kernelINS0_14default_configENS1_27lower_bound_config_selectorIflEEZNS1_14transform_implILb0ES3_S5_N6thrust23THRUST_200600_302600_NS6detail15normal_iteratorINS8_7pointerIfNS8_11hip_rocprim5par_tENS8_11use_defaultESE_EEEENSA_INSB_IlSD_SE_SE_EEEEZNS1_13binary_searchIS3_S5_PfSG_SI_NS1_21lower_bound_search_opENS9_16wrapped_functionI11custom_lessbEEEE10hipError_tPvRmT1_T2_T3_mmT4_T5_P12ihipStream_tbEUlRKfE_EESP_ST_SU_mSV_SY_bEUlT_E_NS1_11comp_targetILNS1_3genE4ELNS1_11target_archE910ELNS1_3gpuE8ELNS1_3repE0EEENS1_30default_config_static_selectorELNS0_4arch9wavefront6targetE0EEEvSS_
	.p2align	8
	.type	_ZN7rocprim17ROCPRIM_400000_NS6detail17trampoline_kernelINS0_14default_configENS1_27lower_bound_config_selectorIflEEZNS1_14transform_implILb0ES3_S5_N6thrust23THRUST_200600_302600_NS6detail15normal_iteratorINS8_7pointerIfNS8_11hip_rocprim5par_tENS8_11use_defaultESE_EEEENSA_INSB_IlSD_SE_SE_EEEEZNS1_13binary_searchIS3_S5_PfSG_SI_NS1_21lower_bound_search_opENS9_16wrapped_functionI11custom_lessbEEEE10hipError_tPvRmT1_T2_T3_mmT4_T5_P12ihipStream_tbEUlRKfE_EESP_ST_SU_mSV_SY_bEUlT_E_NS1_11comp_targetILNS1_3genE4ELNS1_11target_archE910ELNS1_3gpuE8ELNS1_3repE0EEENS1_30default_config_static_selectorELNS0_4arch9wavefront6targetE0EEEvSS_,@function
_ZN7rocprim17ROCPRIM_400000_NS6detail17trampoline_kernelINS0_14default_configENS1_27lower_bound_config_selectorIflEEZNS1_14transform_implILb0ES3_S5_N6thrust23THRUST_200600_302600_NS6detail15normal_iteratorINS8_7pointerIfNS8_11hip_rocprim5par_tENS8_11use_defaultESE_EEEENSA_INSB_IlSD_SE_SE_EEEEZNS1_13binary_searchIS3_S5_PfSG_SI_NS1_21lower_bound_search_opENS9_16wrapped_functionI11custom_lessbEEEE10hipError_tPvRmT1_T2_T3_mmT4_T5_P12ihipStream_tbEUlRKfE_EESP_ST_SU_mSV_SY_bEUlT_E_NS1_11comp_targetILNS1_3genE4ELNS1_11target_archE910ELNS1_3gpuE8ELNS1_3repE0EEENS1_30default_config_static_selectorELNS0_4arch9wavefront6targetE0EEEvSS_: ; @_ZN7rocprim17ROCPRIM_400000_NS6detail17trampoline_kernelINS0_14default_configENS1_27lower_bound_config_selectorIflEEZNS1_14transform_implILb0ES3_S5_N6thrust23THRUST_200600_302600_NS6detail15normal_iteratorINS8_7pointerIfNS8_11hip_rocprim5par_tENS8_11use_defaultESE_EEEENSA_INSB_IlSD_SE_SE_EEEEZNS1_13binary_searchIS3_S5_PfSG_SI_NS1_21lower_bound_search_opENS9_16wrapped_functionI11custom_lessbEEEE10hipError_tPvRmT1_T2_T3_mmT4_T5_P12ihipStream_tbEUlRKfE_EESP_ST_SU_mSV_SY_bEUlT_E_NS1_11comp_targetILNS1_3genE4ELNS1_11target_archE910ELNS1_3gpuE8ELNS1_3repE0EEENS1_30default_config_static_selectorELNS0_4arch9wavefront6targetE0EEEvSS_
; %bb.0:
	.section	.rodata,"a",@progbits
	.p2align	6, 0x0
	.amdhsa_kernel _ZN7rocprim17ROCPRIM_400000_NS6detail17trampoline_kernelINS0_14default_configENS1_27lower_bound_config_selectorIflEEZNS1_14transform_implILb0ES3_S5_N6thrust23THRUST_200600_302600_NS6detail15normal_iteratorINS8_7pointerIfNS8_11hip_rocprim5par_tENS8_11use_defaultESE_EEEENSA_INSB_IlSD_SE_SE_EEEEZNS1_13binary_searchIS3_S5_PfSG_SI_NS1_21lower_bound_search_opENS9_16wrapped_functionI11custom_lessbEEEE10hipError_tPvRmT1_T2_T3_mmT4_T5_P12ihipStream_tbEUlRKfE_EESP_ST_SU_mSV_SY_bEUlT_E_NS1_11comp_targetILNS1_3genE4ELNS1_11target_archE910ELNS1_3gpuE8ELNS1_3repE0EEENS1_30default_config_static_selectorELNS0_4arch9wavefront6targetE0EEEvSS_
		.amdhsa_group_segment_fixed_size 0
		.amdhsa_private_segment_fixed_size 0
		.amdhsa_kernarg_size 56
		.amdhsa_user_sgpr_count 6
		.amdhsa_user_sgpr_private_segment_buffer 1
		.amdhsa_user_sgpr_dispatch_ptr 0
		.amdhsa_user_sgpr_queue_ptr 0
		.amdhsa_user_sgpr_kernarg_segment_ptr 1
		.amdhsa_user_sgpr_dispatch_id 0
		.amdhsa_user_sgpr_flat_scratch_init 0
		.amdhsa_user_sgpr_private_segment_size 0
		.amdhsa_wavefront_size32 1
		.amdhsa_uses_dynamic_stack 0
		.amdhsa_system_sgpr_private_segment_wavefront_offset 0
		.amdhsa_system_sgpr_workgroup_id_x 1
		.amdhsa_system_sgpr_workgroup_id_y 0
		.amdhsa_system_sgpr_workgroup_id_z 0
		.amdhsa_system_sgpr_workgroup_info 0
		.amdhsa_system_vgpr_workitem_id 0
		.amdhsa_next_free_vgpr 1
		.amdhsa_next_free_sgpr 1
		.amdhsa_reserve_vcc 0
		.amdhsa_reserve_flat_scratch 0
		.amdhsa_float_round_mode_32 0
		.amdhsa_float_round_mode_16_64 0
		.amdhsa_float_denorm_mode_32 3
		.amdhsa_float_denorm_mode_16_64 3
		.amdhsa_dx10_clamp 1
		.amdhsa_ieee_mode 1
		.amdhsa_fp16_overflow 0
		.amdhsa_workgroup_processor_mode 1
		.amdhsa_memory_ordered 1
		.amdhsa_forward_progress 1
		.amdhsa_shared_vgpr_count 0
		.amdhsa_exception_fp_ieee_invalid_op 0
		.amdhsa_exception_fp_denorm_src 0
		.amdhsa_exception_fp_ieee_div_zero 0
		.amdhsa_exception_fp_ieee_overflow 0
		.amdhsa_exception_fp_ieee_underflow 0
		.amdhsa_exception_fp_ieee_inexact 0
		.amdhsa_exception_int_div_zero 0
	.end_amdhsa_kernel
	.section	.text._ZN7rocprim17ROCPRIM_400000_NS6detail17trampoline_kernelINS0_14default_configENS1_27lower_bound_config_selectorIflEEZNS1_14transform_implILb0ES3_S5_N6thrust23THRUST_200600_302600_NS6detail15normal_iteratorINS8_7pointerIfNS8_11hip_rocprim5par_tENS8_11use_defaultESE_EEEENSA_INSB_IlSD_SE_SE_EEEEZNS1_13binary_searchIS3_S5_PfSG_SI_NS1_21lower_bound_search_opENS9_16wrapped_functionI11custom_lessbEEEE10hipError_tPvRmT1_T2_T3_mmT4_T5_P12ihipStream_tbEUlRKfE_EESP_ST_SU_mSV_SY_bEUlT_E_NS1_11comp_targetILNS1_3genE4ELNS1_11target_archE910ELNS1_3gpuE8ELNS1_3repE0EEENS1_30default_config_static_selectorELNS0_4arch9wavefront6targetE0EEEvSS_,"axG",@progbits,_ZN7rocprim17ROCPRIM_400000_NS6detail17trampoline_kernelINS0_14default_configENS1_27lower_bound_config_selectorIflEEZNS1_14transform_implILb0ES3_S5_N6thrust23THRUST_200600_302600_NS6detail15normal_iteratorINS8_7pointerIfNS8_11hip_rocprim5par_tENS8_11use_defaultESE_EEEENSA_INSB_IlSD_SE_SE_EEEEZNS1_13binary_searchIS3_S5_PfSG_SI_NS1_21lower_bound_search_opENS9_16wrapped_functionI11custom_lessbEEEE10hipError_tPvRmT1_T2_T3_mmT4_T5_P12ihipStream_tbEUlRKfE_EESP_ST_SU_mSV_SY_bEUlT_E_NS1_11comp_targetILNS1_3genE4ELNS1_11target_archE910ELNS1_3gpuE8ELNS1_3repE0EEENS1_30default_config_static_selectorELNS0_4arch9wavefront6targetE0EEEvSS_,comdat
.Lfunc_end26:
	.size	_ZN7rocprim17ROCPRIM_400000_NS6detail17trampoline_kernelINS0_14default_configENS1_27lower_bound_config_selectorIflEEZNS1_14transform_implILb0ES3_S5_N6thrust23THRUST_200600_302600_NS6detail15normal_iteratorINS8_7pointerIfNS8_11hip_rocprim5par_tENS8_11use_defaultESE_EEEENSA_INSB_IlSD_SE_SE_EEEEZNS1_13binary_searchIS3_S5_PfSG_SI_NS1_21lower_bound_search_opENS9_16wrapped_functionI11custom_lessbEEEE10hipError_tPvRmT1_T2_T3_mmT4_T5_P12ihipStream_tbEUlRKfE_EESP_ST_SU_mSV_SY_bEUlT_E_NS1_11comp_targetILNS1_3genE4ELNS1_11target_archE910ELNS1_3gpuE8ELNS1_3repE0EEENS1_30default_config_static_selectorELNS0_4arch9wavefront6targetE0EEEvSS_, .Lfunc_end26-_ZN7rocprim17ROCPRIM_400000_NS6detail17trampoline_kernelINS0_14default_configENS1_27lower_bound_config_selectorIflEEZNS1_14transform_implILb0ES3_S5_N6thrust23THRUST_200600_302600_NS6detail15normal_iteratorINS8_7pointerIfNS8_11hip_rocprim5par_tENS8_11use_defaultESE_EEEENSA_INSB_IlSD_SE_SE_EEEEZNS1_13binary_searchIS3_S5_PfSG_SI_NS1_21lower_bound_search_opENS9_16wrapped_functionI11custom_lessbEEEE10hipError_tPvRmT1_T2_T3_mmT4_T5_P12ihipStream_tbEUlRKfE_EESP_ST_SU_mSV_SY_bEUlT_E_NS1_11comp_targetILNS1_3genE4ELNS1_11target_archE910ELNS1_3gpuE8ELNS1_3repE0EEENS1_30default_config_static_selectorELNS0_4arch9wavefront6targetE0EEEvSS_
                                        ; -- End function
	.set _ZN7rocprim17ROCPRIM_400000_NS6detail17trampoline_kernelINS0_14default_configENS1_27lower_bound_config_selectorIflEEZNS1_14transform_implILb0ES3_S5_N6thrust23THRUST_200600_302600_NS6detail15normal_iteratorINS8_7pointerIfNS8_11hip_rocprim5par_tENS8_11use_defaultESE_EEEENSA_INSB_IlSD_SE_SE_EEEEZNS1_13binary_searchIS3_S5_PfSG_SI_NS1_21lower_bound_search_opENS9_16wrapped_functionI11custom_lessbEEEE10hipError_tPvRmT1_T2_T3_mmT4_T5_P12ihipStream_tbEUlRKfE_EESP_ST_SU_mSV_SY_bEUlT_E_NS1_11comp_targetILNS1_3genE4ELNS1_11target_archE910ELNS1_3gpuE8ELNS1_3repE0EEENS1_30default_config_static_selectorELNS0_4arch9wavefront6targetE0EEEvSS_.num_vgpr, 0
	.set _ZN7rocprim17ROCPRIM_400000_NS6detail17trampoline_kernelINS0_14default_configENS1_27lower_bound_config_selectorIflEEZNS1_14transform_implILb0ES3_S5_N6thrust23THRUST_200600_302600_NS6detail15normal_iteratorINS8_7pointerIfNS8_11hip_rocprim5par_tENS8_11use_defaultESE_EEEENSA_INSB_IlSD_SE_SE_EEEEZNS1_13binary_searchIS3_S5_PfSG_SI_NS1_21lower_bound_search_opENS9_16wrapped_functionI11custom_lessbEEEE10hipError_tPvRmT1_T2_T3_mmT4_T5_P12ihipStream_tbEUlRKfE_EESP_ST_SU_mSV_SY_bEUlT_E_NS1_11comp_targetILNS1_3genE4ELNS1_11target_archE910ELNS1_3gpuE8ELNS1_3repE0EEENS1_30default_config_static_selectorELNS0_4arch9wavefront6targetE0EEEvSS_.num_agpr, 0
	.set _ZN7rocprim17ROCPRIM_400000_NS6detail17trampoline_kernelINS0_14default_configENS1_27lower_bound_config_selectorIflEEZNS1_14transform_implILb0ES3_S5_N6thrust23THRUST_200600_302600_NS6detail15normal_iteratorINS8_7pointerIfNS8_11hip_rocprim5par_tENS8_11use_defaultESE_EEEENSA_INSB_IlSD_SE_SE_EEEEZNS1_13binary_searchIS3_S5_PfSG_SI_NS1_21lower_bound_search_opENS9_16wrapped_functionI11custom_lessbEEEE10hipError_tPvRmT1_T2_T3_mmT4_T5_P12ihipStream_tbEUlRKfE_EESP_ST_SU_mSV_SY_bEUlT_E_NS1_11comp_targetILNS1_3genE4ELNS1_11target_archE910ELNS1_3gpuE8ELNS1_3repE0EEENS1_30default_config_static_selectorELNS0_4arch9wavefront6targetE0EEEvSS_.numbered_sgpr, 0
	.set _ZN7rocprim17ROCPRIM_400000_NS6detail17trampoline_kernelINS0_14default_configENS1_27lower_bound_config_selectorIflEEZNS1_14transform_implILb0ES3_S5_N6thrust23THRUST_200600_302600_NS6detail15normal_iteratorINS8_7pointerIfNS8_11hip_rocprim5par_tENS8_11use_defaultESE_EEEENSA_INSB_IlSD_SE_SE_EEEEZNS1_13binary_searchIS3_S5_PfSG_SI_NS1_21lower_bound_search_opENS9_16wrapped_functionI11custom_lessbEEEE10hipError_tPvRmT1_T2_T3_mmT4_T5_P12ihipStream_tbEUlRKfE_EESP_ST_SU_mSV_SY_bEUlT_E_NS1_11comp_targetILNS1_3genE4ELNS1_11target_archE910ELNS1_3gpuE8ELNS1_3repE0EEENS1_30default_config_static_selectorELNS0_4arch9wavefront6targetE0EEEvSS_.num_named_barrier, 0
	.set _ZN7rocprim17ROCPRIM_400000_NS6detail17trampoline_kernelINS0_14default_configENS1_27lower_bound_config_selectorIflEEZNS1_14transform_implILb0ES3_S5_N6thrust23THRUST_200600_302600_NS6detail15normal_iteratorINS8_7pointerIfNS8_11hip_rocprim5par_tENS8_11use_defaultESE_EEEENSA_INSB_IlSD_SE_SE_EEEEZNS1_13binary_searchIS3_S5_PfSG_SI_NS1_21lower_bound_search_opENS9_16wrapped_functionI11custom_lessbEEEE10hipError_tPvRmT1_T2_T3_mmT4_T5_P12ihipStream_tbEUlRKfE_EESP_ST_SU_mSV_SY_bEUlT_E_NS1_11comp_targetILNS1_3genE4ELNS1_11target_archE910ELNS1_3gpuE8ELNS1_3repE0EEENS1_30default_config_static_selectorELNS0_4arch9wavefront6targetE0EEEvSS_.private_seg_size, 0
	.set _ZN7rocprim17ROCPRIM_400000_NS6detail17trampoline_kernelINS0_14default_configENS1_27lower_bound_config_selectorIflEEZNS1_14transform_implILb0ES3_S5_N6thrust23THRUST_200600_302600_NS6detail15normal_iteratorINS8_7pointerIfNS8_11hip_rocprim5par_tENS8_11use_defaultESE_EEEENSA_INSB_IlSD_SE_SE_EEEEZNS1_13binary_searchIS3_S5_PfSG_SI_NS1_21lower_bound_search_opENS9_16wrapped_functionI11custom_lessbEEEE10hipError_tPvRmT1_T2_T3_mmT4_T5_P12ihipStream_tbEUlRKfE_EESP_ST_SU_mSV_SY_bEUlT_E_NS1_11comp_targetILNS1_3genE4ELNS1_11target_archE910ELNS1_3gpuE8ELNS1_3repE0EEENS1_30default_config_static_selectorELNS0_4arch9wavefront6targetE0EEEvSS_.uses_vcc, 0
	.set _ZN7rocprim17ROCPRIM_400000_NS6detail17trampoline_kernelINS0_14default_configENS1_27lower_bound_config_selectorIflEEZNS1_14transform_implILb0ES3_S5_N6thrust23THRUST_200600_302600_NS6detail15normal_iteratorINS8_7pointerIfNS8_11hip_rocprim5par_tENS8_11use_defaultESE_EEEENSA_INSB_IlSD_SE_SE_EEEEZNS1_13binary_searchIS3_S5_PfSG_SI_NS1_21lower_bound_search_opENS9_16wrapped_functionI11custom_lessbEEEE10hipError_tPvRmT1_T2_T3_mmT4_T5_P12ihipStream_tbEUlRKfE_EESP_ST_SU_mSV_SY_bEUlT_E_NS1_11comp_targetILNS1_3genE4ELNS1_11target_archE910ELNS1_3gpuE8ELNS1_3repE0EEENS1_30default_config_static_selectorELNS0_4arch9wavefront6targetE0EEEvSS_.uses_flat_scratch, 0
	.set _ZN7rocprim17ROCPRIM_400000_NS6detail17trampoline_kernelINS0_14default_configENS1_27lower_bound_config_selectorIflEEZNS1_14transform_implILb0ES3_S5_N6thrust23THRUST_200600_302600_NS6detail15normal_iteratorINS8_7pointerIfNS8_11hip_rocprim5par_tENS8_11use_defaultESE_EEEENSA_INSB_IlSD_SE_SE_EEEEZNS1_13binary_searchIS3_S5_PfSG_SI_NS1_21lower_bound_search_opENS9_16wrapped_functionI11custom_lessbEEEE10hipError_tPvRmT1_T2_T3_mmT4_T5_P12ihipStream_tbEUlRKfE_EESP_ST_SU_mSV_SY_bEUlT_E_NS1_11comp_targetILNS1_3genE4ELNS1_11target_archE910ELNS1_3gpuE8ELNS1_3repE0EEENS1_30default_config_static_selectorELNS0_4arch9wavefront6targetE0EEEvSS_.has_dyn_sized_stack, 0
	.set _ZN7rocprim17ROCPRIM_400000_NS6detail17trampoline_kernelINS0_14default_configENS1_27lower_bound_config_selectorIflEEZNS1_14transform_implILb0ES3_S5_N6thrust23THRUST_200600_302600_NS6detail15normal_iteratorINS8_7pointerIfNS8_11hip_rocprim5par_tENS8_11use_defaultESE_EEEENSA_INSB_IlSD_SE_SE_EEEEZNS1_13binary_searchIS3_S5_PfSG_SI_NS1_21lower_bound_search_opENS9_16wrapped_functionI11custom_lessbEEEE10hipError_tPvRmT1_T2_T3_mmT4_T5_P12ihipStream_tbEUlRKfE_EESP_ST_SU_mSV_SY_bEUlT_E_NS1_11comp_targetILNS1_3genE4ELNS1_11target_archE910ELNS1_3gpuE8ELNS1_3repE0EEENS1_30default_config_static_selectorELNS0_4arch9wavefront6targetE0EEEvSS_.has_recursion, 0
	.set _ZN7rocprim17ROCPRIM_400000_NS6detail17trampoline_kernelINS0_14default_configENS1_27lower_bound_config_selectorIflEEZNS1_14transform_implILb0ES3_S5_N6thrust23THRUST_200600_302600_NS6detail15normal_iteratorINS8_7pointerIfNS8_11hip_rocprim5par_tENS8_11use_defaultESE_EEEENSA_INSB_IlSD_SE_SE_EEEEZNS1_13binary_searchIS3_S5_PfSG_SI_NS1_21lower_bound_search_opENS9_16wrapped_functionI11custom_lessbEEEE10hipError_tPvRmT1_T2_T3_mmT4_T5_P12ihipStream_tbEUlRKfE_EESP_ST_SU_mSV_SY_bEUlT_E_NS1_11comp_targetILNS1_3genE4ELNS1_11target_archE910ELNS1_3gpuE8ELNS1_3repE0EEENS1_30default_config_static_selectorELNS0_4arch9wavefront6targetE0EEEvSS_.has_indirect_call, 0
	.section	.AMDGPU.csdata,"",@progbits
; Kernel info:
; codeLenInByte = 0
; TotalNumSgprs: 0
; NumVgprs: 0
; ScratchSize: 0
; MemoryBound: 0
; FloatMode: 240
; IeeeMode: 1
; LDSByteSize: 0 bytes/workgroup (compile time only)
; SGPRBlocks: 0
; VGPRBlocks: 0
; NumSGPRsForWavesPerEU: 1
; NumVGPRsForWavesPerEU: 1
; Occupancy: 16
; WaveLimiterHint : 0
; COMPUTE_PGM_RSRC2:SCRATCH_EN: 0
; COMPUTE_PGM_RSRC2:USER_SGPR: 6
; COMPUTE_PGM_RSRC2:TRAP_HANDLER: 0
; COMPUTE_PGM_RSRC2:TGID_X_EN: 1
; COMPUTE_PGM_RSRC2:TGID_Y_EN: 0
; COMPUTE_PGM_RSRC2:TGID_Z_EN: 0
; COMPUTE_PGM_RSRC2:TIDIG_COMP_CNT: 0
	.section	.text._ZN7rocprim17ROCPRIM_400000_NS6detail17trampoline_kernelINS0_14default_configENS1_27lower_bound_config_selectorIflEEZNS1_14transform_implILb0ES3_S5_N6thrust23THRUST_200600_302600_NS6detail15normal_iteratorINS8_7pointerIfNS8_11hip_rocprim5par_tENS8_11use_defaultESE_EEEENSA_INSB_IlSD_SE_SE_EEEEZNS1_13binary_searchIS3_S5_PfSG_SI_NS1_21lower_bound_search_opENS9_16wrapped_functionI11custom_lessbEEEE10hipError_tPvRmT1_T2_T3_mmT4_T5_P12ihipStream_tbEUlRKfE_EESP_ST_SU_mSV_SY_bEUlT_E_NS1_11comp_targetILNS1_3genE3ELNS1_11target_archE908ELNS1_3gpuE7ELNS1_3repE0EEENS1_30default_config_static_selectorELNS0_4arch9wavefront6targetE0EEEvSS_,"axG",@progbits,_ZN7rocprim17ROCPRIM_400000_NS6detail17trampoline_kernelINS0_14default_configENS1_27lower_bound_config_selectorIflEEZNS1_14transform_implILb0ES3_S5_N6thrust23THRUST_200600_302600_NS6detail15normal_iteratorINS8_7pointerIfNS8_11hip_rocprim5par_tENS8_11use_defaultESE_EEEENSA_INSB_IlSD_SE_SE_EEEEZNS1_13binary_searchIS3_S5_PfSG_SI_NS1_21lower_bound_search_opENS9_16wrapped_functionI11custom_lessbEEEE10hipError_tPvRmT1_T2_T3_mmT4_T5_P12ihipStream_tbEUlRKfE_EESP_ST_SU_mSV_SY_bEUlT_E_NS1_11comp_targetILNS1_3genE3ELNS1_11target_archE908ELNS1_3gpuE7ELNS1_3repE0EEENS1_30default_config_static_selectorELNS0_4arch9wavefront6targetE0EEEvSS_,comdat
	.protected	_ZN7rocprim17ROCPRIM_400000_NS6detail17trampoline_kernelINS0_14default_configENS1_27lower_bound_config_selectorIflEEZNS1_14transform_implILb0ES3_S5_N6thrust23THRUST_200600_302600_NS6detail15normal_iteratorINS8_7pointerIfNS8_11hip_rocprim5par_tENS8_11use_defaultESE_EEEENSA_INSB_IlSD_SE_SE_EEEEZNS1_13binary_searchIS3_S5_PfSG_SI_NS1_21lower_bound_search_opENS9_16wrapped_functionI11custom_lessbEEEE10hipError_tPvRmT1_T2_T3_mmT4_T5_P12ihipStream_tbEUlRKfE_EESP_ST_SU_mSV_SY_bEUlT_E_NS1_11comp_targetILNS1_3genE3ELNS1_11target_archE908ELNS1_3gpuE7ELNS1_3repE0EEENS1_30default_config_static_selectorELNS0_4arch9wavefront6targetE0EEEvSS_ ; -- Begin function _ZN7rocprim17ROCPRIM_400000_NS6detail17trampoline_kernelINS0_14default_configENS1_27lower_bound_config_selectorIflEEZNS1_14transform_implILb0ES3_S5_N6thrust23THRUST_200600_302600_NS6detail15normal_iteratorINS8_7pointerIfNS8_11hip_rocprim5par_tENS8_11use_defaultESE_EEEENSA_INSB_IlSD_SE_SE_EEEEZNS1_13binary_searchIS3_S5_PfSG_SI_NS1_21lower_bound_search_opENS9_16wrapped_functionI11custom_lessbEEEE10hipError_tPvRmT1_T2_T3_mmT4_T5_P12ihipStream_tbEUlRKfE_EESP_ST_SU_mSV_SY_bEUlT_E_NS1_11comp_targetILNS1_3genE3ELNS1_11target_archE908ELNS1_3gpuE7ELNS1_3repE0EEENS1_30default_config_static_selectorELNS0_4arch9wavefront6targetE0EEEvSS_
	.globl	_ZN7rocprim17ROCPRIM_400000_NS6detail17trampoline_kernelINS0_14default_configENS1_27lower_bound_config_selectorIflEEZNS1_14transform_implILb0ES3_S5_N6thrust23THRUST_200600_302600_NS6detail15normal_iteratorINS8_7pointerIfNS8_11hip_rocprim5par_tENS8_11use_defaultESE_EEEENSA_INSB_IlSD_SE_SE_EEEEZNS1_13binary_searchIS3_S5_PfSG_SI_NS1_21lower_bound_search_opENS9_16wrapped_functionI11custom_lessbEEEE10hipError_tPvRmT1_T2_T3_mmT4_T5_P12ihipStream_tbEUlRKfE_EESP_ST_SU_mSV_SY_bEUlT_E_NS1_11comp_targetILNS1_3genE3ELNS1_11target_archE908ELNS1_3gpuE7ELNS1_3repE0EEENS1_30default_config_static_selectorELNS0_4arch9wavefront6targetE0EEEvSS_
	.p2align	8
	.type	_ZN7rocprim17ROCPRIM_400000_NS6detail17trampoline_kernelINS0_14default_configENS1_27lower_bound_config_selectorIflEEZNS1_14transform_implILb0ES3_S5_N6thrust23THRUST_200600_302600_NS6detail15normal_iteratorINS8_7pointerIfNS8_11hip_rocprim5par_tENS8_11use_defaultESE_EEEENSA_INSB_IlSD_SE_SE_EEEEZNS1_13binary_searchIS3_S5_PfSG_SI_NS1_21lower_bound_search_opENS9_16wrapped_functionI11custom_lessbEEEE10hipError_tPvRmT1_T2_T3_mmT4_T5_P12ihipStream_tbEUlRKfE_EESP_ST_SU_mSV_SY_bEUlT_E_NS1_11comp_targetILNS1_3genE3ELNS1_11target_archE908ELNS1_3gpuE7ELNS1_3repE0EEENS1_30default_config_static_selectorELNS0_4arch9wavefront6targetE0EEEvSS_,@function
_ZN7rocprim17ROCPRIM_400000_NS6detail17trampoline_kernelINS0_14default_configENS1_27lower_bound_config_selectorIflEEZNS1_14transform_implILb0ES3_S5_N6thrust23THRUST_200600_302600_NS6detail15normal_iteratorINS8_7pointerIfNS8_11hip_rocprim5par_tENS8_11use_defaultESE_EEEENSA_INSB_IlSD_SE_SE_EEEEZNS1_13binary_searchIS3_S5_PfSG_SI_NS1_21lower_bound_search_opENS9_16wrapped_functionI11custom_lessbEEEE10hipError_tPvRmT1_T2_T3_mmT4_T5_P12ihipStream_tbEUlRKfE_EESP_ST_SU_mSV_SY_bEUlT_E_NS1_11comp_targetILNS1_3genE3ELNS1_11target_archE908ELNS1_3gpuE7ELNS1_3repE0EEENS1_30default_config_static_selectorELNS0_4arch9wavefront6targetE0EEEvSS_: ; @_ZN7rocprim17ROCPRIM_400000_NS6detail17trampoline_kernelINS0_14default_configENS1_27lower_bound_config_selectorIflEEZNS1_14transform_implILb0ES3_S5_N6thrust23THRUST_200600_302600_NS6detail15normal_iteratorINS8_7pointerIfNS8_11hip_rocprim5par_tENS8_11use_defaultESE_EEEENSA_INSB_IlSD_SE_SE_EEEEZNS1_13binary_searchIS3_S5_PfSG_SI_NS1_21lower_bound_search_opENS9_16wrapped_functionI11custom_lessbEEEE10hipError_tPvRmT1_T2_T3_mmT4_T5_P12ihipStream_tbEUlRKfE_EESP_ST_SU_mSV_SY_bEUlT_E_NS1_11comp_targetILNS1_3genE3ELNS1_11target_archE908ELNS1_3gpuE7ELNS1_3repE0EEENS1_30default_config_static_selectorELNS0_4arch9wavefront6targetE0EEEvSS_
; %bb.0:
	.section	.rodata,"a",@progbits
	.p2align	6, 0x0
	.amdhsa_kernel _ZN7rocprim17ROCPRIM_400000_NS6detail17trampoline_kernelINS0_14default_configENS1_27lower_bound_config_selectorIflEEZNS1_14transform_implILb0ES3_S5_N6thrust23THRUST_200600_302600_NS6detail15normal_iteratorINS8_7pointerIfNS8_11hip_rocprim5par_tENS8_11use_defaultESE_EEEENSA_INSB_IlSD_SE_SE_EEEEZNS1_13binary_searchIS3_S5_PfSG_SI_NS1_21lower_bound_search_opENS9_16wrapped_functionI11custom_lessbEEEE10hipError_tPvRmT1_T2_T3_mmT4_T5_P12ihipStream_tbEUlRKfE_EESP_ST_SU_mSV_SY_bEUlT_E_NS1_11comp_targetILNS1_3genE3ELNS1_11target_archE908ELNS1_3gpuE7ELNS1_3repE0EEENS1_30default_config_static_selectorELNS0_4arch9wavefront6targetE0EEEvSS_
		.amdhsa_group_segment_fixed_size 0
		.amdhsa_private_segment_fixed_size 0
		.amdhsa_kernarg_size 56
		.amdhsa_user_sgpr_count 6
		.amdhsa_user_sgpr_private_segment_buffer 1
		.amdhsa_user_sgpr_dispatch_ptr 0
		.amdhsa_user_sgpr_queue_ptr 0
		.amdhsa_user_sgpr_kernarg_segment_ptr 1
		.amdhsa_user_sgpr_dispatch_id 0
		.amdhsa_user_sgpr_flat_scratch_init 0
		.amdhsa_user_sgpr_private_segment_size 0
		.amdhsa_wavefront_size32 1
		.amdhsa_uses_dynamic_stack 0
		.amdhsa_system_sgpr_private_segment_wavefront_offset 0
		.amdhsa_system_sgpr_workgroup_id_x 1
		.amdhsa_system_sgpr_workgroup_id_y 0
		.amdhsa_system_sgpr_workgroup_id_z 0
		.amdhsa_system_sgpr_workgroup_info 0
		.amdhsa_system_vgpr_workitem_id 0
		.amdhsa_next_free_vgpr 1
		.amdhsa_next_free_sgpr 1
		.amdhsa_reserve_vcc 0
		.amdhsa_reserve_flat_scratch 0
		.amdhsa_float_round_mode_32 0
		.amdhsa_float_round_mode_16_64 0
		.amdhsa_float_denorm_mode_32 3
		.amdhsa_float_denorm_mode_16_64 3
		.amdhsa_dx10_clamp 1
		.amdhsa_ieee_mode 1
		.amdhsa_fp16_overflow 0
		.amdhsa_workgroup_processor_mode 1
		.amdhsa_memory_ordered 1
		.amdhsa_forward_progress 1
		.amdhsa_shared_vgpr_count 0
		.amdhsa_exception_fp_ieee_invalid_op 0
		.amdhsa_exception_fp_denorm_src 0
		.amdhsa_exception_fp_ieee_div_zero 0
		.amdhsa_exception_fp_ieee_overflow 0
		.amdhsa_exception_fp_ieee_underflow 0
		.amdhsa_exception_fp_ieee_inexact 0
		.amdhsa_exception_int_div_zero 0
	.end_amdhsa_kernel
	.section	.text._ZN7rocprim17ROCPRIM_400000_NS6detail17trampoline_kernelINS0_14default_configENS1_27lower_bound_config_selectorIflEEZNS1_14transform_implILb0ES3_S5_N6thrust23THRUST_200600_302600_NS6detail15normal_iteratorINS8_7pointerIfNS8_11hip_rocprim5par_tENS8_11use_defaultESE_EEEENSA_INSB_IlSD_SE_SE_EEEEZNS1_13binary_searchIS3_S5_PfSG_SI_NS1_21lower_bound_search_opENS9_16wrapped_functionI11custom_lessbEEEE10hipError_tPvRmT1_T2_T3_mmT4_T5_P12ihipStream_tbEUlRKfE_EESP_ST_SU_mSV_SY_bEUlT_E_NS1_11comp_targetILNS1_3genE3ELNS1_11target_archE908ELNS1_3gpuE7ELNS1_3repE0EEENS1_30default_config_static_selectorELNS0_4arch9wavefront6targetE0EEEvSS_,"axG",@progbits,_ZN7rocprim17ROCPRIM_400000_NS6detail17trampoline_kernelINS0_14default_configENS1_27lower_bound_config_selectorIflEEZNS1_14transform_implILb0ES3_S5_N6thrust23THRUST_200600_302600_NS6detail15normal_iteratorINS8_7pointerIfNS8_11hip_rocprim5par_tENS8_11use_defaultESE_EEEENSA_INSB_IlSD_SE_SE_EEEEZNS1_13binary_searchIS3_S5_PfSG_SI_NS1_21lower_bound_search_opENS9_16wrapped_functionI11custom_lessbEEEE10hipError_tPvRmT1_T2_T3_mmT4_T5_P12ihipStream_tbEUlRKfE_EESP_ST_SU_mSV_SY_bEUlT_E_NS1_11comp_targetILNS1_3genE3ELNS1_11target_archE908ELNS1_3gpuE7ELNS1_3repE0EEENS1_30default_config_static_selectorELNS0_4arch9wavefront6targetE0EEEvSS_,comdat
.Lfunc_end27:
	.size	_ZN7rocprim17ROCPRIM_400000_NS6detail17trampoline_kernelINS0_14default_configENS1_27lower_bound_config_selectorIflEEZNS1_14transform_implILb0ES3_S5_N6thrust23THRUST_200600_302600_NS6detail15normal_iteratorINS8_7pointerIfNS8_11hip_rocprim5par_tENS8_11use_defaultESE_EEEENSA_INSB_IlSD_SE_SE_EEEEZNS1_13binary_searchIS3_S5_PfSG_SI_NS1_21lower_bound_search_opENS9_16wrapped_functionI11custom_lessbEEEE10hipError_tPvRmT1_T2_T3_mmT4_T5_P12ihipStream_tbEUlRKfE_EESP_ST_SU_mSV_SY_bEUlT_E_NS1_11comp_targetILNS1_3genE3ELNS1_11target_archE908ELNS1_3gpuE7ELNS1_3repE0EEENS1_30default_config_static_selectorELNS0_4arch9wavefront6targetE0EEEvSS_, .Lfunc_end27-_ZN7rocprim17ROCPRIM_400000_NS6detail17trampoline_kernelINS0_14default_configENS1_27lower_bound_config_selectorIflEEZNS1_14transform_implILb0ES3_S5_N6thrust23THRUST_200600_302600_NS6detail15normal_iteratorINS8_7pointerIfNS8_11hip_rocprim5par_tENS8_11use_defaultESE_EEEENSA_INSB_IlSD_SE_SE_EEEEZNS1_13binary_searchIS3_S5_PfSG_SI_NS1_21lower_bound_search_opENS9_16wrapped_functionI11custom_lessbEEEE10hipError_tPvRmT1_T2_T3_mmT4_T5_P12ihipStream_tbEUlRKfE_EESP_ST_SU_mSV_SY_bEUlT_E_NS1_11comp_targetILNS1_3genE3ELNS1_11target_archE908ELNS1_3gpuE7ELNS1_3repE0EEENS1_30default_config_static_selectorELNS0_4arch9wavefront6targetE0EEEvSS_
                                        ; -- End function
	.set _ZN7rocprim17ROCPRIM_400000_NS6detail17trampoline_kernelINS0_14default_configENS1_27lower_bound_config_selectorIflEEZNS1_14transform_implILb0ES3_S5_N6thrust23THRUST_200600_302600_NS6detail15normal_iteratorINS8_7pointerIfNS8_11hip_rocprim5par_tENS8_11use_defaultESE_EEEENSA_INSB_IlSD_SE_SE_EEEEZNS1_13binary_searchIS3_S5_PfSG_SI_NS1_21lower_bound_search_opENS9_16wrapped_functionI11custom_lessbEEEE10hipError_tPvRmT1_T2_T3_mmT4_T5_P12ihipStream_tbEUlRKfE_EESP_ST_SU_mSV_SY_bEUlT_E_NS1_11comp_targetILNS1_3genE3ELNS1_11target_archE908ELNS1_3gpuE7ELNS1_3repE0EEENS1_30default_config_static_selectorELNS0_4arch9wavefront6targetE0EEEvSS_.num_vgpr, 0
	.set _ZN7rocprim17ROCPRIM_400000_NS6detail17trampoline_kernelINS0_14default_configENS1_27lower_bound_config_selectorIflEEZNS1_14transform_implILb0ES3_S5_N6thrust23THRUST_200600_302600_NS6detail15normal_iteratorINS8_7pointerIfNS8_11hip_rocprim5par_tENS8_11use_defaultESE_EEEENSA_INSB_IlSD_SE_SE_EEEEZNS1_13binary_searchIS3_S5_PfSG_SI_NS1_21lower_bound_search_opENS9_16wrapped_functionI11custom_lessbEEEE10hipError_tPvRmT1_T2_T3_mmT4_T5_P12ihipStream_tbEUlRKfE_EESP_ST_SU_mSV_SY_bEUlT_E_NS1_11comp_targetILNS1_3genE3ELNS1_11target_archE908ELNS1_3gpuE7ELNS1_3repE0EEENS1_30default_config_static_selectorELNS0_4arch9wavefront6targetE0EEEvSS_.num_agpr, 0
	.set _ZN7rocprim17ROCPRIM_400000_NS6detail17trampoline_kernelINS0_14default_configENS1_27lower_bound_config_selectorIflEEZNS1_14transform_implILb0ES3_S5_N6thrust23THRUST_200600_302600_NS6detail15normal_iteratorINS8_7pointerIfNS8_11hip_rocprim5par_tENS8_11use_defaultESE_EEEENSA_INSB_IlSD_SE_SE_EEEEZNS1_13binary_searchIS3_S5_PfSG_SI_NS1_21lower_bound_search_opENS9_16wrapped_functionI11custom_lessbEEEE10hipError_tPvRmT1_T2_T3_mmT4_T5_P12ihipStream_tbEUlRKfE_EESP_ST_SU_mSV_SY_bEUlT_E_NS1_11comp_targetILNS1_3genE3ELNS1_11target_archE908ELNS1_3gpuE7ELNS1_3repE0EEENS1_30default_config_static_selectorELNS0_4arch9wavefront6targetE0EEEvSS_.numbered_sgpr, 0
	.set _ZN7rocprim17ROCPRIM_400000_NS6detail17trampoline_kernelINS0_14default_configENS1_27lower_bound_config_selectorIflEEZNS1_14transform_implILb0ES3_S5_N6thrust23THRUST_200600_302600_NS6detail15normal_iteratorINS8_7pointerIfNS8_11hip_rocprim5par_tENS8_11use_defaultESE_EEEENSA_INSB_IlSD_SE_SE_EEEEZNS1_13binary_searchIS3_S5_PfSG_SI_NS1_21lower_bound_search_opENS9_16wrapped_functionI11custom_lessbEEEE10hipError_tPvRmT1_T2_T3_mmT4_T5_P12ihipStream_tbEUlRKfE_EESP_ST_SU_mSV_SY_bEUlT_E_NS1_11comp_targetILNS1_3genE3ELNS1_11target_archE908ELNS1_3gpuE7ELNS1_3repE0EEENS1_30default_config_static_selectorELNS0_4arch9wavefront6targetE0EEEvSS_.num_named_barrier, 0
	.set _ZN7rocprim17ROCPRIM_400000_NS6detail17trampoline_kernelINS0_14default_configENS1_27lower_bound_config_selectorIflEEZNS1_14transform_implILb0ES3_S5_N6thrust23THRUST_200600_302600_NS6detail15normal_iteratorINS8_7pointerIfNS8_11hip_rocprim5par_tENS8_11use_defaultESE_EEEENSA_INSB_IlSD_SE_SE_EEEEZNS1_13binary_searchIS3_S5_PfSG_SI_NS1_21lower_bound_search_opENS9_16wrapped_functionI11custom_lessbEEEE10hipError_tPvRmT1_T2_T3_mmT4_T5_P12ihipStream_tbEUlRKfE_EESP_ST_SU_mSV_SY_bEUlT_E_NS1_11comp_targetILNS1_3genE3ELNS1_11target_archE908ELNS1_3gpuE7ELNS1_3repE0EEENS1_30default_config_static_selectorELNS0_4arch9wavefront6targetE0EEEvSS_.private_seg_size, 0
	.set _ZN7rocprim17ROCPRIM_400000_NS6detail17trampoline_kernelINS0_14default_configENS1_27lower_bound_config_selectorIflEEZNS1_14transform_implILb0ES3_S5_N6thrust23THRUST_200600_302600_NS6detail15normal_iteratorINS8_7pointerIfNS8_11hip_rocprim5par_tENS8_11use_defaultESE_EEEENSA_INSB_IlSD_SE_SE_EEEEZNS1_13binary_searchIS3_S5_PfSG_SI_NS1_21lower_bound_search_opENS9_16wrapped_functionI11custom_lessbEEEE10hipError_tPvRmT1_T2_T3_mmT4_T5_P12ihipStream_tbEUlRKfE_EESP_ST_SU_mSV_SY_bEUlT_E_NS1_11comp_targetILNS1_3genE3ELNS1_11target_archE908ELNS1_3gpuE7ELNS1_3repE0EEENS1_30default_config_static_selectorELNS0_4arch9wavefront6targetE0EEEvSS_.uses_vcc, 0
	.set _ZN7rocprim17ROCPRIM_400000_NS6detail17trampoline_kernelINS0_14default_configENS1_27lower_bound_config_selectorIflEEZNS1_14transform_implILb0ES3_S5_N6thrust23THRUST_200600_302600_NS6detail15normal_iteratorINS8_7pointerIfNS8_11hip_rocprim5par_tENS8_11use_defaultESE_EEEENSA_INSB_IlSD_SE_SE_EEEEZNS1_13binary_searchIS3_S5_PfSG_SI_NS1_21lower_bound_search_opENS9_16wrapped_functionI11custom_lessbEEEE10hipError_tPvRmT1_T2_T3_mmT4_T5_P12ihipStream_tbEUlRKfE_EESP_ST_SU_mSV_SY_bEUlT_E_NS1_11comp_targetILNS1_3genE3ELNS1_11target_archE908ELNS1_3gpuE7ELNS1_3repE0EEENS1_30default_config_static_selectorELNS0_4arch9wavefront6targetE0EEEvSS_.uses_flat_scratch, 0
	.set _ZN7rocprim17ROCPRIM_400000_NS6detail17trampoline_kernelINS0_14default_configENS1_27lower_bound_config_selectorIflEEZNS1_14transform_implILb0ES3_S5_N6thrust23THRUST_200600_302600_NS6detail15normal_iteratorINS8_7pointerIfNS8_11hip_rocprim5par_tENS8_11use_defaultESE_EEEENSA_INSB_IlSD_SE_SE_EEEEZNS1_13binary_searchIS3_S5_PfSG_SI_NS1_21lower_bound_search_opENS9_16wrapped_functionI11custom_lessbEEEE10hipError_tPvRmT1_T2_T3_mmT4_T5_P12ihipStream_tbEUlRKfE_EESP_ST_SU_mSV_SY_bEUlT_E_NS1_11comp_targetILNS1_3genE3ELNS1_11target_archE908ELNS1_3gpuE7ELNS1_3repE0EEENS1_30default_config_static_selectorELNS0_4arch9wavefront6targetE0EEEvSS_.has_dyn_sized_stack, 0
	.set _ZN7rocprim17ROCPRIM_400000_NS6detail17trampoline_kernelINS0_14default_configENS1_27lower_bound_config_selectorIflEEZNS1_14transform_implILb0ES3_S5_N6thrust23THRUST_200600_302600_NS6detail15normal_iteratorINS8_7pointerIfNS8_11hip_rocprim5par_tENS8_11use_defaultESE_EEEENSA_INSB_IlSD_SE_SE_EEEEZNS1_13binary_searchIS3_S5_PfSG_SI_NS1_21lower_bound_search_opENS9_16wrapped_functionI11custom_lessbEEEE10hipError_tPvRmT1_T2_T3_mmT4_T5_P12ihipStream_tbEUlRKfE_EESP_ST_SU_mSV_SY_bEUlT_E_NS1_11comp_targetILNS1_3genE3ELNS1_11target_archE908ELNS1_3gpuE7ELNS1_3repE0EEENS1_30default_config_static_selectorELNS0_4arch9wavefront6targetE0EEEvSS_.has_recursion, 0
	.set _ZN7rocprim17ROCPRIM_400000_NS6detail17trampoline_kernelINS0_14default_configENS1_27lower_bound_config_selectorIflEEZNS1_14transform_implILb0ES3_S5_N6thrust23THRUST_200600_302600_NS6detail15normal_iteratorINS8_7pointerIfNS8_11hip_rocprim5par_tENS8_11use_defaultESE_EEEENSA_INSB_IlSD_SE_SE_EEEEZNS1_13binary_searchIS3_S5_PfSG_SI_NS1_21lower_bound_search_opENS9_16wrapped_functionI11custom_lessbEEEE10hipError_tPvRmT1_T2_T3_mmT4_T5_P12ihipStream_tbEUlRKfE_EESP_ST_SU_mSV_SY_bEUlT_E_NS1_11comp_targetILNS1_3genE3ELNS1_11target_archE908ELNS1_3gpuE7ELNS1_3repE0EEENS1_30default_config_static_selectorELNS0_4arch9wavefront6targetE0EEEvSS_.has_indirect_call, 0
	.section	.AMDGPU.csdata,"",@progbits
; Kernel info:
; codeLenInByte = 0
; TotalNumSgprs: 0
; NumVgprs: 0
; ScratchSize: 0
; MemoryBound: 0
; FloatMode: 240
; IeeeMode: 1
; LDSByteSize: 0 bytes/workgroup (compile time only)
; SGPRBlocks: 0
; VGPRBlocks: 0
; NumSGPRsForWavesPerEU: 1
; NumVGPRsForWavesPerEU: 1
; Occupancy: 16
; WaveLimiterHint : 0
; COMPUTE_PGM_RSRC2:SCRATCH_EN: 0
; COMPUTE_PGM_RSRC2:USER_SGPR: 6
; COMPUTE_PGM_RSRC2:TRAP_HANDLER: 0
; COMPUTE_PGM_RSRC2:TGID_X_EN: 1
; COMPUTE_PGM_RSRC2:TGID_Y_EN: 0
; COMPUTE_PGM_RSRC2:TGID_Z_EN: 0
; COMPUTE_PGM_RSRC2:TIDIG_COMP_CNT: 0
	.section	.text._ZN7rocprim17ROCPRIM_400000_NS6detail17trampoline_kernelINS0_14default_configENS1_27lower_bound_config_selectorIflEEZNS1_14transform_implILb0ES3_S5_N6thrust23THRUST_200600_302600_NS6detail15normal_iteratorINS8_7pointerIfNS8_11hip_rocprim5par_tENS8_11use_defaultESE_EEEENSA_INSB_IlSD_SE_SE_EEEEZNS1_13binary_searchIS3_S5_PfSG_SI_NS1_21lower_bound_search_opENS9_16wrapped_functionI11custom_lessbEEEE10hipError_tPvRmT1_T2_T3_mmT4_T5_P12ihipStream_tbEUlRKfE_EESP_ST_SU_mSV_SY_bEUlT_E_NS1_11comp_targetILNS1_3genE2ELNS1_11target_archE906ELNS1_3gpuE6ELNS1_3repE0EEENS1_30default_config_static_selectorELNS0_4arch9wavefront6targetE0EEEvSS_,"axG",@progbits,_ZN7rocprim17ROCPRIM_400000_NS6detail17trampoline_kernelINS0_14default_configENS1_27lower_bound_config_selectorIflEEZNS1_14transform_implILb0ES3_S5_N6thrust23THRUST_200600_302600_NS6detail15normal_iteratorINS8_7pointerIfNS8_11hip_rocprim5par_tENS8_11use_defaultESE_EEEENSA_INSB_IlSD_SE_SE_EEEEZNS1_13binary_searchIS3_S5_PfSG_SI_NS1_21lower_bound_search_opENS9_16wrapped_functionI11custom_lessbEEEE10hipError_tPvRmT1_T2_T3_mmT4_T5_P12ihipStream_tbEUlRKfE_EESP_ST_SU_mSV_SY_bEUlT_E_NS1_11comp_targetILNS1_3genE2ELNS1_11target_archE906ELNS1_3gpuE6ELNS1_3repE0EEENS1_30default_config_static_selectorELNS0_4arch9wavefront6targetE0EEEvSS_,comdat
	.protected	_ZN7rocprim17ROCPRIM_400000_NS6detail17trampoline_kernelINS0_14default_configENS1_27lower_bound_config_selectorIflEEZNS1_14transform_implILb0ES3_S5_N6thrust23THRUST_200600_302600_NS6detail15normal_iteratorINS8_7pointerIfNS8_11hip_rocprim5par_tENS8_11use_defaultESE_EEEENSA_INSB_IlSD_SE_SE_EEEEZNS1_13binary_searchIS3_S5_PfSG_SI_NS1_21lower_bound_search_opENS9_16wrapped_functionI11custom_lessbEEEE10hipError_tPvRmT1_T2_T3_mmT4_T5_P12ihipStream_tbEUlRKfE_EESP_ST_SU_mSV_SY_bEUlT_E_NS1_11comp_targetILNS1_3genE2ELNS1_11target_archE906ELNS1_3gpuE6ELNS1_3repE0EEENS1_30default_config_static_selectorELNS0_4arch9wavefront6targetE0EEEvSS_ ; -- Begin function _ZN7rocprim17ROCPRIM_400000_NS6detail17trampoline_kernelINS0_14default_configENS1_27lower_bound_config_selectorIflEEZNS1_14transform_implILb0ES3_S5_N6thrust23THRUST_200600_302600_NS6detail15normal_iteratorINS8_7pointerIfNS8_11hip_rocprim5par_tENS8_11use_defaultESE_EEEENSA_INSB_IlSD_SE_SE_EEEEZNS1_13binary_searchIS3_S5_PfSG_SI_NS1_21lower_bound_search_opENS9_16wrapped_functionI11custom_lessbEEEE10hipError_tPvRmT1_T2_T3_mmT4_T5_P12ihipStream_tbEUlRKfE_EESP_ST_SU_mSV_SY_bEUlT_E_NS1_11comp_targetILNS1_3genE2ELNS1_11target_archE906ELNS1_3gpuE6ELNS1_3repE0EEENS1_30default_config_static_selectorELNS0_4arch9wavefront6targetE0EEEvSS_
	.globl	_ZN7rocprim17ROCPRIM_400000_NS6detail17trampoline_kernelINS0_14default_configENS1_27lower_bound_config_selectorIflEEZNS1_14transform_implILb0ES3_S5_N6thrust23THRUST_200600_302600_NS6detail15normal_iteratorINS8_7pointerIfNS8_11hip_rocprim5par_tENS8_11use_defaultESE_EEEENSA_INSB_IlSD_SE_SE_EEEEZNS1_13binary_searchIS3_S5_PfSG_SI_NS1_21lower_bound_search_opENS9_16wrapped_functionI11custom_lessbEEEE10hipError_tPvRmT1_T2_T3_mmT4_T5_P12ihipStream_tbEUlRKfE_EESP_ST_SU_mSV_SY_bEUlT_E_NS1_11comp_targetILNS1_3genE2ELNS1_11target_archE906ELNS1_3gpuE6ELNS1_3repE0EEENS1_30default_config_static_selectorELNS0_4arch9wavefront6targetE0EEEvSS_
	.p2align	8
	.type	_ZN7rocprim17ROCPRIM_400000_NS6detail17trampoline_kernelINS0_14default_configENS1_27lower_bound_config_selectorIflEEZNS1_14transform_implILb0ES3_S5_N6thrust23THRUST_200600_302600_NS6detail15normal_iteratorINS8_7pointerIfNS8_11hip_rocprim5par_tENS8_11use_defaultESE_EEEENSA_INSB_IlSD_SE_SE_EEEEZNS1_13binary_searchIS3_S5_PfSG_SI_NS1_21lower_bound_search_opENS9_16wrapped_functionI11custom_lessbEEEE10hipError_tPvRmT1_T2_T3_mmT4_T5_P12ihipStream_tbEUlRKfE_EESP_ST_SU_mSV_SY_bEUlT_E_NS1_11comp_targetILNS1_3genE2ELNS1_11target_archE906ELNS1_3gpuE6ELNS1_3repE0EEENS1_30default_config_static_selectorELNS0_4arch9wavefront6targetE0EEEvSS_,@function
_ZN7rocprim17ROCPRIM_400000_NS6detail17trampoline_kernelINS0_14default_configENS1_27lower_bound_config_selectorIflEEZNS1_14transform_implILb0ES3_S5_N6thrust23THRUST_200600_302600_NS6detail15normal_iteratorINS8_7pointerIfNS8_11hip_rocprim5par_tENS8_11use_defaultESE_EEEENSA_INSB_IlSD_SE_SE_EEEEZNS1_13binary_searchIS3_S5_PfSG_SI_NS1_21lower_bound_search_opENS9_16wrapped_functionI11custom_lessbEEEE10hipError_tPvRmT1_T2_T3_mmT4_T5_P12ihipStream_tbEUlRKfE_EESP_ST_SU_mSV_SY_bEUlT_E_NS1_11comp_targetILNS1_3genE2ELNS1_11target_archE906ELNS1_3gpuE6ELNS1_3repE0EEENS1_30default_config_static_selectorELNS0_4arch9wavefront6targetE0EEEvSS_: ; @_ZN7rocprim17ROCPRIM_400000_NS6detail17trampoline_kernelINS0_14default_configENS1_27lower_bound_config_selectorIflEEZNS1_14transform_implILb0ES3_S5_N6thrust23THRUST_200600_302600_NS6detail15normal_iteratorINS8_7pointerIfNS8_11hip_rocprim5par_tENS8_11use_defaultESE_EEEENSA_INSB_IlSD_SE_SE_EEEEZNS1_13binary_searchIS3_S5_PfSG_SI_NS1_21lower_bound_search_opENS9_16wrapped_functionI11custom_lessbEEEE10hipError_tPvRmT1_T2_T3_mmT4_T5_P12ihipStream_tbEUlRKfE_EESP_ST_SU_mSV_SY_bEUlT_E_NS1_11comp_targetILNS1_3genE2ELNS1_11target_archE906ELNS1_3gpuE6ELNS1_3repE0EEENS1_30default_config_static_selectorELNS0_4arch9wavefront6targetE0EEEvSS_
; %bb.0:
	.section	.rodata,"a",@progbits
	.p2align	6, 0x0
	.amdhsa_kernel _ZN7rocprim17ROCPRIM_400000_NS6detail17trampoline_kernelINS0_14default_configENS1_27lower_bound_config_selectorIflEEZNS1_14transform_implILb0ES3_S5_N6thrust23THRUST_200600_302600_NS6detail15normal_iteratorINS8_7pointerIfNS8_11hip_rocprim5par_tENS8_11use_defaultESE_EEEENSA_INSB_IlSD_SE_SE_EEEEZNS1_13binary_searchIS3_S5_PfSG_SI_NS1_21lower_bound_search_opENS9_16wrapped_functionI11custom_lessbEEEE10hipError_tPvRmT1_T2_T3_mmT4_T5_P12ihipStream_tbEUlRKfE_EESP_ST_SU_mSV_SY_bEUlT_E_NS1_11comp_targetILNS1_3genE2ELNS1_11target_archE906ELNS1_3gpuE6ELNS1_3repE0EEENS1_30default_config_static_selectorELNS0_4arch9wavefront6targetE0EEEvSS_
		.amdhsa_group_segment_fixed_size 0
		.amdhsa_private_segment_fixed_size 0
		.amdhsa_kernarg_size 56
		.amdhsa_user_sgpr_count 6
		.amdhsa_user_sgpr_private_segment_buffer 1
		.amdhsa_user_sgpr_dispatch_ptr 0
		.amdhsa_user_sgpr_queue_ptr 0
		.amdhsa_user_sgpr_kernarg_segment_ptr 1
		.amdhsa_user_sgpr_dispatch_id 0
		.amdhsa_user_sgpr_flat_scratch_init 0
		.amdhsa_user_sgpr_private_segment_size 0
		.amdhsa_wavefront_size32 1
		.amdhsa_uses_dynamic_stack 0
		.amdhsa_system_sgpr_private_segment_wavefront_offset 0
		.amdhsa_system_sgpr_workgroup_id_x 1
		.amdhsa_system_sgpr_workgroup_id_y 0
		.amdhsa_system_sgpr_workgroup_id_z 0
		.amdhsa_system_sgpr_workgroup_info 0
		.amdhsa_system_vgpr_workitem_id 0
		.amdhsa_next_free_vgpr 1
		.amdhsa_next_free_sgpr 1
		.amdhsa_reserve_vcc 0
		.amdhsa_reserve_flat_scratch 0
		.amdhsa_float_round_mode_32 0
		.amdhsa_float_round_mode_16_64 0
		.amdhsa_float_denorm_mode_32 3
		.amdhsa_float_denorm_mode_16_64 3
		.amdhsa_dx10_clamp 1
		.amdhsa_ieee_mode 1
		.amdhsa_fp16_overflow 0
		.amdhsa_workgroup_processor_mode 1
		.amdhsa_memory_ordered 1
		.amdhsa_forward_progress 1
		.amdhsa_shared_vgpr_count 0
		.amdhsa_exception_fp_ieee_invalid_op 0
		.amdhsa_exception_fp_denorm_src 0
		.amdhsa_exception_fp_ieee_div_zero 0
		.amdhsa_exception_fp_ieee_overflow 0
		.amdhsa_exception_fp_ieee_underflow 0
		.amdhsa_exception_fp_ieee_inexact 0
		.amdhsa_exception_int_div_zero 0
	.end_amdhsa_kernel
	.section	.text._ZN7rocprim17ROCPRIM_400000_NS6detail17trampoline_kernelINS0_14default_configENS1_27lower_bound_config_selectorIflEEZNS1_14transform_implILb0ES3_S5_N6thrust23THRUST_200600_302600_NS6detail15normal_iteratorINS8_7pointerIfNS8_11hip_rocprim5par_tENS8_11use_defaultESE_EEEENSA_INSB_IlSD_SE_SE_EEEEZNS1_13binary_searchIS3_S5_PfSG_SI_NS1_21lower_bound_search_opENS9_16wrapped_functionI11custom_lessbEEEE10hipError_tPvRmT1_T2_T3_mmT4_T5_P12ihipStream_tbEUlRKfE_EESP_ST_SU_mSV_SY_bEUlT_E_NS1_11comp_targetILNS1_3genE2ELNS1_11target_archE906ELNS1_3gpuE6ELNS1_3repE0EEENS1_30default_config_static_selectorELNS0_4arch9wavefront6targetE0EEEvSS_,"axG",@progbits,_ZN7rocprim17ROCPRIM_400000_NS6detail17trampoline_kernelINS0_14default_configENS1_27lower_bound_config_selectorIflEEZNS1_14transform_implILb0ES3_S5_N6thrust23THRUST_200600_302600_NS6detail15normal_iteratorINS8_7pointerIfNS8_11hip_rocprim5par_tENS8_11use_defaultESE_EEEENSA_INSB_IlSD_SE_SE_EEEEZNS1_13binary_searchIS3_S5_PfSG_SI_NS1_21lower_bound_search_opENS9_16wrapped_functionI11custom_lessbEEEE10hipError_tPvRmT1_T2_T3_mmT4_T5_P12ihipStream_tbEUlRKfE_EESP_ST_SU_mSV_SY_bEUlT_E_NS1_11comp_targetILNS1_3genE2ELNS1_11target_archE906ELNS1_3gpuE6ELNS1_3repE0EEENS1_30default_config_static_selectorELNS0_4arch9wavefront6targetE0EEEvSS_,comdat
.Lfunc_end28:
	.size	_ZN7rocprim17ROCPRIM_400000_NS6detail17trampoline_kernelINS0_14default_configENS1_27lower_bound_config_selectorIflEEZNS1_14transform_implILb0ES3_S5_N6thrust23THRUST_200600_302600_NS6detail15normal_iteratorINS8_7pointerIfNS8_11hip_rocprim5par_tENS8_11use_defaultESE_EEEENSA_INSB_IlSD_SE_SE_EEEEZNS1_13binary_searchIS3_S5_PfSG_SI_NS1_21lower_bound_search_opENS9_16wrapped_functionI11custom_lessbEEEE10hipError_tPvRmT1_T2_T3_mmT4_T5_P12ihipStream_tbEUlRKfE_EESP_ST_SU_mSV_SY_bEUlT_E_NS1_11comp_targetILNS1_3genE2ELNS1_11target_archE906ELNS1_3gpuE6ELNS1_3repE0EEENS1_30default_config_static_selectorELNS0_4arch9wavefront6targetE0EEEvSS_, .Lfunc_end28-_ZN7rocprim17ROCPRIM_400000_NS6detail17trampoline_kernelINS0_14default_configENS1_27lower_bound_config_selectorIflEEZNS1_14transform_implILb0ES3_S5_N6thrust23THRUST_200600_302600_NS6detail15normal_iteratorINS8_7pointerIfNS8_11hip_rocprim5par_tENS8_11use_defaultESE_EEEENSA_INSB_IlSD_SE_SE_EEEEZNS1_13binary_searchIS3_S5_PfSG_SI_NS1_21lower_bound_search_opENS9_16wrapped_functionI11custom_lessbEEEE10hipError_tPvRmT1_T2_T3_mmT4_T5_P12ihipStream_tbEUlRKfE_EESP_ST_SU_mSV_SY_bEUlT_E_NS1_11comp_targetILNS1_3genE2ELNS1_11target_archE906ELNS1_3gpuE6ELNS1_3repE0EEENS1_30default_config_static_selectorELNS0_4arch9wavefront6targetE0EEEvSS_
                                        ; -- End function
	.set _ZN7rocprim17ROCPRIM_400000_NS6detail17trampoline_kernelINS0_14default_configENS1_27lower_bound_config_selectorIflEEZNS1_14transform_implILb0ES3_S5_N6thrust23THRUST_200600_302600_NS6detail15normal_iteratorINS8_7pointerIfNS8_11hip_rocprim5par_tENS8_11use_defaultESE_EEEENSA_INSB_IlSD_SE_SE_EEEEZNS1_13binary_searchIS3_S5_PfSG_SI_NS1_21lower_bound_search_opENS9_16wrapped_functionI11custom_lessbEEEE10hipError_tPvRmT1_T2_T3_mmT4_T5_P12ihipStream_tbEUlRKfE_EESP_ST_SU_mSV_SY_bEUlT_E_NS1_11comp_targetILNS1_3genE2ELNS1_11target_archE906ELNS1_3gpuE6ELNS1_3repE0EEENS1_30default_config_static_selectorELNS0_4arch9wavefront6targetE0EEEvSS_.num_vgpr, 0
	.set _ZN7rocprim17ROCPRIM_400000_NS6detail17trampoline_kernelINS0_14default_configENS1_27lower_bound_config_selectorIflEEZNS1_14transform_implILb0ES3_S5_N6thrust23THRUST_200600_302600_NS6detail15normal_iteratorINS8_7pointerIfNS8_11hip_rocprim5par_tENS8_11use_defaultESE_EEEENSA_INSB_IlSD_SE_SE_EEEEZNS1_13binary_searchIS3_S5_PfSG_SI_NS1_21lower_bound_search_opENS9_16wrapped_functionI11custom_lessbEEEE10hipError_tPvRmT1_T2_T3_mmT4_T5_P12ihipStream_tbEUlRKfE_EESP_ST_SU_mSV_SY_bEUlT_E_NS1_11comp_targetILNS1_3genE2ELNS1_11target_archE906ELNS1_3gpuE6ELNS1_3repE0EEENS1_30default_config_static_selectorELNS0_4arch9wavefront6targetE0EEEvSS_.num_agpr, 0
	.set _ZN7rocprim17ROCPRIM_400000_NS6detail17trampoline_kernelINS0_14default_configENS1_27lower_bound_config_selectorIflEEZNS1_14transform_implILb0ES3_S5_N6thrust23THRUST_200600_302600_NS6detail15normal_iteratorINS8_7pointerIfNS8_11hip_rocprim5par_tENS8_11use_defaultESE_EEEENSA_INSB_IlSD_SE_SE_EEEEZNS1_13binary_searchIS3_S5_PfSG_SI_NS1_21lower_bound_search_opENS9_16wrapped_functionI11custom_lessbEEEE10hipError_tPvRmT1_T2_T3_mmT4_T5_P12ihipStream_tbEUlRKfE_EESP_ST_SU_mSV_SY_bEUlT_E_NS1_11comp_targetILNS1_3genE2ELNS1_11target_archE906ELNS1_3gpuE6ELNS1_3repE0EEENS1_30default_config_static_selectorELNS0_4arch9wavefront6targetE0EEEvSS_.numbered_sgpr, 0
	.set _ZN7rocprim17ROCPRIM_400000_NS6detail17trampoline_kernelINS0_14default_configENS1_27lower_bound_config_selectorIflEEZNS1_14transform_implILb0ES3_S5_N6thrust23THRUST_200600_302600_NS6detail15normal_iteratorINS8_7pointerIfNS8_11hip_rocprim5par_tENS8_11use_defaultESE_EEEENSA_INSB_IlSD_SE_SE_EEEEZNS1_13binary_searchIS3_S5_PfSG_SI_NS1_21lower_bound_search_opENS9_16wrapped_functionI11custom_lessbEEEE10hipError_tPvRmT1_T2_T3_mmT4_T5_P12ihipStream_tbEUlRKfE_EESP_ST_SU_mSV_SY_bEUlT_E_NS1_11comp_targetILNS1_3genE2ELNS1_11target_archE906ELNS1_3gpuE6ELNS1_3repE0EEENS1_30default_config_static_selectorELNS0_4arch9wavefront6targetE0EEEvSS_.num_named_barrier, 0
	.set _ZN7rocprim17ROCPRIM_400000_NS6detail17trampoline_kernelINS0_14default_configENS1_27lower_bound_config_selectorIflEEZNS1_14transform_implILb0ES3_S5_N6thrust23THRUST_200600_302600_NS6detail15normal_iteratorINS8_7pointerIfNS8_11hip_rocprim5par_tENS8_11use_defaultESE_EEEENSA_INSB_IlSD_SE_SE_EEEEZNS1_13binary_searchIS3_S5_PfSG_SI_NS1_21lower_bound_search_opENS9_16wrapped_functionI11custom_lessbEEEE10hipError_tPvRmT1_T2_T3_mmT4_T5_P12ihipStream_tbEUlRKfE_EESP_ST_SU_mSV_SY_bEUlT_E_NS1_11comp_targetILNS1_3genE2ELNS1_11target_archE906ELNS1_3gpuE6ELNS1_3repE0EEENS1_30default_config_static_selectorELNS0_4arch9wavefront6targetE0EEEvSS_.private_seg_size, 0
	.set _ZN7rocprim17ROCPRIM_400000_NS6detail17trampoline_kernelINS0_14default_configENS1_27lower_bound_config_selectorIflEEZNS1_14transform_implILb0ES3_S5_N6thrust23THRUST_200600_302600_NS6detail15normal_iteratorINS8_7pointerIfNS8_11hip_rocprim5par_tENS8_11use_defaultESE_EEEENSA_INSB_IlSD_SE_SE_EEEEZNS1_13binary_searchIS3_S5_PfSG_SI_NS1_21lower_bound_search_opENS9_16wrapped_functionI11custom_lessbEEEE10hipError_tPvRmT1_T2_T3_mmT4_T5_P12ihipStream_tbEUlRKfE_EESP_ST_SU_mSV_SY_bEUlT_E_NS1_11comp_targetILNS1_3genE2ELNS1_11target_archE906ELNS1_3gpuE6ELNS1_3repE0EEENS1_30default_config_static_selectorELNS0_4arch9wavefront6targetE0EEEvSS_.uses_vcc, 0
	.set _ZN7rocprim17ROCPRIM_400000_NS6detail17trampoline_kernelINS0_14default_configENS1_27lower_bound_config_selectorIflEEZNS1_14transform_implILb0ES3_S5_N6thrust23THRUST_200600_302600_NS6detail15normal_iteratorINS8_7pointerIfNS8_11hip_rocprim5par_tENS8_11use_defaultESE_EEEENSA_INSB_IlSD_SE_SE_EEEEZNS1_13binary_searchIS3_S5_PfSG_SI_NS1_21lower_bound_search_opENS9_16wrapped_functionI11custom_lessbEEEE10hipError_tPvRmT1_T2_T3_mmT4_T5_P12ihipStream_tbEUlRKfE_EESP_ST_SU_mSV_SY_bEUlT_E_NS1_11comp_targetILNS1_3genE2ELNS1_11target_archE906ELNS1_3gpuE6ELNS1_3repE0EEENS1_30default_config_static_selectorELNS0_4arch9wavefront6targetE0EEEvSS_.uses_flat_scratch, 0
	.set _ZN7rocprim17ROCPRIM_400000_NS6detail17trampoline_kernelINS0_14default_configENS1_27lower_bound_config_selectorIflEEZNS1_14transform_implILb0ES3_S5_N6thrust23THRUST_200600_302600_NS6detail15normal_iteratorINS8_7pointerIfNS8_11hip_rocprim5par_tENS8_11use_defaultESE_EEEENSA_INSB_IlSD_SE_SE_EEEEZNS1_13binary_searchIS3_S5_PfSG_SI_NS1_21lower_bound_search_opENS9_16wrapped_functionI11custom_lessbEEEE10hipError_tPvRmT1_T2_T3_mmT4_T5_P12ihipStream_tbEUlRKfE_EESP_ST_SU_mSV_SY_bEUlT_E_NS1_11comp_targetILNS1_3genE2ELNS1_11target_archE906ELNS1_3gpuE6ELNS1_3repE0EEENS1_30default_config_static_selectorELNS0_4arch9wavefront6targetE0EEEvSS_.has_dyn_sized_stack, 0
	.set _ZN7rocprim17ROCPRIM_400000_NS6detail17trampoline_kernelINS0_14default_configENS1_27lower_bound_config_selectorIflEEZNS1_14transform_implILb0ES3_S5_N6thrust23THRUST_200600_302600_NS6detail15normal_iteratorINS8_7pointerIfNS8_11hip_rocprim5par_tENS8_11use_defaultESE_EEEENSA_INSB_IlSD_SE_SE_EEEEZNS1_13binary_searchIS3_S5_PfSG_SI_NS1_21lower_bound_search_opENS9_16wrapped_functionI11custom_lessbEEEE10hipError_tPvRmT1_T2_T3_mmT4_T5_P12ihipStream_tbEUlRKfE_EESP_ST_SU_mSV_SY_bEUlT_E_NS1_11comp_targetILNS1_3genE2ELNS1_11target_archE906ELNS1_3gpuE6ELNS1_3repE0EEENS1_30default_config_static_selectorELNS0_4arch9wavefront6targetE0EEEvSS_.has_recursion, 0
	.set _ZN7rocprim17ROCPRIM_400000_NS6detail17trampoline_kernelINS0_14default_configENS1_27lower_bound_config_selectorIflEEZNS1_14transform_implILb0ES3_S5_N6thrust23THRUST_200600_302600_NS6detail15normal_iteratorINS8_7pointerIfNS8_11hip_rocprim5par_tENS8_11use_defaultESE_EEEENSA_INSB_IlSD_SE_SE_EEEEZNS1_13binary_searchIS3_S5_PfSG_SI_NS1_21lower_bound_search_opENS9_16wrapped_functionI11custom_lessbEEEE10hipError_tPvRmT1_T2_T3_mmT4_T5_P12ihipStream_tbEUlRKfE_EESP_ST_SU_mSV_SY_bEUlT_E_NS1_11comp_targetILNS1_3genE2ELNS1_11target_archE906ELNS1_3gpuE6ELNS1_3repE0EEENS1_30default_config_static_selectorELNS0_4arch9wavefront6targetE0EEEvSS_.has_indirect_call, 0
	.section	.AMDGPU.csdata,"",@progbits
; Kernel info:
; codeLenInByte = 0
; TotalNumSgprs: 0
; NumVgprs: 0
; ScratchSize: 0
; MemoryBound: 0
; FloatMode: 240
; IeeeMode: 1
; LDSByteSize: 0 bytes/workgroup (compile time only)
; SGPRBlocks: 0
; VGPRBlocks: 0
; NumSGPRsForWavesPerEU: 1
; NumVGPRsForWavesPerEU: 1
; Occupancy: 16
; WaveLimiterHint : 0
; COMPUTE_PGM_RSRC2:SCRATCH_EN: 0
; COMPUTE_PGM_RSRC2:USER_SGPR: 6
; COMPUTE_PGM_RSRC2:TRAP_HANDLER: 0
; COMPUTE_PGM_RSRC2:TGID_X_EN: 1
; COMPUTE_PGM_RSRC2:TGID_Y_EN: 0
; COMPUTE_PGM_RSRC2:TGID_Z_EN: 0
; COMPUTE_PGM_RSRC2:TIDIG_COMP_CNT: 0
	.section	.text._ZN7rocprim17ROCPRIM_400000_NS6detail17trampoline_kernelINS0_14default_configENS1_27lower_bound_config_selectorIflEEZNS1_14transform_implILb0ES3_S5_N6thrust23THRUST_200600_302600_NS6detail15normal_iteratorINS8_7pointerIfNS8_11hip_rocprim5par_tENS8_11use_defaultESE_EEEENSA_INSB_IlSD_SE_SE_EEEEZNS1_13binary_searchIS3_S5_PfSG_SI_NS1_21lower_bound_search_opENS9_16wrapped_functionI11custom_lessbEEEE10hipError_tPvRmT1_T2_T3_mmT4_T5_P12ihipStream_tbEUlRKfE_EESP_ST_SU_mSV_SY_bEUlT_E_NS1_11comp_targetILNS1_3genE10ELNS1_11target_archE1201ELNS1_3gpuE5ELNS1_3repE0EEENS1_30default_config_static_selectorELNS0_4arch9wavefront6targetE0EEEvSS_,"axG",@progbits,_ZN7rocprim17ROCPRIM_400000_NS6detail17trampoline_kernelINS0_14default_configENS1_27lower_bound_config_selectorIflEEZNS1_14transform_implILb0ES3_S5_N6thrust23THRUST_200600_302600_NS6detail15normal_iteratorINS8_7pointerIfNS8_11hip_rocprim5par_tENS8_11use_defaultESE_EEEENSA_INSB_IlSD_SE_SE_EEEEZNS1_13binary_searchIS3_S5_PfSG_SI_NS1_21lower_bound_search_opENS9_16wrapped_functionI11custom_lessbEEEE10hipError_tPvRmT1_T2_T3_mmT4_T5_P12ihipStream_tbEUlRKfE_EESP_ST_SU_mSV_SY_bEUlT_E_NS1_11comp_targetILNS1_3genE10ELNS1_11target_archE1201ELNS1_3gpuE5ELNS1_3repE0EEENS1_30default_config_static_selectorELNS0_4arch9wavefront6targetE0EEEvSS_,comdat
	.protected	_ZN7rocprim17ROCPRIM_400000_NS6detail17trampoline_kernelINS0_14default_configENS1_27lower_bound_config_selectorIflEEZNS1_14transform_implILb0ES3_S5_N6thrust23THRUST_200600_302600_NS6detail15normal_iteratorINS8_7pointerIfNS8_11hip_rocprim5par_tENS8_11use_defaultESE_EEEENSA_INSB_IlSD_SE_SE_EEEEZNS1_13binary_searchIS3_S5_PfSG_SI_NS1_21lower_bound_search_opENS9_16wrapped_functionI11custom_lessbEEEE10hipError_tPvRmT1_T2_T3_mmT4_T5_P12ihipStream_tbEUlRKfE_EESP_ST_SU_mSV_SY_bEUlT_E_NS1_11comp_targetILNS1_3genE10ELNS1_11target_archE1201ELNS1_3gpuE5ELNS1_3repE0EEENS1_30default_config_static_selectorELNS0_4arch9wavefront6targetE0EEEvSS_ ; -- Begin function _ZN7rocprim17ROCPRIM_400000_NS6detail17trampoline_kernelINS0_14default_configENS1_27lower_bound_config_selectorIflEEZNS1_14transform_implILb0ES3_S5_N6thrust23THRUST_200600_302600_NS6detail15normal_iteratorINS8_7pointerIfNS8_11hip_rocprim5par_tENS8_11use_defaultESE_EEEENSA_INSB_IlSD_SE_SE_EEEEZNS1_13binary_searchIS3_S5_PfSG_SI_NS1_21lower_bound_search_opENS9_16wrapped_functionI11custom_lessbEEEE10hipError_tPvRmT1_T2_T3_mmT4_T5_P12ihipStream_tbEUlRKfE_EESP_ST_SU_mSV_SY_bEUlT_E_NS1_11comp_targetILNS1_3genE10ELNS1_11target_archE1201ELNS1_3gpuE5ELNS1_3repE0EEENS1_30default_config_static_selectorELNS0_4arch9wavefront6targetE0EEEvSS_
	.globl	_ZN7rocprim17ROCPRIM_400000_NS6detail17trampoline_kernelINS0_14default_configENS1_27lower_bound_config_selectorIflEEZNS1_14transform_implILb0ES3_S5_N6thrust23THRUST_200600_302600_NS6detail15normal_iteratorINS8_7pointerIfNS8_11hip_rocprim5par_tENS8_11use_defaultESE_EEEENSA_INSB_IlSD_SE_SE_EEEEZNS1_13binary_searchIS3_S5_PfSG_SI_NS1_21lower_bound_search_opENS9_16wrapped_functionI11custom_lessbEEEE10hipError_tPvRmT1_T2_T3_mmT4_T5_P12ihipStream_tbEUlRKfE_EESP_ST_SU_mSV_SY_bEUlT_E_NS1_11comp_targetILNS1_3genE10ELNS1_11target_archE1201ELNS1_3gpuE5ELNS1_3repE0EEENS1_30default_config_static_selectorELNS0_4arch9wavefront6targetE0EEEvSS_
	.p2align	8
	.type	_ZN7rocprim17ROCPRIM_400000_NS6detail17trampoline_kernelINS0_14default_configENS1_27lower_bound_config_selectorIflEEZNS1_14transform_implILb0ES3_S5_N6thrust23THRUST_200600_302600_NS6detail15normal_iteratorINS8_7pointerIfNS8_11hip_rocprim5par_tENS8_11use_defaultESE_EEEENSA_INSB_IlSD_SE_SE_EEEEZNS1_13binary_searchIS3_S5_PfSG_SI_NS1_21lower_bound_search_opENS9_16wrapped_functionI11custom_lessbEEEE10hipError_tPvRmT1_T2_T3_mmT4_T5_P12ihipStream_tbEUlRKfE_EESP_ST_SU_mSV_SY_bEUlT_E_NS1_11comp_targetILNS1_3genE10ELNS1_11target_archE1201ELNS1_3gpuE5ELNS1_3repE0EEENS1_30default_config_static_selectorELNS0_4arch9wavefront6targetE0EEEvSS_,@function
_ZN7rocprim17ROCPRIM_400000_NS6detail17trampoline_kernelINS0_14default_configENS1_27lower_bound_config_selectorIflEEZNS1_14transform_implILb0ES3_S5_N6thrust23THRUST_200600_302600_NS6detail15normal_iteratorINS8_7pointerIfNS8_11hip_rocprim5par_tENS8_11use_defaultESE_EEEENSA_INSB_IlSD_SE_SE_EEEEZNS1_13binary_searchIS3_S5_PfSG_SI_NS1_21lower_bound_search_opENS9_16wrapped_functionI11custom_lessbEEEE10hipError_tPvRmT1_T2_T3_mmT4_T5_P12ihipStream_tbEUlRKfE_EESP_ST_SU_mSV_SY_bEUlT_E_NS1_11comp_targetILNS1_3genE10ELNS1_11target_archE1201ELNS1_3gpuE5ELNS1_3repE0EEENS1_30default_config_static_selectorELNS0_4arch9wavefront6targetE0EEEvSS_: ; @_ZN7rocprim17ROCPRIM_400000_NS6detail17trampoline_kernelINS0_14default_configENS1_27lower_bound_config_selectorIflEEZNS1_14transform_implILb0ES3_S5_N6thrust23THRUST_200600_302600_NS6detail15normal_iteratorINS8_7pointerIfNS8_11hip_rocprim5par_tENS8_11use_defaultESE_EEEENSA_INSB_IlSD_SE_SE_EEEEZNS1_13binary_searchIS3_S5_PfSG_SI_NS1_21lower_bound_search_opENS9_16wrapped_functionI11custom_lessbEEEE10hipError_tPvRmT1_T2_T3_mmT4_T5_P12ihipStream_tbEUlRKfE_EESP_ST_SU_mSV_SY_bEUlT_E_NS1_11comp_targetILNS1_3genE10ELNS1_11target_archE1201ELNS1_3gpuE5ELNS1_3repE0EEENS1_30default_config_static_selectorELNS0_4arch9wavefront6targetE0EEEvSS_
; %bb.0:
	.section	.rodata,"a",@progbits
	.p2align	6, 0x0
	.amdhsa_kernel _ZN7rocprim17ROCPRIM_400000_NS6detail17trampoline_kernelINS0_14default_configENS1_27lower_bound_config_selectorIflEEZNS1_14transform_implILb0ES3_S5_N6thrust23THRUST_200600_302600_NS6detail15normal_iteratorINS8_7pointerIfNS8_11hip_rocprim5par_tENS8_11use_defaultESE_EEEENSA_INSB_IlSD_SE_SE_EEEEZNS1_13binary_searchIS3_S5_PfSG_SI_NS1_21lower_bound_search_opENS9_16wrapped_functionI11custom_lessbEEEE10hipError_tPvRmT1_T2_T3_mmT4_T5_P12ihipStream_tbEUlRKfE_EESP_ST_SU_mSV_SY_bEUlT_E_NS1_11comp_targetILNS1_3genE10ELNS1_11target_archE1201ELNS1_3gpuE5ELNS1_3repE0EEENS1_30default_config_static_selectorELNS0_4arch9wavefront6targetE0EEEvSS_
		.amdhsa_group_segment_fixed_size 0
		.amdhsa_private_segment_fixed_size 0
		.amdhsa_kernarg_size 56
		.amdhsa_user_sgpr_count 6
		.amdhsa_user_sgpr_private_segment_buffer 1
		.amdhsa_user_sgpr_dispatch_ptr 0
		.amdhsa_user_sgpr_queue_ptr 0
		.amdhsa_user_sgpr_kernarg_segment_ptr 1
		.amdhsa_user_sgpr_dispatch_id 0
		.amdhsa_user_sgpr_flat_scratch_init 0
		.amdhsa_user_sgpr_private_segment_size 0
		.amdhsa_wavefront_size32 1
		.amdhsa_uses_dynamic_stack 0
		.amdhsa_system_sgpr_private_segment_wavefront_offset 0
		.amdhsa_system_sgpr_workgroup_id_x 1
		.amdhsa_system_sgpr_workgroup_id_y 0
		.amdhsa_system_sgpr_workgroup_id_z 0
		.amdhsa_system_sgpr_workgroup_info 0
		.amdhsa_system_vgpr_workitem_id 0
		.amdhsa_next_free_vgpr 1
		.amdhsa_next_free_sgpr 1
		.amdhsa_reserve_vcc 0
		.amdhsa_reserve_flat_scratch 0
		.amdhsa_float_round_mode_32 0
		.amdhsa_float_round_mode_16_64 0
		.amdhsa_float_denorm_mode_32 3
		.amdhsa_float_denorm_mode_16_64 3
		.amdhsa_dx10_clamp 1
		.amdhsa_ieee_mode 1
		.amdhsa_fp16_overflow 0
		.amdhsa_workgroup_processor_mode 1
		.amdhsa_memory_ordered 1
		.amdhsa_forward_progress 1
		.amdhsa_shared_vgpr_count 0
		.amdhsa_exception_fp_ieee_invalid_op 0
		.amdhsa_exception_fp_denorm_src 0
		.amdhsa_exception_fp_ieee_div_zero 0
		.amdhsa_exception_fp_ieee_overflow 0
		.amdhsa_exception_fp_ieee_underflow 0
		.amdhsa_exception_fp_ieee_inexact 0
		.amdhsa_exception_int_div_zero 0
	.end_amdhsa_kernel
	.section	.text._ZN7rocprim17ROCPRIM_400000_NS6detail17trampoline_kernelINS0_14default_configENS1_27lower_bound_config_selectorIflEEZNS1_14transform_implILb0ES3_S5_N6thrust23THRUST_200600_302600_NS6detail15normal_iteratorINS8_7pointerIfNS8_11hip_rocprim5par_tENS8_11use_defaultESE_EEEENSA_INSB_IlSD_SE_SE_EEEEZNS1_13binary_searchIS3_S5_PfSG_SI_NS1_21lower_bound_search_opENS9_16wrapped_functionI11custom_lessbEEEE10hipError_tPvRmT1_T2_T3_mmT4_T5_P12ihipStream_tbEUlRKfE_EESP_ST_SU_mSV_SY_bEUlT_E_NS1_11comp_targetILNS1_3genE10ELNS1_11target_archE1201ELNS1_3gpuE5ELNS1_3repE0EEENS1_30default_config_static_selectorELNS0_4arch9wavefront6targetE0EEEvSS_,"axG",@progbits,_ZN7rocprim17ROCPRIM_400000_NS6detail17trampoline_kernelINS0_14default_configENS1_27lower_bound_config_selectorIflEEZNS1_14transform_implILb0ES3_S5_N6thrust23THRUST_200600_302600_NS6detail15normal_iteratorINS8_7pointerIfNS8_11hip_rocprim5par_tENS8_11use_defaultESE_EEEENSA_INSB_IlSD_SE_SE_EEEEZNS1_13binary_searchIS3_S5_PfSG_SI_NS1_21lower_bound_search_opENS9_16wrapped_functionI11custom_lessbEEEE10hipError_tPvRmT1_T2_T3_mmT4_T5_P12ihipStream_tbEUlRKfE_EESP_ST_SU_mSV_SY_bEUlT_E_NS1_11comp_targetILNS1_3genE10ELNS1_11target_archE1201ELNS1_3gpuE5ELNS1_3repE0EEENS1_30default_config_static_selectorELNS0_4arch9wavefront6targetE0EEEvSS_,comdat
.Lfunc_end29:
	.size	_ZN7rocprim17ROCPRIM_400000_NS6detail17trampoline_kernelINS0_14default_configENS1_27lower_bound_config_selectorIflEEZNS1_14transform_implILb0ES3_S5_N6thrust23THRUST_200600_302600_NS6detail15normal_iteratorINS8_7pointerIfNS8_11hip_rocprim5par_tENS8_11use_defaultESE_EEEENSA_INSB_IlSD_SE_SE_EEEEZNS1_13binary_searchIS3_S5_PfSG_SI_NS1_21lower_bound_search_opENS9_16wrapped_functionI11custom_lessbEEEE10hipError_tPvRmT1_T2_T3_mmT4_T5_P12ihipStream_tbEUlRKfE_EESP_ST_SU_mSV_SY_bEUlT_E_NS1_11comp_targetILNS1_3genE10ELNS1_11target_archE1201ELNS1_3gpuE5ELNS1_3repE0EEENS1_30default_config_static_selectorELNS0_4arch9wavefront6targetE0EEEvSS_, .Lfunc_end29-_ZN7rocprim17ROCPRIM_400000_NS6detail17trampoline_kernelINS0_14default_configENS1_27lower_bound_config_selectorIflEEZNS1_14transform_implILb0ES3_S5_N6thrust23THRUST_200600_302600_NS6detail15normal_iteratorINS8_7pointerIfNS8_11hip_rocprim5par_tENS8_11use_defaultESE_EEEENSA_INSB_IlSD_SE_SE_EEEEZNS1_13binary_searchIS3_S5_PfSG_SI_NS1_21lower_bound_search_opENS9_16wrapped_functionI11custom_lessbEEEE10hipError_tPvRmT1_T2_T3_mmT4_T5_P12ihipStream_tbEUlRKfE_EESP_ST_SU_mSV_SY_bEUlT_E_NS1_11comp_targetILNS1_3genE10ELNS1_11target_archE1201ELNS1_3gpuE5ELNS1_3repE0EEENS1_30default_config_static_selectorELNS0_4arch9wavefront6targetE0EEEvSS_
                                        ; -- End function
	.set _ZN7rocprim17ROCPRIM_400000_NS6detail17trampoline_kernelINS0_14default_configENS1_27lower_bound_config_selectorIflEEZNS1_14transform_implILb0ES3_S5_N6thrust23THRUST_200600_302600_NS6detail15normal_iteratorINS8_7pointerIfNS8_11hip_rocprim5par_tENS8_11use_defaultESE_EEEENSA_INSB_IlSD_SE_SE_EEEEZNS1_13binary_searchIS3_S5_PfSG_SI_NS1_21lower_bound_search_opENS9_16wrapped_functionI11custom_lessbEEEE10hipError_tPvRmT1_T2_T3_mmT4_T5_P12ihipStream_tbEUlRKfE_EESP_ST_SU_mSV_SY_bEUlT_E_NS1_11comp_targetILNS1_3genE10ELNS1_11target_archE1201ELNS1_3gpuE5ELNS1_3repE0EEENS1_30default_config_static_selectorELNS0_4arch9wavefront6targetE0EEEvSS_.num_vgpr, 0
	.set _ZN7rocprim17ROCPRIM_400000_NS6detail17trampoline_kernelINS0_14default_configENS1_27lower_bound_config_selectorIflEEZNS1_14transform_implILb0ES3_S5_N6thrust23THRUST_200600_302600_NS6detail15normal_iteratorINS8_7pointerIfNS8_11hip_rocprim5par_tENS8_11use_defaultESE_EEEENSA_INSB_IlSD_SE_SE_EEEEZNS1_13binary_searchIS3_S5_PfSG_SI_NS1_21lower_bound_search_opENS9_16wrapped_functionI11custom_lessbEEEE10hipError_tPvRmT1_T2_T3_mmT4_T5_P12ihipStream_tbEUlRKfE_EESP_ST_SU_mSV_SY_bEUlT_E_NS1_11comp_targetILNS1_3genE10ELNS1_11target_archE1201ELNS1_3gpuE5ELNS1_3repE0EEENS1_30default_config_static_selectorELNS0_4arch9wavefront6targetE0EEEvSS_.num_agpr, 0
	.set _ZN7rocprim17ROCPRIM_400000_NS6detail17trampoline_kernelINS0_14default_configENS1_27lower_bound_config_selectorIflEEZNS1_14transform_implILb0ES3_S5_N6thrust23THRUST_200600_302600_NS6detail15normal_iteratorINS8_7pointerIfNS8_11hip_rocprim5par_tENS8_11use_defaultESE_EEEENSA_INSB_IlSD_SE_SE_EEEEZNS1_13binary_searchIS3_S5_PfSG_SI_NS1_21lower_bound_search_opENS9_16wrapped_functionI11custom_lessbEEEE10hipError_tPvRmT1_T2_T3_mmT4_T5_P12ihipStream_tbEUlRKfE_EESP_ST_SU_mSV_SY_bEUlT_E_NS1_11comp_targetILNS1_3genE10ELNS1_11target_archE1201ELNS1_3gpuE5ELNS1_3repE0EEENS1_30default_config_static_selectorELNS0_4arch9wavefront6targetE0EEEvSS_.numbered_sgpr, 0
	.set _ZN7rocprim17ROCPRIM_400000_NS6detail17trampoline_kernelINS0_14default_configENS1_27lower_bound_config_selectorIflEEZNS1_14transform_implILb0ES3_S5_N6thrust23THRUST_200600_302600_NS6detail15normal_iteratorINS8_7pointerIfNS8_11hip_rocprim5par_tENS8_11use_defaultESE_EEEENSA_INSB_IlSD_SE_SE_EEEEZNS1_13binary_searchIS3_S5_PfSG_SI_NS1_21lower_bound_search_opENS9_16wrapped_functionI11custom_lessbEEEE10hipError_tPvRmT1_T2_T3_mmT4_T5_P12ihipStream_tbEUlRKfE_EESP_ST_SU_mSV_SY_bEUlT_E_NS1_11comp_targetILNS1_3genE10ELNS1_11target_archE1201ELNS1_3gpuE5ELNS1_3repE0EEENS1_30default_config_static_selectorELNS0_4arch9wavefront6targetE0EEEvSS_.num_named_barrier, 0
	.set _ZN7rocprim17ROCPRIM_400000_NS6detail17trampoline_kernelINS0_14default_configENS1_27lower_bound_config_selectorIflEEZNS1_14transform_implILb0ES3_S5_N6thrust23THRUST_200600_302600_NS6detail15normal_iteratorINS8_7pointerIfNS8_11hip_rocprim5par_tENS8_11use_defaultESE_EEEENSA_INSB_IlSD_SE_SE_EEEEZNS1_13binary_searchIS3_S5_PfSG_SI_NS1_21lower_bound_search_opENS9_16wrapped_functionI11custom_lessbEEEE10hipError_tPvRmT1_T2_T3_mmT4_T5_P12ihipStream_tbEUlRKfE_EESP_ST_SU_mSV_SY_bEUlT_E_NS1_11comp_targetILNS1_3genE10ELNS1_11target_archE1201ELNS1_3gpuE5ELNS1_3repE0EEENS1_30default_config_static_selectorELNS0_4arch9wavefront6targetE0EEEvSS_.private_seg_size, 0
	.set _ZN7rocprim17ROCPRIM_400000_NS6detail17trampoline_kernelINS0_14default_configENS1_27lower_bound_config_selectorIflEEZNS1_14transform_implILb0ES3_S5_N6thrust23THRUST_200600_302600_NS6detail15normal_iteratorINS8_7pointerIfNS8_11hip_rocprim5par_tENS8_11use_defaultESE_EEEENSA_INSB_IlSD_SE_SE_EEEEZNS1_13binary_searchIS3_S5_PfSG_SI_NS1_21lower_bound_search_opENS9_16wrapped_functionI11custom_lessbEEEE10hipError_tPvRmT1_T2_T3_mmT4_T5_P12ihipStream_tbEUlRKfE_EESP_ST_SU_mSV_SY_bEUlT_E_NS1_11comp_targetILNS1_3genE10ELNS1_11target_archE1201ELNS1_3gpuE5ELNS1_3repE0EEENS1_30default_config_static_selectorELNS0_4arch9wavefront6targetE0EEEvSS_.uses_vcc, 0
	.set _ZN7rocprim17ROCPRIM_400000_NS6detail17trampoline_kernelINS0_14default_configENS1_27lower_bound_config_selectorIflEEZNS1_14transform_implILb0ES3_S5_N6thrust23THRUST_200600_302600_NS6detail15normal_iteratorINS8_7pointerIfNS8_11hip_rocprim5par_tENS8_11use_defaultESE_EEEENSA_INSB_IlSD_SE_SE_EEEEZNS1_13binary_searchIS3_S5_PfSG_SI_NS1_21lower_bound_search_opENS9_16wrapped_functionI11custom_lessbEEEE10hipError_tPvRmT1_T2_T3_mmT4_T5_P12ihipStream_tbEUlRKfE_EESP_ST_SU_mSV_SY_bEUlT_E_NS1_11comp_targetILNS1_3genE10ELNS1_11target_archE1201ELNS1_3gpuE5ELNS1_3repE0EEENS1_30default_config_static_selectorELNS0_4arch9wavefront6targetE0EEEvSS_.uses_flat_scratch, 0
	.set _ZN7rocprim17ROCPRIM_400000_NS6detail17trampoline_kernelINS0_14default_configENS1_27lower_bound_config_selectorIflEEZNS1_14transform_implILb0ES3_S5_N6thrust23THRUST_200600_302600_NS6detail15normal_iteratorINS8_7pointerIfNS8_11hip_rocprim5par_tENS8_11use_defaultESE_EEEENSA_INSB_IlSD_SE_SE_EEEEZNS1_13binary_searchIS3_S5_PfSG_SI_NS1_21lower_bound_search_opENS9_16wrapped_functionI11custom_lessbEEEE10hipError_tPvRmT1_T2_T3_mmT4_T5_P12ihipStream_tbEUlRKfE_EESP_ST_SU_mSV_SY_bEUlT_E_NS1_11comp_targetILNS1_3genE10ELNS1_11target_archE1201ELNS1_3gpuE5ELNS1_3repE0EEENS1_30default_config_static_selectorELNS0_4arch9wavefront6targetE0EEEvSS_.has_dyn_sized_stack, 0
	.set _ZN7rocprim17ROCPRIM_400000_NS6detail17trampoline_kernelINS0_14default_configENS1_27lower_bound_config_selectorIflEEZNS1_14transform_implILb0ES3_S5_N6thrust23THRUST_200600_302600_NS6detail15normal_iteratorINS8_7pointerIfNS8_11hip_rocprim5par_tENS8_11use_defaultESE_EEEENSA_INSB_IlSD_SE_SE_EEEEZNS1_13binary_searchIS3_S5_PfSG_SI_NS1_21lower_bound_search_opENS9_16wrapped_functionI11custom_lessbEEEE10hipError_tPvRmT1_T2_T3_mmT4_T5_P12ihipStream_tbEUlRKfE_EESP_ST_SU_mSV_SY_bEUlT_E_NS1_11comp_targetILNS1_3genE10ELNS1_11target_archE1201ELNS1_3gpuE5ELNS1_3repE0EEENS1_30default_config_static_selectorELNS0_4arch9wavefront6targetE0EEEvSS_.has_recursion, 0
	.set _ZN7rocprim17ROCPRIM_400000_NS6detail17trampoline_kernelINS0_14default_configENS1_27lower_bound_config_selectorIflEEZNS1_14transform_implILb0ES3_S5_N6thrust23THRUST_200600_302600_NS6detail15normal_iteratorINS8_7pointerIfNS8_11hip_rocprim5par_tENS8_11use_defaultESE_EEEENSA_INSB_IlSD_SE_SE_EEEEZNS1_13binary_searchIS3_S5_PfSG_SI_NS1_21lower_bound_search_opENS9_16wrapped_functionI11custom_lessbEEEE10hipError_tPvRmT1_T2_T3_mmT4_T5_P12ihipStream_tbEUlRKfE_EESP_ST_SU_mSV_SY_bEUlT_E_NS1_11comp_targetILNS1_3genE10ELNS1_11target_archE1201ELNS1_3gpuE5ELNS1_3repE0EEENS1_30default_config_static_selectorELNS0_4arch9wavefront6targetE0EEEvSS_.has_indirect_call, 0
	.section	.AMDGPU.csdata,"",@progbits
; Kernel info:
; codeLenInByte = 0
; TotalNumSgprs: 0
; NumVgprs: 0
; ScratchSize: 0
; MemoryBound: 0
; FloatMode: 240
; IeeeMode: 1
; LDSByteSize: 0 bytes/workgroup (compile time only)
; SGPRBlocks: 0
; VGPRBlocks: 0
; NumSGPRsForWavesPerEU: 1
; NumVGPRsForWavesPerEU: 1
; Occupancy: 16
; WaveLimiterHint : 0
; COMPUTE_PGM_RSRC2:SCRATCH_EN: 0
; COMPUTE_PGM_RSRC2:USER_SGPR: 6
; COMPUTE_PGM_RSRC2:TRAP_HANDLER: 0
; COMPUTE_PGM_RSRC2:TGID_X_EN: 1
; COMPUTE_PGM_RSRC2:TGID_Y_EN: 0
; COMPUTE_PGM_RSRC2:TGID_Z_EN: 0
; COMPUTE_PGM_RSRC2:TIDIG_COMP_CNT: 0
	.section	.text._ZN7rocprim17ROCPRIM_400000_NS6detail17trampoline_kernelINS0_14default_configENS1_27lower_bound_config_selectorIflEEZNS1_14transform_implILb0ES3_S5_N6thrust23THRUST_200600_302600_NS6detail15normal_iteratorINS8_7pointerIfNS8_11hip_rocprim5par_tENS8_11use_defaultESE_EEEENSA_INSB_IlSD_SE_SE_EEEEZNS1_13binary_searchIS3_S5_PfSG_SI_NS1_21lower_bound_search_opENS9_16wrapped_functionI11custom_lessbEEEE10hipError_tPvRmT1_T2_T3_mmT4_T5_P12ihipStream_tbEUlRKfE_EESP_ST_SU_mSV_SY_bEUlT_E_NS1_11comp_targetILNS1_3genE10ELNS1_11target_archE1200ELNS1_3gpuE4ELNS1_3repE0EEENS1_30default_config_static_selectorELNS0_4arch9wavefront6targetE0EEEvSS_,"axG",@progbits,_ZN7rocprim17ROCPRIM_400000_NS6detail17trampoline_kernelINS0_14default_configENS1_27lower_bound_config_selectorIflEEZNS1_14transform_implILb0ES3_S5_N6thrust23THRUST_200600_302600_NS6detail15normal_iteratorINS8_7pointerIfNS8_11hip_rocprim5par_tENS8_11use_defaultESE_EEEENSA_INSB_IlSD_SE_SE_EEEEZNS1_13binary_searchIS3_S5_PfSG_SI_NS1_21lower_bound_search_opENS9_16wrapped_functionI11custom_lessbEEEE10hipError_tPvRmT1_T2_T3_mmT4_T5_P12ihipStream_tbEUlRKfE_EESP_ST_SU_mSV_SY_bEUlT_E_NS1_11comp_targetILNS1_3genE10ELNS1_11target_archE1200ELNS1_3gpuE4ELNS1_3repE0EEENS1_30default_config_static_selectorELNS0_4arch9wavefront6targetE0EEEvSS_,comdat
	.protected	_ZN7rocprim17ROCPRIM_400000_NS6detail17trampoline_kernelINS0_14default_configENS1_27lower_bound_config_selectorIflEEZNS1_14transform_implILb0ES3_S5_N6thrust23THRUST_200600_302600_NS6detail15normal_iteratorINS8_7pointerIfNS8_11hip_rocprim5par_tENS8_11use_defaultESE_EEEENSA_INSB_IlSD_SE_SE_EEEEZNS1_13binary_searchIS3_S5_PfSG_SI_NS1_21lower_bound_search_opENS9_16wrapped_functionI11custom_lessbEEEE10hipError_tPvRmT1_T2_T3_mmT4_T5_P12ihipStream_tbEUlRKfE_EESP_ST_SU_mSV_SY_bEUlT_E_NS1_11comp_targetILNS1_3genE10ELNS1_11target_archE1200ELNS1_3gpuE4ELNS1_3repE0EEENS1_30default_config_static_selectorELNS0_4arch9wavefront6targetE0EEEvSS_ ; -- Begin function _ZN7rocprim17ROCPRIM_400000_NS6detail17trampoline_kernelINS0_14default_configENS1_27lower_bound_config_selectorIflEEZNS1_14transform_implILb0ES3_S5_N6thrust23THRUST_200600_302600_NS6detail15normal_iteratorINS8_7pointerIfNS8_11hip_rocprim5par_tENS8_11use_defaultESE_EEEENSA_INSB_IlSD_SE_SE_EEEEZNS1_13binary_searchIS3_S5_PfSG_SI_NS1_21lower_bound_search_opENS9_16wrapped_functionI11custom_lessbEEEE10hipError_tPvRmT1_T2_T3_mmT4_T5_P12ihipStream_tbEUlRKfE_EESP_ST_SU_mSV_SY_bEUlT_E_NS1_11comp_targetILNS1_3genE10ELNS1_11target_archE1200ELNS1_3gpuE4ELNS1_3repE0EEENS1_30default_config_static_selectorELNS0_4arch9wavefront6targetE0EEEvSS_
	.globl	_ZN7rocprim17ROCPRIM_400000_NS6detail17trampoline_kernelINS0_14default_configENS1_27lower_bound_config_selectorIflEEZNS1_14transform_implILb0ES3_S5_N6thrust23THRUST_200600_302600_NS6detail15normal_iteratorINS8_7pointerIfNS8_11hip_rocprim5par_tENS8_11use_defaultESE_EEEENSA_INSB_IlSD_SE_SE_EEEEZNS1_13binary_searchIS3_S5_PfSG_SI_NS1_21lower_bound_search_opENS9_16wrapped_functionI11custom_lessbEEEE10hipError_tPvRmT1_T2_T3_mmT4_T5_P12ihipStream_tbEUlRKfE_EESP_ST_SU_mSV_SY_bEUlT_E_NS1_11comp_targetILNS1_3genE10ELNS1_11target_archE1200ELNS1_3gpuE4ELNS1_3repE0EEENS1_30default_config_static_selectorELNS0_4arch9wavefront6targetE0EEEvSS_
	.p2align	8
	.type	_ZN7rocprim17ROCPRIM_400000_NS6detail17trampoline_kernelINS0_14default_configENS1_27lower_bound_config_selectorIflEEZNS1_14transform_implILb0ES3_S5_N6thrust23THRUST_200600_302600_NS6detail15normal_iteratorINS8_7pointerIfNS8_11hip_rocprim5par_tENS8_11use_defaultESE_EEEENSA_INSB_IlSD_SE_SE_EEEEZNS1_13binary_searchIS3_S5_PfSG_SI_NS1_21lower_bound_search_opENS9_16wrapped_functionI11custom_lessbEEEE10hipError_tPvRmT1_T2_T3_mmT4_T5_P12ihipStream_tbEUlRKfE_EESP_ST_SU_mSV_SY_bEUlT_E_NS1_11comp_targetILNS1_3genE10ELNS1_11target_archE1200ELNS1_3gpuE4ELNS1_3repE0EEENS1_30default_config_static_selectorELNS0_4arch9wavefront6targetE0EEEvSS_,@function
_ZN7rocprim17ROCPRIM_400000_NS6detail17trampoline_kernelINS0_14default_configENS1_27lower_bound_config_selectorIflEEZNS1_14transform_implILb0ES3_S5_N6thrust23THRUST_200600_302600_NS6detail15normal_iteratorINS8_7pointerIfNS8_11hip_rocprim5par_tENS8_11use_defaultESE_EEEENSA_INSB_IlSD_SE_SE_EEEEZNS1_13binary_searchIS3_S5_PfSG_SI_NS1_21lower_bound_search_opENS9_16wrapped_functionI11custom_lessbEEEE10hipError_tPvRmT1_T2_T3_mmT4_T5_P12ihipStream_tbEUlRKfE_EESP_ST_SU_mSV_SY_bEUlT_E_NS1_11comp_targetILNS1_3genE10ELNS1_11target_archE1200ELNS1_3gpuE4ELNS1_3repE0EEENS1_30default_config_static_selectorELNS0_4arch9wavefront6targetE0EEEvSS_: ; @_ZN7rocprim17ROCPRIM_400000_NS6detail17trampoline_kernelINS0_14default_configENS1_27lower_bound_config_selectorIflEEZNS1_14transform_implILb0ES3_S5_N6thrust23THRUST_200600_302600_NS6detail15normal_iteratorINS8_7pointerIfNS8_11hip_rocprim5par_tENS8_11use_defaultESE_EEEENSA_INSB_IlSD_SE_SE_EEEEZNS1_13binary_searchIS3_S5_PfSG_SI_NS1_21lower_bound_search_opENS9_16wrapped_functionI11custom_lessbEEEE10hipError_tPvRmT1_T2_T3_mmT4_T5_P12ihipStream_tbEUlRKfE_EESP_ST_SU_mSV_SY_bEUlT_E_NS1_11comp_targetILNS1_3genE10ELNS1_11target_archE1200ELNS1_3gpuE4ELNS1_3repE0EEENS1_30default_config_static_selectorELNS0_4arch9wavefront6targetE0EEEvSS_
; %bb.0:
	.section	.rodata,"a",@progbits
	.p2align	6, 0x0
	.amdhsa_kernel _ZN7rocprim17ROCPRIM_400000_NS6detail17trampoline_kernelINS0_14default_configENS1_27lower_bound_config_selectorIflEEZNS1_14transform_implILb0ES3_S5_N6thrust23THRUST_200600_302600_NS6detail15normal_iteratorINS8_7pointerIfNS8_11hip_rocprim5par_tENS8_11use_defaultESE_EEEENSA_INSB_IlSD_SE_SE_EEEEZNS1_13binary_searchIS3_S5_PfSG_SI_NS1_21lower_bound_search_opENS9_16wrapped_functionI11custom_lessbEEEE10hipError_tPvRmT1_T2_T3_mmT4_T5_P12ihipStream_tbEUlRKfE_EESP_ST_SU_mSV_SY_bEUlT_E_NS1_11comp_targetILNS1_3genE10ELNS1_11target_archE1200ELNS1_3gpuE4ELNS1_3repE0EEENS1_30default_config_static_selectorELNS0_4arch9wavefront6targetE0EEEvSS_
		.amdhsa_group_segment_fixed_size 0
		.amdhsa_private_segment_fixed_size 0
		.amdhsa_kernarg_size 56
		.amdhsa_user_sgpr_count 6
		.amdhsa_user_sgpr_private_segment_buffer 1
		.amdhsa_user_sgpr_dispatch_ptr 0
		.amdhsa_user_sgpr_queue_ptr 0
		.amdhsa_user_sgpr_kernarg_segment_ptr 1
		.amdhsa_user_sgpr_dispatch_id 0
		.amdhsa_user_sgpr_flat_scratch_init 0
		.amdhsa_user_sgpr_private_segment_size 0
		.amdhsa_wavefront_size32 1
		.amdhsa_uses_dynamic_stack 0
		.amdhsa_system_sgpr_private_segment_wavefront_offset 0
		.amdhsa_system_sgpr_workgroup_id_x 1
		.amdhsa_system_sgpr_workgroup_id_y 0
		.amdhsa_system_sgpr_workgroup_id_z 0
		.amdhsa_system_sgpr_workgroup_info 0
		.amdhsa_system_vgpr_workitem_id 0
		.amdhsa_next_free_vgpr 1
		.amdhsa_next_free_sgpr 1
		.amdhsa_reserve_vcc 0
		.amdhsa_reserve_flat_scratch 0
		.amdhsa_float_round_mode_32 0
		.amdhsa_float_round_mode_16_64 0
		.amdhsa_float_denorm_mode_32 3
		.amdhsa_float_denorm_mode_16_64 3
		.amdhsa_dx10_clamp 1
		.amdhsa_ieee_mode 1
		.amdhsa_fp16_overflow 0
		.amdhsa_workgroup_processor_mode 1
		.amdhsa_memory_ordered 1
		.amdhsa_forward_progress 1
		.amdhsa_shared_vgpr_count 0
		.amdhsa_exception_fp_ieee_invalid_op 0
		.amdhsa_exception_fp_denorm_src 0
		.amdhsa_exception_fp_ieee_div_zero 0
		.amdhsa_exception_fp_ieee_overflow 0
		.amdhsa_exception_fp_ieee_underflow 0
		.amdhsa_exception_fp_ieee_inexact 0
		.amdhsa_exception_int_div_zero 0
	.end_amdhsa_kernel
	.section	.text._ZN7rocprim17ROCPRIM_400000_NS6detail17trampoline_kernelINS0_14default_configENS1_27lower_bound_config_selectorIflEEZNS1_14transform_implILb0ES3_S5_N6thrust23THRUST_200600_302600_NS6detail15normal_iteratorINS8_7pointerIfNS8_11hip_rocprim5par_tENS8_11use_defaultESE_EEEENSA_INSB_IlSD_SE_SE_EEEEZNS1_13binary_searchIS3_S5_PfSG_SI_NS1_21lower_bound_search_opENS9_16wrapped_functionI11custom_lessbEEEE10hipError_tPvRmT1_T2_T3_mmT4_T5_P12ihipStream_tbEUlRKfE_EESP_ST_SU_mSV_SY_bEUlT_E_NS1_11comp_targetILNS1_3genE10ELNS1_11target_archE1200ELNS1_3gpuE4ELNS1_3repE0EEENS1_30default_config_static_selectorELNS0_4arch9wavefront6targetE0EEEvSS_,"axG",@progbits,_ZN7rocprim17ROCPRIM_400000_NS6detail17trampoline_kernelINS0_14default_configENS1_27lower_bound_config_selectorIflEEZNS1_14transform_implILb0ES3_S5_N6thrust23THRUST_200600_302600_NS6detail15normal_iteratorINS8_7pointerIfNS8_11hip_rocprim5par_tENS8_11use_defaultESE_EEEENSA_INSB_IlSD_SE_SE_EEEEZNS1_13binary_searchIS3_S5_PfSG_SI_NS1_21lower_bound_search_opENS9_16wrapped_functionI11custom_lessbEEEE10hipError_tPvRmT1_T2_T3_mmT4_T5_P12ihipStream_tbEUlRKfE_EESP_ST_SU_mSV_SY_bEUlT_E_NS1_11comp_targetILNS1_3genE10ELNS1_11target_archE1200ELNS1_3gpuE4ELNS1_3repE0EEENS1_30default_config_static_selectorELNS0_4arch9wavefront6targetE0EEEvSS_,comdat
.Lfunc_end30:
	.size	_ZN7rocprim17ROCPRIM_400000_NS6detail17trampoline_kernelINS0_14default_configENS1_27lower_bound_config_selectorIflEEZNS1_14transform_implILb0ES3_S5_N6thrust23THRUST_200600_302600_NS6detail15normal_iteratorINS8_7pointerIfNS8_11hip_rocprim5par_tENS8_11use_defaultESE_EEEENSA_INSB_IlSD_SE_SE_EEEEZNS1_13binary_searchIS3_S5_PfSG_SI_NS1_21lower_bound_search_opENS9_16wrapped_functionI11custom_lessbEEEE10hipError_tPvRmT1_T2_T3_mmT4_T5_P12ihipStream_tbEUlRKfE_EESP_ST_SU_mSV_SY_bEUlT_E_NS1_11comp_targetILNS1_3genE10ELNS1_11target_archE1200ELNS1_3gpuE4ELNS1_3repE0EEENS1_30default_config_static_selectorELNS0_4arch9wavefront6targetE0EEEvSS_, .Lfunc_end30-_ZN7rocprim17ROCPRIM_400000_NS6detail17trampoline_kernelINS0_14default_configENS1_27lower_bound_config_selectorIflEEZNS1_14transform_implILb0ES3_S5_N6thrust23THRUST_200600_302600_NS6detail15normal_iteratorINS8_7pointerIfNS8_11hip_rocprim5par_tENS8_11use_defaultESE_EEEENSA_INSB_IlSD_SE_SE_EEEEZNS1_13binary_searchIS3_S5_PfSG_SI_NS1_21lower_bound_search_opENS9_16wrapped_functionI11custom_lessbEEEE10hipError_tPvRmT1_T2_T3_mmT4_T5_P12ihipStream_tbEUlRKfE_EESP_ST_SU_mSV_SY_bEUlT_E_NS1_11comp_targetILNS1_3genE10ELNS1_11target_archE1200ELNS1_3gpuE4ELNS1_3repE0EEENS1_30default_config_static_selectorELNS0_4arch9wavefront6targetE0EEEvSS_
                                        ; -- End function
	.set _ZN7rocprim17ROCPRIM_400000_NS6detail17trampoline_kernelINS0_14default_configENS1_27lower_bound_config_selectorIflEEZNS1_14transform_implILb0ES3_S5_N6thrust23THRUST_200600_302600_NS6detail15normal_iteratorINS8_7pointerIfNS8_11hip_rocprim5par_tENS8_11use_defaultESE_EEEENSA_INSB_IlSD_SE_SE_EEEEZNS1_13binary_searchIS3_S5_PfSG_SI_NS1_21lower_bound_search_opENS9_16wrapped_functionI11custom_lessbEEEE10hipError_tPvRmT1_T2_T3_mmT4_T5_P12ihipStream_tbEUlRKfE_EESP_ST_SU_mSV_SY_bEUlT_E_NS1_11comp_targetILNS1_3genE10ELNS1_11target_archE1200ELNS1_3gpuE4ELNS1_3repE0EEENS1_30default_config_static_selectorELNS0_4arch9wavefront6targetE0EEEvSS_.num_vgpr, 0
	.set _ZN7rocprim17ROCPRIM_400000_NS6detail17trampoline_kernelINS0_14default_configENS1_27lower_bound_config_selectorIflEEZNS1_14transform_implILb0ES3_S5_N6thrust23THRUST_200600_302600_NS6detail15normal_iteratorINS8_7pointerIfNS8_11hip_rocprim5par_tENS8_11use_defaultESE_EEEENSA_INSB_IlSD_SE_SE_EEEEZNS1_13binary_searchIS3_S5_PfSG_SI_NS1_21lower_bound_search_opENS9_16wrapped_functionI11custom_lessbEEEE10hipError_tPvRmT1_T2_T3_mmT4_T5_P12ihipStream_tbEUlRKfE_EESP_ST_SU_mSV_SY_bEUlT_E_NS1_11comp_targetILNS1_3genE10ELNS1_11target_archE1200ELNS1_3gpuE4ELNS1_3repE0EEENS1_30default_config_static_selectorELNS0_4arch9wavefront6targetE0EEEvSS_.num_agpr, 0
	.set _ZN7rocprim17ROCPRIM_400000_NS6detail17trampoline_kernelINS0_14default_configENS1_27lower_bound_config_selectorIflEEZNS1_14transform_implILb0ES3_S5_N6thrust23THRUST_200600_302600_NS6detail15normal_iteratorINS8_7pointerIfNS8_11hip_rocprim5par_tENS8_11use_defaultESE_EEEENSA_INSB_IlSD_SE_SE_EEEEZNS1_13binary_searchIS3_S5_PfSG_SI_NS1_21lower_bound_search_opENS9_16wrapped_functionI11custom_lessbEEEE10hipError_tPvRmT1_T2_T3_mmT4_T5_P12ihipStream_tbEUlRKfE_EESP_ST_SU_mSV_SY_bEUlT_E_NS1_11comp_targetILNS1_3genE10ELNS1_11target_archE1200ELNS1_3gpuE4ELNS1_3repE0EEENS1_30default_config_static_selectorELNS0_4arch9wavefront6targetE0EEEvSS_.numbered_sgpr, 0
	.set _ZN7rocprim17ROCPRIM_400000_NS6detail17trampoline_kernelINS0_14default_configENS1_27lower_bound_config_selectorIflEEZNS1_14transform_implILb0ES3_S5_N6thrust23THRUST_200600_302600_NS6detail15normal_iteratorINS8_7pointerIfNS8_11hip_rocprim5par_tENS8_11use_defaultESE_EEEENSA_INSB_IlSD_SE_SE_EEEEZNS1_13binary_searchIS3_S5_PfSG_SI_NS1_21lower_bound_search_opENS9_16wrapped_functionI11custom_lessbEEEE10hipError_tPvRmT1_T2_T3_mmT4_T5_P12ihipStream_tbEUlRKfE_EESP_ST_SU_mSV_SY_bEUlT_E_NS1_11comp_targetILNS1_3genE10ELNS1_11target_archE1200ELNS1_3gpuE4ELNS1_3repE0EEENS1_30default_config_static_selectorELNS0_4arch9wavefront6targetE0EEEvSS_.num_named_barrier, 0
	.set _ZN7rocprim17ROCPRIM_400000_NS6detail17trampoline_kernelINS0_14default_configENS1_27lower_bound_config_selectorIflEEZNS1_14transform_implILb0ES3_S5_N6thrust23THRUST_200600_302600_NS6detail15normal_iteratorINS8_7pointerIfNS8_11hip_rocprim5par_tENS8_11use_defaultESE_EEEENSA_INSB_IlSD_SE_SE_EEEEZNS1_13binary_searchIS3_S5_PfSG_SI_NS1_21lower_bound_search_opENS9_16wrapped_functionI11custom_lessbEEEE10hipError_tPvRmT1_T2_T3_mmT4_T5_P12ihipStream_tbEUlRKfE_EESP_ST_SU_mSV_SY_bEUlT_E_NS1_11comp_targetILNS1_3genE10ELNS1_11target_archE1200ELNS1_3gpuE4ELNS1_3repE0EEENS1_30default_config_static_selectorELNS0_4arch9wavefront6targetE0EEEvSS_.private_seg_size, 0
	.set _ZN7rocprim17ROCPRIM_400000_NS6detail17trampoline_kernelINS0_14default_configENS1_27lower_bound_config_selectorIflEEZNS1_14transform_implILb0ES3_S5_N6thrust23THRUST_200600_302600_NS6detail15normal_iteratorINS8_7pointerIfNS8_11hip_rocprim5par_tENS8_11use_defaultESE_EEEENSA_INSB_IlSD_SE_SE_EEEEZNS1_13binary_searchIS3_S5_PfSG_SI_NS1_21lower_bound_search_opENS9_16wrapped_functionI11custom_lessbEEEE10hipError_tPvRmT1_T2_T3_mmT4_T5_P12ihipStream_tbEUlRKfE_EESP_ST_SU_mSV_SY_bEUlT_E_NS1_11comp_targetILNS1_3genE10ELNS1_11target_archE1200ELNS1_3gpuE4ELNS1_3repE0EEENS1_30default_config_static_selectorELNS0_4arch9wavefront6targetE0EEEvSS_.uses_vcc, 0
	.set _ZN7rocprim17ROCPRIM_400000_NS6detail17trampoline_kernelINS0_14default_configENS1_27lower_bound_config_selectorIflEEZNS1_14transform_implILb0ES3_S5_N6thrust23THRUST_200600_302600_NS6detail15normal_iteratorINS8_7pointerIfNS8_11hip_rocprim5par_tENS8_11use_defaultESE_EEEENSA_INSB_IlSD_SE_SE_EEEEZNS1_13binary_searchIS3_S5_PfSG_SI_NS1_21lower_bound_search_opENS9_16wrapped_functionI11custom_lessbEEEE10hipError_tPvRmT1_T2_T3_mmT4_T5_P12ihipStream_tbEUlRKfE_EESP_ST_SU_mSV_SY_bEUlT_E_NS1_11comp_targetILNS1_3genE10ELNS1_11target_archE1200ELNS1_3gpuE4ELNS1_3repE0EEENS1_30default_config_static_selectorELNS0_4arch9wavefront6targetE0EEEvSS_.uses_flat_scratch, 0
	.set _ZN7rocprim17ROCPRIM_400000_NS6detail17trampoline_kernelINS0_14default_configENS1_27lower_bound_config_selectorIflEEZNS1_14transform_implILb0ES3_S5_N6thrust23THRUST_200600_302600_NS6detail15normal_iteratorINS8_7pointerIfNS8_11hip_rocprim5par_tENS8_11use_defaultESE_EEEENSA_INSB_IlSD_SE_SE_EEEEZNS1_13binary_searchIS3_S5_PfSG_SI_NS1_21lower_bound_search_opENS9_16wrapped_functionI11custom_lessbEEEE10hipError_tPvRmT1_T2_T3_mmT4_T5_P12ihipStream_tbEUlRKfE_EESP_ST_SU_mSV_SY_bEUlT_E_NS1_11comp_targetILNS1_3genE10ELNS1_11target_archE1200ELNS1_3gpuE4ELNS1_3repE0EEENS1_30default_config_static_selectorELNS0_4arch9wavefront6targetE0EEEvSS_.has_dyn_sized_stack, 0
	.set _ZN7rocprim17ROCPRIM_400000_NS6detail17trampoline_kernelINS0_14default_configENS1_27lower_bound_config_selectorIflEEZNS1_14transform_implILb0ES3_S5_N6thrust23THRUST_200600_302600_NS6detail15normal_iteratorINS8_7pointerIfNS8_11hip_rocprim5par_tENS8_11use_defaultESE_EEEENSA_INSB_IlSD_SE_SE_EEEEZNS1_13binary_searchIS3_S5_PfSG_SI_NS1_21lower_bound_search_opENS9_16wrapped_functionI11custom_lessbEEEE10hipError_tPvRmT1_T2_T3_mmT4_T5_P12ihipStream_tbEUlRKfE_EESP_ST_SU_mSV_SY_bEUlT_E_NS1_11comp_targetILNS1_3genE10ELNS1_11target_archE1200ELNS1_3gpuE4ELNS1_3repE0EEENS1_30default_config_static_selectorELNS0_4arch9wavefront6targetE0EEEvSS_.has_recursion, 0
	.set _ZN7rocprim17ROCPRIM_400000_NS6detail17trampoline_kernelINS0_14default_configENS1_27lower_bound_config_selectorIflEEZNS1_14transform_implILb0ES3_S5_N6thrust23THRUST_200600_302600_NS6detail15normal_iteratorINS8_7pointerIfNS8_11hip_rocprim5par_tENS8_11use_defaultESE_EEEENSA_INSB_IlSD_SE_SE_EEEEZNS1_13binary_searchIS3_S5_PfSG_SI_NS1_21lower_bound_search_opENS9_16wrapped_functionI11custom_lessbEEEE10hipError_tPvRmT1_T2_T3_mmT4_T5_P12ihipStream_tbEUlRKfE_EESP_ST_SU_mSV_SY_bEUlT_E_NS1_11comp_targetILNS1_3genE10ELNS1_11target_archE1200ELNS1_3gpuE4ELNS1_3repE0EEENS1_30default_config_static_selectorELNS0_4arch9wavefront6targetE0EEEvSS_.has_indirect_call, 0
	.section	.AMDGPU.csdata,"",@progbits
; Kernel info:
; codeLenInByte = 0
; TotalNumSgprs: 0
; NumVgprs: 0
; ScratchSize: 0
; MemoryBound: 0
; FloatMode: 240
; IeeeMode: 1
; LDSByteSize: 0 bytes/workgroup (compile time only)
; SGPRBlocks: 0
; VGPRBlocks: 0
; NumSGPRsForWavesPerEU: 1
; NumVGPRsForWavesPerEU: 1
; Occupancy: 16
; WaveLimiterHint : 0
; COMPUTE_PGM_RSRC2:SCRATCH_EN: 0
; COMPUTE_PGM_RSRC2:USER_SGPR: 6
; COMPUTE_PGM_RSRC2:TRAP_HANDLER: 0
; COMPUTE_PGM_RSRC2:TGID_X_EN: 1
; COMPUTE_PGM_RSRC2:TGID_Y_EN: 0
; COMPUTE_PGM_RSRC2:TGID_Z_EN: 0
; COMPUTE_PGM_RSRC2:TIDIG_COMP_CNT: 0
	.section	.text._ZN7rocprim17ROCPRIM_400000_NS6detail17trampoline_kernelINS0_14default_configENS1_27lower_bound_config_selectorIflEEZNS1_14transform_implILb0ES3_S5_N6thrust23THRUST_200600_302600_NS6detail15normal_iteratorINS8_7pointerIfNS8_11hip_rocprim5par_tENS8_11use_defaultESE_EEEENSA_INSB_IlSD_SE_SE_EEEEZNS1_13binary_searchIS3_S5_PfSG_SI_NS1_21lower_bound_search_opENS9_16wrapped_functionI11custom_lessbEEEE10hipError_tPvRmT1_T2_T3_mmT4_T5_P12ihipStream_tbEUlRKfE_EESP_ST_SU_mSV_SY_bEUlT_E_NS1_11comp_targetILNS1_3genE9ELNS1_11target_archE1100ELNS1_3gpuE3ELNS1_3repE0EEENS1_30default_config_static_selectorELNS0_4arch9wavefront6targetE0EEEvSS_,"axG",@progbits,_ZN7rocprim17ROCPRIM_400000_NS6detail17trampoline_kernelINS0_14default_configENS1_27lower_bound_config_selectorIflEEZNS1_14transform_implILb0ES3_S5_N6thrust23THRUST_200600_302600_NS6detail15normal_iteratorINS8_7pointerIfNS8_11hip_rocprim5par_tENS8_11use_defaultESE_EEEENSA_INSB_IlSD_SE_SE_EEEEZNS1_13binary_searchIS3_S5_PfSG_SI_NS1_21lower_bound_search_opENS9_16wrapped_functionI11custom_lessbEEEE10hipError_tPvRmT1_T2_T3_mmT4_T5_P12ihipStream_tbEUlRKfE_EESP_ST_SU_mSV_SY_bEUlT_E_NS1_11comp_targetILNS1_3genE9ELNS1_11target_archE1100ELNS1_3gpuE3ELNS1_3repE0EEENS1_30default_config_static_selectorELNS0_4arch9wavefront6targetE0EEEvSS_,comdat
	.protected	_ZN7rocprim17ROCPRIM_400000_NS6detail17trampoline_kernelINS0_14default_configENS1_27lower_bound_config_selectorIflEEZNS1_14transform_implILb0ES3_S5_N6thrust23THRUST_200600_302600_NS6detail15normal_iteratorINS8_7pointerIfNS8_11hip_rocprim5par_tENS8_11use_defaultESE_EEEENSA_INSB_IlSD_SE_SE_EEEEZNS1_13binary_searchIS3_S5_PfSG_SI_NS1_21lower_bound_search_opENS9_16wrapped_functionI11custom_lessbEEEE10hipError_tPvRmT1_T2_T3_mmT4_T5_P12ihipStream_tbEUlRKfE_EESP_ST_SU_mSV_SY_bEUlT_E_NS1_11comp_targetILNS1_3genE9ELNS1_11target_archE1100ELNS1_3gpuE3ELNS1_3repE0EEENS1_30default_config_static_selectorELNS0_4arch9wavefront6targetE0EEEvSS_ ; -- Begin function _ZN7rocprim17ROCPRIM_400000_NS6detail17trampoline_kernelINS0_14default_configENS1_27lower_bound_config_selectorIflEEZNS1_14transform_implILb0ES3_S5_N6thrust23THRUST_200600_302600_NS6detail15normal_iteratorINS8_7pointerIfNS8_11hip_rocprim5par_tENS8_11use_defaultESE_EEEENSA_INSB_IlSD_SE_SE_EEEEZNS1_13binary_searchIS3_S5_PfSG_SI_NS1_21lower_bound_search_opENS9_16wrapped_functionI11custom_lessbEEEE10hipError_tPvRmT1_T2_T3_mmT4_T5_P12ihipStream_tbEUlRKfE_EESP_ST_SU_mSV_SY_bEUlT_E_NS1_11comp_targetILNS1_3genE9ELNS1_11target_archE1100ELNS1_3gpuE3ELNS1_3repE0EEENS1_30default_config_static_selectorELNS0_4arch9wavefront6targetE0EEEvSS_
	.globl	_ZN7rocprim17ROCPRIM_400000_NS6detail17trampoline_kernelINS0_14default_configENS1_27lower_bound_config_selectorIflEEZNS1_14transform_implILb0ES3_S5_N6thrust23THRUST_200600_302600_NS6detail15normal_iteratorINS8_7pointerIfNS8_11hip_rocprim5par_tENS8_11use_defaultESE_EEEENSA_INSB_IlSD_SE_SE_EEEEZNS1_13binary_searchIS3_S5_PfSG_SI_NS1_21lower_bound_search_opENS9_16wrapped_functionI11custom_lessbEEEE10hipError_tPvRmT1_T2_T3_mmT4_T5_P12ihipStream_tbEUlRKfE_EESP_ST_SU_mSV_SY_bEUlT_E_NS1_11comp_targetILNS1_3genE9ELNS1_11target_archE1100ELNS1_3gpuE3ELNS1_3repE0EEENS1_30default_config_static_selectorELNS0_4arch9wavefront6targetE0EEEvSS_
	.p2align	8
	.type	_ZN7rocprim17ROCPRIM_400000_NS6detail17trampoline_kernelINS0_14default_configENS1_27lower_bound_config_selectorIflEEZNS1_14transform_implILb0ES3_S5_N6thrust23THRUST_200600_302600_NS6detail15normal_iteratorINS8_7pointerIfNS8_11hip_rocprim5par_tENS8_11use_defaultESE_EEEENSA_INSB_IlSD_SE_SE_EEEEZNS1_13binary_searchIS3_S5_PfSG_SI_NS1_21lower_bound_search_opENS9_16wrapped_functionI11custom_lessbEEEE10hipError_tPvRmT1_T2_T3_mmT4_T5_P12ihipStream_tbEUlRKfE_EESP_ST_SU_mSV_SY_bEUlT_E_NS1_11comp_targetILNS1_3genE9ELNS1_11target_archE1100ELNS1_3gpuE3ELNS1_3repE0EEENS1_30default_config_static_selectorELNS0_4arch9wavefront6targetE0EEEvSS_,@function
_ZN7rocprim17ROCPRIM_400000_NS6detail17trampoline_kernelINS0_14default_configENS1_27lower_bound_config_selectorIflEEZNS1_14transform_implILb0ES3_S5_N6thrust23THRUST_200600_302600_NS6detail15normal_iteratorINS8_7pointerIfNS8_11hip_rocprim5par_tENS8_11use_defaultESE_EEEENSA_INSB_IlSD_SE_SE_EEEEZNS1_13binary_searchIS3_S5_PfSG_SI_NS1_21lower_bound_search_opENS9_16wrapped_functionI11custom_lessbEEEE10hipError_tPvRmT1_T2_T3_mmT4_T5_P12ihipStream_tbEUlRKfE_EESP_ST_SU_mSV_SY_bEUlT_E_NS1_11comp_targetILNS1_3genE9ELNS1_11target_archE1100ELNS1_3gpuE3ELNS1_3repE0EEENS1_30default_config_static_selectorELNS0_4arch9wavefront6targetE0EEEvSS_: ; @_ZN7rocprim17ROCPRIM_400000_NS6detail17trampoline_kernelINS0_14default_configENS1_27lower_bound_config_selectorIflEEZNS1_14transform_implILb0ES3_S5_N6thrust23THRUST_200600_302600_NS6detail15normal_iteratorINS8_7pointerIfNS8_11hip_rocprim5par_tENS8_11use_defaultESE_EEEENSA_INSB_IlSD_SE_SE_EEEEZNS1_13binary_searchIS3_S5_PfSG_SI_NS1_21lower_bound_search_opENS9_16wrapped_functionI11custom_lessbEEEE10hipError_tPvRmT1_T2_T3_mmT4_T5_P12ihipStream_tbEUlRKfE_EESP_ST_SU_mSV_SY_bEUlT_E_NS1_11comp_targetILNS1_3genE9ELNS1_11target_archE1100ELNS1_3gpuE3ELNS1_3repE0EEENS1_30default_config_static_selectorELNS0_4arch9wavefront6targetE0EEEvSS_
; %bb.0:
	.section	.rodata,"a",@progbits
	.p2align	6, 0x0
	.amdhsa_kernel _ZN7rocprim17ROCPRIM_400000_NS6detail17trampoline_kernelINS0_14default_configENS1_27lower_bound_config_selectorIflEEZNS1_14transform_implILb0ES3_S5_N6thrust23THRUST_200600_302600_NS6detail15normal_iteratorINS8_7pointerIfNS8_11hip_rocprim5par_tENS8_11use_defaultESE_EEEENSA_INSB_IlSD_SE_SE_EEEEZNS1_13binary_searchIS3_S5_PfSG_SI_NS1_21lower_bound_search_opENS9_16wrapped_functionI11custom_lessbEEEE10hipError_tPvRmT1_T2_T3_mmT4_T5_P12ihipStream_tbEUlRKfE_EESP_ST_SU_mSV_SY_bEUlT_E_NS1_11comp_targetILNS1_3genE9ELNS1_11target_archE1100ELNS1_3gpuE3ELNS1_3repE0EEENS1_30default_config_static_selectorELNS0_4arch9wavefront6targetE0EEEvSS_
		.amdhsa_group_segment_fixed_size 0
		.amdhsa_private_segment_fixed_size 0
		.amdhsa_kernarg_size 56
		.amdhsa_user_sgpr_count 6
		.amdhsa_user_sgpr_private_segment_buffer 1
		.amdhsa_user_sgpr_dispatch_ptr 0
		.amdhsa_user_sgpr_queue_ptr 0
		.amdhsa_user_sgpr_kernarg_segment_ptr 1
		.amdhsa_user_sgpr_dispatch_id 0
		.amdhsa_user_sgpr_flat_scratch_init 0
		.amdhsa_user_sgpr_private_segment_size 0
		.amdhsa_wavefront_size32 1
		.amdhsa_uses_dynamic_stack 0
		.amdhsa_system_sgpr_private_segment_wavefront_offset 0
		.amdhsa_system_sgpr_workgroup_id_x 1
		.amdhsa_system_sgpr_workgroup_id_y 0
		.amdhsa_system_sgpr_workgroup_id_z 0
		.amdhsa_system_sgpr_workgroup_info 0
		.amdhsa_system_vgpr_workitem_id 0
		.amdhsa_next_free_vgpr 1
		.amdhsa_next_free_sgpr 1
		.amdhsa_reserve_vcc 0
		.amdhsa_reserve_flat_scratch 0
		.amdhsa_float_round_mode_32 0
		.amdhsa_float_round_mode_16_64 0
		.amdhsa_float_denorm_mode_32 3
		.amdhsa_float_denorm_mode_16_64 3
		.amdhsa_dx10_clamp 1
		.amdhsa_ieee_mode 1
		.amdhsa_fp16_overflow 0
		.amdhsa_workgroup_processor_mode 1
		.amdhsa_memory_ordered 1
		.amdhsa_forward_progress 1
		.amdhsa_shared_vgpr_count 0
		.amdhsa_exception_fp_ieee_invalid_op 0
		.amdhsa_exception_fp_denorm_src 0
		.amdhsa_exception_fp_ieee_div_zero 0
		.amdhsa_exception_fp_ieee_overflow 0
		.amdhsa_exception_fp_ieee_underflow 0
		.amdhsa_exception_fp_ieee_inexact 0
		.amdhsa_exception_int_div_zero 0
	.end_amdhsa_kernel
	.section	.text._ZN7rocprim17ROCPRIM_400000_NS6detail17trampoline_kernelINS0_14default_configENS1_27lower_bound_config_selectorIflEEZNS1_14transform_implILb0ES3_S5_N6thrust23THRUST_200600_302600_NS6detail15normal_iteratorINS8_7pointerIfNS8_11hip_rocprim5par_tENS8_11use_defaultESE_EEEENSA_INSB_IlSD_SE_SE_EEEEZNS1_13binary_searchIS3_S5_PfSG_SI_NS1_21lower_bound_search_opENS9_16wrapped_functionI11custom_lessbEEEE10hipError_tPvRmT1_T2_T3_mmT4_T5_P12ihipStream_tbEUlRKfE_EESP_ST_SU_mSV_SY_bEUlT_E_NS1_11comp_targetILNS1_3genE9ELNS1_11target_archE1100ELNS1_3gpuE3ELNS1_3repE0EEENS1_30default_config_static_selectorELNS0_4arch9wavefront6targetE0EEEvSS_,"axG",@progbits,_ZN7rocprim17ROCPRIM_400000_NS6detail17trampoline_kernelINS0_14default_configENS1_27lower_bound_config_selectorIflEEZNS1_14transform_implILb0ES3_S5_N6thrust23THRUST_200600_302600_NS6detail15normal_iteratorINS8_7pointerIfNS8_11hip_rocprim5par_tENS8_11use_defaultESE_EEEENSA_INSB_IlSD_SE_SE_EEEEZNS1_13binary_searchIS3_S5_PfSG_SI_NS1_21lower_bound_search_opENS9_16wrapped_functionI11custom_lessbEEEE10hipError_tPvRmT1_T2_T3_mmT4_T5_P12ihipStream_tbEUlRKfE_EESP_ST_SU_mSV_SY_bEUlT_E_NS1_11comp_targetILNS1_3genE9ELNS1_11target_archE1100ELNS1_3gpuE3ELNS1_3repE0EEENS1_30default_config_static_selectorELNS0_4arch9wavefront6targetE0EEEvSS_,comdat
.Lfunc_end31:
	.size	_ZN7rocprim17ROCPRIM_400000_NS6detail17trampoline_kernelINS0_14default_configENS1_27lower_bound_config_selectorIflEEZNS1_14transform_implILb0ES3_S5_N6thrust23THRUST_200600_302600_NS6detail15normal_iteratorINS8_7pointerIfNS8_11hip_rocprim5par_tENS8_11use_defaultESE_EEEENSA_INSB_IlSD_SE_SE_EEEEZNS1_13binary_searchIS3_S5_PfSG_SI_NS1_21lower_bound_search_opENS9_16wrapped_functionI11custom_lessbEEEE10hipError_tPvRmT1_T2_T3_mmT4_T5_P12ihipStream_tbEUlRKfE_EESP_ST_SU_mSV_SY_bEUlT_E_NS1_11comp_targetILNS1_3genE9ELNS1_11target_archE1100ELNS1_3gpuE3ELNS1_3repE0EEENS1_30default_config_static_selectorELNS0_4arch9wavefront6targetE0EEEvSS_, .Lfunc_end31-_ZN7rocprim17ROCPRIM_400000_NS6detail17trampoline_kernelINS0_14default_configENS1_27lower_bound_config_selectorIflEEZNS1_14transform_implILb0ES3_S5_N6thrust23THRUST_200600_302600_NS6detail15normal_iteratorINS8_7pointerIfNS8_11hip_rocprim5par_tENS8_11use_defaultESE_EEEENSA_INSB_IlSD_SE_SE_EEEEZNS1_13binary_searchIS3_S5_PfSG_SI_NS1_21lower_bound_search_opENS9_16wrapped_functionI11custom_lessbEEEE10hipError_tPvRmT1_T2_T3_mmT4_T5_P12ihipStream_tbEUlRKfE_EESP_ST_SU_mSV_SY_bEUlT_E_NS1_11comp_targetILNS1_3genE9ELNS1_11target_archE1100ELNS1_3gpuE3ELNS1_3repE0EEENS1_30default_config_static_selectorELNS0_4arch9wavefront6targetE0EEEvSS_
                                        ; -- End function
	.set _ZN7rocprim17ROCPRIM_400000_NS6detail17trampoline_kernelINS0_14default_configENS1_27lower_bound_config_selectorIflEEZNS1_14transform_implILb0ES3_S5_N6thrust23THRUST_200600_302600_NS6detail15normal_iteratorINS8_7pointerIfNS8_11hip_rocprim5par_tENS8_11use_defaultESE_EEEENSA_INSB_IlSD_SE_SE_EEEEZNS1_13binary_searchIS3_S5_PfSG_SI_NS1_21lower_bound_search_opENS9_16wrapped_functionI11custom_lessbEEEE10hipError_tPvRmT1_T2_T3_mmT4_T5_P12ihipStream_tbEUlRKfE_EESP_ST_SU_mSV_SY_bEUlT_E_NS1_11comp_targetILNS1_3genE9ELNS1_11target_archE1100ELNS1_3gpuE3ELNS1_3repE0EEENS1_30default_config_static_selectorELNS0_4arch9wavefront6targetE0EEEvSS_.num_vgpr, 0
	.set _ZN7rocprim17ROCPRIM_400000_NS6detail17trampoline_kernelINS0_14default_configENS1_27lower_bound_config_selectorIflEEZNS1_14transform_implILb0ES3_S5_N6thrust23THRUST_200600_302600_NS6detail15normal_iteratorINS8_7pointerIfNS8_11hip_rocprim5par_tENS8_11use_defaultESE_EEEENSA_INSB_IlSD_SE_SE_EEEEZNS1_13binary_searchIS3_S5_PfSG_SI_NS1_21lower_bound_search_opENS9_16wrapped_functionI11custom_lessbEEEE10hipError_tPvRmT1_T2_T3_mmT4_T5_P12ihipStream_tbEUlRKfE_EESP_ST_SU_mSV_SY_bEUlT_E_NS1_11comp_targetILNS1_3genE9ELNS1_11target_archE1100ELNS1_3gpuE3ELNS1_3repE0EEENS1_30default_config_static_selectorELNS0_4arch9wavefront6targetE0EEEvSS_.num_agpr, 0
	.set _ZN7rocprim17ROCPRIM_400000_NS6detail17trampoline_kernelINS0_14default_configENS1_27lower_bound_config_selectorIflEEZNS1_14transform_implILb0ES3_S5_N6thrust23THRUST_200600_302600_NS6detail15normal_iteratorINS8_7pointerIfNS8_11hip_rocprim5par_tENS8_11use_defaultESE_EEEENSA_INSB_IlSD_SE_SE_EEEEZNS1_13binary_searchIS3_S5_PfSG_SI_NS1_21lower_bound_search_opENS9_16wrapped_functionI11custom_lessbEEEE10hipError_tPvRmT1_T2_T3_mmT4_T5_P12ihipStream_tbEUlRKfE_EESP_ST_SU_mSV_SY_bEUlT_E_NS1_11comp_targetILNS1_3genE9ELNS1_11target_archE1100ELNS1_3gpuE3ELNS1_3repE0EEENS1_30default_config_static_selectorELNS0_4arch9wavefront6targetE0EEEvSS_.numbered_sgpr, 0
	.set _ZN7rocprim17ROCPRIM_400000_NS6detail17trampoline_kernelINS0_14default_configENS1_27lower_bound_config_selectorIflEEZNS1_14transform_implILb0ES3_S5_N6thrust23THRUST_200600_302600_NS6detail15normal_iteratorINS8_7pointerIfNS8_11hip_rocprim5par_tENS8_11use_defaultESE_EEEENSA_INSB_IlSD_SE_SE_EEEEZNS1_13binary_searchIS3_S5_PfSG_SI_NS1_21lower_bound_search_opENS9_16wrapped_functionI11custom_lessbEEEE10hipError_tPvRmT1_T2_T3_mmT4_T5_P12ihipStream_tbEUlRKfE_EESP_ST_SU_mSV_SY_bEUlT_E_NS1_11comp_targetILNS1_3genE9ELNS1_11target_archE1100ELNS1_3gpuE3ELNS1_3repE0EEENS1_30default_config_static_selectorELNS0_4arch9wavefront6targetE0EEEvSS_.num_named_barrier, 0
	.set _ZN7rocprim17ROCPRIM_400000_NS6detail17trampoline_kernelINS0_14default_configENS1_27lower_bound_config_selectorIflEEZNS1_14transform_implILb0ES3_S5_N6thrust23THRUST_200600_302600_NS6detail15normal_iteratorINS8_7pointerIfNS8_11hip_rocprim5par_tENS8_11use_defaultESE_EEEENSA_INSB_IlSD_SE_SE_EEEEZNS1_13binary_searchIS3_S5_PfSG_SI_NS1_21lower_bound_search_opENS9_16wrapped_functionI11custom_lessbEEEE10hipError_tPvRmT1_T2_T3_mmT4_T5_P12ihipStream_tbEUlRKfE_EESP_ST_SU_mSV_SY_bEUlT_E_NS1_11comp_targetILNS1_3genE9ELNS1_11target_archE1100ELNS1_3gpuE3ELNS1_3repE0EEENS1_30default_config_static_selectorELNS0_4arch9wavefront6targetE0EEEvSS_.private_seg_size, 0
	.set _ZN7rocprim17ROCPRIM_400000_NS6detail17trampoline_kernelINS0_14default_configENS1_27lower_bound_config_selectorIflEEZNS1_14transform_implILb0ES3_S5_N6thrust23THRUST_200600_302600_NS6detail15normal_iteratorINS8_7pointerIfNS8_11hip_rocprim5par_tENS8_11use_defaultESE_EEEENSA_INSB_IlSD_SE_SE_EEEEZNS1_13binary_searchIS3_S5_PfSG_SI_NS1_21lower_bound_search_opENS9_16wrapped_functionI11custom_lessbEEEE10hipError_tPvRmT1_T2_T3_mmT4_T5_P12ihipStream_tbEUlRKfE_EESP_ST_SU_mSV_SY_bEUlT_E_NS1_11comp_targetILNS1_3genE9ELNS1_11target_archE1100ELNS1_3gpuE3ELNS1_3repE0EEENS1_30default_config_static_selectorELNS0_4arch9wavefront6targetE0EEEvSS_.uses_vcc, 0
	.set _ZN7rocprim17ROCPRIM_400000_NS6detail17trampoline_kernelINS0_14default_configENS1_27lower_bound_config_selectorIflEEZNS1_14transform_implILb0ES3_S5_N6thrust23THRUST_200600_302600_NS6detail15normal_iteratorINS8_7pointerIfNS8_11hip_rocprim5par_tENS8_11use_defaultESE_EEEENSA_INSB_IlSD_SE_SE_EEEEZNS1_13binary_searchIS3_S5_PfSG_SI_NS1_21lower_bound_search_opENS9_16wrapped_functionI11custom_lessbEEEE10hipError_tPvRmT1_T2_T3_mmT4_T5_P12ihipStream_tbEUlRKfE_EESP_ST_SU_mSV_SY_bEUlT_E_NS1_11comp_targetILNS1_3genE9ELNS1_11target_archE1100ELNS1_3gpuE3ELNS1_3repE0EEENS1_30default_config_static_selectorELNS0_4arch9wavefront6targetE0EEEvSS_.uses_flat_scratch, 0
	.set _ZN7rocprim17ROCPRIM_400000_NS6detail17trampoline_kernelINS0_14default_configENS1_27lower_bound_config_selectorIflEEZNS1_14transform_implILb0ES3_S5_N6thrust23THRUST_200600_302600_NS6detail15normal_iteratorINS8_7pointerIfNS8_11hip_rocprim5par_tENS8_11use_defaultESE_EEEENSA_INSB_IlSD_SE_SE_EEEEZNS1_13binary_searchIS3_S5_PfSG_SI_NS1_21lower_bound_search_opENS9_16wrapped_functionI11custom_lessbEEEE10hipError_tPvRmT1_T2_T3_mmT4_T5_P12ihipStream_tbEUlRKfE_EESP_ST_SU_mSV_SY_bEUlT_E_NS1_11comp_targetILNS1_3genE9ELNS1_11target_archE1100ELNS1_3gpuE3ELNS1_3repE0EEENS1_30default_config_static_selectorELNS0_4arch9wavefront6targetE0EEEvSS_.has_dyn_sized_stack, 0
	.set _ZN7rocprim17ROCPRIM_400000_NS6detail17trampoline_kernelINS0_14default_configENS1_27lower_bound_config_selectorIflEEZNS1_14transform_implILb0ES3_S5_N6thrust23THRUST_200600_302600_NS6detail15normal_iteratorINS8_7pointerIfNS8_11hip_rocprim5par_tENS8_11use_defaultESE_EEEENSA_INSB_IlSD_SE_SE_EEEEZNS1_13binary_searchIS3_S5_PfSG_SI_NS1_21lower_bound_search_opENS9_16wrapped_functionI11custom_lessbEEEE10hipError_tPvRmT1_T2_T3_mmT4_T5_P12ihipStream_tbEUlRKfE_EESP_ST_SU_mSV_SY_bEUlT_E_NS1_11comp_targetILNS1_3genE9ELNS1_11target_archE1100ELNS1_3gpuE3ELNS1_3repE0EEENS1_30default_config_static_selectorELNS0_4arch9wavefront6targetE0EEEvSS_.has_recursion, 0
	.set _ZN7rocprim17ROCPRIM_400000_NS6detail17trampoline_kernelINS0_14default_configENS1_27lower_bound_config_selectorIflEEZNS1_14transform_implILb0ES3_S5_N6thrust23THRUST_200600_302600_NS6detail15normal_iteratorINS8_7pointerIfNS8_11hip_rocprim5par_tENS8_11use_defaultESE_EEEENSA_INSB_IlSD_SE_SE_EEEEZNS1_13binary_searchIS3_S5_PfSG_SI_NS1_21lower_bound_search_opENS9_16wrapped_functionI11custom_lessbEEEE10hipError_tPvRmT1_T2_T3_mmT4_T5_P12ihipStream_tbEUlRKfE_EESP_ST_SU_mSV_SY_bEUlT_E_NS1_11comp_targetILNS1_3genE9ELNS1_11target_archE1100ELNS1_3gpuE3ELNS1_3repE0EEENS1_30default_config_static_selectorELNS0_4arch9wavefront6targetE0EEEvSS_.has_indirect_call, 0
	.section	.AMDGPU.csdata,"",@progbits
; Kernel info:
; codeLenInByte = 0
; TotalNumSgprs: 0
; NumVgprs: 0
; ScratchSize: 0
; MemoryBound: 0
; FloatMode: 240
; IeeeMode: 1
; LDSByteSize: 0 bytes/workgroup (compile time only)
; SGPRBlocks: 0
; VGPRBlocks: 0
; NumSGPRsForWavesPerEU: 1
; NumVGPRsForWavesPerEU: 1
; Occupancy: 16
; WaveLimiterHint : 0
; COMPUTE_PGM_RSRC2:SCRATCH_EN: 0
; COMPUTE_PGM_RSRC2:USER_SGPR: 6
; COMPUTE_PGM_RSRC2:TRAP_HANDLER: 0
; COMPUTE_PGM_RSRC2:TGID_X_EN: 1
; COMPUTE_PGM_RSRC2:TGID_Y_EN: 0
; COMPUTE_PGM_RSRC2:TGID_Z_EN: 0
; COMPUTE_PGM_RSRC2:TIDIG_COMP_CNT: 0
	.section	.text._ZN7rocprim17ROCPRIM_400000_NS6detail17trampoline_kernelINS0_14default_configENS1_27lower_bound_config_selectorIflEEZNS1_14transform_implILb0ES3_S5_N6thrust23THRUST_200600_302600_NS6detail15normal_iteratorINS8_7pointerIfNS8_11hip_rocprim5par_tENS8_11use_defaultESE_EEEENSA_INSB_IlSD_SE_SE_EEEEZNS1_13binary_searchIS3_S5_PfSG_SI_NS1_21lower_bound_search_opENS9_16wrapped_functionI11custom_lessbEEEE10hipError_tPvRmT1_T2_T3_mmT4_T5_P12ihipStream_tbEUlRKfE_EESP_ST_SU_mSV_SY_bEUlT_E_NS1_11comp_targetILNS1_3genE8ELNS1_11target_archE1030ELNS1_3gpuE2ELNS1_3repE0EEENS1_30default_config_static_selectorELNS0_4arch9wavefront6targetE0EEEvSS_,"axG",@progbits,_ZN7rocprim17ROCPRIM_400000_NS6detail17trampoline_kernelINS0_14default_configENS1_27lower_bound_config_selectorIflEEZNS1_14transform_implILb0ES3_S5_N6thrust23THRUST_200600_302600_NS6detail15normal_iteratorINS8_7pointerIfNS8_11hip_rocprim5par_tENS8_11use_defaultESE_EEEENSA_INSB_IlSD_SE_SE_EEEEZNS1_13binary_searchIS3_S5_PfSG_SI_NS1_21lower_bound_search_opENS9_16wrapped_functionI11custom_lessbEEEE10hipError_tPvRmT1_T2_T3_mmT4_T5_P12ihipStream_tbEUlRKfE_EESP_ST_SU_mSV_SY_bEUlT_E_NS1_11comp_targetILNS1_3genE8ELNS1_11target_archE1030ELNS1_3gpuE2ELNS1_3repE0EEENS1_30default_config_static_selectorELNS0_4arch9wavefront6targetE0EEEvSS_,comdat
	.protected	_ZN7rocprim17ROCPRIM_400000_NS6detail17trampoline_kernelINS0_14default_configENS1_27lower_bound_config_selectorIflEEZNS1_14transform_implILb0ES3_S5_N6thrust23THRUST_200600_302600_NS6detail15normal_iteratorINS8_7pointerIfNS8_11hip_rocprim5par_tENS8_11use_defaultESE_EEEENSA_INSB_IlSD_SE_SE_EEEEZNS1_13binary_searchIS3_S5_PfSG_SI_NS1_21lower_bound_search_opENS9_16wrapped_functionI11custom_lessbEEEE10hipError_tPvRmT1_T2_T3_mmT4_T5_P12ihipStream_tbEUlRKfE_EESP_ST_SU_mSV_SY_bEUlT_E_NS1_11comp_targetILNS1_3genE8ELNS1_11target_archE1030ELNS1_3gpuE2ELNS1_3repE0EEENS1_30default_config_static_selectorELNS0_4arch9wavefront6targetE0EEEvSS_ ; -- Begin function _ZN7rocprim17ROCPRIM_400000_NS6detail17trampoline_kernelINS0_14default_configENS1_27lower_bound_config_selectorIflEEZNS1_14transform_implILb0ES3_S5_N6thrust23THRUST_200600_302600_NS6detail15normal_iteratorINS8_7pointerIfNS8_11hip_rocprim5par_tENS8_11use_defaultESE_EEEENSA_INSB_IlSD_SE_SE_EEEEZNS1_13binary_searchIS3_S5_PfSG_SI_NS1_21lower_bound_search_opENS9_16wrapped_functionI11custom_lessbEEEE10hipError_tPvRmT1_T2_T3_mmT4_T5_P12ihipStream_tbEUlRKfE_EESP_ST_SU_mSV_SY_bEUlT_E_NS1_11comp_targetILNS1_3genE8ELNS1_11target_archE1030ELNS1_3gpuE2ELNS1_3repE0EEENS1_30default_config_static_selectorELNS0_4arch9wavefront6targetE0EEEvSS_
	.globl	_ZN7rocprim17ROCPRIM_400000_NS6detail17trampoline_kernelINS0_14default_configENS1_27lower_bound_config_selectorIflEEZNS1_14transform_implILb0ES3_S5_N6thrust23THRUST_200600_302600_NS6detail15normal_iteratorINS8_7pointerIfNS8_11hip_rocprim5par_tENS8_11use_defaultESE_EEEENSA_INSB_IlSD_SE_SE_EEEEZNS1_13binary_searchIS3_S5_PfSG_SI_NS1_21lower_bound_search_opENS9_16wrapped_functionI11custom_lessbEEEE10hipError_tPvRmT1_T2_T3_mmT4_T5_P12ihipStream_tbEUlRKfE_EESP_ST_SU_mSV_SY_bEUlT_E_NS1_11comp_targetILNS1_3genE8ELNS1_11target_archE1030ELNS1_3gpuE2ELNS1_3repE0EEENS1_30default_config_static_selectorELNS0_4arch9wavefront6targetE0EEEvSS_
	.p2align	8
	.type	_ZN7rocprim17ROCPRIM_400000_NS6detail17trampoline_kernelINS0_14default_configENS1_27lower_bound_config_selectorIflEEZNS1_14transform_implILb0ES3_S5_N6thrust23THRUST_200600_302600_NS6detail15normal_iteratorINS8_7pointerIfNS8_11hip_rocprim5par_tENS8_11use_defaultESE_EEEENSA_INSB_IlSD_SE_SE_EEEEZNS1_13binary_searchIS3_S5_PfSG_SI_NS1_21lower_bound_search_opENS9_16wrapped_functionI11custom_lessbEEEE10hipError_tPvRmT1_T2_T3_mmT4_T5_P12ihipStream_tbEUlRKfE_EESP_ST_SU_mSV_SY_bEUlT_E_NS1_11comp_targetILNS1_3genE8ELNS1_11target_archE1030ELNS1_3gpuE2ELNS1_3repE0EEENS1_30default_config_static_selectorELNS0_4arch9wavefront6targetE0EEEvSS_,@function
_ZN7rocprim17ROCPRIM_400000_NS6detail17trampoline_kernelINS0_14default_configENS1_27lower_bound_config_selectorIflEEZNS1_14transform_implILb0ES3_S5_N6thrust23THRUST_200600_302600_NS6detail15normal_iteratorINS8_7pointerIfNS8_11hip_rocprim5par_tENS8_11use_defaultESE_EEEENSA_INSB_IlSD_SE_SE_EEEEZNS1_13binary_searchIS3_S5_PfSG_SI_NS1_21lower_bound_search_opENS9_16wrapped_functionI11custom_lessbEEEE10hipError_tPvRmT1_T2_T3_mmT4_T5_P12ihipStream_tbEUlRKfE_EESP_ST_SU_mSV_SY_bEUlT_E_NS1_11comp_targetILNS1_3genE8ELNS1_11target_archE1030ELNS1_3gpuE2ELNS1_3repE0EEENS1_30default_config_static_selectorELNS0_4arch9wavefront6targetE0EEEvSS_: ; @_ZN7rocprim17ROCPRIM_400000_NS6detail17trampoline_kernelINS0_14default_configENS1_27lower_bound_config_selectorIflEEZNS1_14transform_implILb0ES3_S5_N6thrust23THRUST_200600_302600_NS6detail15normal_iteratorINS8_7pointerIfNS8_11hip_rocprim5par_tENS8_11use_defaultESE_EEEENSA_INSB_IlSD_SE_SE_EEEEZNS1_13binary_searchIS3_S5_PfSG_SI_NS1_21lower_bound_search_opENS9_16wrapped_functionI11custom_lessbEEEE10hipError_tPvRmT1_T2_T3_mmT4_T5_P12ihipStream_tbEUlRKfE_EESP_ST_SU_mSV_SY_bEUlT_E_NS1_11comp_targetILNS1_3genE8ELNS1_11target_archE1030ELNS1_3gpuE2ELNS1_3repE0EEENS1_30default_config_static_selectorELNS0_4arch9wavefront6targetE0EEEvSS_
; %bb.0:
	s_clause 0x3
	s_load_dwordx4 s[12:15], s[4:5], 0x0
	s_load_dwordx4 s[0:3], s[4:5], 0x18
	s_load_dword s16, s[4:5], 0x38
	s_load_dwordx2 s[10:11], s[4:5], 0x28
	s_waitcnt lgkmcnt(0)
	s_lshl_b64 s[8:9], s[14:15], 2
	s_add_u32 s12, s12, s8
	s_addc_u32 s13, s13, s9
	s_lshl_b64 s[8:9], s[14:15], 3
	s_add_u32 s7, s0, s8
	s_addc_u32 s1, s1, s9
	s_add_i32 s16, s16, -1
	s_lshl_b32 s8, s6, 8
	s_mov_b32 s9, 0
	s_cmp_lg_u32 s6, s16
	s_mov_b32 s0, -1
	s_cbranch_scc0 .LBB32_7
; %bb.1:
	s_cmp_eq_u64 s[10:11], 0
	s_cbranch_scc1 .LBB32_5
; %bb.2:
	v_lshlrev_b32_e32 v1, 2, v0
	s_lshl_b64 s[14:15], s[8:9], 2
	v_mov_b32_e32 v3, s10
	s_add_u32 s0, s12, s14
	s_addc_u32 s6, s13, s15
	v_add_co_u32 v1, s0, s0, v1
	v_add_co_ci_u32_e64 v2, null, s6, 0, s0
	v_mov_b32_e32 v4, s11
	s_mov_b32 s0, 0
	flat_load_dword v5, v[1:2]
	v_mov_b32_e32 v1, 0
	v_mov_b32_e32 v2, 0
	s_inst_prefetch 0x1
	.p2align	6
.LBB32_3:                               ; =>This Inner Loop Header: Depth=1
	v_sub_co_u32 v6, vcc_lo, v3, v1
	v_sub_co_ci_u32_e64 v7, null, v4, v2, vcc_lo
	v_lshrrev_b64 v[8:9], 1, v[6:7]
	v_lshrrev_b64 v[6:7], 6, v[6:7]
	v_add_co_u32 v8, vcc_lo, v8, v1
	v_add_co_ci_u32_e64 v9, null, v9, v2, vcc_lo
	v_add_co_u32 v6, vcc_lo, v8, v6
	v_add_co_ci_u32_e64 v7, null, v9, v7, vcc_lo
	v_lshlrev_b64 v[8:9], 2, v[6:7]
	v_add_co_u32 v8, vcc_lo, s2, v8
	v_add_co_ci_u32_e64 v9, null, s3, v9, vcc_lo
	global_load_dword v8, v[8:9], off
	v_add_co_u32 v9, vcc_lo, v6, 1
	v_add_co_ci_u32_e64 v10, null, 0, v7, vcc_lo
	s_waitcnt vmcnt(0) lgkmcnt(0)
	v_cmp_lt_f32_e32 vcc_lo, v8, v5
	v_cndmask_b32_e32 v4, v7, v4, vcc_lo
	v_cndmask_b32_e32 v3, v6, v3, vcc_lo
	;; [unrolled: 1-line block ×4, first 2 shown]
	v_cmp_ge_u64_e32 vcc_lo, v[1:2], v[3:4]
	s_or_b32 s0, vcc_lo, s0
	s_andn2_b32 exec_lo, exec_lo, s0
	s_cbranch_execnz .LBB32_3
; %bb.4:
	s_inst_prefetch 0x2
	s_or_b32 exec_lo, exec_lo, s0
	s_branch .LBB32_6
.LBB32_5:
	v_mov_b32_e32 v1, 0
	v_mov_b32_e32 v2, 0
.LBB32_6:
	v_lshlrev_b32_e32 v3, 3, v0
	s_lshl_b64 s[14:15], s[8:9], 3
	s_add_u32 s0, s7, s14
	s_addc_u32 s6, s1, s15
	v_add_co_u32 v3, s0, s0, v3
	v_add_co_ci_u32_e64 v4, null, s6, 0, s0
	s_mov_b32 s0, 0
	flat_store_dwordx2 v[3:4], v[1:2]
.LBB32_7:
	s_and_b32 vcc_lo, exec_lo, s0
	s_cbranch_vccz .LBB32_16
; %bb.8:
	s_load_dword s0, s[4:5], 0x10
                                        ; implicit-def: $vgpr5
	s_waitcnt lgkmcnt(0)
	s_sub_i32 s4, s0, s8
	v_cmp_le_u32_e64 s0, s4, v0
	v_cmp_gt_u32_e32 vcc_lo, s4, v0
	s_and_saveexec_b32 s4, vcc_lo
	s_cbranch_execz .LBB32_10
; %bb.9:
	v_lshlrev_b32_e32 v1, 2, v0
	s_lshl_b64 s[14:15], s[8:9], 2
	s_add_u32 s5, s12, s14
	s_addc_u32 s6, s13, s15
	v_add_co_u32 v1, s5, s5, v1
	v_add_co_ci_u32_e64 v2, null, s6, 0, s5
	flat_load_dword v5, v[1:2]
.LBB32_10:
	s_or_b32 exec_lo, exec_lo, s4
	s_cmp_lg_u64 s[10:11], 0
	v_mov_b32_e32 v1, 0
	v_mov_b32_e32 v2, 0
	s_cselect_b32 s4, -1, 0
	s_xor_b32 s0, s0, -1
	s_and_b32 s0, s0, s4
	s_and_saveexec_b32 s4, s0
	s_cbranch_execz .LBB32_14
; %bb.11:
	v_mov_b32_e32 v1, 0
	v_mov_b32_e32 v3, s10
	;; [unrolled: 1-line block ×4, first 2 shown]
	s_mov_b32 s5, 0
	s_inst_prefetch 0x1
	.p2align	6
.LBB32_12:                              ; =>This Inner Loop Header: Depth=1
	v_sub_co_u32 v6, s0, v3, v1
	v_sub_co_ci_u32_e64 v7, null, v4, v2, s0
	v_lshrrev_b64 v[8:9], 1, v[6:7]
	v_lshrrev_b64 v[6:7], 6, v[6:7]
	v_add_co_u32 v8, s0, v8, v1
	v_add_co_ci_u32_e64 v9, null, v9, v2, s0
	v_add_co_u32 v6, s0, v8, v6
	v_add_co_ci_u32_e64 v7, null, v9, v7, s0
	v_lshlrev_b64 v[8:9], 2, v[6:7]
	v_add_co_u32 v8, s0, s2, v8
	v_add_co_ci_u32_e64 v9, null, s3, v9, s0
	global_load_dword v8, v[8:9], off
	v_add_co_u32 v9, s0, v6, 1
	v_add_co_ci_u32_e64 v10, null, 0, v7, s0
	s_waitcnt vmcnt(0) lgkmcnt(0)
	v_cmp_lt_f32_e64 s0, v8, v5
	v_cndmask_b32_e64 v4, v7, v4, s0
	v_cndmask_b32_e64 v3, v6, v3, s0
	;; [unrolled: 1-line block ×4, first 2 shown]
	v_cmp_ge_u64_e64 s0, v[1:2], v[3:4]
	s_or_b32 s5, s0, s5
	s_andn2_b32 exec_lo, exec_lo, s5
	s_cbranch_execnz .LBB32_12
; %bb.13:
	s_inst_prefetch 0x2
	s_or_b32 exec_lo, exec_lo, s5
.LBB32_14:
	s_or_b32 exec_lo, exec_lo, s4
	s_and_saveexec_b32 s0, vcc_lo
	s_cbranch_execz .LBB32_16
; %bb.15:
	v_lshlrev_b32_e32 v0, 3, v0
	s_lshl_b64 s[2:3], s[8:9], 3
	s_add_u32 s0, s7, s2
	s_addc_u32 s1, s1, s3
	v_add_co_u32 v3, s0, s0, v0
	v_add_co_ci_u32_e64 v4, null, s1, 0, s0
	flat_store_dwordx2 v[3:4], v[1:2]
.LBB32_16:
	s_endpgm
	.section	.rodata,"a",@progbits
	.p2align	6, 0x0
	.amdhsa_kernel _ZN7rocprim17ROCPRIM_400000_NS6detail17trampoline_kernelINS0_14default_configENS1_27lower_bound_config_selectorIflEEZNS1_14transform_implILb0ES3_S5_N6thrust23THRUST_200600_302600_NS6detail15normal_iteratorINS8_7pointerIfNS8_11hip_rocprim5par_tENS8_11use_defaultESE_EEEENSA_INSB_IlSD_SE_SE_EEEEZNS1_13binary_searchIS3_S5_PfSG_SI_NS1_21lower_bound_search_opENS9_16wrapped_functionI11custom_lessbEEEE10hipError_tPvRmT1_T2_T3_mmT4_T5_P12ihipStream_tbEUlRKfE_EESP_ST_SU_mSV_SY_bEUlT_E_NS1_11comp_targetILNS1_3genE8ELNS1_11target_archE1030ELNS1_3gpuE2ELNS1_3repE0EEENS1_30default_config_static_selectorELNS0_4arch9wavefront6targetE0EEEvSS_
		.amdhsa_group_segment_fixed_size 0
		.amdhsa_private_segment_fixed_size 0
		.amdhsa_kernarg_size 312
		.amdhsa_user_sgpr_count 6
		.amdhsa_user_sgpr_private_segment_buffer 1
		.amdhsa_user_sgpr_dispatch_ptr 0
		.amdhsa_user_sgpr_queue_ptr 0
		.amdhsa_user_sgpr_kernarg_segment_ptr 1
		.amdhsa_user_sgpr_dispatch_id 0
		.amdhsa_user_sgpr_flat_scratch_init 0
		.amdhsa_user_sgpr_private_segment_size 0
		.amdhsa_wavefront_size32 1
		.amdhsa_uses_dynamic_stack 0
		.amdhsa_system_sgpr_private_segment_wavefront_offset 0
		.amdhsa_system_sgpr_workgroup_id_x 1
		.amdhsa_system_sgpr_workgroup_id_y 0
		.amdhsa_system_sgpr_workgroup_id_z 0
		.amdhsa_system_sgpr_workgroup_info 0
		.amdhsa_system_vgpr_workitem_id 0
		.amdhsa_next_free_vgpr 11
		.amdhsa_next_free_sgpr 17
		.amdhsa_reserve_vcc 1
		.amdhsa_reserve_flat_scratch 0
		.amdhsa_float_round_mode_32 0
		.amdhsa_float_round_mode_16_64 0
		.amdhsa_float_denorm_mode_32 3
		.amdhsa_float_denorm_mode_16_64 3
		.amdhsa_dx10_clamp 1
		.amdhsa_ieee_mode 1
		.amdhsa_fp16_overflow 0
		.amdhsa_workgroup_processor_mode 1
		.amdhsa_memory_ordered 1
		.amdhsa_forward_progress 1
		.amdhsa_shared_vgpr_count 0
		.amdhsa_exception_fp_ieee_invalid_op 0
		.amdhsa_exception_fp_denorm_src 0
		.amdhsa_exception_fp_ieee_div_zero 0
		.amdhsa_exception_fp_ieee_overflow 0
		.amdhsa_exception_fp_ieee_underflow 0
		.amdhsa_exception_fp_ieee_inexact 0
		.amdhsa_exception_int_div_zero 0
	.end_amdhsa_kernel
	.section	.text._ZN7rocprim17ROCPRIM_400000_NS6detail17trampoline_kernelINS0_14default_configENS1_27lower_bound_config_selectorIflEEZNS1_14transform_implILb0ES3_S5_N6thrust23THRUST_200600_302600_NS6detail15normal_iteratorINS8_7pointerIfNS8_11hip_rocprim5par_tENS8_11use_defaultESE_EEEENSA_INSB_IlSD_SE_SE_EEEEZNS1_13binary_searchIS3_S5_PfSG_SI_NS1_21lower_bound_search_opENS9_16wrapped_functionI11custom_lessbEEEE10hipError_tPvRmT1_T2_T3_mmT4_T5_P12ihipStream_tbEUlRKfE_EESP_ST_SU_mSV_SY_bEUlT_E_NS1_11comp_targetILNS1_3genE8ELNS1_11target_archE1030ELNS1_3gpuE2ELNS1_3repE0EEENS1_30default_config_static_selectorELNS0_4arch9wavefront6targetE0EEEvSS_,"axG",@progbits,_ZN7rocprim17ROCPRIM_400000_NS6detail17trampoline_kernelINS0_14default_configENS1_27lower_bound_config_selectorIflEEZNS1_14transform_implILb0ES3_S5_N6thrust23THRUST_200600_302600_NS6detail15normal_iteratorINS8_7pointerIfNS8_11hip_rocprim5par_tENS8_11use_defaultESE_EEEENSA_INSB_IlSD_SE_SE_EEEEZNS1_13binary_searchIS3_S5_PfSG_SI_NS1_21lower_bound_search_opENS9_16wrapped_functionI11custom_lessbEEEE10hipError_tPvRmT1_T2_T3_mmT4_T5_P12ihipStream_tbEUlRKfE_EESP_ST_SU_mSV_SY_bEUlT_E_NS1_11comp_targetILNS1_3genE8ELNS1_11target_archE1030ELNS1_3gpuE2ELNS1_3repE0EEENS1_30default_config_static_selectorELNS0_4arch9wavefront6targetE0EEEvSS_,comdat
.Lfunc_end32:
	.size	_ZN7rocprim17ROCPRIM_400000_NS6detail17trampoline_kernelINS0_14default_configENS1_27lower_bound_config_selectorIflEEZNS1_14transform_implILb0ES3_S5_N6thrust23THRUST_200600_302600_NS6detail15normal_iteratorINS8_7pointerIfNS8_11hip_rocprim5par_tENS8_11use_defaultESE_EEEENSA_INSB_IlSD_SE_SE_EEEEZNS1_13binary_searchIS3_S5_PfSG_SI_NS1_21lower_bound_search_opENS9_16wrapped_functionI11custom_lessbEEEE10hipError_tPvRmT1_T2_T3_mmT4_T5_P12ihipStream_tbEUlRKfE_EESP_ST_SU_mSV_SY_bEUlT_E_NS1_11comp_targetILNS1_3genE8ELNS1_11target_archE1030ELNS1_3gpuE2ELNS1_3repE0EEENS1_30default_config_static_selectorELNS0_4arch9wavefront6targetE0EEEvSS_, .Lfunc_end32-_ZN7rocprim17ROCPRIM_400000_NS6detail17trampoline_kernelINS0_14default_configENS1_27lower_bound_config_selectorIflEEZNS1_14transform_implILb0ES3_S5_N6thrust23THRUST_200600_302600_NS6detail15normal_iteratorINS8_7pointerIfNS8_11hip_rocprim5par_tENS8_11use_defaultESE_EEEENSA_INSB_IlSD_SE_SE_EEEEZNS1_13binary_searchIS3_S5_PfSG_SI_NS1_21lower_bound_search_opENS9_16wrapped_functionI11custom_lessbEEEE10hipError_tPvRmT1_T2_T3_mmT4_T5_P12ihipStream_tbEUlRKfE_EESP_ST_SU_mSV_SY_bEUlT_E_NS1_11comp_targetILNS1_3genE8ELNS1_11target_archE1030ELNS1_3gpuE2ELNS1_3repE0EEENS1_30default_config_static_selectorELNS0_4arch9wavefront6targetE0EEEvSS_
                                        ; -- End function
	.set _ZN7rocprim17ROCPRIM_400000_NS6detail17trampoline_kernelINS0_14default_configENS1_27lower_bound_config_selectorIflEEZNS1_14transform_implILb0ES3_S5_N6thrust23THRUST_200600_302600_NS6detail15normal_iteratorINS8_7pointerIfNS8_11hip_rocprim5par_tENS8_11use_defaultESE_EEEENSA_INSB_IlSD_SE_SE_EEEEZNS1_13binary_searchIS3_S5_PfSG_SI_NS1_21lower_bound_search_opENS9_16wrapped_functionI11custom_lessbEEEE10hipError_tPvRmT1_T2_T3_mmT4_T5_P12ihipStream_tbEUlRKfE_EESP_ST_SU_mSV_SY_bEUlT_E_NS1_11comp_targetILNS1_3genE8ELNS1_11target_archE1030ELNS1_3gpuE2ELNS1_3repE0EEENS1_30default_config_static_selectorELNS0_4arch9wavefront6targetE0EEEvSS_.num_vgpr, 11
	.set _ZN7rocprim17ROCPRIM_400000_NS6detail17trampoline_kernelINS0_14default_configENS1_27lower_bound_config_selectorIflEEZNS1_14transform_implILb0ES3_S5_N6thrust23THRUST_200600_302600_NS6detail15normal_iteratorINS8_7pointerIfNS8_11hip_rocprim5par_tENS8_11use_defaultESE_EEEENSA_INSB_IlSD_SE_SE_EEEEZNS1_13binary_searchIS3_S5_PfSG_SI_NS1_21lower_bound_search_opENS9_16wrapped_functionI11custom_lessbEEEE10hipError_tPvRmT1_T2_T3_mmT4_T5_P12ihipStream_tbEUlRKfE_EESP_ST_SU_mSV_SY_bEUlT_E_NS1_11comp_targetILNS1_3genE8ELNS1_11target_archE1030ELNS1_3gpuE2ELNS1_3repE0EEENS1_30default_config_static_selectorELNS0_4arch9wavefront6targetE0EEEvSS_.num_agpr, 0
	.set _ZN7rocprim17ROCPRIM_400000_NS6detail17trampoline_kernelINS0_14default_configENS1_27lower_bound_config_selectorIflEEZNS1_14transform_implILb0ES3_S5_N6thrust23THRUST_200600_302600_NS6detail15normal_iteratorINS8_7pointerIfNS8_11hip_rocprim5par_tENS8_11use_defaultESE_EEEENSA_INSB_IlSD_SE_SE_EEEEZNS1_13binary_searchIS3_S5_PfSG_SI_NS1_21lower_bound_search_opENS9_16wrapped_functionI11custom_lessbEEEE10hipError_tPvRmT1_T2_T3_mmT4_T5_P12ihipStream_tbEUlRKfE_EESP_ST_SU_mSV_SY_bEUlT_E_NS1_11comp_targetILNS1_3genE8ELNS1_11target_archE1030ELNS1_3gpuE2ELNS1_3repE0EEENS1_30default_config_static_selectorELNS0_4arch9wavefront6targetE0EEEvSS_.numbered_sgpr, 17
	.set _ZN7rocprim17ROCPRIM_400000_NS6detail17trampoline_kernelINS0_14default_configENS1_27lower_bound_config_selectorIflEEZNS1_14transform_implILb0ES3_S5_N6thrust23THRUST_200600_302600_NS6detail15normal_iteratorINS8_7pointerIfNS8_11hip_rocprim5par_tENS8_11use_defaultESE_EEEENSA_INSB_IlSD_SE_SE_EEEEZNS1_13binary_searchIS3_S5_PfSG_SI_NS1_21lower_bound_search_opENS9_16wrapped_functionI11custom_lessbEEEE10hipError_tPvRmT1_T2_T3_mmT4_T5_P12ihipStream_tbEUlRKfE_EESP_ST_SU_mSV_SY_bEUlT_E_NS1_11comp_targetILNS1_3genE8ELNS1_11target_archE1030ELNS1_3gpuE2ELNS1_3repE0EEENS1_30default_config_static_selectorELNS0_4arch9wavefront6targetE0EEEvSS_.num_named_barrier, 0
	.set _ZN7rocprim17ROCPRIM_400000_NS6detail17trampoline_kernelINS0_14default_configENS1_27lower_bound_config_selectorIflEEZNS1_14transform_implILb0ES3_S5_N6thrust23THRUST_200600_302600_NS6detail15normal_iteratorINS8_7pointerIfNS8_11hip_rocprim5par_tENS8_11use_defaultESE_EEEENSA_INSB_IlSD_SE_SE_EEEEZNS1_13binary_searchIS3_S5_PfSG_SI_NS1_21lower_bound_search_opENS9_16wrapped_functionI11custom_lessbEEEE10hipError_tPvRmT1_T2_T3_mmT4_T5_P12ihipStream_tbEUlRKfE_EESP_ST_SU_mSV_SY_bEUlT_E_NS1_11comp_targetILNS1_3genE8ELNS1_11target_archE1030ELNS1_3gpuE2ELNS1_3repE0EEENS1_30default_config_static_selectorELNS0_4arch9wavefront6targetE0EEEvSS_.private_seg_size, 0
	.set _ZN7rocprim17ROCPRIM_400000_NS6detail17trampoline_kernelINS0_14default_configENS1_27lower_bound_config_selectorIflEEZNS1_14transform_implILb0ES3_S5_N6thrust23THRUST_200600_302600_NS6detail15normal_iteratorINS8_7pointerIfNS8_11hip_rocprim5par_tENS8_11use_defaultESE_EEEENSA_INSB_IlSD_SE_SE_EEEEZNS1_13binary_searchIS3_S5_PfSG_SI_NS1_21lower_bound_search_opENS9_16wrapped_functionI11custom_lessbEEEE10hipError_tPvRmT1_T2_T3_mmT4_T5_P12ihipStream_tbEUlRKfE_EESP_ST_SU_mSV_SY_bEUlT_E_NS1_11comp_targetILNS1_3genE8ELNS1_11target_archE1030ELNS1_3gpuE2ELNS1_3repE0EEENS1_30default_config_static_selectorELNS0_4arch9wavefront6targetE0EEEvSS_.uses_vcc, 1
	.set _ZN7rocprim17ROCPRIM_400000_NS6detail17trampoline_kernelINS0_14default_configENS1_27lower_bound_config_selectorIflEEZNS1_14transform_implILb0ES3_S5_N6thrust23THRUST_200600_302600_NS6detail15normal_iteratorINS8_7pointerIfNS8_11hip_rocprim5par_tENS8_11use_defaultESE_EEEENSA_INSB_IlSD_SE_SE_EEEEZNS1_13binary_searchIS3_S5_PfSG_SI_NS1_21lower_bound_search_opENS9_16wrapped_functionI11custom_lessbEEEE10hipError_tPvRmT1_T2_T3_mmT4_T5_P12ihipStream_tbEUlRKfE_EESP_ST_SU_mSV_SY_bEUlT_E_NS1_11comp_targetILNS1_3genE8ELNS1_11target_archE1030ELNS1_3gpuE2ELNS1_3repE0EEENS1_30default_config_static_selectorELNS0_4arch9wavefront6targetE0EEEvSS_.uses_flat_scratch, 0
	.set _ZN7rocprim17ROCPRIM_400000_NS6detail17trampoline_kernelINS0_14default_configENS1_27lower_bound_config_selectorIflEEZNS1_14transform_implILb0ES3_S5_N6thrust23THRUST_200600_302600_NS6detail15normal_iteratorINS8_7pointerIfNS8_11hip_rocprim5par_tENS8_11use_defaultESE_EEEENSA_INSB_IlSD_SE_SE_EEEEZNS1_13binary_searchIS3_S5_PfSG_SI_NS1_21lower_bound_search_opENS9_16wrapped_functionI11custom_lessbEEEE10hipError_tPvRmT1_T2_T3_mmT4_T5_P12ihipStream_tbEUlRKfE_EESP_ST_SU_mSV_SY_bEUlT_E_NS1_11comp_targetILNS1_3genE8ELNS1_11target_archE1030ELNS1_3gpuE2ELNS1_3repE0EEENS1_30default_config_static_selectorELNS0_4arch9wavefront6targetE0EEEvSS_.has_dyn_sized_stack, 0
	.set _ZN7rocprim17ROCPRIM_400000_NS6detail17trampoline_kernelINS0_14default_configENS1_27lower_bound_config_selectorIflEEZNS1_14transform_implILb0ES3_S5_N6thrust23THRUST_200600_302600_NS6detail15normal_iteratorINS8_7pointerIfNS8_11hip_rocprim5par_tENS8_11use_defaultESE_EEEENSA_INSB_IlSD_SE_SE_EEEEZNS1_13binary_searchIS3_S5_PfSG_SI_NS1_21lower_bound_search_opENS9_16wrapped_functionI11custom_lessbEEEE10hipError_tPvRmT1_T2_T3_mmT4_T5_P12ihipStream_tbEUlRKfE_EESP_ST_SU_mSV_SY_bEUlT_E_NS1_11comp_targetILNS1_3genE8ELNS1_11target_archE1030ELNS1_3gpuE2ELNS1_3repE0EEENS1_30default_config_static_selectorELNS0_4arch9wavefront6targetE0EEEvSS_.has_recursion, 0
	.set _ZN7rocprim17ROCPRIM_400000_NS6detail17trampoline_kernelINS0_14default_configENS1_27lower_bound_config_selectorIflEEZNS1_14transform_implILb0ES3_S5_N6thrust23THRUST_200600_302600_NS6detail15normal_iteratorINS8_7pointerIfNS8_11hip_rocprim5par_tENS8_11use_defaultESE_EEEENSA_INSB_IlSD_SE_SE_EEEEZNS1_13binary_searchIS3_S5_PfSG_SI_NS1_21lower_bound_search_opENS9_16wrapped_functionI11custom_lessbEEEE10hipError_tPvRmT1_T2_T3_mmT4_T5_P12ihipStream_tbEUlRKfE_EESP_ST_SU_mSV_SY_bEUlT_E_NS1_11comp_targetILNS1_3genE8ELNS1_11target_archE1030ELNS1_3gpuE2ELNS1_3repE0EEENS1_30default_config_static_selectorELNS0_4arch9wavefront6targetE0EEEvSS_.has_indirect_call, 0
	.section	.AMDGPU.csdata,"",@progbits
; Kernel info:
; codeLenInByte = 816
; TotalNumSgprs: 19
; NumVgprs: 11
; ScratchSize: 0
; MemoryBound: 0
; FloatMode: 240
; IeeeMode: 1
; LDSByteSize: 0 bytes/workgroup (compile time only)
; SGPRBlocks: 0
; VGPRBlocks: 1
; NumSGPRsForWavesPerEU: 19
; NumVGPRsForWavesPerEU: 11
; Occupancy: 16
; WaveLimiterHint : 0
; COMPUTE_PGM_RSRC2:SCRATCH_EN: 0
; COMPUTE_PGM_RSRC2:USER_SGPR: 6
; COMPUTE_PGM_RSRC2:TRAP_HANDLER: 0
; COMPUTE_PGM_RSRC2:TGID_X_EN: 1
; COMPUTE_PGM_RSRC2:TGID_Y_EN: 0
; COMPUTE_PGM_RSRC2:TGID_Z_EN: 0
; COMPUTE_PGM_RSRC2:TIDIG_COMP_CNT: 0
	.section	.text._ZN7rocprim17ROCPRIM_400000_NS6detail17trampoline_kernelINS0_14default_configENS1_27lower_bound_config_selectorIflEEZNS1_14transform_implILb0ES3_S5_N6thrust23THRUST_200600_302600_NS6detail15normal_iteratorINS8_7pointerIfNS8_11hip_rocprim5par_tENS8_11use_defaultESE_EEEENSA_INSB_IlSD_SE_SE_EEEEZNS1_13binary_searchIS3_S5_PfSG_SI_NS1_21lower_bound_search_opENS9_16wrapped_functionINS8_6system6detail7generic6detail18binary_search_lessEbEEEE10hipError_tPvRmT1_T2_T3_mmT4_T5_P12ihipStream_tbEUlRKfE_EEST_SX_SY_mSZ_S12_bEUlT_E_NS1_11comp_targetILNS1_3genE0ELNS1_11target_archE4294967295ELNS1_3gpuE0ELNS1_3repE0EEENS1_30default_config_static_selectorELNS0_4arch9wavefront6targetE0EEEvSW_,"axG",@progbits,_ZN7rocprim17ROCPRIM_400000_NS6detail17trampoline_kernelINS0_14default_configENS1_27lower_bound_config_selectorIflEEZNS1_14transform_implILb0ES3_S5_N6thrust23THRUST_200600_302600_NS6detail15normal_iteratorINS8_7pointerIfNS8_11hip_rocprim5par_tENS8_11use_defaultESE_EEEENSA_INSB_IlSD_SE_SE_EEEEZNS1_13binary_searchIS3_S5_PfSG_SI_NS1_21lower_bound_search_opENS9_16wrapped_functionINS8_6system6detail7generic6detail18binary_search_lessEbEEEE10hipError_tPvRmT1_T2_T3_mmT4_T5_P12ihipStream_tbEUlRKfE_EEST_SX_SY_mSZ_S12_bEUlT_E_NS1_11comp_targetILNS1_3genE0ELNS1_11target_archE4294967295ELNS1_3gpuE0ELNS1_3repE0EEENS1_30default_config_static_selectorELNS0_4arch9wavefront6targetE0EEEvSW_,comdat
	.protected	_ZN7rocprim17ROCPRIM_400000_NS6detail17trampoline_kernelINS0_14default_configENS1_27lower_bound_config_selectorIflEEZNS1_14transform_implILb0ES3_S5_N6thrust23THRUST_200600_302600_NS6detail15normal_iteratorINS8_7pointerIfNS8_11hip_rocprim5par_tENS8_11use_defaultESE_EEEENSA_INSB_IlSD_SE_SE_EEEEZNS1_13binary_searchIS3_S5_PfSG_SI_NS1_21lower_bound_search_opENS9_16wrapped_functionINS8_6system6detail7generic6detail18binary_search_lessEbEEEE10hipError_tPvRmT1_T2_T3_mmT4_T5_P12ihipStream_tbEUlRKfE_EEST_SX_SY_mSZ_S12_bEUlT_E_NS1_11comp_targetILNS1_3genE0ELNS1_11target_archE4294967295ELNS1_3gpuE0ELNS1_3repE0EEENS1_30default_config_static_selectorELNS0_4arch9wavefront6targetE0EEEvSW_ ; -- Begin function _ZN7rocprim17ROCPRIM_400000_NS6detail17trampoline_kernelINS0_14default_configENS1_27lower_bound_config_selectorIflEEZNS1_14transform_implILb0ES3_S5_N6thrust23THRUST_200600_302600_NS6detail15normal_iteratorINS8_7pointerIfNS8_11hip_rocprim5par_tENS8_11use_defaultESE_EEEENSA_INSB_IlSD_SE_SE_EEEEZNS1_13binary_searchIS3_S5_PfSG_SI_NS1_21lower_bound_search_opENS9_16wrapped_functionINS8_6system6detail7generic6detail18binary_search_lessEbEEEE10hipError_tPvRmT1_T2_T3_mmT4_T5_P12ihipStream_tbEUlRKfE_EEST_SX_SY_mSZ_S12_bEUlT_E_NS1_11comp_targetILNS1_3genE0ELNS1_11target_archE4294967295ELNS1_3gpuE0ELNS1_3repE0EEENS1_30default_config_static_selectorELNS0_4arch9wavefront6targetE0EEEvSW_
	.globl	_ZN7rocprim17ROCPRIM_400000_NS6detail17trampoline_kernelINS0_14default_configENS1_27lower_bound_config_selectorIflEEZNS1_14transform_implILb0ES3_S5_N6thrust23THRUST_200600_302600_NS6detail15normal_iteratorINS8_7pointerIfNS8_11hip_rocprim5par_tENS8_11use_defaultESE_EEEENSA_INSB_IlSD_SE_SE_EEEEZNS1_13binary_searchIS3_S5_PfSG_SI_NS1_21lower_bound_search_opENS9_16wrapped_functionINS8_6system6detail7generic6detail18binary_search_lessEbEEEE10hipError_tPvRmT1_T2_T3_mmT4_T5_P12ihipStream_tbEUlRKfE_EEST_SX_SY_mSZ_S12_bEUlT_E_NS1_11comp_targetILNS1_3genE0ELNS1_11target_archE4294967295ELNS1_3gpuE0ELNS1_3repE0EEENS1_30default_config_static_selectorELNS0_4arch9wavefront6targetE0EEEvSW_
	.p2align	8
	.type	_ZN7rocprim17ROCPRIM_400000_NS6detail17trampoline_kernelINS0_14default_configENS1_27lower_bound_config_selectorIflEEZNS1_14transform_implILb0ES3_S5_N6thrust23THRUST_200600_302600_NS6detail15normal_iteratorINS8_7pointerIfNS8_11hip_rocprim5par_tENS8_11use_defaultESE_EEEENSA_INSB_IlSD_SE_SE_EEEEZNS1_13binary_searchIS3_S5_PfSG_SI_NS1_21lower_bound_search_opENS9_16wrapped_functionINS8_6system6detail7generic6detail18binary_search_lessEbEEEE10hipError_tPvRmT1_T2_T3_mmT4_T5_P12ihipStream_tbEUlRKfE_EEST_SX_SY_mSZ_S12_bEUlT_E_NS1_11comp_targetILNS1_3genE0ELNS1_11target_archE4294967295ELNS1_3gpuE0ELNS1_3repE0EEENS1_30default_config_static_selectorELNS0_4arch9wavefront6targetE0EEEvSW_,@function
_ZN7rocprim17ROCPRIM_400000_NS6detail17trampoline_kernelINS0_14default_configENS1_27lower_bound_config_selectorIflEEZNS1_14transform_implILb0ES3_S5_N6thrust23THRUST_200600_302600_NS6detail15normal_iteratorINS8_7pointerIfNS8_11hip_rocprim5par_tENS8_11use_defaultESE_EEEENSA_INSB_IlSD_SE_SE_EEEEZNS1_13binary_searchIS3_S5_PfSG_SI_NS1_21lower_bound_search_opENS9_16wrapped_functionINS8_6system6detail7generic6detail18binary_search_lessEbEEEE10hipError_tPvRmT1_T2_T3_mmT4_T5_P12ihipStream_tbEUlRKfE_EEST_SX_SY_mSZ_S12_bEUlT_E_NS1_11comp_targetILNS1_3genE0ELNS1_11target_archE4294967295ELNS1_3gpuE0ELNS1_3repE0EEENS1_30default_config_static_selectorELNS0_4arch9wavefront6targetE0EEEvSW_: ; @_ZN7rocprim17ROCPRIM_400000_NS6detail17trampoline_kernelINS0_14default_configENS1_27lower_bound_config_selectorIflEEZNS1_14transform_implILb0ES3_S5_N6thrust23THRUST_200600_302600_NS6detail15normal_iteratorINS8_7pointerIfNS8_11hip_rocprim5par_tENS8_11use_defaultESE_EEEENSA_INSB_IlSD_SE_SE_EEEEZNS1_13binary_searchIS3_S5_PfSG_SI_NS1_21lower_bound_search_opENS9_16wrapped_functionINS8_6system6detail7generic6detail18binary_search_lessEbEEEE10hipError_tPvRmT1_T2_T3_mmT4_T5_P12ihipStream_tbEUlRKfE_EEST_SX_SY_mSZ_S12_bEUlT_E_NS1_11comp_targetILNS1_3genE0ELNS1_11target_archE4294967295ELNS1_3gpuE0ELNS1_3repE0EEENS1_30default_config_static_selectorELNS0_4arch9wavefront6targetE0EEEvSW_
; %bb.0:
	.section	.rodata,"a",@progbits
	.p2align	6, 0x0
	.amdhsa_kernel _ZN7rocprim17ROCPRIM_400000_NS6detail17trampoline_kernelINS0_14default_configENS1_27lower_bound_config_selectorIflEEZNS1_14transform_implILb0ES3_S5_N6thrust23THRUST_200600_302600_NS6detail15normal_iteratorINS8_7pointerIfNS8_11hip_rocprim5par_tENS8_11use_defaultESE_EEEENSA_INSB_IlSD_SE_SE_EEEEZNS1_13binary_searchIS3_S5_PfSG_SI_NS1_21lower_bound_search_opENS9_16wrapped_functionINS8_6system6detail7generic6detail18binary_search_lessEbEEEE10hipError_tPvRmT1_T2_T3_mmT4_T5_P12ihipStream_tbEUlRKfE_EEST_SX_SY_mSZ_S12_bEUlT_E_NS1_11comp_targetILNS1_3genE0ELNS1_11target_archE4294967295ELNS1_3gpuE0ELNS1_3repE0EEENS1_30default_config_static_selectorELNS0_4arch9wavefront6targetE0EEEvSW_
		.amdhsa_group_segment_fixed_size 0
		.amdhsa_private_segment_fixed_size 0
		.amdhsa_kernarg_size 56
		.amdhsa_user_sgpr_count 6
		.amdhsa_user_sgpr_private_segment_buffer 1
		.amdhsa_user_sgpr_dispatch_ptr 0
		.amdhsa_user_sgpr_queue_ptr 0
		.amdhsa_user_sgpr_kernarg_segment_ptr 1
		.amdhsa_user_sgpr_dispatch_id 0
		.amdhsa_user_sgpr_flat_scratch_init 0
		.amdhsa_user_sgpr_private_segment_size 0
		.amdhsa_wavefront_size32 1
		.amdhsa_uses_dynamic_stack 0
		.amdhsa_system_sgpr_private_segment_wavefront_offset 0
		.amdhsa_system_sgpr_workgroup_id_x 1
		.amdhsa_system_sgpr_workgroup_id_y 0
		.amdhsa_system_sgpr_workgroup_id_z 0
		.amdhsa_system_sgpr_workgroup_info 0
		.amdhsa_system_vgpr_workitem_id 0
		.amdhsa_next_free_vgpr 1
		.amdhsa_next_free_sgpr 1
		.amdhsa_reserve_vcc 0
		.amdhsa_reserve_flat_scratch 0
		.amdhsa_float_round_mode_32 0
		.amdhsa_float_round_mode_16_64 0
		.amdhsa_float_denorm_mode_32 3
		.amdhsa_float_denorm_mode_16_64 3
		.amdhsa_dx10_clamp 1
		.amdhsa_ieee_mode 1
		.amdhsa_fp16_overflow 0
		.amdhsa_workgroup_processor_mode 1
		.amdhsa_memory_ordered 1
		.amdhsa_forward_progress 1
		.amdhsa_shared_vgpr_count 0
		.amdhsa_exception_fp_ieee_invalid_op 0
		.amdhsa_exception_fp_denorm_src 0
		.amdhsa_exception_fp_ieee_div_zero 0
		.amdhsa_exception_fp_ieee_overflow 0
		.amdhsa_exception_fp_ieee_underflow 0
		.amdhsa_exception_fp_ieee_inexact 0
		.amdhsa_exception_int_div_zero 0
	.end_amdhsa_kernel
	.section	.text._ZN7rocprim17ROCPRIM_400000_NS6detail17trampoline_kernelINS0_14default_configENS1_27lower_bound_config_selectorIflEEZNS1_14transform_implILb0ES3_S5_N6thrust23THRUST_200600_302600_NS6detail15normal_iteratorINS8_7pointerIfNS8_11hip_rocprim5par_tENS8_11use_defaultESE_EEEENSA_INSB_IlSD_SE_SE_EEEEZNS1_13binary_searchIS3_S5_PfSG_SI_NS1_21lower_bound_search_opENS9_16wrapped_functionINS8_6system6detail7generic6detail18binary_search_lessEbEEEE10hipError_tPvRmT1_T2_T3_mmT4_T5_P12ihipStream_tbEUlRKfE_EEST_SX_SY_mSZ_S12_bEUlT_E_NS1_11comp_targetILNS1_3genE0ELNS1_11target_archE4294967295ELNS1_3gpuE0ELNS1_3repE0EEENS1_30default_config_static_selectorELNS0_4arch9wavefront6targetE0EEEvSW_,"axG",@progbits,_ZN7rocprim17ROCPRIM_400000_NS6detail17trampoline_kernelINS0_14default_configENS1_27lower_bound_config_selectorIflEEZNS1_14transform_implILb0ES3_S5_N6thrust23THRUST_200600_302600_NS6detail15normal_iteratorINS8_7pointerIfNS8_11hip_rocprim5par_tENS8_11use_defaultESE_EEEENSA_INSB_IlSD_SE_SE_EEEEZNS1_13binary_searchIS3_S5_PfSG_SI_NS1_21lower_bound_search_opENS9_16wrapped_functionINS8_6system6detail7generic6detail18binary_search_lessEbEEEE10hipError_tPvRmT1_T2_T3_mmT4_T5_P12ihipStream_tbEUlRKfE_EEST_SX_SY_mSZ_S12_bEUlT_E_NS1_11comp_targetILNS1_3genE0ELNS1_11target_archE4294967295ELNS1_3gpuE0ELNS1_3repE0EEENS1_30default_config_static_selectorELNS0_4arch9wavefront6targetE0EEEvSW_,comdat
.Lfunc_end33:
	.size	_ZN7rocprim17ROCPRIM_400000_NS6detail17trampoline_kernelINS0_14default_configENS1_27lower_bound_config_selectorIflEEZNS1_14transform_implILb0ES3_S5_N6thrust23THRUST_200600_302600_NS6detail15normal_iteratorINS8_7pointerIfNS8_11hip_rocprim5par_tENS8_11use_defaultESE_EEEENSA_INSB_IlSD_SE_SE_EEEEZNS1_13binary_searchIS3_S5_PfSG_SI_NS1_21lower_bound_search_opENS9_16wrapped_functionINS8_6system6detail7generic6detail18binary_search_lessEbEEEE10hipError_tPvRmT1_T2_T3_mmT4_T5_P12ihipStream_tbEUlRKfE_EEST_SX_SY_mSZ_S12_bEUlT_E_NS1_11comp_targetILNS1_3genE0ELNS1_11target_archE4294967295ELNS1_3gpuE0ELNS1_3repE0EEENS1_30default_config_static_selectorELNS0_4arch9wavefront6targetE0EEEvSW_, .Lfunc_end33-_ZN7rocprim17ROCPRIM_400000_NS6detail17trampoline_kernelINS0_14default_configENS1_27lower_bound_config_selectorIflEEZNS1_14transform_implILb0ES3_S5_N6thrust23THRUST_200600_302600_NS6detail15normal_iteratorINS8_7pointerIfNS8_11hip_rocprim5par_tENS8_11use_defaultESE_EEEENSA_INSB_IlSD_SE_SE_EEEEZNS1_13binary_searchIS3_S5_PfSG_SI_NS1_21lower_bound_search_opENS9_16wrapped_functionINS8_6system6detail7generic6detail18binary_search_lessEbEEEE10hipError_tPvRmT1_T2_T3_mmT4_T5_P12ihipStream_tbEUlRKfE_EEST_SX_SY_mSZ_S12_bEUlT_E_NS1_11comp_targetILNS1_3genE0ELNS1_11target_archE4294967295ELNS1_3gpuE0ELNS1_3repE0EEENS1_30default_config_static_selectorELNS0_4arch9wavefront6targetE0EEEvSW_
                                        ; -- End function
	.set _ZN7rocprim17ROCPRIM_400000_NS6detail17trampoline_kernelINS0_14default_configENS1_27lower_bound_config_selectorIflEEZNS1_14transform_implILb0ES3_S5_N6thrust23THRUST_200600_302600_NS6detail15normal_iteratorINS8_7pointerIfNS8_11hip_rocprim5par_tENS8_11use_defaultESE_EEEENSA_INSB_IlSD_SE_SE_EEEEZNS1_13binary_searchIS3_S5_PfSG_SI_NS1_21lower_bound_search_opENS9_16wrapped_functionINS8_6system6detail7generic6detail18binary_search_lessEbEEEE10hipError_tPvRmT1_T2_T3_mmT4_T5_P12ihipStream_tbEUlRKfE_EEST_SX_SY_mSZ_S12_bEUlT_E_NS1_11comp_targetILNS1_3genE0ELNS1_11target_archE4294967295ELNS1_3gpuE0ELNS1_3repE0EEENS1_30default_config_static_selectorELNS0_4arch9wavefront6targetE0EEEvSW_.num_vgpr, 0
	.set _ZN7rocprim17ROCPRIM_400000_NS6detail17trampoline_kernelINS0_14default_configENS1_27lower_bound_config_selectorIflEEZNS1_14transform_implILb0ES3_S5_N6thrust23THRUST_200600_302600_NS6detail15normal_iteratorINS8_7pointerIfNS8_11hip_rocprim5par_tENS8_11use_defaultESE_EEEENSA_INSB_IlSD_SE_SE_EEEEZNS1_13binary_searchIS3_S5_PfSG_SI_NS1_21lower_bound_search_opENS9_16wrapped_functionINS8_6system6detail7generic6detail18binary_search_lessEbEEEE10hipError_tPvRmT1_T2_T3_mmT4_T5_P12ihipStream_tbEUlRKfE_EEST_SX_SY_mSZ_S12_bEUlT_E_NS1_11comp_targetILNS1_3genE0ELNS1_11target_archE4294967295ELNS1_3gpuE0ELNS1_3repE0EEENS1_30default_config_static_selectorELNS0_4arch9wavefront6targetE0EEEvSW_.num_agpr, 0
	.set _ZN7rocprim17ROCPRIM_400000_NS6detail17trampoline_kernelINS0_14default_configENS1_27lower_bound_config_selectorIflEEZNS1_14transform_implILb0ES3_S5_N6thrust23THRUST_200600_302600_NS6detail15normal_iteratorINS8_7pointerIfNS8_11hip_rocprim5par_tENS8_11use_defaultESE_EEEENSA_INSB_IlSD_SE_SE_EEEEZNS1_13binary_searchIS3_S5_PfSG_SI_NS1_21lower_bound_search_opENS9_16wrapped_functionINS8_6system6detail7generic6detail18binary_search_lessEbEEEE10hipError_tPvRmT1_T2_T3_mmT4_T5_P12ihipStream_tbEUlRKfE_EEST_SX_SY_mSZ_S12_bEUlT_E_NS1_11comp_targetILNS1_3genE0ELNS1_11target_archE4294967295ELNS1_3gpuE0ELNS1_3repE0EEENS1_30default_config_static_selectorELNS0_4arch9wavefront6targetE0EEEvSW_.numbered_sgpr, 0
	.set _ZN7rocprim17ROCPRIM_400000_NS6detail17trampoline_kernelINS0_14default_configENS1_27lower_bound_config_selectorIflEEZNS1_14transform_implILb0ES3_S5_N6thrust23THRUST_200600_302600_NS6detail15normal_iteratorINS8_7pointerIfNS8_11hip_rocprim5par_tENS8_11use_defaultESE_EEEENSA_INSB_IlSD_SE_SE_EEEEZNS1_13binary_searchIS3_S5_PfSG_SI_NS1_21lower_bound_search_opENS9_16wrapped_functionINS8_6system6detail7generic6detail18binary_search_lessEbEEEE10hipError_tPvRmT1_T2_T3_mmT4_T5_P12ihipStream_tbEUlRKfE_EEST_SX_SY_mSZ_S12_bEUlT_E_NS1_11comp_targetILNS1_3genE0ELNS1_11target_archE4294967295ELNS1_3gpuE0ELNS1_3repE0EEENS1_30default_config_static_selectorELNS0_4arch9wavefront6targetE0EEEvSW_.num_named_barrier, 0
	.set _ZN7rocprim17ROCPRIM_400000_NS6detail17trampoline_kernelINS0_14default_configENS1_27lower_bound_config_selectorIflEEZNS1_14transform_implILb0ES3_S5_N6thrust23THRUST_200600_302600_NS6detail15normal_iteratorINS8_7pointerIfNS8_11hip_rocprim5par_tENS8_11use_defaultESE_EEEENSA_INSB_IlSD_SE_SE_EEEEZNS1_13binary_searchIS3_S5_PfSG_SI_NS1_21lower_bound_search_opENS9_16wrapped_functionINS8_6system6detail7generic6detail18binary_search_lessEbEEEE10hipError_tPvRmT1_T2_T3_mmT4_T5_P12ihipStream_tbEUlRKfE_EEST_SX_SY_mSZ_S12_bEUlT_E_NS1_11comp_targetILNS1_3genE0ELNS1_11target_archE4294967295ELNS1_3gpuE0ELNS1_3repE0EEENS1_30default_config_static_selectorELNS0_4arch9wavefront6targetE0EEEvSW_.private_seg_size, 0
	.set _ZN7rocprim17ROCPRIM_400000_NS6detail17trampoline_kernelINS0_14default_configENS1_27lower_bound_config_selectorIflEEZNS1_14transform_implILb0ES3_S5_N6thrust23THRUST_200600_302600_NS6detail15normal_iteratorINS8_7pointerIfNS8_11hip_rocprim5par_tENS8_11use_defaultESE_EEEENSA_INSB_IlSD_SE_SE_EEEEZNS1_13binary_searchIS3_S5_PfSG_SI_NS1_21lower_bound_search_opENS9_16wrapped_functionINS8_6system6detail7generic6detail18binary_search_lessEbEEEE10hipError_tPvRmT1_T2_T3_mmT4_T5_P12ihipStream_tbEUlRKfE_EEST_SX_SY_mSZ_S12_bEUlT_E_NS1_11comp_targetILNS1_3genE0ELNS1_11target_archE4294967295ELNS1_3gpuE0ELNS1_3repE0EEENS1_30default_config_static_selectorELNS0_4arch9wavefront6targetE0EEEvSW_.uses_vcc, 0
	.set _ZN7rocprim17ROCPRIM_400000_NS6detail17trampoline_kernelINS0_14default_configENS1_27lower_bound_config_selectorIflEEZNS1_14transform_implILb0ES3_S5_N6thrust23THRUST_200600_302600_NS6detail15normal_iteratorINS8_7pointerIfNS8_11hip_rocprim5par_tENS8_11use_defaultESE_EEEENSA_INSB_IlSD_SE_SE_EEEEZNS1_13binary_searchIS3_S5_PfSG_SI_NS1_21lower_bound_search_opENS9_16wrapped_functionINS8_6system6detail7generic6detail18binary_search_lessEbEEEE10hipError_tPvRmT1_T2_T3_mmT4_T5_P12ihipStream_tbEUlRKfE_EEST_SX_SY_mSZ_S12_bEUlT_E_NS1_11comp_targetILNS1_3genE0ELNS1_11target_archE4294967295ELNS1_3gpuE0ELNS1_3repE0EEENS1_30default_config_static_selectorELNS0_4arch9wavefront6targetE0EEEvSW_.uses_flat_scratch, 0
	.set _ZN7rocprim17ROCPRIM_400000_NS6detail17trampoline_kernelINS0_14default_configENS1_27lower_bound_config_selectorIflEEZNS1_14transform_implILb0ES3_S5_N6thrust23THRUST_200600_302600_NS6detail15normal_iteratorINS8_7pointerIfNS8_11hip_rocprim5par_tENS8_11use_defaultESE_EEEENSA_INSB_IlSD_SE_SE_EEEEZNS1_13binary_searchIS3_S5_PfSG_SI_NS1_21lower_bound_search_opENS9_16wrapped_functionINS8_6system6detail7generic6detail18binary_search_lessEbEEEE10hipError_tPvRmT1_T2_T3_mmT4_T5_P12ihipStream_tbEUlRKfE_EEST_SX_SY_mSZ_S12_bEUlT_E_NS1_11comp_targetILNS1_3genE0ELNS1_11target_archE4294967295ELNS1_3gpuE0ELNS1_3repE0EEENS1_30default_config_static_selectorELNS0_4arch9wavefront6targetE0EEEvSW_.has_dyn_sized_stack, 0
	.set _ZN7rocprim17ROCPRIM_400000_NS6detail17trampoline_kernelINS0_14default_configENS1_27lower_bound_config_selectorIflEEZNS1_14transform_implILb0ES3_S5_N6thrust23THRUST_200600_302600_NS6detail15normal_iteratorINS8_7pointerIfNS8_11hip_rocprim5par_tENS8_11use_defaultESE_EEEENSA_INSB_IlSD_SE_SE_EEEEZNS1_13binary_searchIS3_S5_PfSG_SI_NS1_21lower_bound_search_opENS9_16wrapped_functionINS8_6system6detail7generic6detail18binary_search_lessEbEEEE10hipError_tPvRmT1_T2_T3_mmT4_T5_P12ihipStream_tbEUlRKfE_EEST_SX_SY_mSZ_S12_bEUlT_E_NS1_11comp_targetILNS1_3genE0ELNS1_11target_archE4294967295ELNS1_3gpuE0ELNS1_3repE0EEENS1_30default_config_static_selectorELNS0_4arch9wavefront6targetE0EEEvSW_.has_recursion, 0
	.set _ZN7rocprim17ROCPRIM_400000_NS6detail17trampoline_kernelINS0_14default_configENS1_27lower_bound_config_selectorIflEEZNS1_14transform_implILb0ES3_S5_N6thrust23THRUST_200600_302600_NS6detail15normal_iteratorINS8_7pointerIfNS8_11hip_rocprim5par_tENS8_11use_defaultESE_EEEENSA_INSB_IlSD_SE_SE_EEEEZNS1_13binary_searchIS3_S5_PfSG_SI_NS1_21lower_bound_search_opENS9_16wrapped_functionINS8_6system6detail7generic6detail18binary_search_lessEbEEEE10hipError_tPvRmT1_T2_T3_mmT4_T5_P12ihipStream_tbEUlRKfE_EEST_SX_SY_mSZ_S12_bEUlT_E_NS1_11comp_targetILNS1_3genE0ELNS1_11target_archE4294967295ELNS1_3gpuE0ELNS1_3repE0EEENS1_30default_config_static_selectorELNS0_4arch9wavefront6targetE0EEEvSW_.has_indirect_call, 0
	.section	.AMDGPU.csdata,"",@progbits
; Kernel info:
; codeLenInByte = 0
; TotalNumSgprs: 0
; NumVgprs: 0
; ScratchSize: 0
; MemoryBound: 0
; FloatMode: 240
; IeeeMode: 1
; LDSByteSize: 0 bytes/workgroup (compile time only)
; SGPRBlocks: 0
; VGPRBlocks: 0
; NumSGPRsForWavesPerEU: 1
; NumVGPRsForWavesPerEU: 1
; Occupancy: 16
; WaveLimiterHint : 0
; COMPUTE_PGM_RSRC2:SCRATCH_EN: 0
; COMPUTE_PGM_RSRC2:USER_SGPR: 6
; COMPUTE_PGM_RSRC2:TRAP_HANDLER: 0
; COMPUTE_PGM_RSRC2:TGID_X_EN: 1
; COMPUTE_PGM_RSRC2:TGID_Y_EN: 0
; COMPUTE_PGM_RSRC2:TGID_Z_EN: 0
; COMPUTE_PGM_RSRC2:TIDIG_COMP_CNT: 0
	.section	.text._ZN7rocprim17ROCPRIM_400000_NS6detail17trampoline_kernelINS0_14default_configENS1_27lower_bound_config_selectorIflEEZNS1_14transform_implILb0ES3_S5_N6thrust23THRUST_200600_302600_NS6detail15normal_iteratorINS8_7pointerIfNS8_11hip_rocprim5par_tENS8_11use_defaultESE_EEEENSA_INSB_IlSD_SE_SE_EEEEZNS1_13binary_searchIS3_S5_PfSG_SI_NS1_21lower_bound_search_opENS9_16wrapped_functionINS8_6system6detail7generic6detail18binary_search_lessEbEEEE10hipError_tPvRmT1_T2_T3_mmT4_T5_P12ihipStream_tbEUlRKfE_EEST_SX_SY_mSZ_S12_bEUlT_E_NS1_11comp_targetILNS1_3genE5ELNS1_11target_archE942ELNS1_3gpuE9ELNS1_3repE0EEENS1_30default_config_static_selectorELNS0_4arch9wavefront6targetE0EEEvSW_,"axG",@progbits,_ZN7rocprim17ROCPRIM_400000_NS6detail17trampoline_kernelINS0_14default_configENS1_27lower_bound_config_selectorIflEEZNS1_14transform_implILb0ES3_S5_N6thrust23THRUST_200600_302600_NS6detail15normal_iteratorINS8_7pointerIfNS8_11hip_rocprim5par_tENS8_11use_defaultESE_EEEENSA_INSB_IlSD_SE_SE_EEEEZNS1_13binary_searchIS3_S5_PfSG_SI_NS1_21lower_bound_search_opENS9_16wrapped_functionINS8_6system6detail7generic6detail18binary_search_lessEbEEEE10hipError_tPvRmT1_T2_T3_mmT4_T5_P12ihipStream_tbEUlRKfE_EEST_SX_SY_mSZ_S12_bEUlT_E_NS1_11comp_targetILNS1_3genE5ELNS1_11target_archE942ELNS1_3gpuE9ELNS1_3repE0EEENS1_30default_config_static_selectorELNS0_4arch9wavefront6targetE0EEEvSW_,comdat
	.protected	_ZN7rocprim17ROCPRIM_400000_NS6detail17trampoline_kernelINS0_14default_configENS1_27lower_bound_config_selectorIflEEZNS1_14transform_implILb0ES3_S5_N6thrust23THRUST_200600_302600_NS6detail15normal_iteratorINS8_7pointerIfNS8_11hip_rocprim5par_tENS8_11use_defaultESE_EEEENSA_INSB_IlSD_SE_SE_EEEEZNS1_13binary_searchIS3_S5_PfSG_SI_NS1_21lower_bound_search_opENS9_16wrapped_functionINS8_6system6detail7generic6detail18binary_search_lessEbEEEE10hipError_tPvRmT1_T2_T3_mmT4_T5_P12ihipStream_tbEUlRKfE_EEST_SX_SY_mSZ_S12_bEUlT_E_NS1_11comp_targetILNS1_3genE5ELNS1_11target_archE942ELNS1_3gpuE9ELNS1_3repE0EEENS1_30default_config_static_selectorELNS0_4arch9wavefront6targetE0EEEvSW_ ; -- Begin function _ZN7rocprim17ROCPRIM_400000_NS6detail17trampoline_kernelINS0_14default_configENS1_27lower_bound_config_selectorIflEEZNS1_14transform_implILb0ES3_S5_N6thrust23THRUST_200600_302600_NS6detail15normal_iteratorINS8_7pointerIfNS8_11hip_rocprim5par_tENS8_11use_defaultESE_EEEENSA_INSB_IlSD_SE_SE_EEEEZNS1_13binary_searchIS3_S5_PfSG_SI_NS1_21lower_bound_search_opENS9_16wrapped_functionINS8_6system6detail7generic6detail18binary_search_lessEbEEEE10hipError_tPvRmT1_T2_T3_mmT4_T5_P12ihipStream_tbEUlRKfE_EEST_SX_SY_mSZ_S12_bEUlT_E_NS1_11comp_targetILNS1_3genE5ELNS1_11target_archE942ELNS1_3gpuE9ELNS1_3repE0EEENS1_30default_config_static_selectorELNS0_4arch9wavefront6targetE0EEEvSW_
	.globl	_ZN7rocprim17ROCPRIM_400000_NS6detail17trampoline_kernelINS0_14default_configENS1_27lower_bound_config_selectorIflEEZNS1_14transform_implILb0ES3_S5_N6thrust23THRUST_200600_302600_NS6detail15normal_iteratorINS8_7pointerIfNS8_11hip_rocprim5par_tENS8_11use_defaultESE_EEEENSA_INSB_IlSD_SE_SE_EEEEZNS1_13binary_searchIS3_S5_PfSG_SI_NS1_21lower_bound_search_opENS9_16wrapped_functionINS8_6system6detail7generic6detail18binary_search_lessEbEEEE10hipError_tPvRmT1_T2_T3_mmT4_T5_P12ihipStream_tbEUlRKfE_EEST_SX_SY_mSZ_S12_bEUlT_E_NS1_11comp_targetILNS1_3genE5ELNS1_11target_archE942ELNS1_3gpuE9ELNS1_3repE0EEENS1_30default_config_static_selectorELNS0_4arch9wavefront6targetE0EEEvSW_
	.p2align	8
	.type	_ZN7rocprim17ROCPRIM_400000_NS6detail17trampoline_kernelINS0_14default_configENS1_27lower_bound_config_selectorIflEEZNS1_14transform_implILb0ES3_S5_N6thrust23THRUST_200600_302600_NS6detail15normal_iteratorINS8_7pointerIfNS8_11hip_rocprim5par_tENS8_11use_defaultESE_EEEENSA_INSB_IlSD_SE_SE_EEEEZNS1_13binary_searchIS3_S5_PfSG_SI_NS1_21lower_bound_search_opENS9_16wrapped_functionINS8_6system6detail7generic6detail18binary_search_lessEbEEEE10hipError_tPvRmT1_T2_T3_mmT4_T5_P12ihipStream_tbEUlRKfE_EEST_SX_SY_mSZ_S12_bEUlT_E_NS1_11comp_targetILNS1_3genE5ELNS1_11target_archE942ELNS1_3gpuE9ELNS1_3repE0EEENS1_30default_config_static_selectorELNS0_4arch9wavefront6targetE0EEEvSW_,@function
_ZN7rocprim17ROCPRIM_400000_NS6detail17trampoline_kernelINS0_14default_configENS1_27lower_bound_config_selectorIflEEZNS1_14transform_implILb0ES3_S5_N6thrust23THRUST_200600_302600_NS6detail15normal_iteratorINS8_7pointerIfNS8_11hip_rocprim5par_tENS8_11use_defaultESE_EEEENSA_INSB_IlSD_SE_SE_EEEEZNS1_13binary_searchIS3_S5_PfSG_SI_NS1_21lower_bound_search_opENS9_16wrapped_functionINS8_6system6detail7generic6detail18binary_search_lessEbEEEE10hipError_tPvRmT1_T2_T3_mmT4_T5_P12ihipStream_tbEUlRKfE_EEST_SX_SY_mSZ_S12_bEUlT_E_NS1_11comp_targetILNS1_3genE5ELNS1_11target_archE942ELNS1_3gpuE9ELNS1_3repE0EEENS1_30default_config_static_selectorELNS0_4arch9wavefront6targetE0EEEvSW_: ; @_ZN7rocprim17ROCPRIM_400000_NS6detail17trampoline_kernelINS0_14default_configENS1_27lower_bound_config_selectorIflEEZNS1_14transform_implILb0ES3_S5_N6thrust23THRUST_200600_302600_NS6detail15normal_iteratorINS8_7pointerIfNS8_11hip_rocprim5par_tENS8_11use_defaultESE_EEEENSA_INSB_IlSD_SE_SE_EEEEZNS1_13binary_searchIS3_S5_PfSG_SI_NS1_21lower_bound_search_opENS9_16wrapped_functionINS8_6system6detail7generic6detail18binary_search_lessEbEEEE10hipError_tPvRmT1_T2_T3_mmT4_T5_P12ihipStream_tbEUlRKfE_EEST_SX_SY_mSZ_S12_bEUlT_E_NS1_11comp_targetILNS1_3genE5ELNS1_11target_archE942ELNS1_3gpuE9ELNS1_3repE0EEENS1_30default_config_static_selectorELNS0_4arch9wavefront6targetE0EEEvSW_
; %bb.0:
	.section	.rodata,"a",@progbits
	.p2align	6, 0x0
	.amdhsa_kernel _ZN7rocprim17ROCPRIM_400000_NS6detail17trampoline_kernelINS0_14default_configENS1_27lower_bound_config_selectorIflEEZNS1_14transform_implILb0ES3_S5_N6thrust23THRUST_200600_302600_NS6detail15normal_iteratorINS8_7pointerIfNS8_11hip_rocprim5par_tENS8_11use_defaultESE_EEEENSA_INSB_IlSD_SE_SE_EEEEZNS1_13binary_searchIS3_S5_PfSG_SI_NS1_21lower_bound_search_opENS9_16wrapped_functionINS8_6system6detail7generic6detail18binary_search_lessEbEEEE10hipError_tPvRmT1_T2_T3_mmT4_T5_P12ihipStream_tbEUlRKfE_EEST_SX_SY_mSZ_S12_bEUlT_E_NS1_11comp_targetILNS1_3genE5ELNS1_11target_archE942ELNS1_3gpuE9ELNS1_3repE0EEENS1_30default_config_static_selectorELNS0_4arch9wavefront6targetE0EEEvSW_
		.amdhsa_group_segment_fixed_size 0
		.amdhsa_private_segment_fixed_size 0
		.amdhsa_kernarg_size 56
		.amdhsa_user_sgpr_count 6
		.amdhsa_user_sgpr_private_segment_buffer 1
		.amdhsa_user_sgpr_dispatch_ptr 0
		.amdhsa_user_sgpr_queue_ptr 0
		.amdhsa_user_sgpr_kernarg_segment_ptr 1
		.amdhsa_user_sgpr_dispatch_id 0
		.amdhsa_user_sgpr_flat_scratch_init 0
		.amdhsa_user_sgpr_private_segment_size 0
		.amdhsa_wavefront_size32 1
		.amdhsa_uses_dynamic_stack 0
		.amdhsa_system_sgpr_private_segment_wavefront_offset 0
		.amdhsa_system_sgpr_workgroup_id_x 1
		.amdhsa_system_sgpr_workgroup_id_y 0
		.amdhsa_system_sgpr_workgroup_id_z 0
		.amdhsa_system_sgpr_workgroup_info 0
		.amdhsa_system_vgpr_workitem_id 0
		.amdhsa_next_free_vgpr 1
		.amdhsa_next_free_sgpr 1
		.amdhsa_reserve_vcc 0
		.amdhsa_reserve_flat_scratch 0
		.amdhsa_float_round_mode_32 0
		.amdhsa_float_round_mode_16_64 0
		.amdhsa_float_denorm_mode_32 3
		.amdhsa_float_denorm_mode_16_64 3
		.amdhsa_dx10_clamp 1
		.amdhsa_ieee_mode 1
		.amdhsa_fp16_overflow 0
		.amdhsa_workgroup_processor_mode 1
		.amdhsa_memory_ordered 1
		.amdhsa_forward_progress 1
		.amdhsa_shared_vgpr_count 0
		.amdhsa_exception_fp_ieee_invalid_op 0
		.amdhsa_exception_fp_denorm_src 0
		.amdhsa_exception_fp_ieee_div_zero 0
		.amdhsa_exception_fp_ieee_overflow 0
		.amdhsa_exception_fp_ieee_underflow 0
		.amdhsa_exception_fp_ieee_inexact 0
		.amdhsa_exception_int_div_zero 0
	.end_amdhsa_kernel
	.section	.text._ZN7rocprim17ROCPRIM_400000_NS6detail17trampoline_kernelINS0_14default_configENS1_27lower_bound_config_selectorIflEEZNS1_14transform_implILb0ES3_S5_N6thrust23THRUST_200600_302600_NS6detail15normal_iteratorINS8_7pointerIfNS8_11hip_rocprim5par_tENS8_11use_defaultESE_EEEENSA_INSB_IlSD_SE_SE_EEEEZNS1_13binary_searchIS3_S5_PfSG_SI_NS1_21lower_bound_search_opENS9_16wrapped_functionINS8_6system6detail7generic6detail18binary_search_lessEbEEEE10hipError_tPvRmT1_T2_T3_mmT4_T5_P12ihipStream_tbEUlRKfE_EEST_SX_SY_mSZ_S12_bEUlT_E_NS1_11comp_targetILNS1_3genE5ELNS1_11target_archE942ELNS1_3gpuE9ELNS1_3repE0EEENS1_30default_config_static_selectorELNS0_4arch9wavefront6targetE0EEEvSW_,"axG",@progbits,_ZN7rocprim17ROCPRIM_400000_NS6detail17trampoline_kernelINS0_14default_configENS1_27lower_bound_config_selectorIflEEZNS1_14transform_implILb0ES3_S5_N6thrust23THRUST_200600_302600_NS6detail15normal_iteratorINS8_7pointerIfNS8_11hip_rocprim5par_tENS8_11use_defaultESE_EEEENSA_INSB_IlSD_SE_SE_EEEEZNS1_13binary_searchIS3_S5_PfSG_SI_NS1_21lower_bound_search_opENS9_16wrapped_functionINS8_6system6detail7generic6detail18binary_search_lessEbEEEE10hipError_tPvRmT1_T2_T3_mmT4_T5_P12ihipStream_tbEUlRKfE_EEST_SX_SY_mSZ_S12_bEUlT_E_NS1_11comp_targetILNS1_3genE5ELNS1_11target_archE942ELNS1_3gpuE9ELNS1_3repE0EEENS1_30default_config_static_selectorELNS0_4arch9wavefront6targetE0EEEvSW_,comdat
.Lfunc_end34:
	.size	_ZN7rocprim17ROCPRIM_400000_NS6detail17trampoline_kernelINS0_14default_configENS1_27lower_bound_config_selectorIflEEZNS1_14transform_implILb0ES3_S5_N6thrust23THRUST_200600_302600_NS6detail15normal_iteratorINS8_7pointerIfNS8_11hip_rocprim5par_tENS8_11use_defaultESE_EEEENSA_INSB_IlSD_SE_SE_EEEEZNS1_13binary_searchIS3_S5_PfSG_SI_NS1_21lower_bound_search_opENS9_16wrapped_functionINS8_6system6detail7generic6detail18binary_search_lessEbEEEE10hipError_tPvRmT1_T2_T3_mmT4_T5_P12ihipStream_tbEUlRKfE_EEST_SX_SY_mSZ_S12_bEUlT_E_NS1_11comp_targetILNS1_3genE5ELNS1_11target_archE942ELNS1_3gpuE9ELNS1_3repE0EEENS1_30default_config_static_selectorELNS0_4arch9wavefront6targetE0EEEvSW_, .Lfunc_end34-_ZN7rocprim17ROCPRIM_400000_NS6detail17trampoline_kernelINS0_14default_configENS1_27lower_bound_config_selectorIflEEZNS1_14transform_implILb0ES3_S5_N6thrust23THRUST_200600_302600_NS6detail15normal_iteratorINS8_7pointerIfNS8_11hip_rocprim5par_tENS8_11use_defaultESE_EEEENSA_INSB_IlSD_SE_SE_EEEEZNS1_13binary_searchIS3_S5_PfSG_SI_NS1_21lower_bound_search_opENS9_16wrapped_functionINS8_6system6detail7generic6detail18binary_search_lessEbEEEE10hipError_tPvRmT1_T2_T3_mmT4_T5_P12ihipStream_tbEUlRKfE_EEST_SX_SY_mSZ_S12_bEUlT_E_NS1_11comp_targetILNS1_3genE5ELNS1_11target_archE942ELNS1_3gpuE9ELNS1_3repE0EEENS1_30default_config_static_selectorELNS0_4arch9wavefront6targetE0EEEvSW_
                                        ; -- End function
	.set _ZN7rocprim17ROCPRIM_400000_NS6detail17trampoline_kernelINS0_14default_configENS1_27lower_bound_config_selectorIflEEZNS1_14transform_implILb0ES3_S5_N6thrust23THRUST_200600_302600_NS6detail15normal_iteratorINS8_7pointerIfNS8_11hip_rocprim5par_tENS8_11use_defaultESE_EEEENSA_INSB_IlSD_SE_SE_EEEEZNS1_13binary_searchIS3_S5_PfSG_SI_NS1_21lower_bound_search_opENS9_16wrapped_functionINS8_6system6detail7generic6detail18binary_search_lessEbEEEE10hipError_tPvRmT1_T2_T3_mmT4_T5_P12ihipStream_tbEUlRKfE_EEST_SX_SY_mSZ_S12_bEUlT_E_NS1_11comp_targetILNS1_3genE5ELNS1_11target_archE942ELNS1_3gpuE9ELNS1_3repE0EEENS1_30default_config_static_selectorELNS0_4arch9wavefront6targetE0EEEvSW_.num_vgpr, 0
	.set _ZN7rocprim17ROCPRIM_400000_NS6detail17trampoline_kernelINS0_14default_configENS1_27lower_bound_config_selectorIflEEZNS1_14transform_implILb0ES3_S5_N6thrust23THRUST_200600_302600_NS6detail15normal_iteratorINS8_7pointerIfNS8_11hip_rocprim5par_tENS8_11use_defaultESE_EEEENSA_INSB_IlSD_SE_SE_EEEEZNS1_13binary_searchIS3_S5_PfSG_SI_NS1_21lower_bound_search_opENS9_16wrapped_functionINS8_6system6detail7generic6detail18binary_search_lessEbEEEE10hipError_tPvRmT1_T2_T3_mmT4_T5_P12ihipStream_tbEUlRKfE_EEST_SX_SY_mSZ_S12_bEUlT_E_NS1_11comp_targetILNS1_3genE5ELNS1_11target_archE942ELNS1_3gpuE9ELNS1_3repE0EEENS1_30default_config_static_selectorELNS0_4arch9wavefront6targetE0EEEvSW_.num_agpr, 0
	.set _ZN7rocprim17ROCPRIM_400000_NS6detail17trampoline_kernelINS0_14default_configENS1_27lower_bound_config_selectorIflEEZNS1_14transform_implILb0ES3_S5_N6thrust23THRUST_200600_302600_NS6detail15normal_iteratorINS8_7pointerIfNS8_11hip_rocprim5par_tENS8_11use_defaultESE_EEEENSA_INSB_IlSD_SE_SE_EEEEZNS1_13binary_searchIS3_S5_PfSG_SI_NS1_21lower_bound_search_opENS9_16wrapped_functionINS8_6system6detail7generic6detail18binary_search_lessEbEEEE10hipError_tPvRmT1_T2_T3_mmT4_T5_P12ihipStream_tbEUlRKfE_EEST_SX_SY_mSZ_S12_bEUlT_E_NS1_11comp_targetILNS1_3genE5ELNS1_11target_archE942ELNS1_3gpuE9ELNS1_3repE0EEENS1_30default_config_static_selectorELNS0_4arch9wavefront6targetE0EEEvSW_.numbered_sgpr, 0
	.set _ZN7rocprim17ROCPRIM_400000_NS6detail17trampoline_kernelINS0_14default_configENS1_27lower_bound_config_selectorIflEEZNS1_14transform_implILb0ES3_S5_N6thrust23THRUST_200600_302600_NS6detail15normal_iteratorINS8_7pointerIfNS8_11hip_rocprim5par_tENS8_11use_defaultESE_EEEENSA_INSB_IlSD_SE_SE_EEEEZNS1_13binary_searchIS3_S5_PfSG_SI_NS1_21lower_bound_search_opENS9_16wrapped_functionINS8_6system6detail7generic6detail18binary_search_lessEbEEEE10hipError_tPvRmT1_T2_T3_mmT4_T5_P12ihipStream_tbEUlRKfE_EEST_SX_SY_mSZ_S12_bEUlT_E_NS1_11comp_targetILNS1_3genE5ELNS1_11target_archE942ELNS1_3gpuE9ELNS1_3repE0EEENS1_30default_config_static_selectorELNS0_4arch9wavefront6targetE0EEEvSW_.num_named_barrier, 0
	.set _ZN7rocprim17ROCPRIM_400000_NS6detail17trampoline_kernelINS0_14default_configENS1_27lower_bound_config_selectorIflEEZNS1_14transform_implILb0ES3_S5_N6thrust23THRUST_200600_302600_NS6detail15normal_iteratorINS8_7pointerIfNS8_11hip_rocprim5par_tENS8_11use_defaultESE_EEEENSA_INSB_IlSD_SE_SE_EEEEZNS1_13binary_searchIS3_S5_PfSG_SI_NS1_21lower_bound_search_opENS9_16wrapped_functionINS8_6system6detail7generic6detail18binary_search_lessEbEEEE10hipError_tPvRmT1_T2_T3_mmT4_T5_P12ihipStream_tbEUlRKfE_EEST_SX_SY_mSZ_S12_bEUlT_E_NS1_11comp_targetILNS1_3genE5ELNS1_11target_archE942ELNS1_3gpuE9ELNS1_3repE0EEENS1_30default_config_static_selectorELNS0_4arch9wavefront6targetE0EEEvSW_.private_seg_size, 0
	.set _ZN7rocprim17ROCPRIM_400000_NS6detail17trampoline_kernelINS0_14default_configENS1_27lower_bound_config_selectorIflEEZNS1_14transform_implILb0ES3_S5_N6thrust23THRUST_200600_302600_NS6detail15normal_iteratorINS8_7pointerIfNS8_11hip_rocprim5par_tENS8_11use_defaultESE_EEEENSA_INSB_IlSD_SE_SE_EEEEZNS1_13binary_searchIS3_S5_PfSG_SI_NS1_21lower_bound_search_opENS9_16wrapped_functionINS8_6system6detail7generic6detail18binary_search_lessEbEEEE10hipError_tPvRmT1_T2_T3_mmT4_T5_P12ihipStream_tbEUlRKfE_EEST_SX_SY_mSZ_S12_bEUlT_E_NS1_11comp_targetILNS1_3genE5ELNS1_11target_archE942ELNS1_3gpuE9ELNS1_3repE0EEENS1_30default_config_static_selectorELNS0_4arch9wavefront6targetE0EEEvSW_.uses_vcc, 0
	.set _ZN7rocprim17ROCPRIM_400000_NS6detail17trampoline_kernelINS0_14default_configENS1_27lower_bound_config_selectorIflEEZNS1_14transform_implILb0ES3_S5_N6thrust23THRUST_200600_302600_NS6detail15normal_iteratorINS8_7pointerIfNS8_11hip_rocprim5par_tENS8_11use_defaultESE_EEEENSA_INSB_IlSD_SE_SE_EEEEZNS1_13binary_searchIS3_S5_PfSG_SI_NS1_21lower_bound_search_opENS9_16wrapped_functionINS8_6system6detail7generic6detail18binary_search_lessEbEEEE10hipError_tPvRmT1_T2_T3_mmT4_T5_P12ihipStream_tbEUlRKfE_EEST_SX_SY_mSZ_S12_bEUlT_E_NS1_11comp_targetILNS1_3genE5ELNS1_11target_archE942ELNS1_3gpuE9ELNS1_3repE0EEENS1_30default_config_static_selectorELNS0_4arch9wavefront6targetE0EEEvSW_.uses_flat_scratch, 0
	.set _ZN7rocprim17ROCPRIM_400000_NS6detail17trampoline_kernelINS0_14default_configENS1_27lower_bound_config_selectorIflEEZNS1_14transform_implILb0ES3_S5_N6thrust23THRUST_200600_302600_NS6detail15normal_iteratorINS8_7pointerIfNS8_11hip_rocprim5par_tENS8_11use_defaultESE_EEEENSA_INSB_IlSD_SE_SE_EEEEZNS1_13binary_searchIS3_S5_PfSG_SI_NS1_21lower_bound_search_opENS9_16wrapped_functionINS8_6system6detail7generic6detail18binary_search_lessEbEEEE10hipError_tPvRmT1_T2_T3_mmT4_T5_P12ihipStream_tbEUlRKfE_EEST_SX_SY_mSZ_S12_bEUlT_E_NS1_11comp_targetILNS1_3genE5ELNS1_11target_archE942ELNS1_3gpuE9ELNS1_3repE0EEENS1_30default_config_static_selectorELNS0_4arch9wavefront6targetE0EEEvSW_.has_dyn_sized_stack, 0
	.set _ZN7rocprim17ROCPRIM_400000_NS6detail17trampoline_kernelINS0_14default_configENS1_27lower_bound_config_selectorIflEEZNS1_14transform_implILb0ES3_S5_N6thrust23THRUST_200600_302600_NS6detail15normal_iteratorINS8_7pointerIfNS8_11hip_rocprim5par_tENS8_11use_defaultESE_EEEENSA_INSB_IlSD_SE_SE_EEEEZNS1_13binary_searchIS3_S5_PfSG_SI_NS1_21lower_bound_search_opENS9_16wrapped_functionINS8_6system6detail7generic6detail18binary_search_lessEbEEEE10hipError_tPvRmT1_T2_T3_mmT4_T5_P12ihipStream_tbEUlRKfE_EEST_SX_SY_mSZ_S12_bEUlT_E_NS1_11comp_targetILNS1_3genE5ELNS1_11target_archE942ELNS1_3gpuE9ELNS1_3repE0EEENS1_30default_config_static_selectorELNS0_4arch9wavefront6targetE0EEEvSW_.has_recursion, 0
	.set _ZN7rocprim17ROCPRIM_400000_NS6detail17trampoline_kernelINS0_14default_configENS1_27lower_bound_config_selectorIflEEZNS1_14transform_implILb0ES3_S5_N6thrust23THRUST_200600_302600_NS6detail15normal_iteratorINS8_7pointerIfNS8_11hip_rocprim5par_tENS8_11use_defaultESE_EEEENSA_INSB_IlSD_SE_SE_EEEEZNS1_13binary_searchIS3_S5_PfSG_SI_NS1_21lower_bound_search_opENS9_16wrapped_functionINS8_6system6detail7generic6detail18binary_search_lessEbEEEE10hipError_tPvRmT1_T2_T3_mmT4_T5_P12ihipStream_tbEUlRKfE_EEST_SX_SY_mSZ_S12_bEUlT_E_NS1_11comp_targetILNS1_3genE5ELNS1_11target_archE942ELNS1_3gpuE9ELNS1_3repE0EEENS1_30default_config_static_selectorELNS0_4arch9wavefront6targetE0EEEvSW_.has_indirect_call, 0
	.section	.AMDGPU.csdata,"",@progbits
; Kernel info:
; codeLenInByte = 0
; TotalNumSgprs: 0
; NumVgprs: 0
; ScratchSize: 0
; MemoryBound: 0
; FloatMode: 240
; IeeeMode: 1
; LDSByteSize: 0 bytes/workgroup (compile time only)
; SGPRBlocks: 0
; VGPRBlocks: 0
; NumSGPRsForWavesPerEU: 1
; NumVGPRsForWavesPerEU: 1
; Occupancy: 16
; WaveLimiterHint : 0
; COMPUTE_PGM_RSRC2:SCRATCH_EN: 0
; COMPUTE_PGM_RSRC2:USER_SGPR: 6
; COMPUTE_PGM_RSRC2:TRAP_HANDLER: 0
; COMPUTE_PGM_RSRC2:TGID_X_EN: 1
; COMPUTE_PGM_RSRC2:TGID_Y_EN: 0
; COMPUTE_PGM_RSRC2:TGID_Z_EN: 0
; COMPUTE_PGM_RSRC2:TIDIG_COMP_CNT: 0
	.section	.text._ZN7rocprim17ROCPRIM_400000_NS6detail17trampoline_kernelINS0_14default_configENS1_27lower_bound_config_selectorIflEEZNS1_14transform_implILb0ES3_S5_N6thrust23THRUST_200600_302600_NS6detail15normal_iteratorINS8_7pointerIfNS8_11hip_rocprim5par_tENS8_11use_defaultESE_EEEENSA_INSB_IlSD_SE_SE_EEEEZNS1_13binary_searchIS3_S5_PfSG_SI_NS1_21lower_bound_search_opENS9_16wrapped_functionINS8_6system6detail7generic6detail18binary_search_lessEbEEEE10hipError_tPvRmT1_T2_T3_mmT4_T5_P12ihipStream_tbEUlRKfE_EEST_SX_SY_mSZ_S12_bEUlT_E_NS1_11comp_targetILNS1_3genE4ELNS1_11target_archE910ELNS1_3gpuE8ELNS1_3repE0EEENS1_30default_config_static_selectorELNS0_4arch9wavefront6targetE0EEEvSW_,"axG",@progbits,_ZN7rocprim17ROCPRIM_400000_NS6detail17trampoline_kernelINS0_14default_configENS1_27lower_bound_config_selectorIflEEZNS1_14transform_implILb0ES3_S5_N6thrust23THRUST_200600_302600_NS6detail15normal_iteratorINS8_7pointerIfNS8_11hip_rocprim5par_tENS8_11use_defaultESE_EEEENSA_INSB_IlSD_SE_SE_EEEEZNS1_13binary_searchIS3_S5_PfSG_SI_NS1_21lower_bound_search_opENS9_16wrapped_functionINS8_6system6detail7generic6detail18binary_search_lessEbEEEE10hipError_tPvRmT1_T2_T3_mmT4_T5_P12ihipStream_tbEUlRKfE_EEST_SX_SY_mSZ_S12_bEUlT_E_NS1_11comp_targetILNS1_3genE4ELNS1_11target_archE910ELNS1_3gpuE8ELNS1_3repE0EEENS1_30default_config_static_selectorELNS0_4arch9wavefront6targetE0EEEvSW_,comdat
	.protected	_ZN7rocprim17ROCPRIM_400000_NS6detail17trampoline_kernelINS0_14default_configENS1_27lower_bound_config_selectorIflEEZNS1_14transform_implILb0ES3_S5_N6thrust23THRUST_200600_302600_NS6detail15normal_iteratorINS8_7pointerIfNS8_11hip_rocprim5par_tENS8_11use_defaultESE_EEEENSA_INSB_IlSD_SE_SE_EEEEZNS1_13binary_searchIS3_S5_PfSG_SI_NS1_21lower_bound_search_opENS9_16wrapped_functionINS8_6system6detail7generic6detail18binary_search_lessEbEEEE10hipError_tPvRmT1_T2_T3_mmT4_T5_P12ihipStream_tbEUlRKfE_EEST_SX_SY_mSZ_S12_bEUlT_E_NS1_11comp_targetILNS1_3genE4ELNS1_11target_archE910ELNS1_3gpuE8ELNS1_3repE0EEENS1_30default_config_static_selectorELNS0_4arch9wavefront6targetE0EEEvSW_ ; -- Begin function _ZN7rocprim17ROCPRIM_400000_NS6detail17trampoline_kernelINS0_14default_configENS1_27lower_bound_config_selectorIflEEZNS1_14transform_implILb0ES3_S5_N6thrust23THRUST_200600_302600_NS6detail15normal_iteratorINS8_7pointerIfNS8_11hip_rocprim5par_tENS8_11use_defaultESE_EEEENSA_INSB_IlSD_SE_SE_EEEEZNS1_13binary_searchIS3_S5_PfSG_SI_NS1_21lower_bound_search_opENS9_16wrapped_functionINS8_6system6detail7generic6detail18binary_search_lessEbEEEE10hipError_tPvRmT1_T2_T3_mmT4_T5_P12ihipStream_tbEUlRKfE_EEST_SX_SY_mSZ_S12_bEUlT_E_NS1_11comp_targetILNS1_3genE4ELNS1_11target_archE910ELNS1_3gpuE8ELNS1_3repE0EEENS1_30default_config_static_selectorELNS0_4arch9wavefront6targetE0EEEvSW_
	.globl	_ZN7rocprim17ROCPRIM_400000_NS6detail17trampoline_kernelINS0_14default_configENS1_27lower_bound_config_selectorIflEEZNS1_14transform_implILb0ES3_S5_N6thrust23THRUST_200600_302600_NS6detail15normal_iteratorINS8_7pointerIfNS8_11hip_rocprim5par_tENS8_11use_defaultESE_EEEENSA_INSB_IlSD_SE_SE_EEEEZNS1_13binary_searchIS3_S5_PfSG_SI_NS1_21lower_bound_search_opENS9_16wrapped_functionINS8_6system6detail7generic6detail18binary_search_lessEbEEEE10hipError_tPvRmT1_T2_T3_mmT4_T5_P12ihipStream_tbEUlRKfE_EEST_SX_SY_mSZ_S12_bEUlT_E_NS1_11comp_targetILNS1_3genE4ELNS1_11target_archE910ELNS1_3gpuE8ELNS1_3repE0EEENS1_30default_config_static_selectorELNS0_4arch9wavefront6targetE0EEEvSW_
	.p2align	8
	.type	_ZN7rocprim17ROCPRIM_400000_NS6detail17trampoline_kernelINS0_14default_configENS1_27lower_bound_config_selectorIflEEZNS1_14transform_implILb0ES3_S5_N6thrust23THRUST_200600_302600_NS6detail15normal_iteratorINS8_7pointerIfNS8_11hip_rocprim5par_tENS8_11use_defaultESE_EEEENSA_INSB_IlSD_SE_SE_EEEEZNS1_13binary_searchIS3_S5_PfSG_SI_NS1_21lower_bound_search_opENS9_16wrapped_functionINS8_6system6detail7generic6detail18binary_search_lessEbEEEE10hipError_tPvRmT1_T2_T3_mmT4_T5_P12ihipStream_tbEUlRKfE_EEST_SX_SY_mSZ_S12_bEUlT_E_NS1_11comp_targetILNS1_3genE4ELNS1_11target_archE910ELNS1_3gpuE8ELNS1_3repE0EEENS1_30default_config_static_selectorELNS0_4arch9wavefront6targetE0EEEvSW_,@function
_ZN7rocprim17ROCPRIM_400000_NS6detail17trampoline_kernelINS0_14default_configENS1_27lower_bound_config_selectorIflEEZNS1_14transform_implILb0ES3_S5_N6thrust23THRUST_200600_302600_NS6detail15normal_iteratorINS8_7pointerIfNS8_11hip_rocprim5par_tENS8_11use_defaultESE_EEEENSA_INSB_IlSD_SE_SE_EEEEZNS1_13binary_searchIS3_S5_PfSG_SI_NS1_21lower_bound_search_opENS9_16wrapped_functionINS8_6system6detail7generic6detail18binary_search_lessEbEEEE10hipError_tPvRmT1_T2_T3_mmT4_T5_P12ihipStream_tbEUlRKfE_EEST_SX_SY_mSZ_S12_bEUlT_E_NS1_11comp_targetILNS1_3genE4ELNS1_11target_archE910ELNS1_3gpuE8ELNS1_3repE0EEENS1_30default_config_static_selectorELNS0_4arch9wavefront6targetE0EEEvSW_: ; @_ZN7rocprim17ROCPRIM_400000_NS6detail17trampoline_kernelINS0_14default_configENS1_27lower_bound_config_selectorIflEEZNS1_14transform_implILb0ES3_S5_N6thrust23THRUST_200600_302600_NS6detail15normal_iteratorINS8_7pointerIfNS8_11hip_rocprim5par_tENS8_11use_defaultESE_EEEENSA_INSB_IlSD_SE_SE_EEEEZNS1_13binary_searchIS3_S5_PfSG_SI_NS1_21lower_bound_search_opENS9_16wrapped_functionINS8_6system6detail7generic6detail18binary_search_lessEbEEEE10hipError_tPvRmT1_T2_T3_mmT4_T5_P12ihipStream_tbEUlRKfE_EEST_SX_SY_mSZ_S12_bEUlT_E_NS1_11comp_targetILNS1_3genE4ELNS1_11target_archE910ELNS1_3gpuE8ELNS1_3repE0EEENS1_30default_config_static_selectorELNS0_4arch9wavefront6targetE0EEEvSW_
; %bb.0:
	.section	.rodata,"a",@progbits
	.p2align	6, 0x0
	.amdhsa_kernel _ZN7rocprim17ROCPRIM_400000_NS6detail17trampoline_kernelINS0_14default_configENS1_27lower_bound_config_selectorIflEEZNS1_14transform_implILb0ES3_S5_N6thrust23THRUST_200600_302600_NS6detail15normal_iteratorINS8_7pointerIfNS8_11hip_rocprim5par_tENS8_11use_defaultESE_EEEENSA_INSB_IlSD_SE_SE_EEEEZNS1_13binary_searchIS3_S5_PfSG_SI_NS1_21lower_bound_search_opENS9_16wrapped_functionINS8_6system6detail7generic6detail18binary_search_lessEbEEEE10hipError_tPvRmT1_T2_T3_mmT4_T5_P12ihipStream_tbEUlRKfE_EEST_SX_SY_mSZ_S12_bEUlT_E_NS1_11comp_targetILNS1_3genE4ELNS1_11target_archE910ELNS1_3gpuE8ELNS1_3repE0EEENS1_30default_config_static_selectorELNS0_4arch9wavefront6targetE0EEEvSW_
		.amdhsa_group_segment_fixed_size 0
		.amdhsa_private_segment_fixed_size 0
		.amdhsa_kernarg_size 56
		.amdhsa_user_sgpr_count 6
		.amdhsa_user_sgpr_private_segment_buffer 1
		.amdhsa_user_sgpr_dispatch_ptr 0
		.amdhsa_user_sgpr_queue_ptr 0
		.amdhsa_user_sgpr_kernarg_segment_ptr 1
		.amdhsa_user_sgpr_dispatch_id 0
		.amdhsa_user_sgpr_flat_scratch_init 0
		.amdhsa_user_sgpr_private_segment_size 0
		.amdhsa_wavefront_size32 1
		.amdhsa_uses_dynamic_stack 0
		.amdhsa_system_sgpr_private_segment_wavefront_offset 0
		.amdhsa_system_sgpr_workgroup_id_x 1
		.amdhsa_system_sgpr_workgroup_id_y 0
		.amdhsa_system_sgpr_workgroup_id_z 0
		.amdhsa_system_sgpr_workgroup_info 0
		.amdhsa_system_vgpr_workitem_id 0
		.amdhsa_next_free_vgpr 1
		.amdhsa_next_free_sgpr 1
		.amdhsa_reserve_vcc 0
		.amdhsa_reserve_flat_scratch 0
		.amdhsa_float_round_mode_32 0
		.amdhsa_float_round_mode_16_64 0
		.amdhsa_float_denorm_mode_32 3
		.amdhsa_float_denorm_mode_16_64 3
		.amdhsa_dx10_clamp 1
		.amdhsa_ieee_mode 1
		.amdhsa_fp16_overflow 0
		.amdhsa_workgroup_processor_mode 1
		.amdhsa_memory_ordered 1
		.amdhsa_forward_progress 1
		.amdhsa_shared_vgpr_count 0
		.amdhsa_exception_fp_ieee_invalid_op 0
		.amdhsa_exception_fp_denorm_src 0
		.amdhsa_exception_fp_ieee_div_zero 0
		.amdhsa_exception_fp_ieee_overflow 0
		.amdhsa_exception_fp_ieee_underflow 0
		.amdhsa_exception_fp_ieee_inexact 0
		.amdhsa_exception_int_div_zero 0
	.end_amdhsa_kernel
	.section	.text._ZN7rocprim17ROCPRIM_400000_NS6detail17trampoline_kernelINS0_14default_configENS1_27lower_bound_config_selectorIflEEZNS1_14transform_implILb0ES3_S5_N6thrust23THRUST_200600_302600_NS6detail15normal_iteratorINS8_7pointerIfNS8_11hip_rocprim5par_tENS8_11use_defaultESE_EEEENSA_INSB_IlSD_SE_SE_EEEEZNS1_13binary_searchIS3_S5_PfSG_SI_NS1_21lower_bound_search_opENS9_16wrapped_functionINS8_6system6detail7generic6detail18binary_search_lessEbEEEE10hipError_tPvRmT1_T2_T3_mmT4_T5_P12ihipStream_tbEUlRKfE_EEST_SX_SY_mSZ_S12_bEUlT_E_NS1_11comp_targetILNS1_3genE4ELNS1_11target_archE910ELNS1_3gpuE8ELNS1_3repE0EEENS1_30default_config_static_selectorELNS0_4arch9wavefront6targetE0EEEvSW_,"axG",@progbits,_ZN7rocprim17ROCPRIM_400000_NS6detail17trampoline_kernelINS0_14default_configENS1_27lower_bound_config_selectorIflEEZNS1_14transform_implILb0ES3_S5_N6thrust23THRUST_200600_302600_NS6detail15normal_iteratorINS8_7pointerIfNS8_11hip_rocprim5par_tENS8_11use_defaultESE_EEEENSA_INSB_IlSD_SE_SE_EEEEZNS1_13binary_searchIS3_S5_PfSG_SI_NS1_21lower_bound_search_opENS9_16wrapped_functionINS8_6system6detail7generic6detail18binary_search_lessEbEEEE10hipError_tPvRmT1_T2_T3_mmT4_T5_P12ihipStream_tbEUlRKfE_EEST_SX_SY_mSZ_S12_bEUlT_E_NS1_11comp_targetILNS1_3genE4ELNS1_11target_archE910ELNS1_3gpuE8ELNS1_3repE0EEENS1_30default_config_static_selectorELNS0_4arch9wavefront6targetE0EEEvSW_,comdat
.Lfunc_end35:
	.size	_ZN7rocprim17ROCPRIM_400000_NS6detail17trampoline_kernelINS0_14default_configENS1_27lower_bound_config_selectorIflEEZNS1_14transform_implILb0ES3_S5_N6thrust23THRUST_200600_302600_NS6detail15normal_iteratorINS8_7pointerIfNS8_11hip_rocprim5par_tENS8_11use_defaultESE_EEEENSA_INSB_IlSD_SE_SE_EEEEZNS1_13binary_searchIS3_S5_PfSG_SI_NS1_21lower_bound_search_opENS9_16wrapped_functionINS8_6system6detail7generic6detail18binary_search_lessEbEEEE10hipError_tPvRmT1_T2_T3_mmT4_T5_P12ihipStream_tbEUlRKfE_EEST_SX_SY_mSZ_S12_bEUlT_E_NS1_11comp_targetILNS1_3genE4ELNS1_11target_archE910ELNS1_3gpuE8ELNS1_3repE0EEENS1_30default_config_static_selectorELNS0_4arch9wavefront6targetE0EEEvSW_, .Lfunc_end35-_ZN7rocprim17ROCPRIM_400000_NS6detail17trampoline_kernelINS0_14default_configENS1_27lower_bound_config_selectorIflEEZNS1_14transform_implILb0ES3_S5_N6thrust23THRUST_200600_302600_NS6detail15normal_iteratorINS8_7pointerIfNS8_11hip_rocprim5par_tENS8_11use_defaultESE_EEEENSA_INSB_IlSD_SE_SE_EEEEZNS1_13binary_searchIS3_S5_PfSG_SI_NS1_21lower_bound_search_opENS9_16wrapped_functionINS8_6system6detail7generic6detail18binary_search_lessEbEEEE10hipError_tPvRmT1_T2_T3_mmT4_T5_P12ihipStream_tbEUlRKfE_EEST_SX_SY_mSZ_S12_bEUlT_E_NS1_11comp_targetILNS1_3genE4ELNS1_11target_archE910ELNS1_3gpuE8ELNS1_3repE0EEENS1_30default_config_static_selectorELNS0_4arch9wavefront6targetE0EEEvSW_
                                        ; -- End function
	.set _ZN7rocprim17ROCPRIM_400000_NS6detail17trampoline_kernelINS0_14default_configENS1_27lower_bound_config_selectorIflEEZNS1_14transform_implILb0ES3_S5_N6thrust23THRUST_200600_302600_NS6detail15normal_iteratorINS8_7pointerIfNS8_11hip_rocprim5par_tENS8_11use_defaultESE_EEEENSA_INSB_IlSD_SE_SE_EEEEZNS1_13binary_searchIS3_S5_PfSG_SI_NS1_21lower_bound_search_opENS9_16wrapped_functionINS8_6system6detail7generic6detail18binary_search_lessEbEEEE10hipError_tPvRmT1_T2_T3_mmT4_T5_P12ihipStream_tbEUlRKfE_EEST_SX_SY_mSZ_S12_bEUlT_E_NS1_11comp_targetILNS1_3genE4ELNS1_11target_archE910ELNS1_3gpuE8ELNS1_3repE0EEENS1_30default_config_static_selectorELNS0_4arch9wavefront6targetE0EEEvSW_.num_vgpr, 0
	.set _ZN7rocprim17ROCPRIM_400000_NS6detail17trampoline_kernelINS0_14default_configENS1_27lower_bound_config_selectorIflEEZNS1_14transform_implILb0ES3_S5_N6thrust23THRUST_200600_302600_NS6detail15normal_iteratorINS8_7pointerIfNS8_11hip_rocprim5par_tENS8_11use_defaultESE_EEEENSA_INSB_IlSD_SE_SE_EEEEZNS1_13binary_searchIS3_S5_PfSG_SI_NS1_21lower_bound_search_opENS9_16wrapped_functionINS8_6system6detail7generic6detail18binary_search_lessEbEEEE10hipError_tPvRmT1_T2_T3_mmT4_T5_P12ihipStream_tbEUlRKfE_EEST_SX_SY_mSZ_S12_bEUlT_E_NS1_11comp_targetILNS1_3genE4ELNS1_11target_archE910ELNS1_3gpuE8ELNS1_3repE0EEENS1_30default_config_static_selectorELNS0_4arch9wavefront6targetE0EEEvSW_.num_agpr, 0
	.set _ZN7rocprim17ROCPRIM_400000_NS6detail17trampoline_kernelINS0_14default_configENS1_27lower_bound_config_selectorIflEEZNS1_14transform_implILb0ES3_S5_N6thrust23THRUST_200600_302600_NS6detail15normal_iteratorINS8_7pointerIfNS8_11hip_rocprim5par_tENS8_11use_defaultESE_EEEENSA_INSB_IlSD_SE_SE_EEEEZNS1_13binary_searchIS3_S5_PfSG_SI_NS1_21lower_bound_search_opENS9_16wrapped_functionINS8_6system6detail7generic6detail18binary_search_lessEbEEEE10hipError_tPvRmT1_T2_T3_mmT4_T5_P12ihipStream_tbEUlRKfE_EEST_SX_SY_mSZ_S12_bEUlT_E_NS1_11comp_targetILNS1_3genE4ELNS1_11target_archE910ELNS1_3gpuE8ELNS1_3repE0EEENS1_30default_config_static_selectorELNS0_4arch9wavefront6targetE0EEEvSW_.numbered_sgpr, 0
	.set _ZN7rocprim17ROCPRIM_400000_NS6detail17trampoline_kernelINS0_14default_configENS1_27lower_bound_config_selectorIflEEZNS1_14transform_implILb0ES3_S5_N6thrust23THRUST_200600_302600_NS6detail15normal_iteratorINS8_7pointerIfNS8_11hip_rocprim5par_tENS8_11use_defaultESE_EEEENSA_INSB_IlSD_SE_SE_EEEEZNS1_13binary_searchIS3_S5_PfSG_SI_NS1_21lower_bound_search_opENS9_16wrapped_functionINS8_6system6detail7generic6detail18binary_search_lessEbEEEE10hipError_tPvRmT1_T2_T3_mmT4_T5_P12ihipStream_tbEUlRKfE_EEST_SX_SY_mSZ_S12_bEUlT_E_NS1_11comp_targetILNS1_3genE4ELNS1_11target_archE910ELNS1_3gpuE8ELNS1_3repE0EEENS1_30default_config_static_selectorELNS0_4arch9wavefront6targetE0EEEvSW_.num_named_barrier, 0
	.set _ZN7rocprim17ROCPRIM_400000_NS6detail17trampoline_kernelINS0_14default_configENS1_27lower_bound_config_selectorIflEEZNS1_14transform_implILb0ES3_S5_N6thrust23THRUST_200600_302600_NS6detail15normal_iteratorINS8_7pointerIfNS8_11hip_rocprim5par_tENS8_11use_defaultESE_EEEENSA_INSB_IlSD_SE_SE_EEEEZNS1_13binary_searchIS3_S5_PfSG_SI_NS1_21lower_bound_search_opENS9_16wrapped_functionINS8_6system6detail7generic6detail18binary_search_lessEbEEEE10hipError_tPvRmT1_T2_T3_mmT4_T5_P12ihipStream_tbEUlRKfE_EEST_SX_SY_mSZ_S12_bEUlT_E_NS1_11comp_targetILNS1_3genE4ELNS1_11target_archE910ELNS1_3gpuE8ELNS1_3repE0EEENS1_30default_config_static_selectorELNS0_4arch9wavefront6targetE0EEEvSW_.private_seg_size, 0
	.set _ZN7rocprim17ROCPRIM_400000_NS6detail17trampoline_kernelINS0_14default_configENS1_27lower_bound_config_selectorIflEEZNS1_14transform_implILb0ES3_S5_N6thrust23THRUST_200600_302600_NS6detail15normal_iteratorINS8_7pointerIfNS8_11hip_rocprim5par_tENS8_11use_defaultESE_EEEENSA_INSB_IlSD_SE_SE_EEEEZNS1_13binary_searchIS3_S5_PfSG_SI_NS1_21lower_bound_search_opENS9_16wrapped_functionINS8_6system6detail7generic6detail18binary_search_lessEbEEEE10hipError_tPvRmT1_T2_T3_mmT4_T5_P12ihipStream_tbEUlRKfE_EEST_SX_SY_mSZ_S12_bEUlT_E_NS1_11comp_targetILNS1_3genE4ELNS1_11target_archE910ELNS1_3gpuE8ELNS1_3repE0EEENS1_30default_config_static_selectorELNS0_4arch9wavefront6targetE0EEEvSW_.uses_vcc, 0
	.set _ZN7rocprim17ROCPRIM_400000_NS6detail17trampoline_kernelINS0_14default_configENS1_27lower_bound_config_selectorIflEEZNS1_14transform_implILb0ES3_S5_N6thrust23THRUST_200600_302600_NS6detail15normal_iteratorINS8_7pointerIfNS8_11hip_rocprim5par_tENS8_11use_defaultESE_EEEENSA_INSB_IlSD_SE_SE_EEEEZNS1_13binary_searchIS3_S5_PfSG_SI_NS1_21lower_bound_search_opENS9_16wrapped_functionINS8_6system6detail7generic6detail18binary_search_lessEbEEEE10hipError_tPvRmT1_T2_T3_mmT4_T5_P12ihipStream_tbEUlRKfE_EEST_SX_SY_mSZ_S12_bEUlT_E_NS1_11comp_targetILNS1_3genE4ELNS1_11target_archE910ELNS1_3gpuE8ELNS1_3repE0EEENS1_30default_config_static_selectorELNS0_4arch9wavefront6targetE0EEEvSW_.uses_flat_scratch, 0
	.set _ZN7rocprim17ROCPRIM_400000_NS6detail17trampoline_kernelINS0_14default_configENS1_27lower_bound_config_selectorIflEEZNS1_14transform_implILb0ES3_S5_N6thrust23THRUST_200600_302600_NS6detail15normal_iteratorINS8_7pointerIfNS8_11hip_rocprim5par_tENS8_11use_defaultESE_EEEENSA_INSB_IlSD_SE_SE_EEEEZNS1_13binary_searchIS3_S5_PfSG_SI_NS1_21lower_bound_search_opENS9_16wrapped_functionINS8_6system6detail7generic6detail18binary_search_lessEbEEEE10hipError_tPvRmT1_T2_T3_mmT4_T5_P12ihipStream_tbEUlRKfE_EEST_SX_SY_mSZ_S12_bEUlT_E_NS1_11comp_targetILNS1_3genE4ELNS1_11target_archE910ELNS1_3gpuE8ELNS1_3repE0EEENS1_30default_config_static_selectorELNS0_4arch9wavefront6targetE0EEEvSW_.has_dyn_sized_stack, 0
	.set _ZN7rocprim17ROCPRIM_400000_NS6detail17trampoline_kernelINS0_14default_configENS1_27lower_bound_config_selectorIflEEZNS1_14transform_implILb0ES3_S5_N6thrust23THRUST_200600_302600_NS6detail15normal_iteratorINS8_7pointerIfNS8_11hip_rocprim5par_tENS8_11use_defaultESE_EEEENSA_INSB_IlSD_SE_SE_EEEEZNS1_13binary_searchIS3_S5_PfSG_SI_NS1_21lower_bound_search_opENS9_16wrapped_functionINS8_6system6detail7generic6detail18binary_search_lessEbEEEE10hipError_tPvRmT1_T2_T3_mmT4_T5_P12ihipStream_tbEUlRKfE_EEST_SX_SY_mSZ_S12_bEUlT_E_NS1_11comp_targetILNS1_3genE4ELNS1_11target_archE910ELNS1_3gpuE8ELNS1_3repE0EEENS1_30default_config_static_selectorELNS0_4arch9wavefront6targetE0EEEvSW_.has_recursion, 0
	.set _ZN7rocprim17ROCPRIM_400000_NS6detail17trampoline_kernelINS0_14default_configENS1_27lower_bound_config_selectorIflEEZNS1_14transform_implILb0ES3_S5_N6thrust23THRUST_200600_302600_NS6detail15normal_iteratorINS8_7pointerIfNS8_11hip_rocprim5par_tENS8_11use_defaultESE_EEEENSA_INSB_IlSD_SE_SE_EEEEZNS1_13binary_searchIS3_S5_PfSG_SI_NS1_21lower_bound_search_opENS9_16wrapped_functionINS8_6system6detail7generic6detail18binary_search_lessEbEEEE10hipError_tPvRmT1_T2_T3_mmT4_T5_P12ihipStream_tbEUlRKfE_EEST_SX_SY_mSZ_S12_bEUlT_E_NS1_11comp_targetILNS1_3genE4ELNS1_11target_archE910ELNS1_3gpuE8ELNS1_3repE0EEENS1_30default_config_static_selectorELNS0_4arch9wavefront6targetE0EEEvSW_.has_indirect_call, 0
	.section	.AMDGPU.csdata,"",@progbits
; Kernel info:
; codeLenInByte = 0
; TotalNumSgprs: 0
; NumVgprs: 0
; ScratchSize: 0
; MemoryBound: 0
; FloatMode: 240
; IeeeMode: 1
; LDSByteSize: 0 bytes/workgroup (compile time only)
; SGPRBlocks: 0
; VGPRBlocks: 0
; NumSGPRsForWavesPerEU: 1
; NumVGPRsForWavesPerEU: 1
; Occupancy: 16
; WaveLimiterHint : 0
; COMPUTE_PGM_RSRC2:SCRATCH_EN: 0
; COMPUTE_PGM_RSRC2:USER_SGPR: 6
; COMPUTE_PGM_RSRC2:TRAP_HANDLER: 0
; COMPUTE_PGM_RSRC2:TGID_X_EN: 1
; COMPUTE_PGM_RSRC2:TGID_Y_EN: 0
; COMPUTE_PGM_RSRC2:TGID_Z_EN: 0
; COMPUTE_PGM_RSRC2:TIDIG_COMP_CNT: 0
	.section	.text._ZN7rocprim17ROCPRIM_400000_NS6detail17trampoline_kernelINS0_14default_configENS1_27lower_bound_config_selectorIflEEZNS1_14transform_implILb0ES3_S5_N6thrust23THRUST_200600_302600_NS6detail15normal_iteratorINS8_7pointerIfNS8_11hip_rocprim5par_tENS8_11use_defaultESE_EEEENSA_INSB_IlSD_SE_SE_EEEEZNS1_13binary_searchIS3_S5_PfSG_SI_NS1_21lower_bound_search_opENS9_16wrapped_functionINS8_6system6detail7generic6detail18binary_search_lessEbEEEE10hipError_tPvRmT1_T2_T3_mmT4_T5_P12ihipStream_tbEUlRKfE_EEST_SX_SY_mSZ_S12_bEUlT_E_NS1_11comp_targetILNS1_3genE3ELNS1_11target_archE908ELNS1_3gpuE7ELNS1_3repE0EEENS1_30default_config_static_selectorELNS0_4arch9wavefront6targetE0EEEvSW_,"axG",@progbits,_ZN7rocprim17ROCPRIM_400000_NS6detail17trampoline_kernelINS0_14default_configENS1_27lower_bound_config_selectorIflEEZNS1_14transform_implILb0ES3_S5_N6thrust23THRUST_200600_302600_NS6detail15normal_iteratorINS8_7pointerIfNS8_11hip_rocprim5par_tENS8_11use_defaultESE_EEEENSA_INSB_IlSD_SE_SE_EEEEZNS1_13binary_searchIS3_S5_PfSG_SI_NS1_21lower_bound_search_opENS9_16wrapped_functionINS8_6system6detail7generic6detail18binary_search_lessEbEEEE10hipError_tPvRmT1_T2_T3_mmT4_T5_P12ihipStream_tbEUlRKfE_EEST_SX_SY_mSZ_S12_bEUlT_E_NS1_11comp_targetILNS1_3genE3ELNS1_11target_archE908ELNS1_3gpuE7ELNS1_3repE0EEENS1_30default_config_static_selectorELNS0_4arch9wavefront6targetE0EEEvSW_,comdat
	.protected	_ZN7rocprim17ROCPRIM_400000_NS6detail17trampoline_kernelINS0_14default_configENS1_27lower_bound_config_selectorIflEEZNS1_14transform_implILb0ES3_S5_N6thrust23THRUST_200600_302600_NS6detail15normal_iteratorINS8_7pointerIfNS8_11hip_rocprim5par_tENS8_11use_defaultESE_EEEENSA_INSB_IlSD_SE_SE_EEEEZNS1_13binary_searchIS3_S5_PfSG_SI_NS1_21lower_bound_search_opENS9_16wrapped_functionINS8_6system6detail7generic6detail18binary_search_lessEbEEEE10hipError_tPvRmT1_T2_T3_mmT4_T5_P12ihipStream_tbEUlRKfE_EEST_SX_SY_mSZ_S12_bEUlT_E_NS1_11comp_targetILNS1_3genE3ELNS1_11target_archE908ELNS1_3gpuE7ELNS1_3repE0EEENS1_30default_config_static_selectorELNS0_4arch9wavefront6targetE0EEEvSW_ ; -- Begin function _ZN7rocprim17ROCPRIM_400000_NS6detail17trampoline_kernelINS0_14default_configENS1_27lower_bound_config_selectorIflEEZNS1_14transform_implILb0ES3_S5_N6thrust23THRUST_200600_302600_NS6detail15normal_iteratorINS8_7pointerIfNS8_11hip_rocprim5par_tENS8_11use_defaultESE_EEEENSA_INSB_IlSD_SE_SE_EEEEZNS1_13binary_searchIS3_S5_PfSG_SI_NS1_21lower_bound_search_opENS9_16wrapped_functionINS8_6system6detail7generic6detail18binary_search_lessEbEEEE10hipError_tPvRmT1_T2_T3_mmT4_T5_P12ihipStream_tbEUlRKfE_EEST_SX_SY_mSZ_S12_bEUlT_E_NS1_11comp_targetILNS1_3genE3ELNS1_11target_archE908ELNS1_3gpuE7ELNS1_3repE0EEENS1_30default_config_static_selectorELNS0_4arch9wavefront6targetE0EEEvSW_
	.globl	_ZN7rocprim17ROCPRIM_400000_NS6detail17trampoline_kernelINS0_14default_configENS1_27lower_bound_config_selectorIflEEZNS1_14transform_implILb0ES3_S5_N6thrust23THRUST_200600_302600_NS6detail15normal_iteratorINS8_7pointerIfNS8_11hip_rocprim5par_tENS8_11use_defaultESE_EEEENSA_INSB_IlSD_SE_SE_EEEEZNS1_13binary_searchIS3_S5_PfSG_SI_NS1_21lower_bound_search_opENS9_16wrapped_functionINS8_6system6detail7generic6detail18binary_search_lessEbEEEE10hipError_tPvRmT1_T2_T3_mmT4_T5_P12ihipStream_tbEUlRKfE_EEST_SX_SY_mSZ_S12_bEUlT_E_NS1_11comp_targetILNS1_3genE3ELNS1_11target_archE908ELNS1_3gpuE7ELNS1_3repE0EEENS1_30default_config_static_selectorELNS0_4arch9wavefront6targetE0EEEvSW_
	.p2align	8
	.type	_ZN7rocprim17ROCPRIM_400000_NS6detail17trampoline_kernelINS0_14default_configENS1_27lower_bound_config_selectorIflEEZNS1_14transform_implILb0ES3_S5_N6thrust23THRUST_200600_302600_NS6detail15normal_iteratorINS8_7pointerIfNS8_11hip_rocprim5par_tENS8_11use_defaultESE_EEEENSA_INSB_IlSD_SE_SE_EEEEZNS1_13binary_searchIS3_S5_PfSG_SI_NS1_21lower_bound_search_opENS9_16wrapped_functionINS8_6system6detail7generic6detail18binary_search_lessEbEEEE10hipError_tPvRmT1_T2_T3_mmT4_T5_P12ihipStream_tbEUlRKfE_EEST_SX_SY_mSZ_S12_bEUlT_E_NS1_11comp_targetILNS1_3genE3ELNS1_11target_archE908ELNS1_3gpuE7ELNS1_3repE0EEENS1_30default_config_static_selectorELNS0_4arch9wavefront6targetE0EEEvSW_,@function
_ZN7rocprim17ROCPRIM_400000_NS6detail17trampoline_kernelINS0_14default_configENS1_27lower_bound_config_selectorIflEEZNS1_14transform_implILb0ES3_S5_N6thrust23THRUST_200600_302600_NS6detail15normal_iteratorINS8_7pointerIfNS8_11hip_rocprim5par_tENS8_11use_defaultESE_EEEENSA_INSB_IlSD_SE_SE_EEEEZNS1_13binary_searchIS3_S5_PfSG_SI_NS1_21lower_bound_search_opENS9_16wrapped_functionINS8_6system6detail7generic6detail18binary_search_lessEbEEEE10hipError_tPvRmT1_T2_T3_mmT4_T5_P12ihipStream_tbEUlRKfE_EEST_SX_SY_mSZ_S12_bEUlT_E_NS1_11comp_targetILNS1_3genE3ELNS1_11target_archE908ELNS1_3gpuE7ELNS1_3repE0EEENS1_30default_config_static_selectorELNS0_4arch9wavefront6targetE0EEEvSW_: ; @_ZN7rocprim17ROCPRIM_400000_NS6detail17trampoline_kernelINS0_14default_configENS1_27lower_bound_config_selectorIflEEZNS1_14transform_implILb0ES3_S5_N6thrust23THRUST_200600_302600_NS6detail15normal_iteratorINS8_7pointerIfNS8_11hip_rocprim5par_tENS8_11use_defaultESE_EEEENSA_INSB_IlSD_SE_SE_EEEEZNS1_13binary_searchIS3_S5_PfSG_SI_NS1_21lower_bound_search_opENS9_16wrapped_functionINS8_6system6detail7generic6detail18binary_search_lessEbEEEE10hipError_tPvRmT1_T2_T3_mmT4_T5_P12ihipStream_tbEUlRKfE_EEST_SX_SY_mSZ_S12_bEUlT_E_NS1_11comp_targetILNS1_3genE3ELNS1_11target_archE908ELNS1_3gpuE7ELNS1_3repE0EEENS1_30default_config_static_selectorELNS0_4arch9wavefront6targetE0EEEvSW_
; %bb.0:
	.section	.rodata,"a",@progbits
	.p2align	6, 0x0
	.amdhsa_kernel _ZN7rocprim17ROCPRIM_400000_NS6detail17trampoline_kernelINS0_14default_configENS1_27lower_bound_config_selectorIflEEZNS1_14transform_implILb0ES3_S5_N6thrust23THRUST_200600_302600_NS6detail15normal_iteratorINS8_7pointerIfNS8_11hip_rocprim5par_tENS8_11use_defaultESE_EEEENSA_INSB_IlSD_SE_SE_EEEEZNS1_13binary_searchIS3_S5_PfSG_SI_NS1_21lower_bound_search_opENS9_16wrapped_functionINS8_6system6detail7generic6detail18binary_search_lessEbEEEE10hipError_tPvRmT1_T2_T3_mmT4_T5_P12ihipStream_tbEUlRKfE_EEST_SX_SY_mSZ_S12_bEUlT_E_NS1_11comp_targetILNS1_3genE3ELNS1_11target_archE908ELNS1_3gpuE7ELNS1_3repE0EEENS1_30default_config_static_selectorELNS0_4arch9wavefront6targetE0EEEvSW_
		.amdhsa_group_segment_fixed_size 0
		.amdhsa_private_segment_fixed_size 0
		.amdhsa_kernarg_size 56
		.amdhsa_user_sgpr_count 6
		.amdhsa_user_sgpr_private_segment_buffer 1
		.amdhsa_user_sgpr_dispatch_ptr 0
		.amdhsa_user_sgpr_queue_ptr 0
		.amdhsa_user_sgpr_kernarg_segment_ptr 1
		.amdhsa_user_sgpr_dispatch_id 0
		.amdhsa_user_sgpr_flat_scratch_init 0
		.amdhsa_user_sgpr_private_segment_size 0
		.amdhsa_wavefront_size32 1
		.amdhsa_uses_dynamic_stack 0
		.amdhsa_system_sgpr_private_segment_wavefront_offset 0
		.amdhsa_system_sgpr_workgroup_id_x 1
		.amdhsa_system_sgpr_workgroup_id_y 0
		.amdhsa_system_sgpr_workgroup_id_z 0
		.amdhsa_system_sgpr_workgroup_info 0
		.amdhsa_system_vgpr_workitem_id 0
		.amdhsa_next_free_vgpr 1
		.amdhsa_next_free_sgpr 1
		.amdhsa_reserve_vcc 0
		.amdhsa_reserve_flat_scratch 0
		.amdhsa_float_round_mode_32 0
		.amdhsa_float_round_mode_16_64 0
		.amdhsa_float_denorm_mode_32 3
		.amdhsa_float_denorm_mode_16_64 3
		.amdhsa_dx10_clamp 1
		.amdhsa_ieee_mode 1
		.amdhsa_fp16_overflow 0
		.amdhsa_workgroup_processor_mode 1
		.amdhsa_memory_ordered 1
		.amdhsa_forward_progress 1
		.amdhsa_shared_vgpr_count 0
		.amdhsa_exception_fp_ieee_invalid_op 0
		.amdhsa_exception_fp_denorm_src 0
		.amdhsa_exception_fp_ieee_div_zero 0
		.amdhsa_exception_fp_ieee_overflow 0
		.amdhsa_exception_fp_ieee_underflow 0
		.amdhsa_exception_fp_ieee_inexact 0
		.amdhsa_exception_int_div_zero 0
	.end_amdhsa_kernel
	.section	.text._ZN7rocprim17ROCPRIM_400000_NS6detail17trampoline_kernelINS0_14default_configENS1_27lower_bound_config_selectorIflEEZNS1_14transform_implILb0ES3_S5_N6thrust23THRUST_200600_302600_NS6detail15normal_iteratorINS8_7pointerIfNS8_11hip_rocprim5par_tENS8_11use_defaultESE_EEEENSA_INSB_IlSD_SE_SE_EEEEZNS1_13binary_searchIS3_S5_PfSG_SI_NS1_21lower_bound_search_opENS9_16wrapped_functionINS8_6system6detail7generic6detail18binary_search_lessEbEEEE10hipError_tPvRmT1_T2_T3_mmT4_T5_P12ihipStream_tbEUlRKfE_EEST_SX_SY_mSZ_S12_bEUlT_E_NS1_11comp_targetILNS1_3genE3ELNS1_11target_archE908ELNS1_3gpuE7ELNS1_3repE0EEENS1_30default_config_static_selectorELNS0_4arch9wavefront6targetE0EEEvSW_,"axG",@progbits,_ZN7rocprim17ROCPRIM_400000_NS6detail17trampoline_kernelINS0_14default_configENS1_27lower_bound_config_selectorIflEEZNS1_14transform_implILb0ES3_S5_N6thrust23THRUST_200600_302600_NS6detail15normal_iteratorINS8_7pointerIfNS8_11hip_rocprim5par_tENS8_11use_defaultESE_EEEENSA_INSB_IlSD_SE_SE_EEEEZNS1_13binary_searchIS3_S5_PfSG_SI_NS1_21lower_bound_search_opENS9_16wrapped_functionINS8_6system6detail7generic6detail18binary_search_lessEbEEEE10hipError_tPvRmT1_T2_T3_mmT4_T5_P12ihipStream_tbEUlRKfE_EEST_SX_SY_mSZ_S12_bEUlT_E_NS1_11comp_targetILNS1_3genE3ELNS1_11target_archE908ELNS1_3gpuE7ELNS1_3repE0EEENS1_30default_config_static_selectorELNS0_4arch9wavefront6targetE0EEEvSW_,comdat
.Lfunc_end36:
	.size	_ZN7rocprim17ROCPRIM_400000_NS6detail17trampoline_kernelINS0_14default_configENS1_27lower_bound_config_selectorIflEEZNS1_14transform_implILb0ES3_S5_N6thrust23THRUST_200600_302600_NS6detail15normal_iteratorINS8_7pointerIfNS8_11hip_rocprim5par_tENS8_11use_defaultESE_EEEENSA_INSB_IlSD_SE_SE_EEEEZNS1_13binary_searchIS3_S5_PfSG_SI_NS1_21lower_bound_search_opENS9_16wrapped_functionINS8_6system6detail7generic6detail18binary_search_lessEbEEEE10hipError_tPvRmT1_T2_T3_mmT4_T5_P12ihipStream_tbEUlRKfE_EEST_SX_SY_mSZ_S12_bEUlT_E_NS1_11comp_targetILNS1_3genE3ELNS1_11target_archE908ELNS1_3gpuE7ELNS1_3repE0EEENS1_30default_config_static_selectorELNS0_4arch9wavefront6targetE0EEEvSW_, .Lfunc_end36-_ZN7rocprim17ROCPRIM_400000_NS6detail17trampoline_kernelINS0_14default_configENS1_27lower_bound_config_selectorIflEEZNS1_14transform_implILb0ES3_S5_N6thrust23THRUST_200600_302600_NS6detail15normal_iteratorINS8_7pointerIfNS8_11hip_rocprim5par_tENS8_11use_defaultESE_EEEENSA_INSB_IlSD_SE_SE_EEEEZNS1_13binary_searchIS3_S5_PfSG_SI_NS1_21lower_bound_search_opENS9_16wrapped_functionINS8_6system6detail7generic6detail18binary_search_lessEbEEEE10hipError_tPvRmT1_T2_T3_mmT4_T5_P12ihipStream_tbEUlRKfE_EEST_SX_SY_mSZ_S12_bEUlT_E_NS1_11comp_targetILNS1_3genE3ELNS1_11target_archE908ELNS1_3gpuE7ELNS1_3repE0EEENS1_30default_config_static_selectorELNS0_4arch9wavefront6targetE0EEEvSW_
                                        ; -- End function
	.set _ZN7rocprim17ROCPRIM_400000_NS6detail17trampoline_kernelINS0_14default_configENS1_27lower_bound_config_selectorIflEEZNS1_14transform_implILb0ES3_S5_N6thrust23THRUST_200600_302600_NS6detail15normal_iteratorINS8_7pointerIfNS8_11hip_rocprim5par_tENS8_11use_defaultESE_EEEENSA_INSB_IlSD_SE_SE_EEEEZNS1_13binary_searchIS3_S5_PfSG_SI_NS1_21lower_bound_search_opENS9_16wrapped_functionINS8_6system6detail7generic6detail18binary_search_lessEbEEEE10hipError_tPvRmT1_T2_T3_mmT4_T5_P12ihipStream_tbEUlRKfE_EEST_SX_SY_mSZ_S12_bEUlT_E_NS1_11comp_targetILNS1_3genE3ELNS1_11target_archE908ELNS1_3gpuE7ELNS1_3repE0EEENS1_30default_config_static_selectorELNS0_4arch9wavefront6targetE0EEEvSW_.num_vgpr, 0
	.set _ZN7rocprim17ROCPRIM_400000_NS6detail17trampoline_kernelINS0_14default_configENS1_27lower_bound_config_selectorIflEEZNS1_14transform_implILb0ES3_S5_N6thrust23THRUST_200600_302600_NS6detail15normal_iteratorINS8_7pointerIfNS8_11hip_rocprim5par_tENS8_11use_defaultESE_EEEENSA_INSB_IlSD_SE_SE_EEEEZNS1_13binary_searchIS3_S5_PfSG_SI_NS1_21lower_bound_search_opENS9_16wrapped_functionINS8_6system6detail7generic6detail18binary_search_lessEbEEEE10hipError_tPvRmT1_T2_T3_mmT4_T5_P12ihipStream_tbEUlRKfE_EEST_SX_SY_mSZ_S12_bEUlT_E_NS1_11comp_targetILNS1_3genE3ELNS1_11target_archE908ELNS1_3gpuE7ELNS1_3repE0EEENS1_30default_config_static_selectorELNS0_4arch9wavefront6targetE0EEEvSW_.num_agpr, 0
	.set _ZN7rocprim17ROCPRIM_400000_NS6detail17trampoline_kernelINS0_14default_configENS1_27lower_bound_config_selectorIflEEZNS1_14transform_implILb0ES3_S5_N6thrust23THRUST_200600_302600_NS6detail15normal_iteratorINS8_7pointerIfNS8_11hip_rocprim5par_tENS8_11use_defaultESE_EEEENSA_INSB_IlSD_SE_SE_EEEEZNS1_13binary_searchIS3_S5_PfSG_SI_NS1_21lower_bound_search_opENS9_16wrapped_functionINS8_6system6detail7generic6detail18binary_search_lessEbEEEE10hipError_tPvRmT1_T2_T3_mmT4_T5_P12ihipStream_tbEUlRKfE_EEST_SX_SY_mSZ_S12_bEUlT_E_NS1_11comp_targetILNS1_3genE3ELNS1_11target_archE908ELNS1_3gpuE7ELNS1_3repE0EEENS1_30default_config_static_selectorELNS0_4arch9wavefront6targetE0EEEvSW_.numbered_sgpr, 0
	.set _ZN7rocprim17ROCPRIM_400000_NS6detail17trampoline_kernelINS0_14default_configENS1_27lower_bound_config_selectorIflEEZNS1_14transform_implILb0ES3_S5_N6thrust23THRUST_200600_302600_NS6detail15normal_iteratorINS8_7pointerIfNS8_11hip_rocprim5par_tENS8_11use_defaultESE_EEEENSA_INSB_IlSD_SE_SE_EEEEZNS1_13binary_searchIS3_S5_PfSG_SI_NS1_21lower_bound_search_opENS9_16wrapped_functionINS8_6system6detail7generic6detail18binary_search_lessEbEEEE10hipError_tPvRmT1_T2_T3_mmT4_T5_P12ihipStream_tbEUlRKfE_EEST_SX_SY_mSZ_S12_bEUlT_E_NS1_11comp_targetILNS1_3genE3ELNS1_11target_archE908ELNS1_3gpuE7ELNS1_3repE0EEENS1_30default_config_static_selectorELNS0_4arch9wavefront6targetE0EEEvSW_.num_named_barrier, 0
	.set _ZN7rocprim17ROCPRIM_400000_NS6detail17trampoline_kernelINS0_14default_configENS1_27lower_bound_config_selectorIflEEZNS1_14transform_implILb0ES3_S5_N6thrust23THRUST_200600_302600_NS6detail15normal_iteratorINS8_7pointerIfNS8_11hip_rocprim5par_tENS8_11use_defaultESE_EEEENSA_INSB_IlSD_SE_SE_EEEEZNS1_13binary_searchIS3_S5_PfSG_SI_NS1_21lower_bound_search_opENS9_16wrapped_functionINS8_6system6detail7generic6detail18binary_search_lessEbEEEE10hipError_tPvRmT1_T2_T3_mmT4_T5_P12ihipStream_tbEUlRKfE_EEST_SX_SY_mSZ_S12_bEUlT_E_NS1_11comp_targetILNS1_3genE3ELNS1_11target_archE908ELNS1_3gpuE7ELNS1_3repE0EEENS1_30default_config_static_selectorELNS0_4arch9wavefront6targetE0EEEvSW_.private_seg_size, 0
	.set _ZN7rocprim17ROCPRIM_400000_NS6detail17trampoline_kernelINS0_14default_configENS1_27lower_bound_config_selectorIflEEZNS1_14transform_implILb0ES3_S5_N6thrust23THRUST_200600_302600_NS6detail15normal_iteratorINS8_7pointerIfNS8_11hip_rocprim5par_tENS8_11use_defaultESE_EEEENSA_INSB_IlSD_SE_SE_EEEEZNS1_13binary_searchIS3_S5_PfSG_SI_NS1_21lower_bound_search_opENS9_16wrapped_functionINS8_6system6detail7generic6detail18binary_search_lessEbEEEE10hipError_tPvRmT1_T2_T3_mmT4_T5_P12ihipStream_tbEUlRKfE_EEST_SX_SY_mSZ_S12_bEUlT_E_NS1_11comp_targetILNS1_3genE3ELNS1_11target_archE908ELNS1_3gpuE7ELNS1_3repE0EEENS1_30default_config_static_selectorELNS0_4arch9wavefront6targetE0EEEvSW_.uses_vcc, 0
	.set _ZN7rocprim17ROCPRIM_400000_NS6detail17trampoline_kernelINS0_14default_configENS1_27lower_bound_config_selectorIflEEZNS1_14transform_implILb0ES3_S5_N6thrust23THRUST_200600_302600_NS6detail15normal_iteratorINS8_7pointerIfNS8_11hip_rocprim5par_tENS8_11use_defaultESE_EEEENSA_INSB_IlSD_SE_SE_EEEEZNS1_13binary_searchIS3_S5_PfSG_SI_NS1_21lower_bound_search_opENS9_16wrapped_functionINS8_6system6detail7generic6detail18binary_search_lessEbEEEE10hipError_tPvRmT1_T2_T3_mmT4_T5_P12ihipStream_tbEUlRKfE_EEST_SX_SY_mSZ_S12_bEUlT_E_NS1_11comp_targetILNS1_3genE3ELNS1_11target_archE908ELNS1_3gpuE7ELNS1_3repE0EEENS1_30default_config_static_selectorELNS0_4arch9wavefront6targetE0EEEvSW_.uses_flat_scratch, 0
	.set _ZN7rocprim17ROCPRIM_400000_NS6detail17trampoline_kernelINS0_14default_configENS1_27lower_bound_config_selectorIflEEZNS1_14transform_implILb0ES3_S5_N6thrust23THRUST_200600_302600_NS6detail15normal_iteratorINS8_7pointerIfNS8_11hip_rocprim5par_tENS8_11use_defaultESE_EEEENSA_INSB_IlSD_SE_SE_EEEEZNS1_13binary_searchIS3_S5_PfSG_SI_NS1_21lower_bound_search_opENS9_16wrapped_functionINS8_6system6detail7generic6detail18binary_search_lessEbEEEE10hipError_tPvRmT1_T2_T3_mmT4_T5_P12ihipStream_tbEUlRKfE_EEST_SX_SY_mSZ_S12_bEUlT_E_NS1_11comp_targetILNS1_3genE3ELNS1_11target_archE908ELNS1_3gpuE7ELNS1_3repE0EEENS1_30default_config_static_selectorELNS0_4arch9wavefront6targetE0EEEvSW_.has_dyn_sized_stack, 0
	.set _ZN7rocprim17ROCPRIM_400000_NS6detail17trampoline_kernelINS0_14default_configENS1_27lower_bound_config_selectorIflEEZNS1_14transform_implILb0ES3_S5_N6thrust23THRUST_200600_302600_NS6detail15normal_iteratorINS8_7pointerIfNS8_11hip_rocprim5par_tENS8_11use_defaultESE_EEEENSA_INSB_IlSD_SE_SE_EEEEZNS1_13binary_searchIS3_S5_PfSG_SI_NS1_21lower_bound_search_opENS9_16wrapped_functionINS8_6system6detail7generic6detail18binary_search_lessEbEEEE10hipError_tPvRmT1_T2_T3_mmT4_T5_P12ihipStream_tbEUlRKfE_EEST_SX_SY_mSZ_S12_bEUlT_E_NS1_11comp_targetILNS1_3genE3ELNS1_11target_archE908ELNS1_3gpuE7ELNS1_3repE0EEENS1_30default_config_static_selectorELNS0_4arch9wavefront6targetE0EEEvSW_.has_recursion, 0
	.set _ZN7rocprim17ROCPRIM_400000_NS6detail17trampoline_kernelINS0_14default_configENS1_27lower_bound_config_selectorIflEEZNS1_14transform_implILb0ES3_S5_N6thrust23THRUST_200600_302600_NS6detail15normal_iteratorINS8_7pointerIfNS8_11hip_rocprim5par_tENS8_11use_defaultESE_EEEENSA_INSB_IlSD_SE_SE_EEEEZNS1_13binary_searchIS3_S5_PfSG_SI_NS1_21lower_bound_search_opENS9_16wrapped_functionINS8_6system6detail7generic6detail18binary_search_lessEbEEEE10hipError_tPvRmT1_T2_T3_mmT4_T5_P12ihipStream_tbEUlRKfE_EEST_SX_SY_mSZ_S12_bEUlT_E_NS1_11comp_targetILNS1_3genE3ELNS1_11target_archE908ELNS1_3gpuE7ELNS1_3repE0EEENS1_30default_config_static_selectorELNS0_4arch9wavefront6targetE0EEEvSW_.has_indirect_call, 0
	.section	.AMDGPU.csdata,"",@progbits
; Kernel info:
; codeLenInByte = 0
; TotalNumSgprs: 0
; NumVgprs: 0
; ScratchSize: 0
; MemoryBound: 0
; FloatMode: 240
; IeeeMode: 1
; LDSByteSize: 0 bytes/workgroup (compile time only)
; SGPRBlocks: 0
; VGPRBlocks: 0
; NumSGPRsForWavesPerEU: 1
; NumVGPRsForWavesPerEU: 1
; Occupancy: 16
; WaveLimiterHint : 0
; COMPUTE_PGM_RSRC2:SCRATCH_EN: 0
; COMPUTE_PGM_RSRC2:USER_SGPR: 6
; COMPUTE_PGM_RSRC2:TRAP_HANDLER: 0
; COMPUTE_PGM_RSRC2:TGID_X_EN: 1
; COMPUTE_PGM_RSRC2:TGID_Y_EN: 0
; COMPUTE_PGM_RSRC2:TGID_Z_EN: 0
; COMPUTE_PGM_RSRC2:TIDIG_COMP_CNT: 0
	.section	.text._ZN7rocprim17ROCPRIM_400000_NS6detail17trampoline_kernelINS0_14default_configENS1_27lower_bound_config_selectorIflEEZNS1_14transform_implILb0ES3_S5_N6thrust23THRUST_200600_302600_NS6detail15normal_iteratorINS8_7pointerIfNS8_11hip_rocprim5par_tENS8_11use_defaultESE_EEEENSA_INSB_IlSD_SE_SE_EEEEZNS1_13binary_searchIS3_S5_PfSG_SI_NS1_21lower_bound_search_opENS9_16wrapped_functionINS8_6system6detail7generic6detail18binary_search_lessEbEEEE10hipError_tPvRmT1_T2_T3_mmT4_T5_P12ihipStream_tbEUlRKfE_EEST_SX_SY_mSZ_S12_bEUlT_E_NS1_11comp_targetILNS1_3genE2ELNS1_11target_archE906ELNS1_3gpuE6ELNS1_3repE0EEENS1_30default_config_static_selectorELNS0_4arch9wavefront6targetE0EEEvSW_,"axG",@progbits,_ZN7rocprim17ROCPRIM_400000_NS6detail17trampoline_kernelINS0_14default_configENS1_27lower_bound_config_selectorIflEEZNS1_14transform_implILb0ES3_S5_N6thrust23THRUST_200600_302600_NS6detail15normal_iteratorINS8_7pointerIfNS8_11hip_rocprim5par_tENS8_11use_defaultESE_EEEENSA_INSB_IlSD_SE_SE_EEEEZNS1_13binary_searchIS3_S5_PfSG_SI_NS1_21lower_bound_search_opENS9_16wrapped_functionINS8_6system6detail7generic6detail18binary_search_lessEbEEEE10hipError_tPvRmT1_T2_T3_mmT4_T5_P12ihipStream_tbEUlRKfE_EEST_SX_SY_mSZ_S12_bEUlT_E_NS1_11comp_targetILNS1_3genE2ELNS1_11target_archE906ELNS1_3gpuE6ELNS1_3repE0EEENS1_30default_config_static_selectorELNS0_4arch9wavefront6targetE0EEEvSW_,comdat
	.protected	_ZN7rocprim17ROCPRIM_400000_NS6detail17trampoline_kernelINS0_14default_configENS1_27lower_bound_config_selectorIflEEZNS1_14transform_implILb0ES3_S5_N6thrust23THRUST_200600_302600_NS6detail15normal_iteratorINS8_7pointerIfNS8_11hip_rocprim5par_tENS8_11use_defaultESE_EEEENSA_INSB_IlSD_SE_SE_EEEEZNS1_13binary_searchIS3_S5_PfSG_SI_NS1_21lower_bound_search_opENS9_16wrapped_functionINS8_6system6detail7generic6detail18binary_search_lessEbEEEE10hipError_tPvRmT1_T2_T3_mmT4_T5_P12ihipStream_tbEUlRKfE_EEST_SX_SY_mSZ_S12_bEUlT_E_NS1_11comp_targetILNS1_3genE2ELNS1_11target_archE906ELNS1_3gpuE6ELNS1_3repE0EEENS1_30default_config_static_selectorELNS0_4arch9wavefront6targetE0EEEvSW_ ; -- Begin function _ZN7rocprim17ROCPRIM_400000_NS6detail17trampoline_kernelINS0_14default_configENS1_27lower_bound_config_selectorIflEEZNS1_14transform_implILb0ES3_S5_N6thrust23THRUST_200600_302600_NS6detail15normal_iteratorINS8_7pointerIfNS8_11hip_rocprim5par_tENS8_11use_defaultESE_EEEENSA_INSB_IlSD_SE_SE_EEEEZNS1_13binary_searchIS3_S5_PfSG_SI_NS1_21lower_bound_search_opENS9_16wrapped_functionINS8_6system6detail7generic6detail18binary_search_lessEbEEEE10hipError_tPvRmT1_T2_T3_mmT4_T5_P12ihipStream_tbEUlRKfE_EEST_SX_SY_mSZ_S12_bEUlT_E_NS1_11comp_targetILNS1_3genE2ELNS1_11target_archE906ELNS1_3gpuE6ELNS1_3repE0EEENS1_30default_config_static_selectorELNS0_4arch9wavefront6targetE0EEEvSW_
	.globl	_ZN7rocprim17ROCPRIM_400000_NS6detail17trampoline_kernelINS0_14default_configENS1_27lower_bound_config_selectorIflEEZNS1_14transform_implILb0ES3_S5_N6thrust23THRUST_200600_302600_NS6detail15normal_iteratorINS8_7pointerIfNS8_11hip_rocprim5par_tENS8_11use_defaultESE_EEEENSA_INSB_IlSD_SE_SE_EEEEZNS1_13binary_searchIS3_S5_PfSG_SI_NS1_21lower_bound_search_opENS9_16wrapped_functionINS8_6system6detail7generic6detail18binary_search_lessEbEEEE10hipError_tPvRmT1_T2_T3_mmT4_T5_P12ihipStream_tbEUlRKfE_EEST_SX_SY_mSZ_S12_bEUlT_E_NS1_11comp_targetILNS1_3genE2ELNS1_11target_archE906ELNS1_3gpuE6ELNS1_3repE0EEENS1_30default_config_static_selectorELNS0_4arch9wavefront6targetE0EEEvSW_
	.p2align	8
	.type	_ZN7rocprim17ROCPRIM_400000_NS6detail17trampoline_kernelINS0_14default_configENS1_27lower_bound_config_selectorIflEEZNS1_14transform_implILb0ES3_S5_N6thrust23THRUST_200600_302600_NS6detail15normal_iteratorINS8_7pointerIfNS8_11hip_rocprim5par_tENS8_11use_defaultESE_EEEENSA_INSB_IlSD_SE_SE_EEEEZNS1_13binary_searchIS3_S5_PfSG_SI_NS1_21lower_bound_search_opENS9_16wrapped_functionINS8_6system6detail7generic6detail18binary_search_lessEbEEEE10hipError_tPvRmT1_T2_T3_mmT4_T5_P12ihipStream_tbEUlRKfE_EEST_SX_SY_mSZ_S12_bEUlT_E_NS1_11comp_targetILNS1_3genE2ELNS1_11target_archE906ELNS1_3gpuE6ELNS1_3repE0EEENS1_30default_config_static_selectorELNS0_4arch9wavefront6targetE0EEEvSW_,@function
_ZN7rocprim17ROCPRIM_400000_NS6detail17trampoline_kernelINS0_14default_configENS1_27lower_bound_config_selectorIflEEZNS1_14transform_implILb0ES3_S5_N6thrust23THRUST_200600_302600_NS6detail15normal_iteratorINS8_7pointerIfNS8_11hip_rocprim5par_tENS8_11use_defaultESE_EEEENSA_INSB_IlSD_SE_SE_EEEEZNS1_13binary_searchIS3_S5_PfSG_SI_NS1_21lower_bound_search_opENS9_16wrapped_functionINS8_6system6detail7generic6detail18binary_search_lessEbEEEE10hipError_tPvRmT1_T2_T3_mmT4_T5_P12ihipStream_tbEUlRKfE_EEST_SX_SY_mSZ_S12_bEUlT_E_NS1_11comp_targetILNS1_3genE2ELNS1_11target_archE906ELNS1_3gpuE6ELNS1_3repE0EEENS1_30default_config_static_selectorELNS0_4arch9wavefront6targetE0EEEvSW_: ; @_ZN7rocprim17ROCPRIM_400000_NS6detail17trampoline_kernelINS0_14default_configENS1_27lower_bound_config_selectorIflEEZNS1_14transform_implILb0ES3_S5_N6thrust23THRUST_200600_302600_NS6detail15normal_iteratorINS8_7pointerIfNS8_11hip_rocprim5par_tENS8_11use_defaultESE_EEEENSA_INSB_IlSD_SE_SE_EEEEZNS1_13binary_searchIS3_S5_PfSG_SI_NS1_21lower_bound_search_opENS9_16wrapped_functionINS8_6system6detail7generic6detail18binary_search_lessEbEEEE10hipError_tPvRmT1_T2_T3_mmT4_T5_P12ihipStream_tbEUlRKfE_EEST_SX_SY_mSZ_S12_bEUlT_E_NS1_11comp_targetILNS1_3genE2ELNS1_11target_archE906ELNS1_3gpuE6ELNS1_3repE0EEENS1_30default_config_static_selectorELNS0_4arch9wavefront6targetE0EEEvSW_
; %bb.0:
	.section	.rodata,"a",@progbits
	.p2align	6, 0x0
	.amdhsa_kernel _ZN7rocprim17ROCPRIM_400000_NS6detail17trampoline_kernelINS0_14default_configENS1_27lower_bound_config_selectorIflEEZNS1_14transform_implILb0ES3_S5_N6thrust23THRUST_200600_302600_NS6detail15normal_iteratorINS8_7pointerIfNS8_11hip_rocprim5par_tENS8_11use_defaultESE_EEEENSA_INSB_IlSD_SE_SE_EEEEZNS1_13binary_searchIS3_S5_PfSG_SI_NS1_21lower_bound_search_opENS9_16wrapped_functionINS8_6system6detail7generic6detail18binary_search_lessEbEEEE10hipError_tPvRmT1_T2_T3_mmT4_T5_P12ihipStream_tbEUlRKfE_EEST_SX_SY_mSZ_S12_bEUlT_E_NS1_11comp_targetILNS1_3genE2ELNS1_11target_archE906ELNS1_3gpuE6ELNS1_3repE0EEENS1_30default_config_static_selectorELNS0_4arch9wavefront6targetE0EEEvSW_
		.amdhsa_group_segment_fixed_size 0
		.amdhsa_private_segment_fixed_size 0
		.amdhsa_kernarg_size 56
		.amdhsa_user_sgpr_count 6
		.amdhsa_user_sgpr_private_segment_buffer 1
		.amdhsa_user_sgpr_dispatch_ptr 0
		.amdhsa_user_sgpr_queue_ptr 0
		.amdhsa_user_sgpr_kernarg_segment_ptr 1
		.amdhsa_user_sgpr_dispatch_id 0
		.amdhsa_user_sgpr_flat_scratch_init 0
		.amdhsa_user_sgpr_private_segment_size 0
		.amdhsa_wavefront_size32 1
		.amdhsa_uses_dynamic_stack 0
		.amdhsa_system_sgpr_private_segment_wavefront_offset 0
		.amdhsa_system_sgpr_workgroup_id_x 1
		.amdhsa_system_sgpr_workgroup_id_y 0
		.amdhsa_system_sgpr_workgroup_id_z 0
		.amdhsa_system_sgpr_workgroup_info 0
		.amdhsa_system_vgpr_workitem_id 0
		.amdhsa_next_free_vgpr 1
		.amdhsa_next_free_sgpr 1
		.amdhsa_reserve_vcc 0
		.amdhsa_reserve_flat_scratch 0
		.amdhsa_float_round_mode_32 0
		.amdhsa_float_round_mode_16_64 0
		.amdhsa_float_denorm_mode_32 3
		.amdhsa_float_denorm_mode_16_64 3
		.amdhsa_dx10_clamp 1
		.amdhsa_ieee_mode 1
		.amdhsa_fp16_overflow 0
		.amdhsa_workgroup_processor_mode 1
		.amdhsa_memory_ordered 1
		.amdhsa_forward_progress 1
		.amdhsa_shared_vgpr_count 0
		.amdhsa_exception_fp_ieee_invalid_op 0
		.amdhsa_exception_fp_denorm_src 0
		.amdhsa_exception_fp_ieee_div_zero 0
		.amdhsa_exception_fp_ieee_overflow 0
		.amdhsa_exception_fp_ieee_underflow 0
		.amdhsa_exception_fp_ieee_inexact 0
		.amdhsa_exception_int_div_zero 0
	.end_amdhsa_kernel
	.section	.text._ZN7rocprim17ROCPRIM_400000_NS6detail17trampoline_kernelINS0_14default_configENS1_27lower_bound_config_selectorIflEEZNS1_14transform_implILb0ES3_S5_N6thrust23THRUST_200600_302600_NS6detail15normal_iteratorINS8_7pointerIfNS8_11hip_rocprim5par_tENS8_11use_defaultESE_EEEENSA_INSB_IlSD_SE_SE_EEEEZNS1_13binary_searchIS3_S5_PfSG_SI_NS1_21lower_bound_search_opENS9_16wrapped_functionINS8_6system6detail7generic6detail18binary_search_lessEbEEEE10hipError_tPvRmT1_T2_T3_mmT4_T5_P12ihipStream_tbEUlRKfE_EEST_SX_SY_mSZ_S12_bEUlT_E_NS1_11comp_targetILNS1_3genE2ELNS1_11target_archE906ELNS1_3gpuE6ELNS1_3repE0EEENS1_30default_config_static_selectorELNS0_4arch9wavefront6targetE0EEEvSW_,"axG",@progbits,_ZN7rocprim17ROCPRIM_400000_NS6detail17trampoline_kernelINS0_14default_configENS1_27lower_bound_config_selectorIflEEZNS1_14transform_implILb0ES3_S5_N6thrust23THRUST_200600_302600_NS6detail15normal_iteratorINS8_7pointerIfNS8_11hip_rocprim5par_tENS8_11use_defaultESE_EEEENSA_INSB_IlSD_SE_SE_EEEEZNS1_13binary_searchIS3_S5_PfSG_SI_NS1_21lower_bound_search_opENS9_16wrapped_functionINS8_6system6detail7generic6detail18binary_search_lessEbEEEE10hipError_tPvRmT1_T2_T3_mmT4_T5_P12ihipStream_tbEUlRKfE_EEST_SX_SY_mSZ_S12_bEUlT_E_NS1_11comp_targetILNS1_3genE2ELNS1_11target_archE906ELNS1_3gpuE6ELNS1_3repE0EEENS1_30default_config_static_selectorELNS0_4arch9wavefront6targetE0EEEvSW_,comdat
.Lfunc_end37:
	.size	_ZN7rocprim17ROCPRIM_400000_NS6detail17trampoline_kernelINS0_14default_configENS1_27lower_bound_config_selectorIflEEZNS1_14transform_implILb0ES3_S5_N6thrust23THRUST_200600_302600_NS6detail15normal_iteratorINS8_7pointerIfNS8_11hip_rocprim5par_tENS8_11use_defaultESE_EEEENSA_INSB_IlSD_SE_SE_EEEEZNS1_13binary_searchIS3_S5_PfSG_SI_NS1_21lower_bound_search_opENS9_16wrapped_functionINS8_6system6detail7generic6detail18binary_search_lessEbEEEE10hipError_tPvRmT1_T2_T3_mmT4_T5_P12ihipStream_tbEUlRKfE_EEST_SX_SY_mSZ_S12_bEUlT_E_NS1_11comp_targetILNS1_3genE2ELNS1_11target_archE906ELNS1_3gpuE6ELNS1_3repE0EEENS1_30default_config_static_selectorELNS0_4arch9wavefront6targetE0EEEvSW_, .Lfunc_end37-_ZN7rocprim17ROCPRIM_400000_NS6detail17trampoline_kernelINS0_14default_configENS1_27lower_bound_config_selectorIflEEZNS1_14transform_implILb0ES3_S5_N6thrust23THRUST_200600_302600_NS6detail15normal_iteratorINS8_7pointerIfNS8_11hip_rocprim5par_tENS8_11use_defaultESE_EEEENSA_INSB_IlSD_SE_SE_EEEEZNS1_13binary_searchIS3_S5_PfSG_SI_NS1_21lower_bound_search_opENS9_16wrapped_functionINS8_6system6detail7generic6detail18binary_search_lessEbEEEE10hipError_tPvRmT1_T2_T3_mmT4_T5_P12ihipStream_tbEUlRKfE_EEST_SX_SY_mSZ_S12_bEUlT_E_NS1_11comp_targetILNS1_3genE2ELNS1_11target_archE906ELNS1_3gpuE6ELNS1_3repE0EEENS1_30default_config_static_selectorELNS0_4arch9wavefront6targetE0EEEvSW_
                                        ; -- End function
	.set _ZN7rocprim17ROCPRIM_400000_NS6detail17trampoline_kernelINS0_14default_configENS1_27lower_bound_config_selectorIflEEZNS1_14transform_implILb0ES3_S5_N6thrust23THRUST_200600_302600_NS6detail15normal_iteratorINS8_7pointerIfNS8_11hip_rocprim5par_tENS8_11use_defaultESE_EEEENSA_INSB_IlSD_SE_SE_EEEEZNS1_13binary_searchIS3_S5_PfSG_SI_NS1_21lower_bound_search_opENS9_16wrapped_functionINS8_6system6detail7generic6detail18binary_search_lessEbEEEE10hipError_tPvRmT1_T2_T3_mmT4_T5_P12ihipStream_tbEUlRKfE_EEST_SX_SY_mSZ_S12_bEUlT_E_NS1_11comp_targetILNS1_3genE2ELNS1_11target_archE906ELNS1_3gpuE6ELNS1_3repE0EEENS1_30default_config_static_selectorELNS0_4arch9wavefront6targetE0EEEvSW_.num_vgpr, 0
	.set _ZN7rocprim17ROCPRIM_400000_NS6detail17trampoline_kernelINS0_14default_configENS1_27lower_bound_config_selectorIflEEZNS1_14transform_implILb0ES3_S5_N6thrust23THRUST_200600_302600_NS6detail15normal_iteratorINS8_7pointerIfNS8_11hip_rocprim5par_tENS8_11use_defaultESE_EEEENSA_INSB_IlSD_SE_SE_EEEEZNS1_13binary_searchIS3_S5_PfSG_SI_NS1_21lower_bound_search_opENS9_16wrapped_functionINS8_6system6detail7generic6detail18binary_search_lessEbEEEE10hipError_tPvRmT1_T2_T3_mmT4_T5_P12ihipStream_tbEUlRKfE_EEST_SX_SY_mSZ_S12_bEUlT_E_NS1_11comp_targetILNS1_3genE2ELNS1_11target_archE906ELNS1_3gpuE6ELNS1_3repE0EEENS1_30default_config_static_selectorELNS0_4arch9wavefront6targetE0EEEvSW_.num_agpr, 0
	.set _ZN7rocprim17ROCPRIM_400000_NS6detail17trampoline_kernelINS0_14default_configENS1_27lower_bound_config_selectorIflEEZNS1_14transform_implILb0ES3_S5_N6thrust23THRUST_200600_302600_NS6detail15normal_iteratorINS8_7pointerIfNS8_11hip_rocprim5par_tENS8_11use_defaultESE_EEEENSA_INSB_IlSD_SE_SE_EEEEZNS1_13binary_searchIS3_S5_PfSG_SI_NS1_21lower_bound_search_opENS9_16wrapped_functionINS8_6system6detail7generic6detail18binary_search_lessEbEEEE10hipError_tPvRmT1_T2_T3_mmT4_T5_P12ihipStream_tbEUlRKfE_EEST_SX_SY_mSZ_S12_bEUlT_E_NS1_11comp_targetILNS1_3genE2ELNS1_11target_archE906ELNS1_3gpuE6ELNS1_3repE0EEENS1_30default_config_static_selectorELNS0_4arch9wavefront6targetE0EEEvSW_.numbered_sgpr, 0
	.set _ZN7rocprim17ROCPRIM_400000_NS6detail17trampoline_kernelINS0_14default_configENS1_27lower_bound_config_selectorIflEEZNS1_14transform_implILb0ES3_S5_N6thrust23THRUST_200600_302600_NS6detail15normal_iteratorINS8_7pointerIfNS8_11hip_rocprim5par_tENS8_11use_defaultESE_EEEENSA_INSB_IlSD_SE_SE_EEEEZNS1_13binary_searchIS3_S5_PfSG_SI_NS1_21lower_bound_search_opENS9_16wrapped_functionINS8_6system6detail7generic6detail18binary_search_lessEbEEEE10hipError_tPvRmT1_T2_T3_mmT4_T5_P12ihipStream_tbEUlRKfE_EEST_SX_SY_mSZ_S12_bEUlT_E_NS1_11comp_targetILNS1_3genE2ELNS1_11target_archE906ELNS1_3gpuE6ELNS1_3repE0EEENS1_30default_config_static_selectorELNS0_4arch9wavefront6targetE0EEEvSW_.num_named_barrier, 0
	.set _ZN7rocprim17ROCPRIM_400000_NS6detail17trampoline_kernelINS0_14default_configENS1_27lower_bound_config_selectorIflEEZNS1_14transform_implILb0ES3_S5_N6thrust23THRUST_200600_302600_NS6detail15normal_iteratorINS8_7pointerIfNS8_11hip_rocprim5par_tENS8_11use_defaultESE_EEEENSA_INSB_IlSD_SE_SE_EEEEZNS1_13binary_searchIS3_S5_PfSG_SI_NS1_21lower_bound_search_opENS9_16wrapped_functionINS8_6system6detail7generic6detail18binary_search_lessEbEEEE10hipError_tPvRmT1_T2_T3_mmT4_T5_P12ihipStream_tbEUlRKfE_EEST_SX_SY_mSZ_S12_bEUlT_E_NS1_11comp_targetILNS1_3genE2ELNS1_11target_archE906ELNS1_3gpuE6ELNS1_3repE0EEENS1_30default_config_static_selectorELNS0_4arch9wavefront6targetE0EEEvSW_.private_seg_size, 0
	.set _ZN7rocprim17ROCPRIM_400000_NS6detail17trampoline_kernelINS0_14default_configENS1_27lower_bound_config_selectorIflEEZNS1_14transform_implILb0ES3_S5_N6thrust23THRUST_200600_302600_NS6detail15normal_iteratorINS8_7pointerIfNS8_11hip_rocprim5par_tENS8_11use_defaultESE_EEEENSA_INSB_IlSD_SE_SE_EEEEZNS1_13binary_searchIS3_S5_PfSG_SI_NS1_21lower_bound_search_opENS9_16wrapped_functionINS8_6system6detail7generic6detail18binary_search_lessEbEEEE10hipError_tPvRmT1_T2_T3_mmT4_T5_P12ihipStream_tbEUlRKfE_EEST_SX_SY_mSZ_S12_bEUlT_E_NS1_11comp_targetILNS1_3genE2ELNS1_11target_archE906ELNS1_3gpuE6ELNS1_3repE0EEENS1_30default_config_static_selectorELNS0_4arch9wavefront6targetE0EEEvSW_.uses_vcc, 0
	.set _ZN7rocprim17ROCPRIM_400000_NS6detail17trampoline_kernelINS0_14default_configENS1_27lower_bound_config_selectorIflEEZNS1_14transform_implILb0ES3_S5_N6thrust23THRUST_200600_302600_NS6detail15normal_iteratorINS8_7pointerIfNS8_11hip_rocprim5par_tENS8_11use_defaultESE_EEEENSA_INSB_IlSD_SE_SE_EEEEZNS1_13binary_searchIS3_S5_PfSG_SI_NS1_21lower_bound_search_opENS9_16wrapped_functionINS8_6system6detail7generic6detail18binary_search_lessEbEEEE10hipError_tPvRmT1_T2_T3_mmT4_T5_P12ihipStream_tbEUlRKfE_EEST_SX_SY_mSZ_S12_bEUlT_E_NS1_11comp_targetILNS1_3genE2ELNS1_11target_archE906ELNS1_3gpuE6ELNS1_3repE0EEENS1_30default_config_static_selectorELNS0_4arch9wavefront6targetE0EEEvSW_.uses_flat_scratch, 0
	.set _ZN7rocprim17ROCPRIM_400000_NS6detail17trampoline_kernelINS0_14default_configENS1_27lower_bound_config_selectorIflEEZNS1_14transform_implILb0ES3_S5_N6thrust23THRUST_200600_302600_NS6detail15normal_iteratorINS8_7pointerIfNS8_11hip_rocprim5par_tENS8_11use_defaultESE_EEEENSA_INSB_IlSD_SE_SE_EEEEZNS1_13binary_searchIS3_S5_PfSG_SI_NS1_21lower_bound_search_opENS9_16wrapped_functionINS8_6system6detail7generic6detail18binary_search_lessEbEEEE10hipError_tPvRmT1_T2_T3_mmT4_T5_P12ihipStream_tbEUlRKfE_EEST_SX_SY_mSZ_S12_bEUlT_E_NS1_11comp_targetILNS1_3genE2ELNS1_11target_archE906ELNS1_3gpuE6ELNS1_3repE0EEENS1_30default_config_static_selectorELNS0_4arch9wavefront6targetE0EEEvSW_.has_dyn_sized_stack, 0
	.set _ZN7rocprim17ROCPRIM_400000_NS6detail17trampoline_kernelINS0_14default_configENS1_27lower_bound_config_selectorIflEEZNS1_14transform_implILb0ES3_S5_N6thrust23THRUST_200600_302600_NS6detail15normal_iteratorINS8_7pointerIfNS8_11hip_rocprim5par_tENS8_11use_defaultESE_EEEENSA_INSB_IlSD_SE_SE_EEEEZNS1_13binary_searchIS3_S5_PfSG_SI_NS1_21lower_bound_search_opENS9_16wrapped_functionINS8_6system6detail7generic6detail18binary_search_lessEbEEEE10hipError_tPvRmT1_T2_T3_mmT4_T5_P12ihipStream_tbEUlRKfE_EEST_SX_SY_mSZ_S12_bEUlT_E_NS1_11comp_targetILNS1_3genE2ELNS1_11target_archE906ELNS1_3gpuE6ELNS1_3repE0EEENS1_30default_config_static_selectorELNS0_4arch9wavefront6targetE0EEEvSW_.has_recursion, 0
	.set _ZN7rocprim17ROCPRIM_400000_NS6detail17trampoline_kernelINS0_14default_configENS1_27lower_bound_config_selectorIflEEZNS1_14transform_implILb0ES3_S5_N6thrust23THRUST_200600_302600_NS6detail15normal_iteratorINS8_7pointerIfNS8_11hip_rocprim5par_tENS8_11use_defaultESE_EEEENSA_INSB_IlSD_SE_SE_EEEEZNS1_13binary_searchIS3_S5_PfSG_SI_NS1_21lower_bound_search_opENS9_16wrapped_functionINS8_6system6detail7generic6detail18binary_search_lessEbEEEE10hipError_tPvRmT1_T2_T3_mmT4_T5_P12ihipStream_tbEUlRKfE_EEST_SX_SY_mSZ_S12_bEUlT_E_NS1_11comp_targetILNS1_3genE2ELNS1_11target_archE906ELNS1_3gpuE6ELNS1_3repE0EEENS1_30default_config_static_selectorELNS0_4arch9wavefront6targetE0EEEvSW_.has_indirect_call, 0
	.section	.AMDGPU.csdata,"",@progbits
; Kernel info:
; codeLenInByte = 0
; TotalNumSgprs: 0
; NumVgprs: 0
; ScratchSize: 0
; MemoryBound: 0
; FloatMode: 240
; IeeeMode: 1
; LDSByteSize: 0 bytes/workgroup (compile time only)
; SGPRBlocks: 0
; VGPRBlocks: 0
; NumSGPRsForWavesPerEU: 1
; NumVGPRsForWavesPerEU: 1
; Occupancy: 16
; WaveLimiterHint : 0
; COMPUTE_PGM_RSRC2:SCRATCH_EN: 0
; COMPUTE_PGM_RSRC2:USER_SGPR: 6
; COMPUTE_PGM_RSRC2:TRAP_HANDLER: 0
; COMPUTE_PGM_RSRC2:TGID_X_EN: 1
; COMPUTE_PGM_RSRC2:TGID_Y_EN: 0
; COMPUTE_PGM_RSRC2:TGID_Z_EN: 0
; COMPUTE_PGM_RSRC2:TIDIG_COMP_CNT: 0
	.section	.text._ZN7rocprim17ROCPRIM_400000_NS6detail17trampoline_kernelINS0_14default_configENS1_27lower_bound_config_selectorIflEEZNS1_14transform_implILb0ES3_S5_N6thrust23THRUST_200600_302600_NS6detail15normal_iteratorINS8_7pointerIfNS8_11hip_rocprim5par_tENS8_11use_defaultESE_EEEENSA_INSB_IlSD_SE_SE_EEEEZNS1_13binary_searchIS3_S5_PfSG_SI_NS1_21lower_bound_search_opENS9_16wrapped_functionINS8_6system6detail7generic6detail18binary_search_lessEbEEEE10hipError_tPvRmT1_T2_T3_mmT4_T5_P12ihipStream_tbEUlRKfE_EEST_SX_SY_mSZ_S12_bEUlT_E_NS1_11comp_targetILNS1_3genE10ELNS1_11target_archE1201ELNS1_3gpuE5ELNS1_3repE0EEENS1_30default_config_static_selectorELNS0_4arch9wavefront6targetE0EEEvSW_,"axG",@progbits,_ZN7rocprim17ROCPRIM_400000_NS6detail17trampoline_kernelINS0_14default_configENS1_27lower_bound_config_selectorIflEEZNS1_14transform_implILb0ES3_S5_N6thrust23THRUST_200600_302600_NS6detail15normal_iteratorINS8_7pointerIfNS8_11hip_rocprim5par_tENS8_11use_defaultESE_EEEENSA_INSB_IlSD_SE_SE_EEEEZNS1_13binary_searchIS3_S5_PfSG_SI_NS1_21lower_bound_search_opENS9_16wrapped_functionINS8_6system6detail7generic6detail18binary_search_lessEbEEEE10hipError_tPvRmT1_T2_T3_mmT4_T5_P12ihipStream_tbEUlRKfE_EEST_SX_SY_mSZ_S12_bEUlT_E_NS1_11comp_targetILNS1_3genE10ELNS1_11target_archE1201ELNS1_3gpuE5ELNS1_3repE0EEENS1_30default_config_static_selectorELNS0_4arch9wavefront6targetE0EEEvSW_,comdat
	.protected	_ZN7rocprim17ROCPRIM_400000_NS6detail17trampoline_kernelINS0_14default_configENS1_27lower_bound_config_selectorIflEEZNS1_14transform_implILb0ES3_S5_N6thrust23THRUST_200600_302600_NS6detail15normal_iteratorINS8_7pointerIfNS8_11hip_rocprim5par_tENS8_11use_defaultESE_EEEENSA_INSB_IlSD_SE_SE_EEEEZNS1_13binary_searchIS3_S5_PfSG_SI_NS1_21lower_bound_search_opENS9_16wrapped_functionINS8_6system6detail7generic6detail18binary_search_lessEbEEEE10hipError_tPvRmT1_T2_T3_mmT4_T5_P12ihipStream_tbEUlRKfE_EEST_SX_SY_mSZ_S12_bEUlT_E_NS1_11comp_targetILNS1_3genE10ELNS1_11target_archE1201ELNS1_3gpuE5ELNS1_3repE0EEENS1_30default_config_static_selectorELNS0_4arch9wavefront6targetE0EEEvSW_ ; -- Begin function _ZN7rocprim17ROCPRIM_400000_NS6detail17trampoline_kernelINS0_14default_configENS1_27lower_bound_config_selectorIflEEZNS1_14transform_implILb0ES3_S5_N6thrust23THRUST_200600_302600_NS6detail15normal_iteratorINS8_7pointerIfNS8_11hip_rocprim5par_tENS8_11use_defaultESE_EEEENSA_INSB_IlSD_SE_SE_EEEEZNS1_13binary_searchIS3_S5_PfSG_SI_NS1_21lower_bound_search_opENS9_16wrapped_functionINS8_6system6detail7generic6detail18binary_search_lessEbEEEE10hipError_tPvRmT1_T2_T3_mmT4_T5_P12ihipStream_tbEUlRKfE_EEST_SX_SY_mSZ_S12_bEUlT_E_NS1_11comp_targetILNS1_3genE10ELNS1_11target_archE1201ELNS1_3gpuE5ELNS1_3repE0EEENS1_30default_config_static_selectorELNS0_4arch9wavefront6targetE0EEEvSW_
	.globl	_ZN7rocprim17ROCPRIM_400000_NS6detail17trampoline_kernelINS0_14default_configENS1_27lower_bound_config_selectorIflEEZNS1_14transform_implILb0ES3_S5_N6thrust23THRUST_200600_302600_NS6detail15normal_iteratorINS8_7pointerIfNS8_11hip_rocprim5par_tENS8_11use_defaultESE_EEEENSA_INSB_IlSD_SE_SE_EEEEZNS1_13binary_searchIS3_S5_PfSG_SI_NS1_21lower_bound_search_opENS9_16wrapped_functionINS8_6system6detail7generic6detail18binary_search_lessEbEEEE10hipError_tPvRmT1_T2_T3_mmT4_T5_P12ihipStream_tbEUlRKfE_EEST_SX_SY_mSZ_S12_bEUlT_E_NS1_11comp_targetILNS1_3genE10ELNS1_11target_archE1201ELNS1_3gpuE5ELNS1_3repE0EEENS1_30default_config_static_selectorELNS0_4arch9wavefront6targetE0EEEvSW_
	.p2align	8
	.type	_ZN7rocprim17ROCPRIM_400000_NS6detail17trampoline_kernelINS0_14default_configENS1_27lower_bound_config_selectorIflEEZNS1_14transform_implILb0ES3_S5_N6thrust23THRUST_200600_302600_NS6detail15normal_iteratorINS8_7pointerIfNS8_11hip_rocprim5par_tENS8_11use_defaultESE_EEEENSA_INSB_IlSD_SE_SE_EEEEZNS1_13binary_searchIS3_S5_PfSG_SI_NS1_21lower_bound_search_opENS9_16wrapped_functionINS8_6system6detail7generic6detail18binary_search_lessEbEEEE10hipError_tPvRmT1_T2_T3_mmT4_T5_P12ihipStream_tbEUlRKfE_EEST_SX_SY_mSZ_S12_bEUlT_E_NS1_11comp_targetILNS1_3genE10ELNS1_11target_archE1201ELNS1_3gpuE5ELNS1_3repE0EEENS1_30default_config_static_selectorELNS0_4arch9wavefront6targetE0EEEvSW_,@function
_ZN7rocprim17ROCPRIM_400000_NS6detail17trampoline_kernelINS0_14default_configENS1_27lower_bound_config_selectorIflEEZNS1_14transform_implILb0ES3_S5_N6thrust23THRUST_200600_302600_NS6detail15normal_iteratorINS8_7pointerIfNS8_11hip_rocprim5par_tENS8_11use_defaultESE_EEEENSA_INSB_IlSD_SE_SE_EEEEZNS1_13binary_searchIS3_S5_PfSG_SI_NS1_21lower_bound_search_opENS9_16wrapped_functionINS8_6system6detail7generic6detail18binary_search_lessEbEEEE10hipError_tPvRmT1_T2_T3_mmT4_T5_P12ihipStream_tbEUlRKfE_EEST_SX_SY_mSZ_S12_bEUlT_E_NS1_11comp_targetILNS1_3genE10ELNS1_11target_archE1201ELNS1_3gpuE5ELNS1_3repE0EEENS1_30default_config_static_selectorELNS0_4arch9wavefront6targetE0EEEvSW_: ; @_ZN7rocprim17ROCPRIM_400000_NS6detail17trampoline_kernelINS0_14default_configENS1_27lower_bound_config_selectorIflEEZNS1_14transform_implILb0ES3_S5_N6thrust23THRUST_200600_302600_NS6detail15normal_iteratorINS8_7pointerIfNS8_11hip_rocprim5par_tENS8_11use_defaultESE_EEEENSA_INSB_IlSD_SE_SE_EEEEZNS1_13binary_searchIS3_S5_PfSG_SI_NS1_21lower_bound_search_opENS9_16wrapped_functionINS8_6system6detail7generic6detail18binary_search_lessEbEEEE10hipError_tPvRmT1_T2_T3_mmT4_T5_P12ihipStream_tbEUlRKfE_EEST_SX_SY_mSZ_S12_bEUlT_E_NS1_11comp_targetILNS1_3genE10ELNS1_11target_archE1201ELNS1_3gpuE5ELNS1_3repE0EEENS1_30default_config_static_selectorELNS0_4arch9wavefront6targetE0EEEvSW_
; %bb.0:
	.section	.rodata,"a",@progbits
	.p2align	6, 0x0
	.amdhsa_kernel _ZN7rocprim17ROCPRIM_400000_NS6detail17trampoline_kernelINS0_14default_configENS1_27lower_bound_config_selectorIflEEZNS1_14transform_implILb0ES3_S5_N6thrust23THRUST_200600_302600_NS6detail15normal_iteratorINS8_7pointerIfNS8_11hip_rocprim5par_tENS8_11use_defaultESE_EEEENSA_INSB_IlSD_SE_SE_EEEEZNS1_13binary_searchIS3_S5_PfSG_SI_NS1_21lower_bound_search_opENS9_16wrapped_functionINS8_6system6detail7generic6detail18binary_search_lessEbEEEE10hipError_tPvRmT1_T2_T3_mmT4_T5_P12ihipStream_tbEUlRKfE_EEST_SX_SY_mSZ_S12_bEUlT_E_NS1_11comp_targetILNS1_3genE10ELNS1_11target_archE1201ELNS1_3gpuE5ELNS1_3repE0EEENS1_30default_config_static_selectorELNS0_4arch9wavefront6targetE0EEEvSW_
		.amdhsa_group_segment_fixed_size 0
		.amdhsa_private_segment_fixed_size 0
		.amdhsa_kernarg_size 56
		.amdhsa_user_sgpr_count 6
		.amdhsa_user_sgpr_private_segment_buffer 1
		.amdhsa_user_sgpr_dispatch_ptr 0
		.amdhsa_user_sgpr_queue_ptr 0
		.amdhsa_user_sgpr_kernarg_segment_ptr 1
		.amdhsa_user_sgpr_dispatch_id 0
		.amdhsa_user_sgpr_flat_scratch_init 0
		.amdhsa_user_sgpr_private_segment_size 0
		.amdhsa_wavefront_size32 1
		.amdhsa_uses_dynamic_stack 0
		.amdhsa_system_sgpr_private_segment_wavefront_offset 0
		.amdhsa_system_sgpr_workgroup_id_x 1
		.amdhsa_system_sgpr_workgroup_id_y 0
		.amdhsa_system_sgpr_workgroup_id_z 0
		.amdhsa_system_sgpr_workgroup_info 0
		.amdhsa_system_vgpr_workitem_id 0
		.amdhsa_next_free_vgpr 1
		.amdhsa_next_free_sgpr 1
		.amdhsa_reserve_vcc 0
		.amdhsa_reserve_flat_scratch 0
		.amdhsa_float_round_mode_32 0
		.amdhsa_float_round_mode_16_64 0
		.amdhsa_float_denorm_mode_32 3
		.amdhsa_float_denorm_mode_16_64 3
		.amdhsa_dx10_clamp 1
		.amdhsa_ieee_mode 1
		.amdhsa_fp16_overflow 0
		.amdhsa_workgroup_processor_mode 1
		.amdhsa_memory_ordered 1
		.amdhsa_forward_progress 1
		.amdhsa_shared_vgpr_count 0
		.amdhsa_exception_fp_ieee_invalid_op 0
		.amdhsa_exception_fp_denorm_src 0
		.amdhsa_exception_fp_ieee_div_zero 0
		.amdhsa_exception_fp_ieee_overflow 0
		.amdhsa_exception_fp_ieee_underflow 0
		.amdhsa_exception_fp_ieee_inexact 0
		.amdhsa_exception_int_div_zero 0
	.end_amdhsa_kernel
	.section	.text._ZN7rocprim17ROCPRIM_400000_NS6detail17trampoline_kernelINS0_14default_configENS1_27lower_bound_config_selectorIflEEZNS1_14transform_implILb0ES3_S5_N6thrust23THRUST_200600_302600_NS6detail15normal_iteratorINS8_7pointerIfNS8_11hip_rocprim5par_tENS8_11use_defaultESE_EEEENSA_INSB_IlSD_SE_SE_EEEEZNS1_13binary_searchIS3_S5_PfSG_SI_NS1_21lower_bound_search_opENS9_16wrapped_functionINS8_6system6detail7generic6detail18binary_search_lessEbEEEE10hipError_tPvRmT1_T2_T3_mmT4_T5_P12ihipStream_tbEUlRKfE_EEST_SX_SY_mSZ_S12_bEUlT_E_NS1_11comp_targetILNS1_3genE10ELNS1_11target_archE1201ELNS1_3gpuE5ELNS1_3repE0EEENS1_30default_config_static_selectorELNS0_4arch9wavefront6targetE0EEEvSW_,"axG",@progbits,_ZN7rocprim17ROCPRIM_400000_NS6detail17trampoline_kernelINS0_14default_configENS1_27lower_bound_config_selectorIflEEZNS1_14transform_implILb0ES3_S5_N6thrust23THRUST_200600_302600_NS6detail15normal_iteratorINS8_7pointerIfNS8_11hip_rocprim5par_tENS8_11use_defaultESE_EEEENSA_INSB_IlSD_SE_SE_EEEEZNS1_13binary_searchIS3_S5_PfSG_SI_NS1_21lower_bound_search_opENS9_16wrapped_functionINS8_6system6detail7generic6detail18binary_search_lessEbEEEE10hipError_tPvRmT1_T2_T3_mmT4_T5_P12ihipStream_tbEUlRKfE_EEST_SX_SY_mSZ_S12_bEUlT_E_NS1_11comp_targetILNS1_3genE10ELNS1_11target_archE1201ELNS1_3gpuE5ELNS1_3repE0EEENS1_30default_config_static_selectorELNS0_4arch9wavefront6targetE0EEEvSW_,comdat
.Lfunc_end38:
	.size	_ZN7rocprim17ROCPRIM_400000_NS6detail17trampoline_kernelINS0_14default_configENS1_27lower_bound_config_selectorIflEEZNS1_14transform_implILb0ES3_S5_N6thrust23THRUST_200600_302600_NS6detail15normal_iteratorINS8_7pointerIfNS8_11hip_rocprim5par_tENS8_11use_defaultESE_EEEENSA_INSB_IlSD_SE_SE_EEEEZNS1_13binary_searchIS3_S5_PfSG_SI_NS1_21lower_bound_search_opENS9_16wrapped_functionINS8_6system6detail7generic6detail18binary_search_lessEbEEEE10hipError_tPvRmT1_T2_T3_mmT4_T5_P12ihipStream_tbEUlRKfE_EEST_SX_SY_mSZ_S12_bEUlT_E_NS1_11comp_targetILNS1_3genE10ELNS1_11target_archE1201ELNS1_3gpuE5ELNS1_3repE0EEENS1_30default_config_static_selectorELNS0_4arch9wavefront6targetE0EEEvSW_, .Lfunc_end38-_ZN7rocprim17ROCPRIM_400000_NS6detail17trampoline_kernelINS0_14default_configENS1_27lower_bound_config_selectorIflEEZNS1_14transform_implILb0ES3_S5_N6thrust23THRUST_200600_302600_NS6detail15normal_iteratorINS8_7pointerIfNS8_11hip_rocprim5par_tENS8_11use_defaultESE_EEEENSA_INSB_IlSD_SE_SE_EEEEZNS1_13binary_searchIS3_S5_PfSG_SI_NS1_21lower_bound_search_opENS9_16wrapped_functionINS8_6system6detail7generic6detail18binary_search_lessEbEEEE10hipError_tPvRmT1_T2_T3_mmT4_T5_P12ihipStream_tbEUlRKfE_EEST_SX_SY_mSZ_S12_bEUlT_E_NS1_11comp_targetILNS1_3genE10ELNS1_11target_archE1201ELNS1_3gpuE5ELNS1_3repE0EEENS1_30default_config_static_selectorELNS0_4arch9wavefront6targetE0EEEvSW_
                                        ; -- End function
	.set _ZN7rocprim17ROCPRIM_400000_NS6detail17trampoline_kernelINS0_14default_configENS1_27lower_bound_config_selectorIflEEZNS1_14transform_implILb0ES3_S5_N6thrust23THRUST_200600_302600_NS6detail15normal_iteratorINS8_7pointerIfNS8_11hip_rocprim5par_tENS8_11use_defaultESE_EEEENSA_INSB_IlSD_SE_SE_EEEEZNS1_13binary_searchIS3_S5_PfSG_SI_NS1_21lower_bound_search_opENS9_16wrapped_functionINS8_6system6detail7generic6detail18binary_search_lessEbEEEE10hipError_tPvRmT1_T2_T3_mmT4_T5_P12ihipStream_tbEUlRKfE_EEST_SX_SY_mSZ_S12_bEUlT_E_NS1_11comp_targetILNS1_3genE10ELNS1_11target_archE1201ELNS1_3gpuE5ELNS1_3repE0EEENS1_30default_config_static_selectorELNS0_4arch9wavefront6targetE0EEEvSW_.num_vgpr, 0
	.set _ZN7rocprim17ROCPRIM_400000_NS6detail17trampoline_kernelINS0_14default_configENS1_27lower_bound_config_selectorIflEEZNS1_14transform_implILb0ES3_S5_N6thrust23THRUST_200600_302600_NS6detail15normal_iteratorINS8_7pointerIfNS8_11hip_rocprim5par_tENS8_11use_defaultESE_EEEENSA_INSB_IlSD_SE_SE_EEEEZNS1_13binary_searchIS3_S5_PfSG_SI_NS1_21lower_bound_search_opENS9_16wrapped_functionINS8_6system6detail7generic6detail18binary_search_lessEbEEEE10hipError_tPvRmT1_T2_T3_mmT4_T5_P12ihipStream_tbEUlRKfE_EEST_SX_SY_mSZ_S12_bEUlT_E_NS1_11comp_targetILNS1_3genE10ELNS1_11target_archE1201ELNS1_3gpuE5ELNS1_3repE0EEENS1_30default_config_static_selectorELNS0_4arch9wavefront6targetE0EEEvSW_.num_agpr, 0
	.set _ZN7rocprim17ROCPRIM_400000_NS6detail17trampoline_kernelINS0_14default_configENS1_27lower_bound_config_selectorIflEEZNS1_14transform_implILb0ES3_S5_N6thrust23THRUST_200600_302600_NS6detail15normal_iteratorINS8_7pointerIfNS8_11hip_rocprim5par_tENS8_11use_defaultESE_EEEENSA_INSB_IlSD_SE_SE_EEEEZNS1_13binary_searchIS3_S5_PfSG_SI_NS1_21lower_bound_search_opENS9_16wrapped_functionINS8_6system6detail7generic6detail18binary_search_lessEbEEEE10hipError_tPvRmT1_T2_T3_mmT4_T5_P12ihipStream_tbEUlRKfE_EEST_SX_SY_mSZ_S12_bEUlT_E_NS1_11comp_targetILNS1_3genE10ELNS1_11target_archE1201ELNS1_3gpuE5ELNS1_3repE0EEENS1_30default_config_static_selectorELNS0_4arch9wavefront6targetE0EEEvSW_.numbered_sgpr, 0
	.set _ZN7rocprim17ROCPRIM_400000_NS6detail17trampoline_kernelINS0_14default_configENS1_27lower_bound_config_selectorIflEEZNS1_14transform_implILb0ES3_S5_N6thrust23THRUST_200600_302600_NS6detail15normal_iteratorINS8_7pointerIfNS8_11hip_rocprim5par_tENS8_11use_defaultESE_EEEENSA_INSB_IlSD_SE_SE_EEEEZNS1_13binary_searchIS3_S5_PfSG_SI_NS1_21lower_bound_search_opENS9_16wrapped_functionINS8_6system6detail7generic6detail18binary_search_lessEbEEEE10hipError_tPvRmT1_T2_T3_mmT4_T5_P12ihipStream_tbEUlRKfE_EEST_SX_SY_mSZ_S12_bEUlT_E_NS1_11comp_targetILNS1_3genE10ELNS1_11target_archE1201ELNS1_3gpuE5ELNS1_3repE0EEENS1_30default_config_static_selectorELNS0_4arch9wavefront6targetE0EEEvSW_.num_named_barrier, 0
	.set _ZN7rocprim17ROCPRIM_400000_NS6detail17trampoline_kernelINS0_14default_configENS1_27lower_bound_config_selectorIflEEZNS1_14transform_implILb0ES3_S5_N6thrust23THRUST_200600_302600_NS6detail15normal_iteratorINS8_7pointerIfNS8_11hip_rocprim5par_tENS8_11use_defaultESE_EEEENSA_INSB_IlSD_SE_SE_EEEEZNS1_13binary_searchIS3_S5_PfSG_SI_NS1_21lower_bound_search_opENS9_16wrapped_functionINS8_6system6detail7generic6detail18binary_search_lessEbEEEE10hipError_tPvRmT1_T2_T3_mmT4_T5_P12ihipStream_tbEUlRKfE_EEST_SX_SY_mSZ_S12_bEUlT_E_NS1_11comp_targetILNS1_3genE10ELNS1_11target_archE1201ELNS1_3gpuE5ELNS1_3repE0EEENS1_30default_config_static_selectorELNS0_4arch9wavefront6targetE0EEEvSW_.private_seg_size, 0
	.set _ZN7rocprim17ROCPRIM_400000_NS6detail17trampoline_kernelINS0_14default_configENS1_27lower_bound_config_selectorIflEEZNS1_14transform_implILb0ES3_S5_N6thrust23THRUST_200600_302600_NS6detail15normal_iteratorINS8_7pointerIfNS8_11hip_rocprim5par_tENS8_11use_defaultESE_EEEENSA_INSB_IlSD_SE_SE_EEEEZNS1_13binary_searchIS3_S5_PfSG_SI_NS1_21lower_bound_search_opENS9_16wrapped_functionINS8_6system6detail7generic6detail18binary_search_lessEbEEEE10hipError_tPvRmT1_T2_T3_mmT4_T5_P12ihipStream_tbEUlRKfE_EEST_SX_SY_mSZ_S12_bEUlT_E_NS1_11comp_targetILNS1_3genE10ELNS1_11target_archE1201ELNS1_3gpuE5ELNS1_3repE0EEENS1_30default_config_static_selectorELNS0_4arch9wavefront6targetE0EEEvSW_.uses_vcc, 0
	.set _ZN7rocprim17ROCPRIM_400000_NS6detail17trampoline_kernelINS0_14default_configENS1_27lower_bound_config_selectorIflEEZNS1_14transform_implILb0ES3_S5_N6thrust23THRUST_200600_302600_NS6detail15normal_iteratorINS8_7pointerIfNS8_11hip_rocprim5par_tENS8_11use_defaultESE_EEEENSA_INSB_IlSD_SE_SE_EEEEZNS1_13binary_searchIS3_S5_PfSG_SI_NS1_21lower_bound_search_opENS9_16wrapped_functionINS8_6system6detail7generic6detail18binary_search_lessEbEEEE10hipError_tPvRmT1_T2_T3_mmT4_T5_P12ihipStream_tbEUlRKfE_EEST_SX_SY_mSZ_S12_bEUlT_E_NS1_11comp_targetILNS1_3genE10ELNS1_11target_archE1201ELNS1_3gpuE5ELNS1_3repE0EEENS1_30default_config_static_selectorELNS0_4arch9wavefront6targetE0EEEvSW_.uses_flat_scratch, 0
	.set _ZN7rocprim17ROCPRIM_400000_NS6detail17trampoline_kernelINS0_14default_configENS1_27lower_bound_config_selectorIflEEZNS1_14transform_implILb0ES3_S5_N6thrust23THRUST_200600_302600_NS6detail15normal_iteratorINS8_7pointerIfNS8_11hip_rocprim5par_tENS8_11use_defaultESE_EEEENSA_INSB_IlSD_SE_SE_EEEEZNS1_13binary_searchIS3_S5_PfSG_SI_NS1_21lower_bound_search_opENS9_16wrapped_functionINS8_6system6detail7generic6detail18binary_search_lessEbEEEE10hipError_tPvRmT1_T2_T3_mmT4_T5_P12ihipStream_tbEUlRKfE_EEST_SX_SY_mSZ_S12_bEUlT_E_NS1_11comp_targetILNS1_3genE10ELNS1_11target_archE1201ELNS1_3gpuE5ELNS1_3repE0EEENS1_30default_config_static_selectorELNS0_4arch9wavefront6targetE0EEEvSW_.has_dyn_sized_stack, 0
	.set _ZN7rocprim17ROCPRIM_400000_NS6detail17trampoline_kernelINS0_14default_configENS1_27lower_bound_config_selectorIflEEZNS1_14transform_implILb0ES3_S5_N6thrust23THRUST_200600_302600_NS6detail15normal_iteratorINS8_7pointerIfNS8_11hip_rocprim5par_tENS8_11use_defaultESE_EEEENSA_INSB_IlSD_SE_SE_EEEEZNS1_13binary_searchIS3_S5_PfSG_SI_NS1_21lower_bound_search_opENS9_16wrapped_functionINS8_6system6detail7generic6detail18binary_search_lessEbEEEE10hipError_tPvRmT1_T2_T3_mmT4_T5_P12ihipStream_tbEUlRKfE_EEST_SX_SY_mSZ_S12_bEUlT_E_NS1_11comp_targetILNS1_3genE10ELNS1_11target_archE1201ELNS1_3gpuE5ELNS1_3repE0EEENS1_30default_config_static_selectorELNS0_4arch9wavefront6targetE0EEEvSW_.has_recursion, 0
	.set _ZN7rocprim17ROCPRIM_400000_NS6detail17trampoline_kernelINS0_14default_configENS1_27lower_bound_config_selectorIflEEZNS1_14transform_implILb0ES3_S5_N6thrust23THRUST_200600_302600_NS6detail15normal_iteratorINS8_7pointerIfNS8_11hip_rocprim5par_tENS8_11use_defaultESE_EEEENSA_INSB_IlSD_SE_SE_EEEEZNS1_13binary_searchIS3_S5_PfSG_SI_NS1_21lower_bound_search_opENS9_16wrapped_functionINS8_6system6detail7generic6detail18binary_search_lessEbEEEE10hipError_tPvRmT1_T2_T3_mmT4_T5_P12ihipStream_tbEUlRKfE_EEST_SX_SY_mSZ_S12_bEUlT_E_NS1_11comp_targetILNS1_3genE10ELNS1_11target_archE1201ELNS1_3gpuE5ELNS1_3repE0EEENS1_30default_config_static_selectorELNS0_4arch9wavefront6targetE0EEEvSW_.has_indirect_call, 0
	.section	.AMDGPU.csdata,"",@progbits
; Kernel info:
; codeLenInByte = 0
; TotalNumSgprs: 0
; NumVgprs: 0
; ScratchSize: 0
; MemoryBound: 0
; FloatMode: 240
; IeeeMode: 1
; LDSByteSize: 0 bytes/workgroup (compile time only)
; SGPRBlocks: 0
; VGPRBlocks: 0
; NumSGPRsForWavesPerEU: 1
; NumVGPRsForWavesPerEU: 1
; Occupancy: 16
; WaveLimiterHint : 0
; COMPUTE_PGM_RSRC2:SCRATCH_EN: 0
; COMPUTE_PGM_RSRC2:USER_SGPR: 6
; COMPUTE_PGM_RSRC2:TRAP_HANDLER: 0
; COMPUTE_PGM_RSRC2:TGID_X_EN: 1
; COMPUTE_PGM_RSRC2:TGID_Y_EN: 0
; COMPUTE_PGM_RSRC2:TGID_Z_EN: 0
; COMPUTE_PGM_RSRC2:TIDIG_COMP_CNT: 0
	.section	.text._ZN7rocprim17ROCPRIM_400000_NS6detail17trampoline_kernelINS0_14default_configENS1_27lower_bound_config_selectorIflEEZNS1_14transform_implILb0ES3_S5_N6thrust23THRUST_200600_302600_NS6detail15normal_iteratorINS8_7pointerIfNS8_11hip_rocprim5par_tENS8_11use_defaultESE_EEEENSA_INSB_IlSD_SE_SE_EEEEZNS1_13binary_searchIS3_S5_PfSG_SI_NS1_21lower_bound_search_opENS9_16wrapped_functionINS8_6system6detail7generic6detail18binary_search_lessEbEEEE10hipError_tPvRmT1_T2_T3_mmT4_T5_P12ihipStream_tbEUlRKfE_EEST_SX_SY_mSZ_S12_bEUlT_E_NS1_11comp_targetILNS1_3genE10ELNS1_11target_archE1200ELNS1_3gpuE4ELNS1_3repE0EEENS1_30default_config_static_selectorELNS0_4arch9wavefront6targetE0EEEvSW_,"axG",@progbits,_ZN7rocprim17ROCPRIM_400000_NS6detail17trampoline_kernelINS0_14default_configENS1_27lower_bound_config_selectorIflEEZNS1_14transform_implILb0ES3_S5_N6thrust23THRUST_200600_302600_NS6detail15normal_iteratorINS8_7pointerIfNS8_11hip_rocprim5par_tENS8_11use_defaultESE_EEEENSA_INSB_IlSD_SE_SE_EEEEZNS1_13binary_searchIS3_S5_PfSG_SI_NS1_21lower_bound_search_opENS9_16wrapped_functionINS8_6system6detail7generic6detail18binary_search_lessEbEEEE10hipError_tPvRmT1_T2_T3_mmT4_T5_P12ihipStream_tbEUlRKfE_EEST_SX_SY_mSZ_S12_bEUlT_E_NS1_11comp_targetILNS1_3genE10ELNS1_11target_archE1200ELNS1_3gpuE4ELNS1_3repE0EEENS1_30default_config_static_selectorELNS0_4arch9wavefront6targetE0EEEvSW_,comdat
	.protected	_ZN7rocprim17ROCPRIM_400000_NS6detail17trampoline_kernelINS0_14default_configENS1_27lower_bound_config_selectorIflEEZNS1_14transform_implILb0ES3_S5_N6thrust23THRUST_200600_302600_NS6detail15normal_iteratorINS8_7pointerIfNS8_11hip_rocprim5par_tENS8_11use_defaultESE_EEEENSA_INSB_IlSD_SE_SE_EEEEZNS1_13binary_searchIS3_S5_PfSG_SI_NS1_21lower_bound_search_opENS9_16wrapped_functionINS8_6system6detail7generic6detail18binary_search_lessEbEEEE10hipError_tPvRmT1_T2_T3_mmT4_T5_P12ihipStream_tbEUlRKfE_EEST_SX_SY_mSZ_S12_bEUlT_E_NS1_11comp_targetILNS1_3genE10ELNS1_11target_archE1200ELNS1_3gpuE4ELNS1_3repE0EEENS1_30default_config_static_selectorELNS0_4arch9wavefront6targetE0EEEvSW_ ; -- Begin function _ZN7rocprim17ROCPRIM_400000_NS6detail17trampoline_kernelINS0_14default_configENS1_27lower_bound_config_selectorIflEEZNS1_14transform_implILb0ES3_S5_N6thrust23THRUST_200600_302600_NS6detail15normal_iteratorINS8_7pointerIfNS8_11hip_rocprim5par_tENS8_11use_defaultESE_EEEENSA_INSB_IlSD_SE_SE_EEEEZNS1_13binary_searchIS3_S5_PfSG_SI_NS1_21lower_bound_search_opENS9_16wrapped_functionINS8_6system6detail7generic6detail18binary_search_lessEbEEEE10hipError_tPvRmT1_T2_T3_mmT4_T5_P12ihipStream_tbEUlRKfE_EEST_SX_SY_mSZ_S12_bEUlT_E_NS1_11comp_targetILNS1_3genE10ELNS1_11target_archE1200ELNS1_3gpuE4ELNS1_3repE0EEENS1_30default_config_static_selectorELNS0_4arch9wavefront6targetE0EEEvSW_
	.globl	_ZN7rocprim17ROCPRIM_400000_NS6detail17trampoline_kernelINS0_14default_configENS1_27lower_bound_config_selectorIflEEZNS1_14transform_implILb0ES3_S5_N6thrust23THRUST_200600_302600_NS6detail15normal_iteratorINS8_7pointerIfNS8_11hip_rocprim5par_tENS8_11use_defaultESE_EEEENSA_INSB_IlSD_SE_SE_EEEEZNS1_13binary_searchIS3_S5_PfSG_SI_NS1_21lower_bound_search_opENS9_16wrapped_functionINS8_6system6detail7generic6detail18binary_search_lessEbEEEE10hipError_tPvRmT1_T2_T3_mmT4_T5_P12ihipStream_tbEUlRKfE_EEST_SX_SY_mSZ_S12_bEUlT_E_NS1_11comp_targetILNS1_3genE10ELNS1_11target_archE1200ELNS1_3gpuE4ELNS1_3repE0EEENS1_30default_config_static_selectorELNS0_4arch9wavefront6targetE0EEEvSW_
	.p2align	8
	.type	_ZN7rocprim17ROCPRIM_400000_NS6detail17trampoline_kernelINS0_14default_configENS1_27lower_bound_config_selectorIflEEZNS1_14transform_implILb0ES3_S5_N6thrust23THRUST_200600_302600_NS6detail15normal_iteratorINS8_7pointerIfNS8_11hip_rocprim5par_tENS8_11use_defaultESE_EEEENSA_INSB_IlSD_SE_SE_EEEEZNS1_13binary_searchIS3_S5_PfSG_SI_NS1_21lower_bound_search_opENS9_16wrapped_functionINS8_6system6detail7generic6detail18binary_search_lessEbEEEE10hipError_tPvRmT1_T2_T3_mmT4_T5_P12ihipStream_tbEUlRKfE_EEST_SX_SY_mSZ_S12_bEUlT_E_NS1_11comp_targetILNS1_3genE10ELNS1_11target_archE1200ELNS1_3gpuE4ELNS1_3repE0EEENS1_30default_config_static_selectorELNS0_4arch9wavefront6targetE0EEEvSW_,@function
_ZN7rocprim17ROCPRIM_400000_NS6detail17trampoline_kernelINS0_14default_configENS1_27lower_bound_config_selectorIflEEZNS1_14transform_implILb0ES3_S5_N6thrust23THRUST_200600_302600_NS6detail15normal_iteratorINS8_7pointerIfNS8_11hip_rocprim5par_tENS8_11use_defaultESE_EEEENSA_INSB_IlSD_SE_SE_EEEEZNS1_13binary_searchIS3_S5_PfSG_SI_NS1_21lower_bound_search_opENS9_16wrapped_functionINS8_6system6detail7generic6detail18binary_search_lessEbEEEE10hipError_tPvRmT1_T2_T3_mmT4_T5_P12ihipStream_tbEUlRKfE_EEST_SX_SY_mSZ_S12_bEUlT_E_NS1_11comp_targetILNS1_3genE10ELNS1_11target_archE1200ELNS1_3gpuE4ELNS1_3repE0EEENS1_30default_config_static_selectorELNS0_4arch9wavefront6targetE0EEEvSW_: ; @_ZN7rocprim17ROCPRIM_400000_NS6detail17trampoline_kernelINS0_14default_configENS1_27lower_bound_config_selectorIflEEZNS1_14transform_implILb0ES3_S5_N6thrust23THRUST_200600_302600_NS6detail15normal_iteratorINS8_7pointerIfNS8_11hip_rocprim5par_tENS8_11use_defaultESE_EEEENSA_INSB_IlSD_SE_SE_EEEEZNS1_13binary_searchIS3_S5_PfSG_SI_NS1_21lower_bound_search_opENS9_16wrapped_functionINS8_6system6detail7generic6detail18binary_search_lessEbEEEE10hipError_tPvRmT1_T2_T3_mmT4_T5_P12ihipStream_tbEUlRKfE_EEST_SX_SY_mSZ_S12_bEUlT_E_NS1_11comp_targetILNS1_3genE10ELNS1_11target_archE1200ELNS1_3gpuE4ELNS1_3repE0EEENS1_30default_config_static_selectorELNS0_4arch9wavefront6targetE0EEEvSW_
; %bb.0:
	.section	.rodata,"a",@progbits
	.p2align	6, 0x0
	.amdhsa_kernel _ZN7rocprim17ROCPRIM_400000_NS6detail17trampoline_kernelINS0_14default_configENS1_27lower_bound_config_selectorIflEEZNS1_14transform_implILb0ES3_S5_N6thrust23THRUST_200600_302600_NS6detail15normal_iteratorINS8_7pointerIfNS8_11hip_rocprim5par_tENS8_11use_defaultESE_EEEENSA_INSB_IlSD_SE_SE_EEEEZNS1_13binary_searchIS3_S5_PfSG_SI_NS1_21lower_bound_search_opENS9_16wrapped_functionINS8_6system6detail7generic6detail18binary_search_lessEbEEEE10hipError_tPvRmT1_T2_T3_mmT4_T5_P12ihipStream_tbEUlRKfE_EEST_SX_SY_mSZ_S12_bEUlT_E_NS1_11comp_targetILNS1_3genE10ELNS1_11target_archE1200ELNS1_3gpuE4ELNS1_3repE0EEENS1_30default_config_static_selectorELNS0_4arch9wavefront6targetE0EEEvSW_
		.amdhsa_group_segment_fixed_size 0
		.amdhsa_private_segment_fixed_size 0
		.amdhsa_kernarg_size 56
		.amdhsa_user_sgpr_count 6
		.amdhsa_user_sgpr_private_segment_buffer 1
		.amdhsa_user_sgpr_dispatch_ptr 0
		.amdhsa_user_sgpr_queue_ptr 0
		.amdhsa_user_sgpr_kernarg_segment_ptr 1
		.amdhsa_user_sgpr_dispatch_id 0
		.amdhsa_user_sgpr_flat_scratch_init 0
		.amdhsa_user_sgpr_private_segment_size 0
		.amdhsa_wavefront_size32 1
		.amdhsa_uses_dynamic_stack 0
		.amdhsa_system_sgpr_private_segment_wavefront_offset 0
		.amdhsa_system_sgpr_workgroup_id_x 1
		.amdhsa_system_sgpr_workgroup_id_y 0
		.amdhsa_system_sgpr_workgroup_id_z 0
		.amdhsa_system_sgpr_workgroup_info 0
		.amdhsa_system_vgpr_workitem_id 0
		.amdhsa_next_free_vgpr 1
		.amdhsa_next_free_sgpr 1
		.amdhsa_reserve_vcc 0
		.amdhsa_reserve_flat_scratch 0
		.amdhsa_float_round_mode_32 0
		.amdhsa_float_round_mode_16_64 0
		.amdhsa_float_denorm_mode_32 3
		.amdhsa_float_denorm_mode_16_64 3
		.amdhsa_dx10_clamp 1
		.amdhsa_ieee_mode 1
		.amdhsa_fp16_overflow 0
		.amdhsa_workgroup_processor_mode 1
		.amdhsa_memory_ordered 1
		.amdhsa_forward_progress 1
		.amdhsa_shared_vgpr_count 0
		.amdhsa_exception_fp_ieee_invalid_op 0
		.amdhsa_exception_fp_denorm_src 0
		.amdhsa_exception_fp_ieee_div_zero 0
		.amdhsa_exception_fp_ieee_overflow 0
		.amdhsa_exception_fp_ieee_underflow 0
		.amdhsa_exception_fp_ieee_inexact 0
		.amdhsa_exception_int_div_zero 0
	.end_amdhsa_kernel
	.section	.text._ZN7rocprim17ROCPRIM_400000_NS6detail17trampoline_kernelINS0_14default_configENS1_27lower_bound_config_selectorIflEEZNS1_14transform_implILb0ES3_S5_N6thrust23THRUST_200600_302600_NS6detail15normal_iteratorINS8_7pointerIfNS8_11hip_rocprim5par_tENS8_11use_defaultESE_EEEENSA_INSB_IlSD_SE_SE_EEEEZNS1_13binary_searchIS3_S5_PfSG_SI_NS1_21lower_bound_search_opENS9_16wrapped_functionINS8_6system6detail7generic6detail18binary_search_lessEbEEEE10hipError_tPvRmT1_T2_T3_mmT4_T5_P12ihipStream_tbEUlRKfE_EEST_SX_SY_mSZ_S12_bEUlT_E_NS1_11comp_targetILNS1_3genE10ELNS1_11target_archE1200ELNS1_3gpuE4ELNS1_3repE0EEENS1_30default_config_static_selectorELNS0_4arch9wavefront6targetE0EEEvSW_,"axG",@progbits,_ZN7rocprim17ROCPRIM_400000_NS6detail17trampoline_kernelINS0_14default_configENS1_27lower_bound_config_selectorIflEEZNS1_14transform_implILb0ES3_S5_N6thrust23THRUST_200600_302600_NS6detail15normal_iteratorINS8_7pointerIfNS8_11hip_rocprim5par_tENS8_11use_defaultESE_EEEENSA_INSB_IlSD_SE_SE_EEEEZNS1_13binary_searchIS3_S5_PfSG_SI_NS1_21lower_bound_search_opENS9_16wrapped_functionINS8_6system6detail7generic6detail18binary_search_lessEbEEEE10hipError_tPvRmT1_T2_T3_mmT4_T5_P12ihipStream_tbEUlRKfE_EEST_SX_SY_mSZ_S12_bEUlT_E_NS1_11comp_targetILNS1_3genE10ELNS1_11target_archE1200ELNS1_3gpuE4ELNS1_3repE0EEENS1_30default_config_static_selectorELNS0_4arch9wavefront6targetE0EEEvSW_,comdat
.Lfunc_end39:
	.size	_ZN7rocprim17ROCPRIM_400000_NS6detail17trampoline_kernelINS0_14default_configENS1_27lower_bound_config_selectorIflEEZNS1_14transform_implILb0ES3_S5_N6thrust23THRUST_200600_302600_NS6detail15normal_iteratorINS8_7pointerIfNS8_11hip_rocprim5par_tENS8_11use_defaultESE_EEEENSA_INSB_IlSD_SE_SE_EEEEZNS1_13binary_searchIS3_S5_PfSG_SI_NS1_21lower_bound_search_opENS9_16wrapped_functionINS8_6system6detail7generic6detail18binary_search_lessEbEEEE10hipError_tPvRmT1_T2_T3_mmT4_T5_P12ihipStream_tbEUlRKfE_EEST_SX_SY_mSZ_S12_bEUlT_E_NS1_11comp_targetILNS1_3genE10ELNS1_11target_archE1200ELNS1_3gpuE4ELNS1_3repE0EEENS1_30default_config_static_selectorELNS0_4arch9wavefront6targetE0EEEvSW_, .Lfunc_end39-_ZN7rocprim17ROCPRIM_400000_NS6detail17trampoline_kernelINS0_14default_configENS1_27lower_bound_config_selectorIflEEZNS1_14transform_implILb0ES3_S5_N6thrust23THRUST_200600_302600_NS6detail15normal_iteratorINS8_7pointerIfNS8_11hip_rocprim5par_tENS8_11use_defaultESE_EEEENSA_INSB_IlSD_SE_SE_EEEEZNS1_13binary_searchIS3_S5_PfSG_SI_NS1_21lower_bound_search_opENS9_16wrapped_functionINS8_6system6detail7generic6detail18binary_search_lessEbEEEE10hipError_tPvRmT1_T2_T3_mmT4_T5_P12ihipStream_tbEUlRKfE_EEST_SX_SY_mSZ_S12_bEUlT_E_NS1_11comp_targetILNS1_3genE10ELNS1_11target_archE1200ELNS1_3gpuE4ELNS1_3repE0EEENS1_30default_config_static_selectorELNS0_4arch9wavefront6targetE0EEEvSW_
                                        ; -- End function
	.set _ZN7rocprim17ROCPRIM_400000_NS6detail17trampoline_kernelINS0_14default_configENS1_27lower_bound_config_selectorIflEEZNS1_14transform_implILb0ES3_S5_N6thrust23THRUST_200600_302600_NS6detail15normal_iteratorINS8_7pointerIfNS8_11hip_rocprim5par_tENS8_11use_defaultESE_EEEENSA_INSB_IlSD_SE_SE_EEEEZNS1_13binary_searchIS3_S5_PfSG_SI_NS1_21lower_bound_search_opENS9_16wrapped_functionINS8_6system6detail7generic6detail18binary_search_lessEbEEEE10hipError_tPvRmT1_T2_T3_mmT4_T5_P12ihipStream_tbEUlRKfE_EEST_SX_SY_mSZ_S12_bEUlT_E_NS1_11comp_targetILNS1_3genE10ELNS1_11target_archE1200ELNS1_3gpuE4ELNS1_3repE0EEENS1_30default_config_static_selectorELNS0_4arch9wavefront6targetE0EEEvSW_.num_vgpr, 0
	.set _ZN7rocprim17ROCPRIM_400000_NS6detail17trampoline_kernelINS0_14default_configENS1_27lower_bound_config_selectorIflEEZNS1_14transform_implILb0ES3_S5_N6thrust23THRUST_200600_302600_NS6detail15normal_iteratorINS8_7pointerIfNS8_11hip_rocprim5par_tENS8_11use_defaultESE_EEEENSA_INSB_IlSD_SE_SE_EEEEZNS1_13binary_searchIS3_S5_PfSG_SI_NS1_21lower_bound_search_opENS9_16wrapped_functionINS8_6system6detail7generic6detail18binary_search_lessEbEEEE10hipError_tPvRmT1_T2_T3_mmT4_T5_P12ihipStream_tbEUlRKfE_EEST_SX_SY_mSZ_S12_bEUlT_E_NS1_11comp_targetILNS1_3genE10ELNS1_11target_archE1200ELNS1_3gpuE4ELNS1_3repE0EEENS1_30default_config_static_selectorELNS0_4arch9wavefront6targetE0EEEvSW_.num_agpr, 0
	.set _ZN7rocprim17ROCPRIM_400000_NS6detail17trampoline_kernelINS0_14default_configENS1_27lower_bound_config_selectorIflEEZNS1_14transform_implILb0ES3_S5_N6thrust23THRUST_200600_302600_NS6detail15normal_iteratorINS8_7pointerIfNS8_11hip_rocprim5par_tENS8_11use_defaultESE_EEEENSA_INSB_IlSD_SE_SE_EEEEZNS1_13binary_searchIS3_S5_PfSG_SI_NS1_21lower_bound_search_opENS9_16wrapped_functionINS8_6system6detail7generic6detail18binary_search_lessEbEEEE10hipError_tPvRmT1_T2_T3_mmT4_T5_P12ihipStream_tbEUlRKfE_EEST_SX_SY_mSZ_S12_bEUlT_E_NS1_11comp_targetILNS1_3genE10ELNS1_11target_archE1200ELNS1_3gpuE4ELNS1_3repE0EEENS1_30default_config_static_selectorELNS0_4arch9wavefront6targetE0EEEvSW_.numbered_sgpr, 0
	.set _ZN7rocprim17ROCPRIM_400000_NS6detail17trampoline_kernelINS0_14default_configENS1_27lower_bound_config_selectorIflEEZNS1_14transform_implILb0ES3_S5_N6thrust23THRUST_200600_302600_NS6detail15normal_iteratorINS8_7pointerIfNS8_11hip_rocprim5par_tENS8_11use_defaultESE_EEEENSA_INSB_IlSD_SE_SE_EEEEZNS1_13binary_searchIS3_S5_PfSG_SI_NS1_21lower_bound_search_opENS9_16wrapped_functionINS8_6system6detail7generic6detail18binary_search_lessEbEEEE10hipError_tPvRmT1_T2_T3_mmT4_T5_P12ihipStream_tbEUlRKfE_EEST_SX_SY_mSZ_S12_bEUlT_E_NS1_11comp_targetILNS1_3genE10ELNS1_11target_archE1200ELNS1_3gpuE4ELNS1_3repE0EEENS1_30default_config_static_selectorELNS0_4arch9wavefront6targetE0EEEvSW_.num_named_barrier, 0
	.set _ZN7rocprim17ROCPRIM_400000_NS6detail17trampoline_kernelINS0_14default_configENS1_27lower_bound_config_selectorIflEEZNS1_14transform_implILb0ES3_S5_N6thrust23THRUST_200600_302600_NS6detail15normal_iteratorINS8_7pointerIfNS8_11hip_rocprim5par_tENS8_11use_defaultESE_EEEENSA_INSB_IlSD_SE_SE_EEEEZNS1_13binary_searchIS3_S5_PfSG_SI_NS1_21lower_bound_search_opENS9_16wrapped_functionINS8_6system6detail7generic6detail18binary_search_lessEbEEEE10hipError_tPvRmT1_T2_T3_mmT4_T5_P12ihipStream_tbEUlRKfE_EEST_SX_SY_mSZ_S12_bEUlT_E_NS1_11comp_targetILNS1_3genE10ELNS1_11target_archE1200ELNS1_3gpuE4ELNS1_3repE0EEENS1_30default_config_static_selectorELNS0_4arch9wavefront6targetE0EEEvSW_.private_seg_size, 0
	.set _ZN7rocprim17ROCPRIM_400000_NS6detail17trampoline_kernelINS0_14default_configENS1_27lower_bound_config_selectorIflEEZNS1_14transform_implILb0ES3_S5_N6thrust23THRUST_200600_302600_NS6detail15normal_iteratorINS8_7pointerIfNS8_11hip_rocprim5par_tENS8_11use_defaultESE_EEEENSA_INSB_IlSD_SE_SE_EEEEZNS1_13binary_searchIS3_S5_PfSG_SI_NS1_21lower_bound_search_opENS9_16wrapped_functionINS8_6system6detail7generic6detail18binary_search_lessEbEEEE10hipError_tPvRmT1_T2_T3_mmT4_T5_P12ihipStream_tbEUlRKfE_EEST_SX_SY_mSZ_S12_bEUlT_E_NS1_11comp_targetILNS1_3genE10ELNS1_11target_archE1200ELNS1_3gpuE4ELNS1_3repE0EEENS1_30default_config_static_selectorELNS0_4arch9wavefront6targetE0EEEvSW_.uses_vcc, 0
	.set _ZN7rocprim17ROCPRIM_400000_NS6detail17trampoline_kernelINS0_14default_configENS1_27lower_bound_config_selectorIflEEZNS1_14transform_implILb0ES3_S5_N6thrust23THRUST_200600_302600_NS6detail15normal_iteratorINS8_7pointerIfNS8_11hip_rocprim5par_tENS8_11use_defaultESE_EEEENSA_INSB_IlSD_SE_SE_EEEEZNS1_13binary_searchIS3_S5_PfSG_SI_NS1_21lower_bound_search_opENS9_16wrapped_functionINS8_6system6detail7generic6detail18binary_search_lessEbEEEE10hipError_tPvRmT1_T2_T3_mmT4_T5_P12ihipStream_tbEUlRKfE_EEST_SX_SY_mSZ_S12_bEUlT_E_NS1_11comp_targetILNS1_3genE10ELNS1_11target_archE1200ELNS1_3gpuE4ELNS1_3repE0EEENS1_30default_config_static_selectorELNS0_4arch9wavefront6targetE0EEEvSW_.uses_flat_scratch, 0
	.set _ZN7rocprim17ROCPRIM_400000_NS6detail17trampoline_kernelINS0_14default_configENS1_27lower_bound_config_selectorIflEEZNS1_14transform_implILb0ES3_S5_N6thrust23THRUST_200600_302600_NS6detail15normal_iteratorINS8_7pointerIfNS8_11hip_rocprim5par_tENS8_11use_defaultESE_EEEENSA_INSB_IlSD_SE_SE_EEEEZNS1_13binary_searchIS3_S5_PfSG_SI_NS1_21lower_bound_search_opENS9_16wrapped_functionINS8_6system6detail7generic6detail18binary_search_lessEbEEEE10hipError_tPvRmT1_T2_T3_mmT4_T5_P12ihipStream_tbEUlRKfE_EEST_SX_SY_mSZ_S12_bEUlT_E_NS1_11comp_targetILNS1_3genE10ELNS1_11target_archE1200ELNS1_3gpuE4ELNS1_3repE0EEENS1_30default_config_static_selectorELNS0_4arch9wavefront6targetE0EEEvSW_.has_dyn_sized_stack, 0
	.set _ZN7rocprim17ROCPRIM_400000_NS6detail17trampoline_kernelINS0_14default_configENS1_27lower_bound_config_selectorIflEEZNS1_14transform_implILb0ES3_S5_N6thrust23THRUST_200600_302600_NS6detail15normal_iteratorINS8_7pointerIfNS8_11hip_rocprim5par_tENS8_11use_defaultESE_EEEENSA_INSB_IlSD_SE_SE_EEEEZNS1_13binary_searchIS3_S5_PfSG_SI_NS1_21lower_bound_search_opENS9_16wrapped_functionINS8_6system6detail7generic6detail18binary_search_lessEbEEEE10hipError_tPvRmT1_T2_T3_mmT4_T5_P12ihipStream_tbEUlRKfE_EEST_SX_SY_mSZ_S12_bEUlT_E_NS1_11comp_targetILNS1_3genE10ELNS1_11target_archE1200ELNS1_3gpuE4ELNS1_3repE0EEENS1_30default_config_static_selectorELNS0_4arch9wavefront6targetE0EEEvSW_.has_recursion, 0
	.set _ZN7rocprim17ROCPRIM_400000_NS6detail17trampoline_kernelINS0_14default_configENS1_27lower_bound_config_selectorIflEEZNS1_14transform_implILb0ES3_S5_N6thrust23THRUST_200600_302600_NS6detail15normal_iteratorINS8_7pointerIfNS8_11hip_rocprim5par_tENS8_11use_defaultESE_EEEENSA_INSB_IlSD_SE_SE_EEEEZNS1_13binary_searchIS3_S5_PfSG_SI_NS1_21lower_bound_search_opENS9_16wrapped_functionINS8_6system6detail7generic6detail18binary_search_lessEbEEEE10hipError_tPvRmT1_T2_T3_mmT4_T5_P12ihipStream_tbEUlRKfE_EEST_SX_SY_mSZ_S12_bEUlT_E_NS1_11comp_targetILNS1_3genE10ELNS1_11target_archE1200ELNS1_3gpuE4ELNS1_3repE0EEENS1_30default_config_static_selectorELNS0_4arch9wavefront6targetE0EEEvSW_.has_indirect_call, 0
	.section	.AMDGPU.csdata,"",@progbits
; Kernel info:
; codeLenInByte = 0
; TotalNumSgprs: 0
; NumVgprs: 0
; ScratchSize: 0
; MemoryBound: 0
; FloatMode: 240
; IeeeMode: 1
; LDSByteSize: 0 bytes/workgroup (compile time only)
; SGPRBlocks: 0
; VGPRBlocks: 0
; NumSGPRsForWavesPerEU: 1
; NumVGPRsForWavesPerEU: 1
; Occupancy: 16
; WaveLimiterHint : 0
; COMPUTE_PGM_RSRC2:SCRATCH_EN: 0
; COMPUTE_PGM_RSRC2:USER_SGPR: 6
; COMPUTE_PGM_RSRC2:TRAP_HANDLER: 0
; COMPUTE_PGM_RSRC2:TGID_X_EN: 1
; COMPUTE_PGM_RSRC2:TGID_Y_EN: 0
; COMPUTE_PGM_RSRC2:TGID_Z_EN: 0
; COMPUTE_PGM_RSRC2:TIDIG_COMP_CNT: 0
	.section	.text._ZN7rocprim17ROCPRIM_400000_NS6detail17trampoline_kernelINS0_14default_configENS1_27lower_bound_config_selectorIflEEZNS1_14transform_implILb0ES3_S5_N6thrust23THRUST_200600_302600_NS6detail15normal_iteratorINS8_7pointerIfNS8_11hip_rocprim5par_tENS8_11use_defaultESE_EEEENSA_INSB_IlSD_SE_SE_EEEEZNS1_13binary_searchIS3_S5_PfSG_SI_NS1_21lower_bound_search_opENS9_16wrapped_functionINS8_6system6detail7generic6detail18binary_search_lessEbEEEE10hipError_tPvRmT1_T2_T3_mmT4_T5_P12ihipStream_tbEUlRKfE_EEST_SX_SY_mSZ_S12_bEUlT_E_NS1_11comp_targetILNS1_3genE9ELNS1_11target_archE1100ELNS1_3gpuE3ELNS1_3repE0EEENS1_30default_config_static_selectorELNS0_4arch9wavefront6targetE0EEEvSW_,"axG",@progbits,_ZN7rocprim17ROCPRIM_400000_NS6detail17trampoline_kernelINS0_14default_configENS1_27lower_bound_config_selectorIflEEZNS1_14transform_implILb0ES3_S5_N6thrust23THRUST_200600_302600_NS6detail15normal_iteratorINS8_7pointerIfNS8_11hip_rocprim5par_tENS8_11use_defaultESE_EEEENSA_INSB_IlSD_SE_SE_EEEEZNS1_13binary_searchIS3_S5_PfSG_SI_NS1_21lower_bound_search_opENS9_16wrapped_functionINS8_6system6detail7generic6detail18binary_search_lessEbEEEE10hipError_tPvRmT1_T2_T3_mmT4_T5_P12ihipStream_tbEUlRKfE_EEST_SX_SY_mSZ_S12_bEUlT_E_NS1_11comp_targetILNS1_3genE9ELNS1_11target_archE1100ELNS1_3gpuE3ELNS1_3repE0EEENS1_30default_config_static_selectorELNS0_4arch9wavefront6targetE0EEEvSW_,comdat
	.protected	_ZN7rocprim17ROCPRIM_400000_NS6detail17trampoline_kernelINS0_14default_configENS1_27lower_bound_config_selectorIflEEZNS1_14transform_implILb0ES3_S5_N6thrust23THRUST_200600_302600_NS6detail15normal_iteratorINS8_7pointerIfNS8_11hip_rocprim5par_tENS8_11use_defaultESE_EEEENSA_INSB_IlSD_SE_SE_EEEEZNS1_13binary_searchIS3_S5_PfSG_SI_NS1_21lower_bound_search_opENS9_16wrapped_functionINS8_6system6detail7generic6detail18binary_search_lessEbEEEE10hipError_tPvRmT1_T2_T3_mmT4_T5_P12ihipStream_tbEUlRKfE_EEST_SX_SY_mSZ_S12_bEUlT_E_NS1_11comp_targetILNS1_3genE9ELNS1_11target_archE1100ELNS1_3gpuE3ELNS1_3repE0EEENS1_30default_config_static_selectorELNS0_4arch9wavefront6targetE0EEEvSW_ ; -- Begin function _ZN7rocprim17ROCPRIM_400000_NS6detail17trampoline_kernelINS0_14default_configENS1_27lower_bound_config_selectorIflEEZNS1_14transform_implILb0ES3_S5_N6thrust23THRUST_200600_302600_NS6detail15normal_iteratorINS8_7pointerIfNS8_11hip_rocprim5par_tENS8_11use_defaultESE_EEEENSA_INSB_IlSD_SE_SE_EEEEZNS1_13binary_searchIS3_S5_PfSG_SI_NS1_21lower_bound_search_opENS9_16wrapped_functionINS8_6system6detail7generic6detail18binary_search_lessEbEEEE10hipError_tPvRmT1_T2_T3_mmT4_T5_P12ihipStream_tbEUlRKfE_EEST_SX_SY_mSZ_S12_bEUlT_E_NS1_11comp_targetILNS1_3genE9ELNS1_11target_archE1100ELNS1_3gpuE3ELNS1_3repE0EEENS1_30default_config_static_selectorELNS0_4arch9wavefront6targetE0EEEvSW_
	.globl	_ZN7rocprim17ROCPRIM_400000_NS6detail17trampoline_kernelINS0_14default_configENS1_27lower_bound_config_selectorIflEEZNS1_14transform_implILb0ES3_S5_N6thrust23THRUST_200600_302600_NS6detail15normal_iteratorINS8_7pointerIfNS8_11hip_rocprim5par_tENS8_11use_defaultESE_EEEENSA_INSB_IlSD_SE_SE_EEEEZNS1_13binary_searchIS3_S5_PfSG_SI_NS1_21lower_bound_search_opENS9_16wrapped_functionINS8_6system6detail7generic6detail18binary_search_lessEbEEEE10hipError_tPvRmT1_T2_T3_mmT4_T5_P12ihipStream_tbEUlRKfE_EEST_SX_SY_mSZ_S12_bEUlT_E_NS1_11comp_targetILNS1_3genE9ELNS1_11target_archE1100ELNS1_3gpuE3ELNS1_3repE0EEENS1_30default_config_static_selectorELNS0_4arch9wavefront6targetE0EEEvSW_
	.p2align	8
	.type	_ZN7rocprim17ROCPRIM_400000_NS6detail17trampoline_kernelINS0_14default_configENS1_27lower_bound_config_selectorIflEEZNS1_14transform_implILb0ES3_S5_N6thrust23THRUST_200600_302600_NS6detail15normal_iteratorINS8_7pointerIfNS8_11hip_rocprim5par_tENS8_11use_defaultESE_EEEENSA_INSB_IlSD_SE_SE_EEEEZNS1_13binary_searchIS3_S5_PfSG_SI_NS1_21lower_bound_search_opENS9_16wrapped_functionINS8_6system6detail7generic6detail18binary_search_lessEbEEEE10hipError_tPvRmT1_T2_T3_mmT4_T5_P12ihipStream_tbEUlRKfE_EEST_SX_SY_mSZ_S12_bEUlT_E_NS1_11comp_targetILNS1_3genE9ELNS1_11target_archE1100ELNS1_3gpuE3ELNS1_3repE0EEENS1_30default_config_static_selectorELNS0_4arch9wavefront6targetE0EEEvSW_,@function
_ZN7rocprim17ROCPRIM_400000_NS6detail17trampoline_kernelINS0_14default_configENS1_27lower_bound_config_selectorIflEEZNS1_14transform_implILb0ES3_S5_N6thrust23THRUST_200600_302600_NS6detail15normal_iteratorINS8_7pointerIfNS8_11hip_rocprim5par_tENS8_11use_defaultESE_EEEENSA_INSB_IlSD_SE_SE_EEEEZNS1_13binary_searchIS3_S5_PfSG_SI_NS1_21lower_bound_search_opENS9_16wrapped_functionINS8_6system6detail7generic6detail18binary_search_lessEbEEEE10hipError_tPvRmT1_T2_T3_mmT4_T5_P12ihipStream_tbEUlRKfE_EEST_SX_SY_mSZ_S12_bEUlT_E_NS1_11comp_targetILNS1_3genE9ELNS1_11target_archE1100ELNS1_3gpuE3ELNS1_3repE0EEENS1_30default_config_static_selectorELNS0_4arch9wavefront6targetE0EEEvSW_: ; @_ZN7rocprim17ROCPRIM_400000_NS6detail17trampoline_kernelINS0_14default_configENS1_27lower_bound_config_selectorIflEEZNS1_14transform_implILb0ES3_S5_N6thrust23THRUST_200600_302600_NS6detail15normal_iteratorINS8_7pointerIfNS8_11hip_rocprim5par_tENS8_11use_defaultESE_EEEENSA_INSB_IlSD_SE_SE_EEEEZNS1_13binary_searchIS3_S5_PfSG_SI_NS1_21lower_bound_search_opENS9_16wrapped_functionINS8_6system6detail7generic6detail18binary_search_lessEbEEEE10hipError_tPvRmT1_T2_T3_mmT4_T5_P12ihipStream_tbEUlRKfE_EEST_SX_SY_mSZ_S12_bEUlT_E_NS1_11comp_targetILNS1_3genE9ELNS1_11target_archE1100ELNS1_3gpuE3ELNS1_3repE0EEENS1_30default_config_static_selectorELNS0_4arch9wavefront6targetE0EEEvSW_
; %bb.0:
	.section	.rodata,"a",@progbits
	.p2align	6, 0x0
	.amdhsa_kernel _ZN7rocprim17ROCPRIM_400000_NS6detail17trampoline_kernelINS0_14default_configENS1_27lower_bound_config_selectorIflEEZNS1_14transform_implILb0ES3_S5_N6thrust23THRUST_200600_302600_NS6detail15normal_iteratorINS8_7pointerIfNS8_11hip_rocprim5par_tENS8_11use_defaultESE_EEEENSA_INSB_IlSD_SE_SE_EEEEZNS1_13binary_searchIS3_S5_PfSG_SI_NS1_21lower_bound_search_opENS9_16wrapped_functionINS8_6system6detail7generic6detail18binary_search_lessEbEEEE10hipError_tPvRmT1_T2_T3_mmT4_T5_P12ihipStream_tbEUlRKfE_EEST_SX_SY_mSZ_S12_bEUlT_E_NS1_11comp_targetILNS1_3genE9ELNS1_11target_archE1100ELNS1_3gpuE3ELNS1_3repE0EEENS1_30default_config_static_selectorELNS0_4arch9wavefront6targetE0EEEvSW_
		.amdhsa_group_segment_fixed_size 0
		.amdhsa_private_segment_fixed_size 0
		.amdhsa_kernarg_size 56
		.amdhsa_user_sgpr_count 6
		.amdhsa_user_sgpr_private_segment_buffer 1
		.amdhsa_user_sgpr_dispatch_ptr 0
		.amdhsa_user_sgpr_queue_ptr 0
		.amdhsa_user_sgpr_kernarg_segment_ptr 1
		.amdhsa_user_sgpr_dispatch_id 0
		.amdhsa_user_sgpr_flat_scratch_init 0
		.amdhsa_user_sgpr_private_segment_size 0
		.amdhsa_wavefront_size32 1
		.amdhsa_uses_dynamic_stack 0
		.amdhsa_system_sgpr_private_segment_wavefront_offset 0
		.amdhsa_system_sgpr_workgroup_id_x 1
		.amdhsa_system_sgpr_workgroup_id_y 0
		.amdhsa_system_sgpr_workgroup_id_z 0
		.amdhsa_system_sgpr_workgroup_info 0
		.amdhsa_system_vgpr_workitem_id 0
		.amdhsa_next_free_vgpr 1
		.amdhsa_next_free_sgpr 1
		.amdhsa_reserve_vcc 0
		.amdhsa_reserve_flat_scratch 0
		.amdhsa_float_round_mode_32 0
		.amdhsa_float_round_mode_16_64 0
		.amdhsa_float_denorm_mode_32 3
		.amdhsa_float_denorm_mode_16_64 3
		.amdhsa_dx10_clamp 1
		.amdhsa_ieee_mode 1
		.amdhsa_fp16_overflow 0
		.amdhsa_workgroup_processor_mode 1
		.amdhsa_memory_ordered 1
		.amdhsa_forward_progress 1
		.amdhsa_shared_vgpr_count 0
		.amdhsa_exception_fp_ieee_invalid_op 0
		.amdhsa_exception_fp_denorm_src 0
		.amdhsa_exception_fp_ieee_div_zero 0
		.amdhsa_exception_fp_ieee_overflow 0
		.amdhsa_exception_fp_ieee_underflow 0
		.amdhsa_exception_fp_ieee_inexact 0
		.amdhsa_exception_int_div_zero 0
	.end_amdhsa_kernel
	.section	.text._ZN7rocprim17ROCPRIM_400000_NS6detail17trampoline_kernelINS0_14default_configENS1_27lower_bound_config_selectorIflEEZNS1_14transform_implILb0ES3_S5_N6thrust23THRUST_200600_302600_NS6detail15normal_iteratorINS8_7pointerIfNS8_11hip_rocprim5par_tENS8_11use_defaultESE_EEEENSA_INSB_IlSD_SE_SE_EEEEZNS1_13binary_searchIS3_S5_PfSG_SI_NS1_21lower_bound_search_opENS9_16wrapped_functionINS8_6system6detail7generic6detail18binary_search_lessEbEEEE10hipError_tPvRmT1_T2_T3_mmT4_T5_P12ihipStream_tbEUlRKfE_EEST_SX_SY_mSZ_S12_bEUlT_E_NS1_11comp_targetILNS1_3genE9ELNS1_11target_archE1100ELNS1_3gpuE3ELNS1_3repE0EEENS1_30default_config_static_selectorELNS0_4arch9wavefront6targetE0EEEvSW_,"axG",@progbits,_ZN7rocprim17ROCPRIM_400000_NS6detail17trampoline_kernelINS0_14default_configENS1_27lower_bound_config_selectorIflEEZNS1_14transform_implILb0ES3_S5_N6thrust23THRUST_200600_302600_NS6detail15normal_iteratorINS8_7pointerIfNS8_11hip_rocprim5par_tENS8_11use_defaultESE_EEEENSA_INSB_IlSD_SE_SE_EEEEZNS1_13binary_searchIS3_S5_PfSG_SI_NS1_21lower_bound_search_opENS9_16wrapped_functionINS8_6system6detail7generic6detail18binary_search_lessEbEEEE10hipError_tPvRmT1_T2_T3_mmT4_T5_P12ihipStream_tbEUlRKfE_EEST_SX_SY_mSZ_S12_bEUlT_E_NS1_11comp_targetILNS1_3genE9ELNS1_11target_archE1100ELNS1_3gpuE3ELNS1_3repE0EEENS1_30default_config_static_selectorELNS0_4arch9wavefront6targetE0EEEvSW_,comdat
.Lfunc_end40:
	.size	_ZN7rocprim17ROCPRIM_400000_NS6detail17trampoline_kernelINS0_14default_configENS1_27lower_bound_config_selectorIflEEZNS1_14transform_implILb0ES3_S5_N6thrust23THRUST_200600_302600_NS6detail15normal_iteratorINS8_7pointerIfNS8_11hip_rocprim5par_tENS8_11use_defaultESE_EEEENSA_INSB_IlSD_SE_SE_EEEEZNS1_13binary_searchIS3_S5_PfSG_SI_NS1_21lower_bound_search_opENS9_16wrapped_functionINS8_6system6detail7generic6detail18binary_search_lessEbEEEE10hipError_tPvRmT1_T2_T3_mmT4_T5_P12ihipStream_tbEUlRKfE_EEST_SX_SY_mSZ_S12_bEUlT_E_NS1_11comp_targetILNS1_3genE9ELNS1_11target_archE1100ELNS1_3gpuE3ELNS1_3repE0EEENS1_30default_config_static_selectorELNS0_4arch9wavefront6targetE0EEEvSW_, .Lfunc_end40-_ZN7rocprim17ROCPRIM_400000_NS6detail17trampoline_kernelINS0_14default_configENS1_27lower_bound_config_selectorIflEEZNS1_14transform_implILb0ES3_S5_N6thrust23THRUST_200600_302600_NS6detail15normal_iteratorINS8_7pointerIfNS8_11hip_rocprim5par_tENS8_11use_defaultESE_EEEENSA_INSB_IlSD_SE_SE_EEEEZNS1_13binary_searchIS3_S5_PfSG_SI_NS1_21lower_bound_search_opENS9_16wrapped_functionINS8_6system6detail7generic6detail18binary_search_lessEbEEEE10hipError_tPvRmT1_T2_T3_mmT4_T5_P12ihipStream_tbEUlRKfE_EEST_SX_SY_mSZ_S12_bEUlT_E_NS1_11comp_targetILNS1_3genE9ELNS1_11target_archE1100ELNS1_3gpuE3ELNS1_3repE0EEENS1_30default_config_static_selectorELNS0_4arch9wavefront6targetE0EEEvSW_
                                        ; -- End function
	.set _ZN7rocprim17ROCPRIM_400000_NS6detail17trampoline_kernelINS0_14default_configENS1_27lower_bound_config_selectorIflEEZNS1_14transform_implILb0ES3_S5_N6thrust23THRUST_200600_302600_NS6detail15normal_iteratorINS8_7pointerIfNS8_11hip_rocprim5par_tENS8_11use_defaultESE_EEEENSA_INSB_IlSD_SE_SE_EEEEZNS1_13binary_searchIS3_S5_PfSG_SI_NS1_21lower_bound_search_opENS9_16wrapped_functionINS8_6system6detail7generic6detail18binary_search_lessEbEEEE10hipError_tPvRmT1_T2_T3_mmT4_T5_P12ihipStream_tbEUlRKfE_EEST_SX_SY_mSZ_S12_bEUlT_E_NS1_11comp_targetILNS1_3genE9ELNS1_11target_archE1100ELNS1_3gpuE3ELNS1_3repE0EEENS1_30default_config_static_selectorELNS0_4arch9wavefront6targetE0EEEvSW_.num_vgpr, 0
	.set _ZN7rocprim17ROCPRIM_400000_NS6detail17trampoline_kernelINS0_14default_configENS1_27lower_bound_config_selectorIflEEZNS1_14transform_implILb0ES3_S5_N6thrust23THRUST_200600_302600_NS6detail15normal_iteratorINS8_7pointerIfNS8_11hip_rocprim5par_tENS8_11use_defaultESE_EEEENSA_INSB_IlSD_SE_SE_EEEEZNS1_13binary_searchIS3_S5_PfSG_SI_NS1_21lower_bound_search_opENS9_16wrapped_functionINS8_6system6detail7generic6detail18binary_search_lessEbEEEE10hipError_tPvRmT1_T2_T3_mmT4_T5_P12ihipStream_tbEUlRKfE_EEST_SX_SY_mSZ_S12_bEUlT_E_NS1_11comp_targetILNS1_3genE9ELNS1_11target_archE1100ELNS1_3gpuE3ELNS1_3repE0EEENS1_30default_config_static_selectorELNS0_4arch9wavefront6targetE0EEEvSW_.num_agpr, 0
	.set _ZN7rocprim17ROCPRIM_400000_NS6detail17trampoline_kernelINS0_14default_configENS1_27lower_bound_config_selectorIflEEZNS1_14transform_implILb0ES3_S5_N6thrust23THRUST_200600_302600_NS6detail15normal_iteratorINS8_7pointerIfNS8_11hip_rocprim5par_tENS8_11use_defaultESE_EEEENSA_INSB_IlSD_SE_SE_EEEEZNS1_13binary_searchIS3_S5_PfSG_SI_NS1_21lower_bound_search_opENS9_16wrapped_functionINS8_6system6detail7generic6detail18binary_search_lessEbEEEE10hipError_tPvRmT1_T2_T3_mmT4_T5_P12ihipStream_tbEUlRKfE_EEST_SX_SY_mSZ_S12_bEUlT_E_NS1_11comp_targetILNS1_3genE9ELNS1_11target_archE1100ELNS1_3gpuE3ELNS1_3repE0EEENS1_30default_config_static_selectorELNS0_4arch9wavefront6targetE0EEEvSW_.numbered_sgpr, 0
	.set _ZN7rocprim17ROCPRIM_400000_NS6detail17trampoline_kernelINS0_14default_configENS1_27lower_bound_config_selectorIflEEZNS1_14transform_implILb0ES3_S5_N6thrust23THRUST_200600_302600_NS6detail15normal_iteratorINS8_7pointerIfNS8_11hip_rocprim5par_tENS8_11use_defaultESE_EEEENSA_INSB_IlSD_SE_SE_EEEEZNS1_13binary_searchIS3_S5_PfSG_SI_NS1_21lower_bound_search_opENS9_16wrapped_functionINS8_6system6detail7generic6detail18binary_search_lessEbEEEE10hipError_tPvRmT1_T2_T3_mmT4_T5_P12ihipStream_tbEUlRKfE_EEST_SX_SY_mSZ_S12_bEUlT_E_NS1_11comp_targetILNS1_3genE9ELNS1_11target_archE1100ELNS1_3gpuE3ELNS1_3repE0EEENS1_30default_config_static_selectorELNS0_4arch9wavefront6targetE0EEEvSW_.num_named_barrier, 0
	.set _ZN7rocprim17ROCPRIM_400000_NS6detail17trampoline_kernelINS0_14default_configENS1_27lower_bound_config_selectorIflEEZNS1_14transform_implILb0ES3_S5_N6thrust23THRUST_200600_302600_NS6detail15normal_iteratorINS8_7pointerIfNS8_11hip_rocprim5par_tENS8_11use_defaultESE_EEEENSA_INSB_IlSD_SE_SE_EEEEZNS1_13binary_searchIS3_S5_PfSG_SI_NS1_21lower_bound_search_opENS9_16wrapped_functionINS8_6system6detail7generic6detail18binary_search_lessEbEEEE10hipError_tPvRmT1_T2_T3_mmT4_T5_P12ihipStream_tbEUlRKfE_EEST_SX_SY_mSZ_S12_bEUlT_E_NS1_11comp_targetILNS1_3genE9ELNS1_11target_archE1100ELNS1_3gpuE3ELNS1_3repE0EEENS1_30default_config_static_selectorELNS0_4arch9wavefront6targetE0EEEvSW_.private_seg_size, 0
	.set _ZN7rocprim17ROCPRIM_400000_NS6detail17trampoline_kernelINS0_14default_configENS1_27lower_bound_config_selectorIflEEZNS1_14transform_implILb0ES3_S5_N6thrust23THRUST_200600_302600_NS6detail15normal_iteratorINS8_7pointerIfNS8_11hip_rocprim5par_tENS8_11use_defaultESE_EEEENSA_INSB_IlSD_SE_SE_EEEEZNS1_13binary_searchIS3_S5_PfSG_SI_NS1_21lower_bound_search_opENS9_16wrapped_functionINS8_6system6detail7generic6detail18binary_search_lessEbEEEE10hipError_tPvRmT1_T2_T3_mmT4_T5_P12ihipStream_tbEUlRKfE_EEST_SX_SY_mSZ_S12_bEUlT_E_NS1_11comp_targetILNS1_3genE9ELNS1_11target_archE1100ELNS1_3gpuE3ELNS1_3repE0EEENS1_30default_config_static_selectorELNS0_4arch9wavefront6targetE0EEEvSW_.uses_vcc, 0
	.set _ZN7rocprim17ROCPRIM_400000_NS6detail17trampoline_kernelINS0_14default_configENS1_27lower_bound_config_selectorIflEEZNS1_14transform_implILb0ES3_S5_N6thrust23THRUST_200600_302600_NS6detail15normal_iteratorINS8_7pointerIfNS8_11hip_rocprim5par_tENS8_11use_defaultESE_EEEENSA_INSB_IlSD_SE_SE_EEEEZNS1_13binary_searchIS3_S5_PfSG_SI_NS1_21lower_bound_search_opENS9_16wrapped_functionINS8_6system6detail7generic6detail18binary_search_lessEbEEEE10hipError_tPvRmT1_T2_T3_mmT4_T5_P12ihipStream_tbEUlRKfE_EEST_SX_SY_mSZ_S12_bEUlT_E_NS1_11comp_targetILNS1_3genE9ELNS1_11target_archE1100ELNS1_3gpuE3ELNS1_3repE0EEENS1_30default_config_static_selectorELNS0_4arch9wavefront6targetE0EEEvSW_.uses_flat_scratch, 0
	.set _ZN7rocprim17ROCPRIM_400000_NS6detail17trampoline_kernelINS0_14default_configENS1_27lower_bound_config_selectorIflEEZNS1_14transform_implILb0ES3_S5_N6thrust23THRUST_200600_302600_NS6detail15normal_iteratorINS8_7pointerIfNS8_11hip_rocprim5par_tENS8_11use_defaultESE_EEEENSA_INSB_IlSD_SE_SE_EEEEZNS1_13binary_searchIS3_S5_PfSG_SI_NS1_21lower_bound_search_opENS9_16wrapped_functionINS8_6system6detail7generic6detail18binary_search_lessEbEEEE10hipError_tPvRmT1_T2_T3_mmT4_T5_P12ihipStream_tbEUlRKfE_EEST_SX_SY_mSZ_S12_bEUlT_E_NS1_11comp_targetILNS1_3genE9ELNS1_11target_archE1100ELNS1_3gpuE3ELNS1_3repE0EEENS1_30default_config_static_selectorELNS0_4arch9wavefront6targetE0EEEvSW_.has_dyn_sized_stack, 0
	.set _ZN7rocprim17ROCPRIM_400000_NS6detail17trampoline_kernelINS0_14default_configENS1_27lower_bound_config_selectorIflEEZNS1_14transform_implILb0ES3_S5_N6thrust23THRUST_200600_302600_NS6detail15normal_iteratorINS8_7pointerIfNS8_11hip_rocprim5par_tENS8_11use_defaultESE_EEEENSA_INSB_IlSD_SE_SE_EEEEZNS1_13binary_searchIS3_S5_PfSG_SI_NS1_21lower_bound_search_opENS9_16wrapped_functionINS8_6system6detail7generic6detail18binary_search_lessEbEEEE10hipError_tPvRmT1_T2_T3_mmT4_T5_P12ihipStream_tbEUlRKfE_EEST_SX_SY_mSZ_S12_bEUlT_E_NS1_11comp_targetILNS1_3genE9ELNS1_11target_archE1100ELNS1_3gpuE3ELNS1_3repE0EEENS1_30default_config_static_selectorELNS0_4arch9wavefront6targetE0EEEvSW_.has_recursion, 0
	.set _ZN7rocprim17ROCPRIM_400000_NS6detail17trampoline_kernelINS0_14default_configENS1_27lower_bound_config_selectorIflEEZNS1_14transform_implILb0ES3_S5_N6thrust23THRUST_200600_302600_NS6detail15normal_iteratorINS8_7pointerIfNS8_11hip_rocprim5par_tENS8_11use_defaultESE_EEEENSA_INSB_IlSD_SE_SE_EEEEZNS1_13binary_searchIS3_S5_PfSG_SI_NS1_21lower_bound_search_opENS9_16wrapped_functionINS8_6system6detail7generic6detail18binary_search_lessEbEEEE10hipError_tPvRmT1_T2_T3_mmT4_T5_P12ihipStream_tbEUlRKfE_EEST_SX_SY_mSZ_S12_bEUlT_E_NS1_11comp_targetILNS1_3genE9ELNS1_11target_archE1100ELNS1_3gpuE3ELNS1_3repE0EEENS1_30default_config_static_selectorELNS0_4arch9wavefront6targetE0EEEvSW_.has_indirect_call, 0
	.section	.AMDGPU.csdata,"",@progbits
; Kernel info:
; codeLenInByte = 0
; TotalNumSgprs: 0
; NumVgprs: 0
; ScratchSize: 0
; MemoryBound: 0
; FloatMode: 240
; IeeeMode: 1
; LDSByteSize: 0 bytes/workgroup (compile time only)
; SGPRBlocks: 0
; VGPRBlocks: 0
; NumSGPRsForWavesPerEU: 1
; NumVGPRsForWavesPerEU: 1
; Occupancy: 16
; WaveLimiterHint : 0
; COMPUTE_PGM_RSRC2:SCRATCH_EN: 0
; COMPUTE_PGM_RSRC2:USER_SGPR: 6
; COMPUTE_PGM_RSRC2:TRAP_HANDLER: 0
; COMPUTE_PGM_RSRC2:TGID_X_EN: 1
; COMPUTE_PGM_RSRC2:TGID_Y_EN: 0
; COMPUTE_PGM_RSRC2:TGID_Z_EN: 0
; COMPUTE_PGM_RSRC2:TIDIG_COMP_CNT: 0
	.section	.text._ZN7rocprim17ROCPRIM_400000_NS6detail17trampoline_kernelINS0_14default_configENS1_27lower_bound_config_selectorIflEEZNS1_14transform_implILb0ES3_S5_N6thrust23THRUST_200600_302600_NS6detail15normal_iteratorINS8_7pointerIfNS8_11hip_rocprim5par_tENS8_11use_defaultESE_EEEENSA_INSB_IlSD_SE_SE_EEEEZNS1_13binary_searchIS3_S5_PfSG_SI_NS1_21lower_bound_search_opENS9_16wrapped_functionINS8_6system6detail7generic6detail18binary_search_lessEbEEEE10hipError_tPvRmT1_T2_T3_mmT4_T5_P12ihipStream_tbEUlRKfE_EEST_SX_SY_mSZ_S12_bEUlT_E_NS1_11comp_targetILNS1_3genE8ELNS1_11target_archE1030ELNS1_3gpuE2ELNS1_3repE0EEENS1_30default_config_static_selectorELNS0_4arch9wavefront6targetE0EEEvSW_,"axG",@progbits,_ZN7rocprim17ROCPRIM_400000_NS6detail17trampoline_kernelINS0_14default_configENS1_27lower_bound_config_selectorIflEEZNS1_14transform_implILb0ES3_S5_N6thrust23THRUST_200600_302600_NS6detail15normal_iteratorINS8_7pointerIfNS8_11hip_rocprim5par_tENS8_11use_defaultESE_EEEENSA_INSB_IlSD_SE_SE_EEEEZNS1_13binary_searchIS3_S5_PfSG_SI_NS1_21lower_bound_search_opENS9_16wrapped_functionINS8_6system6detail7generic6detail18binary_search_lessEbEEEE10hipError_tPvRmT1_T2_T3_mmT4_T5_P12ihipStream_tbEUlRKfE_EEST_SX_SY_mSZ_S12_bEUlT_E_NS1_11comp_targetILNS1_3genE8ELNS1_11target_archE1030ELNS1_3gpuE2ELNS1_3repE0EEENS1_30default_config_static_selectorELNS0_4arch9wavefront6targetE0EEEvSW_,comdat
	.protected	_ZN7rocprim17ROCPRIM_400000_NS6detail17trampoline_kernelINS0_14default_configENS1_27lower_bound_config_selectorIflEEZNS1_14transform_implILb0ES3_S5_N6thrust23THRUST_200600_302600_NS6detail15normal_iteratorINS8_7pointerIfNS8_11hip_rocprim5par_tENS8_11use_defaultESE_EEEENSA_INSB_IlSD_SE_SE_EEEEZNS1_13binary_searchIS3_S5_PfSG_SI_NS1_21lower_bound_search_opENS9_16wrapped_functionINS8_6system6detail7generic6detail18binary_search_lessEbEEEE10hipError_tPvRmT1_T2_T3_mmT4_T5_P12ihipStream_tbEUlRKfE_EEST_SX_SY_mSZ_S12_bEUlT_E_NS1_11comp_targetILNS1_3genE8ELNS1_11target_archE1030ELNS1_3gpuE2ELNS1_3repE0EEENS1_30default_config_static_selectorELNS0_4arch9wavefront6targetE0EEEvSW_ ; -- Begin function _ZN7rocprim17ROCPRIM_400000_NS6detail17trampoline_kernelINS0_14default_configENS1_27lower_bound_config_selectorIflEEZNS1_14transform_implILb0ES3_S5_N6thrust23THRUST_200600_302600_NS6detail15normal_iteratorINS8_7pointerIfNS8_11hip_rocprim5par_tENS8_11use_defaultESE_EEEENSA_INSB_IlSD_SE_SE_EEEEZNS1_13binary_searchIS3_S5_PfSG_SI_NS1_21lower_bound_search_opENS9_16wrapped_functionINS8_6system6detail7generic6detail18binary_search_lessEbEEEE10hipError_tPvRmT1_T2_T3_mmT4_T5_P12ihipStream_tbEUlRKfE_EEST_SX_SY_mSZ_S12_bEUlT_E_NS1_11comp_targetILNS1_3genE8ELNS1_11target_archE1030ELNS1_3gpuE2ELNS1_3repE0EEENS1_30default_config_static_selectorELNS0_4arch9wavefront6targetE0EEEvSW_
	.globl	_ZN7rocprim17ROCPRIM_400000_NS6detail17trampoline_kernelINS0_14default_configENS1_27lower_bound_config_selectorIflEEZNS1_14transform_implILb0ES3_S5_N6thrust23THRUST_200600_302600_NS6detail15normal_iteratorINS8_7pointerIfNS8_11hip_rocprim5par_tENS8_11use_defaultESE_EEEENSA_INSB_IlSD_SE_SE_EEEEZNS1_13binary_searchIS3_S5_PfSG_SI_NS1_21lower_bound_search_opENS9_16wrapped_functionINS8_6system6detail7generic6detail18binary_search_lessEbEEEE10hipError_tPvRmT1_T2_T3_mmT4_T5_P12ihipStream_tbEUlRKfE_EEST_SX_SY_mSZ_S12_bEUlT_E_NS1_11comp_targetILNS1_3genE8ELNS1_11target_archE1030ELNS1_3gpuE2ELNS1_3repE0EEENS1_30default_config_static_selectorELNS0_4arch9wavefront6targetE0EEEvSW_
	.p2align	8
	.type	_ZN7rocprim17ROCPRIM_400000_NS6detail17trampoline_kernelINS0_14default_configENS1_27lower_bound_config_selectorIflEEZNS1_14transform_implILb0ES3_S5_N6thrust23THRUST_200600_302600_NS6detail15normal_iteratorINS8_7pointerIfNS8_11hip_rocprim5par_tENS8_11use_defaultESE_EEEENSA_INSB_IlSD_SE_SE_EEEEZNS1_13binary_searchIS3_S5_PfSG_SI_NS1_21lower_bound_search_opENS9_16wrapped_functionINS8_6system6detail7generic6detail18binary_search_lessEbEEEE10hipError_tPvRmT1_T2_T3_mmT4_T5_P12ihipStream_tbEUlRKfE_EEST_SX_SY_mSZ_S12_bEUlT_E_NS1_11comp_targetILNS1_3genE8ELNS1_11target_archE1030ELNS1_3gpuE2ELNS1_3repE0EEENS1_30default_config_static_selectorELNS0_4arch9wavefront6targetE0EEEvSW_,@function
_ZN7rocprim17ROCPRIM_400000_NS6detail17trampoline_kernelINS0_14default_configENS1_27lower_bound_config_selectorIflEEZNS1_14transform_implILb0ES3_S5_N6thrust23THRUST_200600_302600_NS6detail15normal_iteratorINS8_7pointerIfNS8_11hip_rocprim5par_tENS8_11use_defaultESE_EEEENSA_INSB_IlSD_SE_SE_EEEEZNS1_13binary_searchIS3_S5_PfSG_SI_NS1_21lower_bound_search_opENS9_16wrapped_functionINS8_6system6detail7generic6detail18binary_search_lessEbEEEE10hipError_tPvRmT1_T2_T3_mmT4_T5_P12ihipStream_tbEUlRKfE_EEST_SX_SY_mSZ_S12_bEUlT_E_NS1_11comp_targetILNS1_3genE8ELNS1_11target_archE1030ELNS1_3gpuE2ELNS1_3repE0EEENS1_30default_config_static_selectorELNS0_4arch9wavefront6targetE0EEEvSW_: ; @_ZN7rocprim17ROCPRIM_400000_NS6detail17trampoline_kernelINS0_14default_configENS1_27lower_bound_config_selectorIflEEZNS1_14transform_implILb0ES3_S5_N6thrust23THRUST_200600_302600_NS6detail15normal_iteratorINS8_7pointerIfNS8_11hip_rocprim5par_tENS8_11use_defaultESE_EEEENSA_INSB_IlSD_SE_SE_EEEEZNS1_13binary_searchIS3_S5_PfSG_SI_NS1_21lower_bound_search_opENS9_16wrapped_functionINS8_6system6detail7generic6detail18binary_search_lessEbEEEE10hipError_tPvRmT1_T2_T3_mmT4_T5_P12ihipStream_tbEUlRKfE_EEST_SX_SY_mSZ_S12_bEUlT_E_NS1_11comp_targetILNS1_3genE8ELNS1_11target_archE1030ELNS1_3gpuE2ELNS1_3repE0EEENS1_30default_config_static_selectorELNS0_4arch9wavefront6targetE0EEEvSW_
; %bb.0:
	s_clause 0x3
	s_load_dwordx4 s[12:15], s[4:5], 0x0
	s_load_dwordx4 s[0:3], s[4:5], 0x18
	s_load_dword s16, s[4:5], 0x38
	s_load_dwordx2 s[10:11], s[4:5], 0x28
	s_waitcnt lgkmcnt(0)
	s_lshl_b64 s[8:9], s[14:15], 2
	s_add_u32 s12, s12, s8
	s_addc_u32 s13, s13, s9
	s_lshl_b64 s[8:9], s[14:15], 3
	s_add_u32 s7, s0, s8
	s_addc_u32 s1, s1, s9
	s_add_i32 s16, s16, -1
	s_lshl_b32 s8, s6, 8
	s_mov_b32 s9, 0
	s_cmp_lg_u32 s6, s16
	s_mov_b32 s0, -1
	s_cbranch_scc0 .LBB41_7
; %bb.1:
	s_cmp_eq_u64 s[10:11], 0
	s_cbranch_scc1 .LBB41_5
; %bb.2:
	v_lshlrev_b32_e32 v1, 2, v0
	s_lshl_b64 s[14:15], s[8:9], 2
	v_mov_b32_e32 v3, s10
	s_add_u32 s0, s12, s14
	s_addc_u32 s6, s13, s15
	v_add_co_u32 v1, s0, s0, v1
	v_add_co_ci_u32_e64 v2, null, s6, 0, s0
	v_mov_b32_e32 v4, s11
	s_mov_b32 s0, 0
	flat_load_dword v5, v[1:2]
	v_mov_b32_e32 v1, 0
	v_mov_b32_e32 v2, 0
	s_inst_prefetch 0x1
	.p2align	6
.LBB41_3:                               ; =>This Inner Loop Header: Depth=1
	v_sub_co_u32 v6, vcc_lo, v3, v1
	v_sub_co_ci_u32_e64 v7, null, v4, v2, vcc_lo
	v_lshrrev_b64 v[8:9], 1, v[6:7]
	v_lshrrev_b64 v[6:7], 6, v[6:7]
	v_add_co_u32 v8, vcc_lo, v8, v1
	v_add_co_ci_u32_e64 v9, null, v9, v2, vcc_lo
	v_add_co_u32 v6, vcc_lo, v8, v6
	v_add_co_ci_u32_e64 v7, null, v9, v7, vcc_lo
	v_lshlrev_b64 v[8:9], 2, v[6:7]
	v_add_co_u32 v8, vcc_lo, s2, v8
	v_add_co_ci_u32_e64 v9, null, s3, v9, vcc_lo
	global_load_dword v8, v[8:9], off
	v_add_co_u32 v9, vcc_lo, v6, 1
	v_add_co_ci_u32_e64 v10, null, 0, v7, vcc_lo
	s_waitcnt vmcnt(0) lgkmcnt(0)
	v_cmp_lt_f32_e32 vcc_lo, v8, v5
	v_cndmask_b32_e32 v4, v7, v4, vcc_lo
	v_cndmask_b32_e32 v3, v6, v3, vcc_lo
	;; [unrolled: 1-line block ×4, first 2 shown]
	v_cmp_ge_u64_e32 vcc_lo, v[1:2], v[3:4]
	s_or_b32 s0, vcc_lo, s0
	s_andn2_b32 exec_lo, exec_lo, s0
	s_cbranch_execnz .LBB41_3
; %bb.4:
	s_inst_prefetch 0x2
	s_or_b32 exec_lo, exec_lo, s0
	s_branch .LBB41_6
.LBB41_5:
	v_mov_b32_e32 v1, 0
	v_mov_b32_e32 v2, 0
.LBB41_6:
	v_lshlrev_b32_e32 v3, 3, v0
	s_lshl_b64 s[14:15], s[8:9], 3
	s_add_u32 s0, s7, s14
	s_addc_u32 s6, s1, s15
	v_add_co_u32 v3, s0, s0, v3
	v_add_co_ci_u32_e64 v4, null, s6, 0, s0
	s_mov_b32 s0, 0
	flat_store_dwordx2 v[3:4], v[1:2]
.LBB41_7:
	s_and_b32 vcc_lo, exec_lo, s0
	s_cbranch_vccz .LBB41_16
; %bb.8:
	s_load_dword s0, s[4:5], 0x10
                                        ; implicit-def: $vgpr5
	s_waitcnt lgkmcnt(0)
	s_sub_i32 s4, s0, s8
	v_cmp_le_u32_e64 s0, s4, v0
	v_cmp_gt_u32_e32 vcc_lo, s4, v0
	s_and_saveexec_b32 s4, vcc_lo
	s_cbranch_execz .LBB41_10
; %bb.9:
	v_lshlrev_b32_e32 v1, 2, v0
	s_lshl_b64 s[14:15], s[8:9], 2
	s_add_u32 s5, s12, s14
	s_addc_u32 s6, s13, s15
	v_add_co_u32 v1, s5, s5, v1
	v_add_co_ci_u32_e64 v2, null, s6, 0, s5
	flat_load_dword v5, v[1:2]
.LBB41_10:
	s_or_b32 exec_lo, exec_lo, s4
	s_cmp_lg_u64 s[10:11], 0
	v_mov_b32_e32 v1, 0
	v_mov_b32_e32 v2, 0
	s_cselect_b32 s4, -1, 0
	s_xor_b32 s0, s0, -1
	s_and_b32 s0, s0, s4
	s_and_saveexec_b32 s4, s0
	s_cbranch_execz .LBB41_14
; %bb.11:
	v_mov_b32_e32 v1, 0
	v_mov_b32_e32 v3, s10
	;; [unrolled: 1-line block ×4, first 2 shown]
	s_mov_b32 s5, 0
	s_inst_prefetch 0x1
	.p2align	6
.LBB41_12:                              ; =>This Inner Loop Header: Depth=1
	v_sub_co_u32 v6, s0, v3, v1
	v_sub_co_ci_u32_e64 v7, null, v4, v2, s0
	v_lshrrev_b64 v[8:9], 1, v[6:7]
	v_lshrrev_b64 v[6:7], 6, v[6:7]
	v_add_co_u32 v8, s0, v8, v1
	v_add_co_ci_u32_e64 v9, null, v9, v2, s0
	v_add_co_u32 v6, s0, v8, v6
	v_add_co_ci_u32_e64 v7, null, v9, v7, s0
	v_lshlrev_b64 v[8:9], 2, v[6:7]
	v_add_co_u32 v8, s0, s2, v8
	v_add_co_ci_u32_e64 v9, null, s3, v9, s0
	global_load_dword v8, v[8:9], off
	v_add_co_u32 v9, s0, v6, 1
	v_add_co_ci_u32_e64 v10, null, 0, v7, s0
	s_waitcnt vmcnt(0) lgkmcnt(0)
	v_cmp_lt_f32_e64 s0, v8, v5
	v_cndmask_b32_e64 v4, v7, v4, s0
	v_cndmask_b32_e64 v3, v6, v3, s0
	;; [unrolled: 1-line block ×4, first 2 shown]
	v_cmp_ge_u64_e64 s0, v[1:2], v[3:4]
	s_or_b32 s5, s0, s5
	s_andn2_b32 exec_lo, exec_lo, s5
	s_cbranch_execnz .LBB41_12
; %bb.13:
	s_inst_prefetch 0x2
	s_or_b32 exec_lo, exec_lo, s5
.LBB41_14:
	s_or_b32 exec_lo, exec_lo, s4
	s_and_saveexec_b32 s0, vcc_lo
	s_cbranch_execz .LBB41_16
; %bb.15:
	v_lshlrev_b32_e32 v0, 3, v0
	s_lshl_b64 s[2:3], s[8:9], 3
	s_add_u32 s0, s7, s2
	s_addc_u32 s1, s1, s3
	v_add_co_u32 v3, s0, s0, v0
	v_add_co_ci_u32_e64 v4, null, s1, 0, s0
	flat_store_dwordx2 v[3:4], v[1:2]
.LBB41_16:
	s_endpgm
	.section	.rodata,"a",@progbits
	.p2align	6, 0x0
	.amdhsa_kernel _ZN7rocprim17ROCPRIM_400000_NS6detail17trampoline_kernelINS0_14default_configENS1_27lower_bound_config_selectorIflEEZNS1_14transform_implILb0ES3_S5_N6thrust23THRUST_200600_302600_NS6detail15normal_iteratorINS8_7pointerIfNS8_11hip_rocprim5par_tENS8_11use_defaultESE_EEEENSA_INSB_IlSD_SE_SE_EEEEZNS1_13binary_searchIS3_S5_PfSG_SI_NS1_21lower_bound_search_opENS9_16wrapped_functionINS8_6system6detail7generic6detail18binary_search_lessEbEEEE10hipError_tPvRmT1_T2_T3_mmT4_T5_P12ihipStream_tbEUlRKfE_EEST_SX_SY_mSZ_S12_bEUlT_E_NS1_11comp_targetILNS1_3genE8ELNS1_11target_archE1030ELNS1_3gpuE2ELNS1_3repE0EEENS1_30default_config_static_selectorELNS0_4arch9wavefront6targetE0EEEvSW_
		.amdhsa_group_segment_fixed_size 0
		.amdhsa_private_segment_fixed_size 0
		.amdhsa_kernarg_size 312
		.amdhsa_user_sgpr_count 6
		.amdhsa_user_sgpr_private_segment_buffer 1
		.amdhsa_user_sgpr_dispatch_ptr 0
		.amdhsa_user_sgpr_queue_ptr 0
		.amdhsa_user_sgpr_kernarg_segment_ptr 1
		.amdhsa_user_sgpr_dispatch_id 0
		.amdhsa_user_sgpr_flat_scratch_init 0
		.amdhsa_user_sgpr_private_segment_size 0
		.amdhsa_wavefront_size32 1
		.amdhsa_uses_dynamic_stack 0
		.amdhsa_system_sgpr_private_segment_wavefront_offset 0
		.amdhsa_system_sgpr_workgroup_id_x 1
		.amdhsa_system_sgpr_workgroup_id_y 0
		.amdhsa_system_sgpr_workgroup_id_z 0
		.amdhsa_system_sgpr_workgroup_info 0
		.amdhsa_system_vgpr_workitem_id 0
		.amdhsa_next_free_vgpr 11
		.amdhsa_next_free_sgpr 17
		.amdhsa_reserve_vcc 1
		.amdhsa_reserve_flat_scratch 0
		.amdhsa_float_round_mode_32 0
		.amdhsa_float_round_mode_16_64 0
		.amdhsa_float_denorm_mode_32 3
		.amdhsa_float_denorm_mode_16_64 3
		.amdhsa_dx10_clamp 1
		.amdhsa_ieee_mode 1
		.amdhsa_fp16_overflow 0
		.amdhsa_workgroup_processor_mode 1
		.amdhsa_memory_ordered 1
		.amdhsa_forward_progress 1
		.amdhsa_shared_vgpr_count 0
		.amdhsa_exception_fp_ieee_invalid_op 0
		.amdhsa_exception_fp_denorm_src 0
		.amdhsa_exception_fp_ieee_div_zero 0
		.amdhsa_exception_fp_ieee_overflow 0
		.amdhsa_exception_fp_ieee_underflow 0
		.amdhsa_exception_fp_ieee_inexact 0
		.amdhsa_exception_int_div_zero 0
	.end_amdhsa_kernel
	.section	.text._ZN7rocprim17ROCPRIM_400000_NS6detail17trampoline_kernelINS0_14default_configENS1_27lower_bound_config_selectorIflEEZNS1_14transform_implILb0ES3_S5_N6thrust23THRUST_200600_302600_NS6detail15normal_iteratorINS8_7pointerIfNS8_11hip_rocprim5par_tENS8_11use_defaultESE_EEEENSA_INSB_IlSD_SE_SE_EEEEZNS1_13binary_searchIS3_S5_PfSG_SI_NS1_21lower_bound_search_opENS9_16wrapped_functionINS8_6system6detail7generic6detail18binary_search_lessEbEEEE10hipError_tPvRmT1_T2_T3_mmT4_T5_P12ihipStream_tbEUlRKfE_EEST_SX_SY_mSZ_S12_bEUlT_E_NS1_11comp_targetILNS1_3genE8ELNS1_11target_archE1030ELNS1_3gpuE2ELNS1_3repE0EEENS1_30default_config_static_selectorELNS0_4arch9wavefront6targetE0EEEvSW_,"axG",@progbits,_ZN7rocprim17ROCPRIM_400000_NS6detail17trampoline_kernelINS0_14default_configENS1_27lower_bound_config_selectorIflEEZNS1_14transform_implILb0ES3_S5_N6thrust23THRUST_200600_302600_NS6detail15normal_iteratorINS8_7pointerIfNS8_11hip_rocprim5par_tENS8_11use_defaultESE_EEEENSA_INSB_IlSD_SE_SE_EEEEZNS1_13binary_searchIS3_S5_PfSG_SI_NS1_21lower_bound_search_opENS9_16wrapped_functionINS8_6system6detail7generic6detail18binary_search_lessEbEEEE10hipError_tPvRmT1_T2_T3_mmT4_T5_P12ihipStream_tbEUlRKfE_EEST_SX_SY_mSZ_S12_bEUlT_E_NS1_11comp_targetILNS1_3genE8ELNS1_11target_archE1030ELNS1_3gpuE2ELNS1_3repE0EEENS1_30default_config_static_selectorELNS0_4arch9wavefront6targetE0EEEvSW_,comdat
.Lfunc_end41:
	.size	_ZN7rocprim17ROCPRIM_400000_NS6detail17trampoline_kernelINS0_14default_configENS1_27lower_bound_config_selectorIflEEZNS1_14transform_implILb0ES3_S5_N6thrust23THRUST_200600_302600_NS6detail15normal_iteratorINS8_7pointerIfNS8_11hip_rocprim5par_tENS8_11use_defaultESE_EEEENSA_INSB_IlSD_SE_SE_EEEEZNS1_13binary_searchIS3_S5_PfSG_SI_NS1_21lower_bound_search_opENS9_16wrapped_functionINS8_6system6detail7generic6detail18binary_search_lessEbEEEE10hipError_tPvRmT1_T2_T3_mmT4_T5_P12ihipStream_tbEUlRKfE_EEST_SX_SY_mSZ_S12_bEUlT_E_NS1_11comp_targetILNS1_3genE8ELNS1_11target_archE1030ELNS1_3gpuE2ELNS1_3repE0EEENS1_30default_config_static_selectorELNS0_4arch9wavefront6targetE0EEEvSW_, .Lfunc_end41-_ZN7rocprim17ROCPRIM_400000_NS6detail17trampoline_kernelINS0_14default_configENS1_27lower_bound_config_selectorIflEEZNS1_14transform_implILb0ES3_S5_N6thrust23THRUST_200600_302600_NS6detail15normal_iteratorINS8_7pointerIfNS8_11hip_rocprim5par_tENS8_11use_defaultESE_EEEENSA_INSB_IlSD_SE_SE_EEEEZNS1_13binary_searchIS3_S5_PfSG_SI_NS1_21lower_bound_search_opENS9_16wrapped_functionINS8_6system6detail7generic6detail18binary_search_lessEbEEEE10hipError_tPvRmT1_T2_T3_mmT4_T5_P12ihipStream_tbEUlRKfE_EEST_SX_SY_mSZ_S12_bEUlT_E_NS1_11comp_targetILNS1_3genE8ELNS1_11target_archE1030ELNS1_3gpuE2ELNS1_3repE0EEENS1_30default_config_static_selectorELNS0_4arch9wavefront6targetE0EEEvSW_
                                        ; -- End function
	.set _ZN7rocprim17ROCPRIM_400000_NS6detail17trampoline_kernelINS0_14default_configENS1_27lower_bound_config_selectorIflEEZNS1_14transform_implILb0ES3_S5_N6thrust23THRUST_200600_302600_NS6detail15normal_iteratorINS8_7pointerIfNS8_11hip_rocprim5par_tENS8_11use_defaultESE_EEEENSA_INSB_IlSD_SE_SE_EEEEZNS1_13binary_searchIS3_S5_PfSG_SI_NS1_21lower_bound_search_opENS9_16wrapped_functionINS8_6system6detail7generic6detail18binary_search_lessEbEEEE10hipError_tPvRmT1_T2_T3_mmT4_T5_P12ihipStream_tbEUlRKfE_EEST_SX_SY_mSZ_S12_bEUlT_E_NS1_11comp_targetILNS1_3genE8ELNS1_11target_archE1030ELNS1_3gpuE2ELNS1_3repE0EEENS1_30default_config_static_selectorELNS0_4arch9wavefront6targetE0EEEvSW_.num_vgpr, 11
	.set _ZN7rocprim17ROCPRIM_400000_NS6detail17trampoline_kernelINS0_14default_configENS1_27lower_bound_config_selectorIflEEZNS1_14transform_implILb0ES3_S5_N6thrust23THRUST_200600_302600_NS6detail15normal_iteratorINS8_7pointerIfNS8_11hip_rocprim5par_tENS8_11use_defaultESE_EEEENSA_INSB_IlSD_SE_SE_EEEEZNS1_13binary_searchIS3_S5_PfSG_SI_NS1_21lower_bound_search_opENS9_16wrapped_functionINS8_6system6detail7generic6detail18binary_search_lessEbEEEE10hipError_tPvRmT1_T2_T3_mmT4_T5_P12ihipStream_tbEUlRKfE_EEST_SX_SY_mSZ_S12_bEUlT_E_NS1_11comp_targetILNS1_3genE8ELNS1_11target_archE1030ELNS1_3gpuE2ELNS1_3repE0EEENS1_30default_config_static_selectorELNS0_4arch9wavefront6targetE0EEEvSW_.num_agpr, 0
	.set _ZN7rocprim17ROCPRIM_400000_NS6detail17trampoline_kernelINS0_14default_configENS1_27lower_bound_config_selectorIflEEZNS1_14transform_implILb0ES3_S5_N6thrust23THRUST_200600_302600_NS6detail15normal_iteratorINS8_7pointerIfNS8_11hip_rocprim5par_tENS8_11use_defaultESE_EEEENSA_INSB_IlSD_SE_SE_EEEEZNS1_13binary_searchIS3_S5_PfSG_SI_NS1_21lower_bound_search_opENS9_16wrapped_functionINS8_6system6detail7generic6detail18binary_search_lessEbEEEE10hipError_tPvRmT1_T2_T3_mmT4_T5_P12ihipStream_tbEUlRKfE_EEST_SX_SY_mSZ_S12_bEUlT_E_NS1_11comp_targetILNS1_3genE8ELNS1_11target_archE1030ELNS1_3gpuE2ELNS1_3repE0EEENS1_30default_config_static_selectorELNS0_4arch9wavefront6targetE0EEEvSW_.numbered_sgpr, 17
	.set _ZN7rocprim17ROCPRIM_400000_NS6detail17trampoline_kernelINS0_14default_configENS1_27lower_bound_config_selectorIflEEZNS1_14transform_implILb0ES3_S5_N6thrust23THRUST_200600_302600_NS6detail15normal_iteratorINS8_7pointerIfNS8_11hip_rocprim5par_tENS8_11use_defaultESE_EEEENSA_INSB_IlSD_SE_SE_EEEEZNS1_13binary_searchIS3_S5_PfSG_SI_NS1_21lower_bound_search_opENS9_16wrapped_functionINS8_6system6detail7generic6detail18binary_search_lessEbEEEE10hipError_tPvRmT1_T2_T3_mmT4_T5_P12ihipStream_tbEUlRKfE_EEST_SX_SY_mSZ_S12_bEUlT_E_NS1_11comp_targetILNS1_3genE8ELNS1_11target_archE1030ELNS1_3gpuE2ELNS1_3repE0EEENS1_30default_config_static_selectorELNS0_4arch9wavefront6targetE0EEEvSW_.num_named_barrier, 0
	.set _ZN7rocprim17ROCPRIM_400000_NS6detail17trampoline_kernelINS0_14default_configENS1_27lower_bound_config_selectorIflEEZNS1_14transform_implILb0ES3_S5_N6thrust23THRUST_200600_302600_NS6detail15normal_iteratorINS8_7pointerIfNS8_11hip_rocprim5par_tENS8_11use_defaultESE_EEEENSA_INSB_IlSD_SE_SE_EEEEZNS1_13binary_searchIS3_S5_PfSG_SI_NS1_21lower_bound_search_opENS9_16wrapped_functionINS8_6system6detail7generic6detail18binary_search_lessEbEEEE10hipError_tPvRmT1_T2_T3_mmT4_T5_P12ihipStream_tbEUlRKfE_EEST_SX_SY_mSZ_S12_bEUlT_E_NS1_11comp_targetILNS1_3genE8ELNS1_11target_archE1030ELNS1_3gpuE2ELNS1_3repE0EEENS1_30default_config_static_selectorELNS0_4arch9wavefront6targetE0EEEvSW_.private_seg_size, 0
	.set _ZN7rocprim17ROCPRIM_400000_NS6detail17trampoline_kernelINS0_14default_configENS1_27lower_bound_config_selectorIflEEZNS1_14transform_implILb0ES3_S5_N6thrust23THRUST_200600_302600_NS6detail15normal_iteratorINS8_7pointerIfNS8_11hip_rocprim5par_tENS8_11use_defaultESE_EEEENSA_INSB_IlSD_SE_SE_EEEEZNS1_13binary_searchIS3_S5_PfSG_SI_NS1_21lower_bound_search_opENS9_16wrapped_functionINS8_6system6detail7generic6detail18binary_search_lessEbEEEE10hipError_tPvRmT1_T2_T3_mmT4_T5_P12ihipStream_tbEUlRKfE_EEST_SX_SY_mSZ_S12_bEUlT_E_NS1_11comp_targetILNS1_3genE8ELNS1_11target_archE1030ELNS1_3gpuE2ELNS1_3repE0EEENS1_30default_config_static_selectorELNS0_4arch9wavefront6targetE0EEEvSW_.uses_vcc, 1
	.set _ZN7rocprim17ROCPRIM_400000_NS6detail17trampoline_kernelINS0_14default_configENS1_27lower_bound_config_selectorIflEEZNS1_14transform_implILb0ES3_S5_N6thrust23THRUST_200600_302600_NS6detail15normal_iteratorINS8_7pointerIfNS8_11hip_rocprim5par_tENS8_11use_defaultESE_EEEENSA_INSB_IlSD_SE_SE_EEEEZNS1_13binary_searchIS3_S5_PfSG_SI_NS1_21lower_bound_search_opENS9_16wrapped_functionINS8_6system6detail7generic6detail18binary_search_lessEbEEEE10hipError_tPvRmT1_T2_T3_mmT4_T5_P12ihipStream_tbEUlRKfE_EEST_SX_SY_mSZ_S12_bEUlT_E_NS1_11comp_targetILNS1_3genE8ELNS1_11target_archE1030ELNS1_3gpuE2ELNS1_3repE0EEENS1_30default_config_static_selectorELNS0_4arch9wavefront6targetE0EEEvSW_.uses_flat_scratch, 0
	.set _ZN7rocprim17ROCPRIM_400000_NS6detail17trampoline_kernelINS0_14default_configENS1_27lower_bound_config_selectorIflEEZNS1_14transform_implILb0ES3_S5_N6thrust23THRUST_200600_302600_NS6detail15normal_iteratorINS8_7pointerIfNS8_11hip_rocprim5par_tENS8_11use_defaultESE_EEEENSA_INSB_IlSD_SE_SE_EEEEZNS1_13binary_searchIS3_S5_PfSG_SI_NS1_21lower_bound_search_opENS9_16wrapped_functionINS8_6system6detail7generic6detail18binary_search_lessEbEEEE10hipError_tPvRmT1_T2_T3_mmT4_T5_P12ihipStream_tbEUlRKfE_EEST_SX_SY_mSZ_S12_bEUlT_E_NS1_11comp_targetILNS1_3genE8ELNS1_11target_archE1030ELNS1_3gpuE2ELNS1_3repE0EEENS1_30default_config_static_selectorELNS0_4arch9wavefront6targetE0EEEvSW_.has_dyn_sized_stack, 0
	.set _ZN7rocprim17ROCPRIM_400000_NS6detail17trampoline_kernelINS0_14default_configENS1_27lower_bound_config_selectorIflEEZNS1_14transform_implILb0ES3_S5_N6thrust23THRUST_200600_302600_NS6detail15normal_iteratorINS8_7pointerIfNS8_11hip_rocprim5par_tENS8_11use_defaultESE_EEEENSA_INSB_IlSD_SE_SE_EEEEZNS1_13binary_searchIS3_S5_PfSG_SI_NS1_21lower_bound_search_opENS9_16wrapped_functionINS8_6system6detail7generic6detail18binary_search_lessEbEEEE10hipError_tPvRmT1_T2_T3_mmT4_T5_P12ihipStream_tbEUlRKfE_EEST_SX_SY_mSZ_S12_bEUlT_E_NS1_11comp_targetILNS1_3genE8ELNS1_11target_archE1030ELNS1_3gpuE2ELNS1_3repE0EEENS1_30default_config_static_selectorELNS0_4arch9wavefront6targetE0EEEvSW_.has_recursion, 0
	.set _ZN7rocprim17ROCPRIM_400000_NS6detail17trampoline_kernelINS0_14default_configENS1_27lower_bound_config_selectorIflEEZNS1_14transform_implILb0ES3_S5_N6thrust23THRUST_200600_302600_NS6detail15normal_iteratorINS8_7pointerIfNS8_11hip_rocprim5par_tENS8_11use_defaultESE_EEEENSA_INSB_IlSD_SE_SE_EEEEZNS1_13binary_searchIS3_S5_PfSG_SI_NS1_21lower_bound_search_opENS9_16wrapped_functionINS8_6system6detail7generic6detail18binary_search_lessEbEEEE10hipError_tPvRmT1_T2_T3_mmT4_T5_P12ihipStream_tbEUlRKfE_EEST_SX_SY_mSZ_S12_bEUlT_E_NS1_11comp_targetILNS1_3genE8ELNS1_11target_archE1030ELNS1_3gpuE2ELNS1_3repE0EEENS1_30default_config_static_selectorELNS0_4arch9wavefront6targetE0EEEvSW_.has_indirect_call, 0
	.section	.AMDGPU.csdata,"",@progbits
; Kernel info:
; codeLenInByte = 816
; TotalNumSgprs: 19
; NumVgprs: 11
; ScratchSize: 0
; MemoryBound: 0
; FloatMode: 240
; IeeeMode: 1
; LDSByteSize: 0 bytes/workgroup (compile time only)
; SGPRBlocks: 0
; VGPRBlocks: 1
; NumSGPRsForWavesPerEU: 19
; NumVGPRsForWavesPerEU: 11
; Occupancy: 16
; WaveLimiterHint : 0
; COMPUTE_PGM_RSRC2:SCRATCH_EN: 0
; COMPUTE_PGM_RSRC2:USER_SGPR: 6
; COMPUTE_PGM_RSRC2:TRAP_HANDLER: 0
; COMPUTE_PGM_RSRC2:TGID_X_EN: 1
; COMPUTE_PGM_RSRC2:TGID_Y_EN: 0
; COMPUTE_PGM_RSRC2:TGID_Z_EN: 0
; COMPUTE_PGM_RSRC2:TIDIG_COMP_CNT: 0
	.section	.text._ZN6thrust23THRUST_200600_302600_NS11hip_rocprim14__parallel_for6kernelILj256ENS1_20__uninitialized_fill7functorINS0_10device_ptrIyEEyEEmLj1EEEvT0_T1_SA_,"axG",@progbits,_ZN6thrust23THRUST_200600_302600_NS11hip_rocprim14__parallel_for6kernelILj256ENS1_20__uninitialized_fill7functorINS0_10device_ptrIyEEyEEmLj1EEEvT0_T1_SA_,comdat
	.protected	_ZN6thrust23THRUST_200600_302600_NS11hip_rocprim14__parallel_for6kernelILj256ENS1_20__uninitialized_fill7functorINS0_10device_ptrIyEEyEEmLj1EEEvT0_T1_SA_ ; -- Begin function _ZN6thrust23THRUST_200600_302600_NS11hip_rocprim14__parallel_for6kernelILj256ENS1_20__uninitialized_fill7functorINS0_10device_ptrIyEEyEEmLj1EEEvT0_T1_SA_
	.globl	_ZN6thrust23THRUST_200600_302600_NS11hip_rocprim14__parallel_for6kernelILj256ENS1_20__uninitialized_fill7functorINS0_10device_ptrIyEEyEEmLj1EEEvT0_T1_SA_
	.p2align	8
	.type	_ZN6thrust23THRUST_200600_302600_NS11hip_rocprim14__parallel_for6kernelILj256ENS1_20__uninitialized_fill7functorINS0_10device_ptrIyEEyEEmLj1EEEvT0_T1_SA_,@function
_ZN6thrust23THRUST_200600_302600_NS11hip_rocprim14__parallel_for6kernelILj256ENS1_20__uninitialized_fill7functorINS0_10device_ptrIyEEyEEmLj1EEEvT0_T1_SA_: ; @_ZN6thrust23THRUST_200600_302600_NS11hip_rocprim14__parallel_for6kernelILj256ENS1_20__uninitialized_fill7functorINS0_10device_ptrIyEEyEEmLj1EEEvT0_T1_SA_
; %bb.0:
	s_load_dwordx8 s[8:15], s[4:5], 0x0
	s_lshl_b32 s0, s6, 8
	s_waitcnt lgkmcnt(0)
	s_add_u32 s0, s14, s0
	s_addc_u32 s1, s15, 0
	s_sub_u32 s2, s12, s0
	s_subb_u32 s3, s13, s1
	v_cmp_lt_u64_e64 s3, 0xff, s[2:3]
	s_and_b32 vcc_lo, exec_lo, s3
	s_mov_b32 s3, -1
	s_cbranch_vccz .LBB42_3
; %bb.1:
	s_andn2_b32 vcc_lo, exec_lo, s3
	s_cbranch_vccz .LBB42_6
.LBB42_2:
	s_endpgm
.LBB42_3:
	v_cmp_gt_u32_e32 vcc_lo, s2, v0
	s_and_saveexec_b32 s2, vcc_lo
	s_cbranch_execz .LBB42_5
; %bb.4:
	v_lshlrev_b32_e32 v1, 3, v0
	s_lshl_b64 s[4:5], s[0:1], 3
	v_mov_b32_e32 v3, s10
	s_add_u32 s3, s8, s4
	s_addc_u32 s4, s9, s5
	v_add_co_u32 v1, s3, s3, v1
	v_add_co_ci_u32_e64 v2, null, s4, 0, s3
	v_mov_b32_e32 v4, s11
	flat_store_dwordx2 v[1:2], v[3:4]
.LBB42_5:
	s_or_b32 exec_lo, exec_lo, s2
	s_cbranch_execnz .LBB42_2
.LBB42_6:
	v_lshlrev_b32_e32 v0, 3, v0
	s_lshl_b64 s[0:1], s[0:1], 3
	v_mov_b32_e32 v2, s10
	s_add_u32 s0, s8, s0
	s_addc_u32 s1, s9, s1
	v_add_co_u32 v0, s0, s0, v0
	v_add_co_ci_u32_e64 v1, null, s1, 0, s0
	v_mov_b32_e32 v3, s11
	flat_store_dwordx2 v[0:1], v[2:3]
	s_endpgm
	.section	.rodata,"a",@progbits
	.p2align	6, 0x0
	.amdhsa_kernel _ZN6thrust23THRUST_200600_302600_NS11hip_rocprim14__parallel_for6kernelILj256ENS1_20__uninitialized_fill7functorINS0_10device_ptrIyEEyEEmLj1EEEvT0_T1_SA_
		.amdhsa_group_segment_fixed_size 0
		.amdhsa_private_segment_fixed_size 0
		.amdhsa_kernarg_size 32
		.amdhsa_user_sgpr_count 6
		.amdhsa_user_sgpr_private_segment_buffer 1
		.amdhsa_user_sgpr_dispatch_ptr 0
		.amdhsa_user_sgpr_queue_ptr 0
		.amdhsa_user_sgpr_kernarg_segment_ptr 1
		.amdhsa_user_sgpr_dispatch_id 0
		.amdhsa_user_sgpr_flat_scratch_init 0
		.amdhsa_user_sgpr_private_segment_size 0
		.amdhsa_wavefront_size32 1
		.amdhsa_uses_dynamic_stack 0
		.amdhsa_system_sgpr_private_segment_wavefront_offset 0
		.amdhsa_system_sgpr_workgroup_id_x 1
		.amdhsa_system_sgpr_workgroup_id_y 0
		.amdhsa_system_sgpr_workgroup_id_z 0
		.amdhsa_system_sgpr_workgroup_info 0
		.amdhsa_system_vgpr_workitem_id 0
		.amdhsa_next_free_vgpr 5
		.amdhsa_next_free_sgpr 16
		.amdhsa_reserve_vcc 1
		.amdhsa_reserve_flat_scratch 0
		.amdhsa_float_round_mode_32 0
		.amdhsa_float_round_mode_16_64 0
		.amdhsa_float_denorm_mode_32 3
		.amdhsa_float_denorm_mode_16_64 3
		.amdhsa_dx10_clamp 1
		.amdhsa_ieee_mode 1
		.amdhsa_fp16_overflow 0
		.amdhsa_workgroup_processor_mode 1
		.amdhsa_memory_ordered 1
		.amdhsa_forward_progress 1
		.amdhsa_shared_vgpr_count 0
		.amdhsa_exception_fp_ieee_invalid_op 0
		.amdhsa_exception_fp_denorm_src 0
		.amdhsa_exception_fp_ieee_div_zero 0
		.amdhsa_exception_fp_ieee_overflow 0
		.amdhsa_exception_fp_ieee_underflow 0
		.amdhsa_exception_fp_ieee_inexact 0
		.amdhsa_exception_int_div_zero 0
	.end_amdhsa_kernel
	.section	.text._ZN6thrust23THRUST_200600_302600_NS11hip_rocprim14__parallel_for6kernelILj256ENS1_20__uninitialized_fill7functorINS0_10device_ptrIyEEyEEmLj1EEEvT0_T1_SA_,"axG",@progbits,_ZN6thrust23THRUST_200600_302600_NS11hip_rocprim14__parallel_for6kernelILj256ENS1_20__uninitialized_fill7functorINS0_10device_ptrIyEEyEEmLj1EEEvT0_T1_SA_,comdat
.Lfunc_end42:
	.size	_ZN6thrust23THRUST_200600_302600_NS11hip_rocprim14__parallel_for6kernelILj256ENS1_20__uninitialized_fill7functorINS0_10device_ptrIyEEyEEmLj1EEEvT0_T1_SA_, .Lfunc_end42-_ZN6thrust23THRUST_200600_302600_NS11hip_rocprim14__parallel_for6kernelILj256ENS1_20__uninitialized_fill7functorINS0_10device_ptrIyEEyEEmLj1EEEvT0_T1_SA_
                                        ; -- End function
	.set _ZN6thrust23THRUST_200600_302600_NS11hip_rocprim14__parallel_for6kernelILj256ENS1_20__uninitialized_fill7functorINS0_10device_ptrIyEEyEEmLj1EEEvT0_T1_SA_.num_vgpr, 5
	.set _ZN6thrust23THRUST_200600_302600_NS11hip_rocprim14__parallel_for6kernelILj256ENS1_20__uninitialized_fill7functorINS0_10device_ptrIyEEyEEmLj1EEEvT0_T1_SA_.num_agpr, 0
	.set _ZN6thrust23THRUST_200600_302600_NS11hip_rocprim14__parallel_for6kernelILj256ENS1_20__uninitialized_fill7functorINS0_10device_ptrIyEEyEEmLj1EEEvT0_T1_SA_.numbered_sgpr, 16
	.set _ZN6thrust23THRUST_200600_302600_NS11hip_rocprim14__parallel_for6kernelILj256ENS1_20__uninitialized_fill7functorINS0_10device_ptrIyEEyEEmLj1EEEvT0_T1_SA_.num_named_barrier, 0
	.set _ZN6thrust23THRUST_200600_302600_NS11hip_rocprim14__parallel_for6kernelILj256ENS1_20__uninitialized_fill7functorINS0_10device_ptrIyEEyEEmLj1EEEvT0_T1_SA_.private_seg_size, 0
	.set _ZN6thrust23THRUST_200600_302600_NS11hip_rocprim14__parallel_for6kernelILj256ENS1_20__uninitialized_fill7functorINS0_10device_ptrIyEEyEEmLj1EEEvT0_T1_SA_.uses_vcc, 1
	.set _ZN6thrust23THRUST_200600_302600_NS11hip_rocprim14__parallel_for6kernelILj256ENS1_20__uninitialized_fill7functorINS0_10device_ptrIyEEyEEmLj1EEEvT0_T1_SA_.uses_flat_scratch, 0
	.set _ZN6thrust23THRUST_200600_302600_NS11hip_rocprim14__parallel_for6kernelILj256ENS1_20__uninitialized_fill7functorINS0_10device_ptrIyEEyEEmLj1EEEvT0_T1_SA_.has_dyn_sized_stack, 0
	.set _ZN6thrust23THRUST_200600_302600_NS11hip_rocprim14__parallel_for6kernelILj256ENS1_20__uninitialized_fill7functorINS0_10device_ptrIyEEyEEmLj1EEEvT0_T1_SA_.has_recursion, 0
	.set _ZN6thrust23THRUST_200600_302600_NS11hip_rocprim14__parallel_for6kernelILj256ENS1_20__uninitialized_fill7functorINS0_10device_ptrIyEEyEEmLj1EEEvT0_T1_SA_.has_indirect_call, 0
	.section	.AMDGPU.csdata,"",@progbits
; Kernel info:
; codeLenInByte = 188
; TotalNumSgprs: 18
; NumVgprs: 5
; ScratchSize: 0
; MemoryBound: 0
; FloatMode: 240
; IeeeMode: 1
; LDSByteSize: 0 bytes/workgroup (compile time only)
; SGPRBlocks: 0
; VGPRBlocks: 0
; NumSGPRsForWavesPerEU: 18
; NumVGPRsForWavesPerEU: 5
; Occupancy: 16
; WaveLimiterHint : 0
; COMPUTE_PGM_RSRC2:SCRATCH_EN: 0
; COMPUTE_PGM_RSRC2:USER_SGPR: 6
; COMPUTE_PGM_RSRC2:TRAP_HANDLER: 0
; COMPUTE_PGM_RSRC2:TGID_X_EN: 1
; COMPUTE_PGM_RSRC2:TGID_Y_EN: 0
; COMPUTE_PGM_RSRC2:TGID_Z_EN: 0
; COMPUTE_PGM_RSRC2:TIDIG_COMP_CNT: 0
	.section	.text._Z18lower_bound_kernelIyEvmPT_Pl,"axG",@progbits,_Z18lower_bound_kernelIyEvmPT_Pl,comdat
	.protected	_Z18lower_bound_kernelIyEvmPT_Pl ; -- Begin function _Z18lower_bound_kernelIyEvmPT_Pl
	.globl	_Z18lower_bound_kernelIyEvmPT_Pl
	.p2align	8
	.type	_Z18lower_bound_kernelIyEvmPT_Pl,@function
_Z18lower_bound_kernelIyEvmPT_Pl:       ; @_Z18lower_bound_kernelIyEvmPT_Pl
; %bb.0:
	s_clause 0x1
	s_load_dwordx4 s[0:3], s[4:5], 0x0
	s_load_dwordx2 s[4:5], s[4:5], 0x10
	v_mov_b32_e32 v0, 0
	v_mov_b32_e32 v1, v0
	s_waitcnt lgkmcnt(0)
	s_lshl_b64 s[0:1], s[0:1], 3
	global_store_dwordx2 v0, v[0:1], s[4:5]
	s_add_u32 s0, s2, s0
	s_addc_u32 s1, s3, s1
	s_sub_u32 s0, s0, s2
	s_subb_u32 s1, s1, s3
	s_ashr_i64 s[6:7], s[0:1], 3
	s_mov_b32 s1, -1
	v_cmp_lt_i64_e64 s0, s[6:7], 1
	s_and_b32 s0, exec_lo, s0
	s_mov_b32 vcc_lo, s0
	s_cbranch_vccz .LBB43_2
; %bb.1:
	v_mov_b32_e32 v1, v0
	v_mov_b32_e32 v2, v0
	;; [unrolled: 1-line block ×3, first 2 shown]
	s_mov_b32 s1, 0
	global_store_dwordx4 v0, v[0:3], s[4:5] offset:8
.LBB43_2:
	s_andn2_b32 vcc_lo, exec_lo, s1
	s_mov_b64 s[8:9], 0
	s_cbranch_vccnz .LBB43_9
; %bb.3:
	s_mov_b64 s[10:11], s[6:7]
	.p2align	6
.LBB43_4:                               ; =>This Inner Loop Header: Depth=1
	s_sub_u32 s12, s10, s8
	s_subb_u32 s13, s11, s9
	s_lshr_b64 s[12:13], s[12:13], 1
	s_add_u32 s12, s12, s8
	s_addc_u32 s13, s13, s9
	s_lshl_b64 s[14:15], s[12:13], 3
	s_add_u32 s14, s2, s14
	s_addc_u32 s15, s3, s15
	s_add_u32 s1, s12, 1
	s_load_dwordx2 s[14:15], s[14:15], 0x0
	s_addc_u32 s16, s13, 0
	s_waitcnt lgkmcnt(0)
	s_cmp_eq_u64 s[14:15], 0
	s_cselect_b32 s9, s16, s9
	s_cselect_b32 s8, s1, s8
	s_cselect_b32 s11, s11, s13
	s_cselect_b32 s10, s10, s12
	v_cmp_lt_i64_e64 s1, s[8:9], s[10:11]
	s_and_b32 vcc_lo, exec_lo, s1
	s_cbranch_vccnz .LBB43_4
; %bb.5:
	s_lshl_b64 s[8:9], s[8:9], 3
	v_mov_b32_e32 v2, 0
	s_add_u32 s1, s2, s8
	s_addc_u32 s9, s3, s9
	s_sub_u32 s8, s1, s2
	s_subb_u32 s9, s9, s3
	s_mov_b64 s[10:11], s[6:7]
	s_ashr_i64 s[8:9], s[8:9], 3
	v_mov_b32_e32 v0, s8
	v_mov_b32_e32 v1, s9
	s_mov_b64 s[8:9], 0
	global_store_dwordx2 v2, v[0:1], s[4:5] offset:8
	.p2align	6
.LBB43_6:                               ; =>This Inner Loop Header: Depth=1
	s_sub_u32 s12, s10, s8
	s_subb_u32 s13, s11, s9
	s_lshr_b64 s[12:13], s[12:13], 1
	s_add_u32 s12, s12, s8
	s_addc_u32 s13, s13, s9
	s_lshl_b64 s[14:15], s[12:13], 3
	s_add_u32 s14, s2, s14
	s_addc_u32 s15, s3, s15
	s_load_dwordx2 s[14:15], s[14:15], 0x0
	s_waitcnt lgkmcnt(0)
	v_cmp_lt_u64_e64 s1, s[14:15], 2
	s_add_u32 s14, s12, 1
	s_addc_u32 s15, s13, 0
	s_and_b32 s1, s1, exec_lo
	s_cselect_b32 s9, s15, s9
	s_cselect_b32 s8, s14, s8
	;; [unrolled: 1-line block ×4, first 2 shown]
	v_cmp_lt_i64_e64 s1, s[8:9], s[10:11]
	s_and_b32 vcc_lo, exec_lo, s1
	s_cbranch_vccnz .LBB43_6
; %bb.7:
	s_lshl_b64 s[8:9], s[8:9], 3
	v_mov_b32_e32 v2, 0
	s_add_u32 s1, s2, s8
	s_addc_u32 s9, s3, s9
	s_sub_u32 s8, s1, s2
	s_subb_u32 s9, s9, s3
	s_mov_b64 s[10:11], s[6:7]
	s_ashr_i64 s[8:9], s[8:9], 3
	v_mov_b32_e32 v0, s8
	v_mov_b32_e32 v1, s9
	s_mov_b64 s[8:9], 0
	global_store_dwordx2 v2, v[0:1], s[4:5] offset:16
	.p2align	6
.LBB43_8:                               ; =>This Inner Loop Header: Depth=1
	s_sub_u32 s12, s10, s8
	s_subb_u32 s13, s11, s9
	s_lshr_b64 s[12:13], s[12:13], 1
	s_add_u32 s12, s12, s8
	s_addc_u32 s13, s13, s9
	s_lshl_b64 s[14:15], s[12:13], 3
	s_add_u32 s14, s2, s14
	s_addc_u32 s15, s3, s15
	s_load_dwordx2 s[14:15], s[14:15], 0x0
	s_waitcnt lgkmcnt(0)
	v_cmp_lt_u64_e64 s1, s[14:15], 3
	s_add_u32 s14, s12, 1
	s_addc_u32 s15, s13, 0
	s_and_b32 s1, s1, exec_lo
	s_cselect_b32 s9, s15, s9
	s_cselect_b32 s8, s14, s8
	s_cselect_b32 s11, s11, s13
	s_cselect_b32 s10, s10, s12
	v_cmp_ge_i64_e64 s1, s[8:9], s[10:11]
	s_and_b32 vcc_lo, exec_lo, s1
	s_cbranch_vccz .LBB43_8
.LBB43_9:
	s_lshl_b64 s[8:9], s[8:9], 3
	v_mov_b32_e32 v0, 0
	s_add_u32 s1, s2, s8
	s_addc_u32 s9, s3, s9
	s_sub_u32 s8, s1, s2
	s_subb_u32 s9, s9, s3
	s_mov_b32 s1, -1
	s_ashr_i64 s[8:9], s[8:9], 3
	s_mov_b32 vcc_lo, s0
	v_mov_b32_e32 v1, s8
	v_mov_b32_e32 v2, s9
	global_store_dwordx2 v0, v[1:2], s[4:5] offset:24
	s_cbranch_vccz .LBB43_11
; %bb.10:
	v_mov_b32_e32 v1, v0
	s_mov_b32 s1, 0
	global_store_dwordx2 v0, v[0:1], s[4:5] offset:32
.LBB43_11:
	s_andn2_b32 vcc_lo, exec_lo, s1
	s_mov_b64 s[8:9], 0
	s_cbranch_vccnz .LBB43_16
; %bb.12:
	s_mov_b64 s[10:11], s[6:7]
	.p2align	6
.LBB43_13:                              ; =>This Inner Loop Header: Depth=1
	s_sub_u32 s12, s10, s8
	s_subb_u32 s13, s11, s9
	s_lshr_b64 s[12:13], s[12:13], 1
	s_add_u32 s12, s12, s8
	s_addc_u32 s13, s13, s9
	s_lshl_b64 s[14:15], s[12:13], 3
	s_add_u32 s14, s2, s14
	s_addc_u32 s15, s3, s15
	s_load_dwordx2 s[14:15], s[14:15], 0x0
	s_waitcnt lgkmcnt(0)
	v_cmp_lt_u64_e64 s1, s[14:15], 4
	s_add_u32 s14, s12, 1
	s_addc_u32 s15, s13, 0
	s_and_b32 s1, s1, exec_lo
	s_cselect_b32 s9, s15, s9
	s_cselect_b32 s8, s14, s8
	;; [unrolled: 1-line block ×4, first 2 shown]
	v_cmp_lt_i64_e64 s1, s[8:9], s[10:11]
	s_and_b32 vcc_lo, exec_lo, s1
	s_cbranch_vccnz .LBB43_13
; %bb.14:
	s_lshl_b64 s[8:9], s[8:9], 3
	v_mov_b32_e32 v2, 0
	s_add_u32 s1, s2, s8
	s_addc_u32 s9, s3, s9
	s_sub_u32 s8, s1, s2
	s_subb_u32 s9, s9, s3
	s_mov_b64 s[10:11], s[6:7]
	s_ashr_i64 s[8:9], s[8:9], 3
	v_mov_b32_e32 v0, s8
	v_mov_b32_e32 v1, s9
	s_mov_b64 s[8:9], 0
	global_store_dwordx2 v2, v[0:1], s[4:5] offset:32
	.p2align	6
.LBB43_15:                              ; =>This Inner Loop Header: Depth=1
	s_sub_u32 s12, s10, s8
	s_subb_u32 s13, s11, s9
	s_lshr_b64 s[12:13], s[12:13], 1
	s_add_u32 s12, s12, s8
	s_addc_u32 s13, s13, s9
	s_lshl_b64 s[14:15], s[12:13], 3
	s_add_u32 s14, s2, s14
	s_addc_u32 s15, s3, s15
	s_load_dwordx2 s[14:15], s[14:15], 0x0
	s_waitcnt lgkmcnt(0)
	v_cmp_lt_u64_e64 s1, s[14:15], 5
	s_add_u32 s14, s12, 1
	s_addc_u32 s15, s13, 0
	s_and_b32 s1, s1, exec_lo
	s_cselect_b32 s9, s15, s9
	s_cselect_b32 s8, s14, s8
	;; [unrolled: 1-line block ×4, first 2 shown]
	v_cmp_ge_i64_e64 s1, s[8:9], s[10:11]
	s_and_b32 vcc_lo, exec_lo, s1
	s_cbranch_vccz .LBB43_15
.LBB43_16:
	s_lshl_b64 s[8:9], s[8:9], 3
	v_mov_b32_e32 v0, 0
	s_add_u32 s1, s2, s8
	s_addc_u32 s9, s3, s9
	s_sub_u32 s8, s1, s2
	s_subb_u32 s9, s9, s3
	s_mov_b32 s1, -1
	s_ashr_i64 s[8:9], s[8:9], 3
	s_mov_b32 vcc_lo, s0
	v_mov_b32_e32 v1, s8
	v_mov_b32_e32 v2, s9
	global_store_dwordx2 v0, v[1:2], s[4:5] offset:40
	s_cbranch_vccz .LBB43_18
; %bb.17:
	v_mov_b32_e32 v1, v0
	s_mov_b32 s1, 0
	global_store_dwordx2 v0, v[0:1], s[4:5] offset:48
.LBB43_18:
	s_andn2_b32 vcc_lo, exec_lo, s1
	s_mov_b64 s[8:9], 0
	s_cbranch_vccnz .LBB43_23
; %bb.19:
	s_mov_b64 s[10:11], s[6:7]
	.p2align	6
.LBB43_20:                              ; =>This Inner Loop Header: Depth=1
	s_sub_u32 s12, s10, s8
	s_subb_u32 s13, s11, s9
	s_lshr_b64 s[12:13], s[12:13], 1
	s_add_u32 s12, s12, s8
	s_addc_u32 s13, s13, s9
	s_lshl_b64 s[14:15], s[12:13], 3
	s_add_u32 s14, s2, s14
	s_addc_u32 s15, s3, s15
	s_load_dwordx2 s[14:15], s[14:15], 0x0
	s_waitcnt lgkmcnt(0)
	v_cmp_lt_u64_e64 s1, s[14:15], 6
	s_add_u32 s14, s12, 1
	s_addc_u32 s15, s13, 0
	s_and_b32 s1, s1, exec_lo
	s_cselect_b32 s9, s15, s9
	s_cselect_b32 s8, s14, s8
	s_cselect_b32 s11, s11, s13
	s_cselect_b32 s10, s10, s12
	v_cmp_lt_i64_e64 s1, s[8:9], s[10:11]
	s_and_b32 vcc_lo, exec_lo, s1
	s_cbranch_vccnz .LBB43_20
; %bb.21:
	s_lshl_b64 s[8:9], s[8:9], 3
	v_mov_b32_e32 v2, 0
	s_add_u32 s1, s2, s8
	s_addc_u32 s9, s3, s9
	s_sub_u32 s8, s1, s2
	s_subb_u32 s9, s9, s3
	s_mov_b64 s[10:11], s[6:7]
	s_ashr_i64 s[8:9], s[8:9], 3
	v_mov_b32_e32 v0, s8
	v_mov_b32_e32 v1, s9
	s_mov_b64 s[8:9], 0
	global_store_dwordx2 v2, v[0:1], s[4:5] offset:48
	.p2align	6
.LBB43_22:                              ; =>This Inner Loop Header: Depth=1
	s_sub_u32 s12, s10, s8
	s_subb_u32 s13, s11, s9
	s_lshr_b64 s[12:13], s[12:13], 1
	s_add_u32 s12, s12, s8
	s_addc_u32 s13, s13, s9
	s_lshl_b64 s[14:15], s[12:13], 3
	s_add_u32 s14, s2, s14
	s_addc_u32 s15, s3, s15
	s_load_dwordx2 s[14:15], s[14:15], 0x0
	s_waitcnt lgkmcnt(0)
	v_cmp_lt_u64_e64 s1, s[14:15], 7
	s_add_u32 s14, s12, 1
	s_addc_u32 s15, s13, 0
	s_and_b32 s1, s1, exec_lo
	s_cselect_b32 s9, s15, s9
	s_cselect_b32 s8, s14, s8
	;; [unrolled: 1-line block ×4, first 2 shown]
	v_cmp_ge_i64_e64 s1, s[8:9], s[10:11]
	s_and_b32 vcc_lo, exec_lo, s1
	s_cbranch_vccz .LBB43_22
.LBB43_23:
	s_lshl_b64 s[8:9], s[8:9], 3
	v_mov_b32_e32 v0, 0
	s_add_u32 s1, s2, s8
	s_addc_u32 s9, s3, s9
	s_sub_u32 s8, s1, s2
	s_subb_u32 s9, s9, s3
	s_mov_b32 s1, -1
	s_ashr_i64 s[8:9], s[8:9], 3
	s_mov_b32 vcc_lo, s0
	v_mov_b32_e32 v1, s8
	v_mov_b32_e32 v2, s9
	global_store_dwordx2 v0, v[1:2], s[4:5] offset:56
	s_cbranch_vccz .LBB43_25
; %bb.24:
	v_mov_b32_e32 v1, v0
	s_mov_b32 s1, 0
	global_store_dwordx2 v0, v[0:1], s[4:5] offset:64
.LBB43_25:
	s_andn2_b32 vcc_lo, exec_lo, s1
	s_mov_b64 s[0:1], 0
	s_cbranch_vccnz .LBB43_30
; %bb.26:
	s_mov_b64 s[8:9], s[6:7]
	.p2align	6
.LBB43_27:                              ; =>This Inner Loop Header: Depth=1
	s_sub_u32 s10, s8, s0
	s_subb_u32 s11, s9, s1
	s_lshr_b64 s[10:11], s[10:11], 1
	s_add_u32 s10, s10, s0
	s_addc_u32 s11, s11, s1
	s_lshl_b64 s[12:13], s[10:11], 3
	s_add_u32 s12, s2, s12
	s_addc_u32 s13, s3, s13
	s_load_dwordx2 s[12:13], s[12:13], 0x0
	s_waitcnt lgkmcnt(0)
	v_cmp_lt_u64_e64 s12, s[12:13], 8
	s_add_u32 s13, s10, 1
	s_addc_u32 s14, s11, 0
	s_and_b32 s12, s12, exec_lo
	s_cselect_b32 s1, s14, s1
	s_cselect_b32 s0, s13, s0
	s_cselect_b32 s9, s9, s11
	s_cselect_b32 s8, s8, s10
	v_cmp_lt_i64_e64 s10, s[0:1], s[8:9]
	s_and_b32 vcc_lo, exec_lo, s10
	s_cbranch_vccnz .LBB43_27
; %bb.28:
	s_lshl_b64 s[0:1], s[0:1], 3
	v_mov_b32_e32 v2, 0
	s_add_u32 s0, s2, s0
	s_addc_u32 s1, s3, s1
	s_sub_u32 s0, s0, s2
	s_subb_u32 s1, s1, s3
	s_ashr_i64 s[0:1], s[0:1], 3
	v_mov_b32_e32 v0, s0
	v_mov_b32_e32 v1, s1
	s_mov_b64 s[0:1], 0
	global_store_dwordx2 v2, v[0:1], s[4:5] offset:64
	.p2align	6
.LBB43_29:                              ; =>This Inner Loop Header: Depth=1
	s_sub_u32 s8, s6, s0
	s_subb_u32 s9, s7, s1
	s_lshr_b64 s[8:9], s[8:9], 1
	s_add_u32 s8, s8, s0
	s_addc_u32 s9, s9, s1
	s_lshl_b64 s[10:11], s[8:9], 3
	s_add_u32 s10, s2, s10
	s_addc_u32 s11, s3, s11
	s_load_dwordx2 s[10:11], s[10:11], 0x0
	s_waitcnt lgkmcnt(0)
	v_cmp_lt_u64_e64 s10, s[10:11], 9
	s_add_u32 s11, s8, 1
	s_addc_u32 s12, s9, 0
	s_and_b32 s10, s10, exec_lo
	s_cselect_b32 s1, s12, s1
	s_cselect_b32 s0, s11, s0
	;; [unrolled: 1-line block ×4, first 2 shown]
	v_cmp_ge_i64_e64 s8, s[0:1], s[6:7]
	s_and_b32 vcc_lo, exec_lo, s8
	s_cbranch_vccz .LBB43_29
.LBB43_30:
	s_lshl_b64 s[0:1], s[0:1], 3
	v_mov_b32_e32 v2, 0
	s_add_u32 s0, s2, s0
	s_addc_u32 s1, s3, s1
	s_sub_u32 s0, s0, s2
	s_subb_u32 s1, s1, s3
	s_ashr_i64 s[0:1], s[0:1], 3
	v_mov_b32_e32 v0, s0
	v_mov_b32_e32 v1, s1
	global_store_dwordx2 v2, v[0:1], s[4:5] offset:72
	s_endpgm
	.section	.rodata,"a",@progbits
	.p2align	6, 0x0
	.amdhsa_kernel _Z18lower_bound_kernelIyEvmPT_Pl
		.amdhsa_group_segment_fixed_size 0
		.amdhsa_private_segment_fixed_size 0
		.amdhsa_kernarg_size 24
		.amdhsa_user_sgpr_count 6
		.amdhsa_user_sgpr_private_segment_buffer 1
		.amdhsa_user_sgpr_dispatch_ptr 0
		.amdhsa_user_sgpr_queue_ptr 0
		.amdhsa_user_sgpr_kernarg_segment_ptr 1
		.amdhsa_user_sgpr_dispatch_id 0
		.amdhsa_user_sgpr_flat_scratch_init 0
		.amdhsa_user_sgpr_private_segment_size 0
		.amdhsa_wavefront_size32 1
		.amdhsa_uses_dynamic_stack 0
		.amdhsa_system_sgpr_private_segment_wavefront_offset 0
		.amdhsa_system_sgpr_workgroup_id_x 1
		.amdhsa_system_sgpr_workgroup_id_y 0
		.amdhsa_system_sgpr_workgroup_id_z 0
		.amdhsa_system_sgpr_workgroup_info 0
		.amdhsa_system_vgpr_workitem_id 0
		.amdhsa_next_free_vgpr 4
		.amdhsa_next_free_sgpr 17
		.amdhsa_reserve_vcc 1
		.amdhsa_reserve_flat_scratch 0
		.amdhsa_float_round_mode_32 0
		.amdhsa_float_round_mode_16_64 0
		.amdhsa_float_denorm_mode_32 3
		.amdhsa_float_denorm_mode_16_64 3
		.amdhsa_dx10_clamp 1
		.amdhsa_ieee_mode 1
		.amdhsa_fp16_overflow 0
		.amdhsa_workgroup_processor_mode 1
		.amdhsa_memory_ordered 1
		.amdhsa_forward_progress 1
		.amdhsa_shared_vgpr_count 0
		.amdhsa_exception_fp_ieee_invalid_op 0
		.amdhsa_exception_fp_denorm_src 0
		.amdhsa_exception_fp_ieee_div_zero 0
		.amdhsa_exception_fp_ieee_overflow 0
		.amdhsa_exception_fp_ieee_underflow 0
		.amdhsa_exception_fp_ieee_inexact 0
		.amdhsa_exception_int_div_zero 0
	.end_amdhsa_kernel
	.section	.text._Z18lower_bound_kernelIyEvmPT_Pl,"axG",@progbits,_Z18lower_bound_kernelIyEvmPT_Pl,comdat
.Lfunc_end43:
	.size	_Z18lower_bound_kernelIyEvmPT_Pl, .Lfunc_end43-_Z18lower_bound_kernelIyEvmPT_Pl
                                        ; -- End function
	.set _Z18lower_bound_kernelIyEvmPT_Pl.num_vgpr, 4
	.set _Z18lower_bound_kernelIyEvmPT_Pl.num_agpr, 0
	.set _Z18lower_bound_kernelIyEvmPT_Pl.numbered_sgpr, 17
	.set _Z18lower_bound_kernelIyEvmPT_Pl.num_named_barrier, 0
	.set _Z18lower_bound_kernelIyEvmPT_Pl.private_seg_size, 0
	.set _Z18lower_bound_kernelIyEvmPT_Pl.uses_vcc, 1
	.set _Z18lower_bound_kernelIyEvmPT_Pl.uses_flat_scratch, 0
	.set _Z18lower_bound_kernelIyEvmPT_Pl.has_dyn_sized_stack, 0
	.set _Z18lower_bound_kernelIyEvmPT_Pl.has_recursion, 0
	.set _Z18lower_bound_kernelIyEvmPT_Pl.has_indirect_call, 0
	.section	.AMDGPU.csdata,"",@progbits
; Kernel info:
; codeLenInByte = 1808
; TotalNumSgprs: 19
; NumVgprs: 4
; ScratchSize: 0
; MemoryBound: 0
; FloatMode: 240
; IeeeMode: 1
; LDSByteSize: 0 bytes/workgroup (compile time only)
; SGPRBlocks: 0
; VGPRBlocks: 0
; NumSGPRsForWavesPerEU: 19
; NumVGPRsForWavesPerEU: 4
; Occupancy: 16
; WaveLimiterHint : 0
; COMPUTE_PGM_RSRC2:SCRATCH_EN: 0
; COMPUTE_PGM_RSRC2:USER_SGPR: 6
; COMPUTE_PGM_RSRC2:TRAP_HANDLER: 0
; COMPUTE_PGM_RSRC2:TGID_X_EN: 1
; COMPUTE_PGM_RSRC2:TGID_Y_EN: 0
; COMPUTE_PGM_RSRC2:TGID_Z_EN: 0
; COMPUTE_PGM_RSRC2:TIDIG_COMP_CNT: 0
	.section	.text._ZN7rocprim17ROCPRIM_400000_NS6detail17trampoline_kernelINS0_14default_configENS1_27lower_bound_config_selectorIylEEZNS1_14transform_implILb0ES3_S5_N6thrust23THRUST_200600_302600_NS6detail15normal_iteratorINS8_7pointerIyNS8_11hip_rocprim5par_tENS8_11use_defaultESE_EEEENSA_INSB_IlSD_SE_SE_EEEEZNS1_13binary_searchIS3_S5_PySG_SI_NS1_21lower_bound_search_opENS9_16wrapped_functionI11custom_lessbEEEE10hipError_tPvRmT1_T2_T3_mmT4_T5_P12ihipStream_tbEUlRKyE_EESP_ST_SU_mSV_SY_bEUlT_E_NS1_11comp_targetILNS1_3genE0ELNS1_11target_archE4294967295ELNS1_3gpuE0ELNS1_3repE0EEENS1_30default_config_static_selectorELNS0_4arch9wavefront6targetE0EEEvSS_,"axG",@progbits,_ZN7rocprim17ROCPRIM_400000_NS6detail17trampoline_kernelINS0_14default_configENS1_27lower_bound_config_selectorIylEEZNS1_14transform_implILb0ES3_S5_N6thrust23THRUST_200600_302600_NS6detail15normal_iteratorINS8_7pointerIyNS8_11hip_rocprim5par_tENS8_11use_defaultESE_EEEENSA_INSB_IlSD_SE_SE_EEEEZNS1_13binary_searchIS3_S5_PySG_SI_NS1_21lower_bound_search_opENS9_16wrapped_functionI11custom_lessbEEEE10hipError_tPvRmT1_T2_T3_mmT4_T5_P12ihipStream_tbEUlRKyE_EESP_ST_SU_mSV_SY_bEUlT_E_NS1_11comp_targetILNS1_3genE0ELNS1_11target_archE4294967295ELNS1_3gpuE0ELNS1_3repE0EEENS1_30default_config_static_selectorELNS0_4arch9wavefront6targetE0EEEvSS_,comdat
	.protected	_ZN7rocprim17ROCPRIM_400000_NS6detail17trampoline_kernelINS0_14default_configENS1_27lower_bound_config_selectorIylEEZNS1_14transform_implILb0ES3_S5_N6thrust23THRUST_200600_302600_NS6detail15normal_iteratorINS8_7pointerIyNS8_11hip_rocprim5par_tENS8_11use_defaultESE_EEEENSA_INSB_IlSD_SE_SE_EEEEZNS1_13binary_searchIS3_S5_PySG_SI_NS1_21lower_bound_search_opENS9_16wrapped_functionI11custom_lessbEEEE10hipError_tPvRmT1_T2_T3_mmT4_T5_P12ihipStream_tbEUlRKyE_EESP_ST_SU_mSV_SY_bEUlT_E_NS1_11comp_targetILNS1_3genE0ELNS1_11target_archE4294967295ELNS1_3gpuE0ELNS1_3repE0EEENS1_30default_config_static_selectorELNS0_4arch9wavefront6targetE0EEEvSS_ ; -- Begin function _ZN7rocprim17ROCPRIM_400000_NS6detail17trampoline_kernelINS0_14default_configENS1_27lower_bound_config_selectorIylEEZNS1_14transform_implILb0ES3_S5_N6thrust23THRUST_200600_302600_NS6detail15normal_iteratorINS8_7pointerIyNS8_11hip_rocprim5par_tENS8_11use_defaultESE_EEEENSA_INSB_IlSD_SE_SE_EEEEZNS1_13binary_searchIS3_S5_PySG_SI_NS1_21lower_bound_search_opENS9_16wrapped_functionI11custom_lessbEEEE10hipError_tPvRmT1_T2_T3_mmT4_T5_P12ihipStream_tbEUlRKyE_EESP_ST_SU_mSV_SY_bEUlT_E_NS1_11comp_targetILNS1_3genE0ELNS1_11target_archE4294967295ELNS1_3gpuE0ELNS1_3repE0EEENS1_30default_config_static_selectorELNS0_4arch9wavefront6targetE0EEEvSS_
	.globl	_ZN7rocprim17ROCPRIM_400000_NS6detail17trampoline_kernelINS0_14default_configENS1_27lower_bound_config_selectorIylEEZNS1_14transform_implILb0ES3_S5_N6thrust23THRUST_200600_302600_NS6detail15normal_iteratorINS8_7pointerIyNS8_11hip_rocprim5par_tENS8_11use_defaultESE_EEEENSA_INSB_IlSD_SE_SE_EEEEZNS1_13binary_searchIS3_S5_PySG_SI_NS1_21lower_bound_search_opENS9_16wrapped_functionI11custom_lessbEEEE10hipError_tPvRmT1_T2_T3_mmT4_T5_P12ihipStream_tbEUlRKyE_EESP_ST_SU_mSV_SY_bEUlT_E_NS1_11comp_targetILNS1_3genE0ELNS1_11target_archE4294967295ELNS1_3gpuE0ELNS1_3repE0EEENS1_30default_config_static_selectorELNS0_4arch9wavefront6targetE0EEEvSS_
	.p2align	8
	.type	_ZN7rocprim17ROCPRIM_400000_NS6detail17trampoline_kernelINS0_14default_configENS1_27lower_bound_config_selectorIylEEZNS1_14transform_implILb0ES3_S5_N6thrust23THRUST_200600_302600_NS6detail15normal_iteratorINS8_7pointerIyNS8_11hip_rocprim5par_tENS8_11use_defaultESE_EEEENSA_INSB_IlSD_SE_SE_EEEEZNS1_13binary_searchIS3_S5_PySG_SI_NS1_21lower_bound_search_opENS9_16wrapped_functionI11custom_lessbEEEE10hipError_tPvRmT1_T2_T3_mmT4_T5_P12ihipStream_tbEUlRKyE_EESP_ST_SU_mSV_SY_bEUlT_E_NS1_11comp_targetILNS1_3genE0ELNS1_11target_archE4294967295ELNS1_3gpuE0ELNS1_3repE0EEENS1_30default_config_static_selectorELNS0_4arch9wavefront6targetE0EEEvSS_,@function
_ZN7rocprim17ROCPRIM_400000_NS6detail17trampoline_kernelINS0_14default_configENS1_27lower_bound_config_selectorIylEEZNS1_14transform_implILb0ES3_S5_N6thrust23THRUST_200600_302600_NS6detail15normal_iteratorINS8_7pointerIyNS8_11hip_rocprim5par_tENS8_11use_defaultESE_EEEENSA_INSB_IlSD_SE_SE_EEEEZNS1_13binary_searchIS3_S5_PySG_SI_NS1_21lower_bound_search_opENS9_16wrapped_functionI11custom_lessbEEEE10hipError_tPvRmT1_T2_T3_mmT4_T5_P12ihipStream_tbEUlRKyE_EESP_ST_SU_mSV_SY_bEUlT_E_NS1_11comp_targetILNS1_3genE0ELNS1_11target_archE4294967295ELNS1_3gpuE0ELNS1_3repE0EEENS1_30default_config_static_selectorELNS0_4arch9wavefront6targetE0EEEvSS_: ; @_ZN7rocprim17ROCPRIM_400000_NS6detail17trampoline_kernelINS0_14default_configENS1_27lower_bound_config_selectorIylEEZNS1_14transform_implILb0ES3_S5_N6thrust23THRUST_200600_302600_NS6detail15normal_iteratorINS8_7pointerIyNS8_11hip_rocprim5par_tENS8_11use_defaultESE_EEEENSA_INSB_IlSD_SE_SE_EEEEZNS1_13binary_searchIS3_S5_PySG_SI_NS1_21lower_bound_search_opENS9_16wrapped_functionI11custom_lessbEEEE10hipError_tPvRmT1_T2_T3_mmT4_T5_P12ihipStream_tbEUlRKyE_EESP_ST_SU_mSV_SY_bEUlT_E_NS1_11comp_targetILNS1_3genE0ELNS1_11target_archE4294967295ELNS1_3gpuE0ELNS1_3repE0EEENS1_30default_config_static_selectorELNS0_4arch9wavefront6targetE0EEEvSS_
; %bb.0:
	.section	.rodata,"a",@progbits
	.p2align	6, 0x0
	.amdhsa_kernel _ZN7rocprim17ROCPRIM_400000_NS6detail17trampoline_kernelINS0_14default_configENS1_27lower_bound_config_selectorIylEEZNS1_14transform_implILb0ES3_S5_N6thrust23THRUST_200600_302600_NS6detail15normal_iteratorINS8_7pointerIyNS8_11hip_rocprim5par_tENS8_11use_defaultESE_EEEENSA_INSB_IlSD_SE_SE_EEEEZNS1_13binary_searchIS3_S5_PySG_SI_NS1_21lower_bound_search_opENS9_16wrapped_functionI11custom_lessbEEEE10hipError_tPvRmT1_T2_T3_mmT4_T5_P12ihipStream_tbEUlRKyE_EESP_ST_SU_mSV_SY_bEUlT_E_NS1_11comp_targetILNS1_3genE0ELNS1_11target_archE4294967295ELNS1_3gpuE0ELNS1_3repE0EEENS1_30default_config_static_selectorELNS0_4arch9wavefront6targetE0EEEvSS_
		.amdhsa_group_segment_fixed_size 0
		.amdhsa_private_segment_fixed_size 0
		.amdhsa_kernarg_size 56
		.amdhsa_user_sgpr_count 6
		.amdhsa_user_sgpr_private_segment_buffer 1
		.amdhsa_user_sgpr_dispatch_ptr 0
		.amdhsa_user_sgpr_queue_ptr 0
		.amdhsa_user_sgpr_kernarg_segment_ptr 1
		.amdhsa_user_sgpr_dispatch_id 0
		.amdhsa_user_sgpr_flat_scratch_init 0
		.amdhsa_user_sgpr_private_segment_size 0
		.amdhsa_wavefront_size32 1
		.amdhsa_uses_dynamic_stack 0
		.amdhsa_system_sgpr_private_segment_wavefront_offset 0
		.amdhsa_system_sgpr_workgroup_id_x 1
		.amdhsa_system_sgpr_workgroup_id_y 0
		.amdhsa_system_sgpr_workgroup_id_z 0
		.amdhsa_system_sgpr_workgroup_info 0
		.amdhsa_system_vgpr_workitem_id 0
		.amdhsa_next_free_vgpr 1
		.amdhsa_next_free_sgpr 1
		.amdhsa_reserve_vcc 0
		.amdhsa_reserve_flat_scratch 0
		.amdhsa_float_round_mode_32 0
		.amdhsa_float_round_mode_16_64 0
		.amdhsa_float_denorm_mode_32 3
		.amdhsa_float_denorm_mode_16_64 3
		.amdhsa_dx10_clamp 1
		.amdhsa_ieee_mode 1
		.amdhsa_fp16_overflow 0
		.amdhsa_workgroup_processor_mode 1
		.amdhsa_memory_ordered 1
		.amdhsa_forward_progress 1
		.amdhsa_shared_vgpr_count 0
		.amdhsa_exception_fp_ieee_invalid_op 0
		.amdhsa_exception_fp_denorm_src 0
		.amdhsa_exception_fp_ieee_div_zero 0
		.amdhsa_exception_fp_ieee_overflow 0
		.amdhsa_exception_fp_ieee_underflow 0
		.amdhsa_exception_fp_ieee_inexact 0
		.amdhsa_exception_int_div_zero 0
	.end_amdhsa_kernel
	.section	.text._ZN7rocprim17ROCPRIM_400000_NS6detail17trampoline_kernelINS0_14default_configENS1_27lower_bound_config_selectorIylEEZNS1_14transform_implILb0ES3_S5_N6thrust23THRUST_200600_302600_NS6detail15normal_iteratorINS8_7pointerIyNS8_11hip_rocprim5par_tENS8_11use_defaultESE_EEEENSA_INSB_IlSD_SE_SE_EEEEZNS1_13binary_searchIS3_S5_PySG_SI_NS1_21lower_bound_search_opENS9_16wrapped_functionI11custom_lessbEEEE10hipError_tPvRmT1_T2_T3_mmT4_T5_P12ihipStream_tbEUlRKyE_EESP_ST_SU_mSV_SY_bEUlT_E_NS1_11comp_targetILNS1_3genE0ELNS1_11target_archE4294967295ELNS1_3gpuE0ELNS1_3repE0EEENS1_30default_config_static_selectorELNS0_4arch9wavefront6targetE0EEEvSS_,"axG",@progbits,_ZN7rocprim17ROCPRIM_400000_NS6detail17trampoline_kernelINS0_14default_configENS1_27lower_bound_config_selectorIylEEZNS1_14transform_implILb0ES3_S5_N6thrust23THRUST_200600_302600_NS6detail15normal_iteratorINS8_7pointerIyNS8_11hip_rocprim5par_tENS8_11use_defaultESE_EEEENSA_INSB_IlSD_SE_SE_EEEEZNS1_13binary_searchIS3_S5_PySG_SI_NS1_21lower_bound_search_opENS9_16wrapped_functionI11custom_lessbEEEE10hipError_tPvRmT1_T2_T3_mmT4_T5_P12ihipStream_tbEUlRKyE_EESP_ST_SU_mSV_SY_bEUlT_E_NS1_11comp_targetILNS1_3genE0ELNS1_11target_archE4294967295ELNS1_3gpuE0ELNS1_3repE0EEENS1_30default_config_static_selectorELNS0_4arch9wavefront6targetE0EEEvSS_,comdat
.Lfunc_end44:
	.size	_ZN7rocprim17ROCPRIM_400000_NS6detail17trampoline_kernelINS0_14default_configENS1_27lower_bound_config_selectorIylEEZNS1_14transform_implILb0ES3_S5_N6thrust23THRUST_200600_302600_NS6detail15normal_iteratorINS8_7pointerIyNS8_11hip_rocprim5par_tENS8_11use_defaultESE_EEEENSA_INSB_IlSD_SE_SE_EEEEZNS1_13binary_searchIS3_S5_PySG_SI_NS1_21lower_bound_search_opENS9_16wrapped_functionI11custom_lessbEEEE10hipError_tPvRmT1_T2_T3_mmT4_T5_P12ihipStream_tbEUlRKyE_EESP_ST_SU_mSV_SY_bEUlT_E_NS1_11comp_targetILNS1_3genE0ELNS1_11target_archE4294967295ELNS1_3gpuE0ELNS1_3repE0EEENS1_30default_config_static_selectorELNS0_4arch9wavefront6targetE0EEEvSS_, .Lfunc_end44-_ZN7rocprim17ROCPRIM_400000_NS6detail17trampoline_kernelINS0_14default_configENS1_27lower_bound_config_selectorIylEEZNS1_14transform_implILb0ES3_S5_N6thrust23THRUST_200600_302600_NS6detail15normal_iteratorINS8_7pointerIyNS8_11hip_rocprim5par_tENS8_11use_defaultESE_EEEENSA_INSB_IlSD_SE_SE_EEEEZNS1_13binary_searchIS3_S5_PySG_SI_NS1_21lower_bound_search_opENS9_16wrapped_functionI11custom_lessbEEEE10hipError_tPvRmT1_T2_T3_mmT4_T5_P12ihipStream_tbEUlRKyE_EESP_ST_SU_mSV_SY_bEUlT_E_NS1_11comp_targetILNS1_3genE0ELNS1_11target_archE4294967295ELNS1_3gpuE0ELNS1_3repE0EEENS1_30default_config_static_selectorELNS0_4arch9wavefront6targetE0EEEvSS_
                                        ; -- End function
	.set _ZN7rocprim17ROCPRIM_400000_NS6detail17trampoline_kernelINS0_14default_configENS1_27lower_bound_config_selectorIylEEZNS1_14transform_implILb0ES3_S5_N6thrust23THRUST_200600_302600_NS6detail15normal_iteratorINS8_7pointerIyNS8_11hip_rocprim5par_tENS8_11use_defaultESE_EEEENSA_INSB_IlSD_SE_SE_EEEEZNS1_13binary_searchIS3_S5_PySG_SI_NS1_21lower_bound_search_opENS9_16wrapped_functionI11custom_lessbEEEE10hipError_tPvRmT1_T2_T3_mmT4_T5_P12ihipStream_tbEUlRKyE_EESP_ST_SU_mSV_SY_bEUlT_E_NS1_11comp_targetILNS1_3genE0ELNS1_11target_archE4294967295ELNS1_3gpuE0ELNS1_3repE0EEENS1_30default_config_static_selectorELNS0_4arch9wavefront6targetE0EEEvSS_.num_vgpr, 0
	.set _ZN7rocprim17ROCPRIM_400000_NS6detail17trampoline_kernelINS0_14default_configENS1_27lower_bound_config_selectorIylEEZNS1_14transform_implILb0ES3_S5_N6thrust23THRUST_200600_302600_NS6detail15normal_iteratorINS8_7pointerIyNS8_11hip_rocprim5par_tENS8_11use_defaultESE_EEEENSA_INSB_IlSD_SE_SE_EEEEZNS1_13binary_searchIS3_S5_PySG_SI_NS1_21lower_bound_search_opENS9_16wrapped_functionI11custom_lessbEEEE10hipError_tPvRmT1_T2_T3_mmT4_T5_P12ihipStream_tbEUlRKyE_EESP_ST_SU_mSV_SY_bEUlT_E_NS1_11comp_targetILNS1_3genE0ELNS1_11target_archE4294967295ELNS1_3gpuE0ELNS1_3repE0EEENS1_30default_config_static_selectorELNS0_4arch9wavefront6targetE0EEEvSS_.num_agpr, 0
	.set _ZN7rocprim17ROCPRIM_400000_NS6detail17trampoline_kernelINS0_14default_configENS1_27lower_bound_config_selectorIylEEZNS1_14transform_implILb0ES3_S5_N6thrust23THRUST_200600_302600_NS6detail15normal_iteratorINS8_7pointerIyNS8_11hip_rocprim5par_tENS8_11use_defaultESE_EEEENSA_INSB_IlSD_SE_SE_EEEEZNS1_13binary_searchIS3_S5_PySG_SI_NS1_21lower_bound_search_opENS9_16wrapped_functionI11custom_lessbEEEE10hipError_tPvRmT1_T2_T3_mmT4_T5_P12ihipStream_tbEUlRKyE_EESP_ST_SU_mSV_SY_bEUlT_E_NS1_11comp_targetILNS1_3genE0ELNS1_11target_archE4294967295ELNS1_3gpuE0ELNS1_3repE0EEENS1_30default_config_static_selectorELNS0_4arch9wavefront6targetE0EEEvSS_.numbered_sgpr, 0
	.set _ZN7rocprim17ROCPRIM_400000_NS6detail17trampoline_kernelINS0_14default_configENS1_27lower_bound_config_selectorIylEEZNS1_14transform_implILb0ES3_S5_N6thrust23THRUST_200600_302600_NS6detail15normal_iteratorINS8_7pointerIyNS8_11hip_rocprim5par_tENS8_11use_defaultESE_EEEENSA_INSB_IlSD_SE_SE_EEEEZNS1_13binary_searchIS3_S5_PySG_SI_NS1_21lower_bound_search_opENS9_16wrapped_functionI11custom_lessbEEEE10hipError_tPvRmT1_T2_T3_mmT4_T5_P12ihipStream_tbEUlRKyE_EESP_ST_SU_mSV_SY_bEUlT_E_NS1_11comp_targetILNS1_3genE0ELNS1_11target_archE4294967295ELNS1_3gpuE0ELNS1_3repE0EEENS1_30default_config_static_selectorELNS0_4arch9wavefront6targetE0EEEvSS_.num_named_barrier, 0
	.set _ZN7rocprim17ROCPRIM_400000_NS6detail17trampoline_kernelINS0_14default_configENS1_27lower_bound_config_selectorIylEEZNS1_14transform_implILb0ES3_S5_N6thrust23THRUST_200600_302600_NS6detail15normal_iteratorINS8_7pointerIyNS8_11hip_rocprim5par_tENS8_11use_defaultESE_EEEENSA_INSB_IlSD_SE_SE_EEEEZNS1_13binary_searchIS3_S5_PySG_SI_NS1_21lower_bound_search_opENS9_16wrapped_functionI11custom_lessbEEEE10hipError_tPvRmT1_T2_T3_mmT4_T5_P12ihipStream_tbEUlRKyE_EESP_ST_SU_mSV_SY_bEUlT_E_NS1_11comp_targetILNS1_3genE0ELNS1_11target_archE4294967295ELNS1_3gpuE0ELNS1_3repE0EEENS1_30default_config_static_selectorELNS0_4arch9wavefront6targetE0EEEvSS_.private_seg_size, 0
	.set _ZN7rocprim17ROCPRIM_400000_NS6detail17trampoline_kernelINS0_14default_configENS1_27lower_bound_config_selectorIylEEZNS1_14transform_implILb0ES3_S5_N6thrust23THRUST_200600_302600_NS6detail15normal_iteratorINS8_7pointerIyNS8_11hip_rocprim5par_tENS8_11use_defaultESE_EEEENSA_INSB_IlSD_SE_SE_EEEEZNS1_13binary_searchIS3_S5_PySG_SI_NS1_21lower_bound_search_opENS9_16wrapped_functionI11custom_lessbEEEE10hipError_tPvRmT1_T2_T3_mmT4_T5_P12ihipStream_tbEUlRKyE_EESP_ST_SU_mSV_SY_bEUlT_E_NS1_11comp_targetILNS1_3genE0ELNS1_11target_archE4294967295ELNS1_3gpuE0ELNS1_3repE0EEENS1_30default_config_static_selectorELNS0_4arch9wavefront6targetE0EEEvSS_.uses_vcc, 0
	.set _ZN7rocprim17ROCPRIM_400000_NS6detail17trampoline_kernelINS0_14default_configENS1_27lower_bound_config_selectorIylEEZNS1_14transform_implILb0ES3_S5_N6thrust23THRUST_200600_302600_NS6detail15normal_iteratorINS8_7pointerIyNS8_11hip_rocprim5par_tENS8_11use_defaultESE_EEEENSA_INSB_IlSD_SE_SE_EEEEZNS1_13binary_searchIS3_S5_PySG_SI_NS1_21lower_bound_search_opENS9_16wrapped_functionI11custom_lessbEEEE10hipError_tPvRmT1_T2_T3_mmT4_T5_P12ihipStream_tbEUlRKyE_EESP_ST_SU_mSV_SY_bEUlT_E_NS1_11comp_targetILNS1_3genE0ELNS1_11target_archE4294967295ELNS1_3gpuE0ELNS1_3repE0EEENS1_30default_config_static_selectorELNS0_4arch9wavefront6targetE0EEEvSS_.uses_flat_scratch, 0
	.set _ZN7rocprim17ROCPRIM_400000_NS6detail17trampoline_kernelINS0_14default_configENS1_27lower_bound_config_selectorIylEEZNS1_14transform_implILb0ES3_S5_N6thrust23THRUST_200600_302600_NS6detail15normal_iteratorINS8_7pointerIyNS8_11hip_rocprim5par_tENS8_11use_defaultESE_EEEENSA_INSB_IlSD_SE_SE_EEEEZNS1_13binary_searchIS3_S5_PySG_SI_NS1_21lower_bound_search_opENS9_16wrapped_functionI11custom_lessbEEEE10hipError_tPvRmT1_T2_T3_mmT4_T5_P12ihipStream_tbEUlRKyE_EESP_ST_SU_mSV_SY_bEUlT_E_NS1_11comp_targetILNS1_3genE0ELNS1_11target_archE4294967295ELNS1_3gpuE0ELNS1_3repE0EEENS1_30default_config_static_selectorELNS0_4arch9wavefront6targetE0EEEvSS_.has_dyn_sized_stack, 0
	.set _ZN7rocprim17ROCPRIM_400000_NS6detail17trampoline_kernelINS0_14default_configENS1_27lower_bound_config_selectorIylEEZNS1_14transform_implILb0ES3_S5_N6thrust23THRUST_200600_302600_NS6detail15normal_iteratorINS8_7pointerIyNS8_11hip_rocprim5par_tENS8_11use_defaultESE_EEEENSA_INSB_IlSD_SE_SE_EEEEZNS1_13binary_searchIS3_S5_PySG_SI_NS1_21lower_bound_search_opENS9_16wrapped_functionI11custom_lessbEEEE10hipError_tPvRmT1_T2_T3_mmT4_T5_P12ihipStream_tbEUlRKyE_EESP_ST_SU_mSV_SY_bEUlT_E_NS1_11comp_targetILNS1_3genE0ELNS1_11target_archE4294967295ELNS1_3gpuE0ELNS1_3repE0EEENS1_30default_config_static_selectorELNS0_4arch9wavefront6targetE0EEEvSS_.has_recursion, 0
	.set _ZN7rocprim17ROCPRIM_400000_NS6detail17trampoline_kernelINS0_14default_configENS1_27lower_bound_config_selectorIylEEZNS1_14transform_implILb0ES3_S5_N6thrust23THRUST_200600_302600_NS6detail15normal_iteratorINS8_7pointerIyNS8_11hip_rocprim5par_tENS8_11use_defaultESE_EEEENSA_INSB_IlSD_SE_SE_EEEEZNS1_13binary_searchIS3_S5_PySG_SI_NS1_21lower_bound_search_opENS9_16wrapped_functionI11custom_lessbEEEE10hipError_tPvRmT1_T2_T3_mmT4_T5_P12ihipStream_tbEUlRKyE_EESP_ST_SU_mSV_SY_bEUlT_E_NS1_11comp_targetILNS1_3genE0ELNS1_11target_archE4294967295ELNS1_3gpuE0ELNS1_3repE0EEENS1_30default_config_static_selectorELNS0_4arch9wavefront6targetE0EEEvSS_.has_indirect_call, 0
	.section	.AMDGPU.csdata,"",@progbits
; Kernel info:
; codeLenInByte = 0
; TotalNumSgprs: 0
; NumVgprs: 0
; ScratchSize: 0
; MemoryBound: 0
; FloatMode: 240
; IeeeMode: 1
; LDSByteSize: 0 bytes/workgroup (compile time only)
; SGPRBlocks: 0
; VGPRBlocks: 0
; NumSGPRsForWavesPerEU: 1
; NumVGPRsForWavesPerEU: 1
; Occupancy: 16
; WaveLimiterHint : 0
; COMPUTE_PGM_RSRC2:SCRATCH_EN: 0
; COMPUTE_PGM_RSRC2:USER_SGPR: 6
; COMPUTE_PGM_RSRC2:TRAP_HANDLER: 0
; COMPUTE_PGM_RSRC2:TGID_X_EN: 1
; COMPUTE_PGM_RSRC2:TGID_Y_EN: 0
; COMPUTE_PGM_RSRC2:TGID_Z_EN: 0
; COMPUTE_PGM_RSRC2:TIDIG_COMP_CNT: 0
	.section	.text._ZN7rocprim17ROCPRIM_400000_NS6detail17trampoline_kernelINS0_14default_configENS1_27lower_bound_config_selectorIylEEZNS1_14transform_implILb0ES3_S5_N6thrust23THRUST_200600_302600_NS6detail15normal_iteratorINS8_7pointerIyNS8_11hip_rocprim5par_tENS8_11use_defaultESE_EEEENSA_INSB_IlSD_SE_SE_EEEEZNS1_13binary_searchIS3_S5_PySG_SI_NS1_21lower_bound_search_opENS9_16wrapped_functionI11custom_lessbEEEE10hipError_tPvRmT1_T2_T3_mmT4_T5_P12ihipStream_tbEUlRKyE_EESP_ST_SU_mSV_SY_bEUlT_E_NS1_11comp_targetILNS1_3genE5ELNS1_11target_archE942ELNS1_3gpuE9ELNS1_3repE0EEENS1_30default_config_static_selectorELNS0_4arch9wavefront6targetE0EEEvSS_,"axG",@progbits,_ZN7rocprim17ROCPRIM_400000_NS6detail17trampoline_kernelINS0_14default_configENS1_27lower_bound_config_selectorIylEEZNS1_14transform_implILb0ES3_S5_N6thrust23THRUST_200600_302600_NS6detail15normal_iteratorINS8_7pointerIyNS8_11hip_rocprim5par_tENS8_11use_defaultESE_EEEENSA_INSB_IlSD_SE_SE_EEEEZNS1_13binary_searchIS3_S5_PySG_SI_NS1_21lower_bound_search_opENS9_16wrapped_functionI11custom_lessbEEEE10hipError_tPvRmT1_T2_T3_mmT4_T5_P12ihipStream_tbEUlRKyE_EESP_ST_SU_mSV_SY_bEUlT_E_NS1_11comp_targetILNS1_3genE5ELNS1_11target_archE942ELNS1_3gpuE9ELNS1_3repE0EEENS1_30default_config_static_selectorELNS0_4arch9wavefront6targetE0EEEvSS_,comdat
	.protected	_ZN7rocprim17ROCPRIM_400000_NS6detail17trampoline_kernelINS0_14default_configENS1_27lower_bound_config_selectorIylEEZNS1_14transform_implILb0ES3_S5_N6thrust23THRUST_200600_302600_NS6detail15normal_iteratorINS8_7pointerIyNS8_11hip_rocprim5par_tENS8_11use_defaultESE_EEEENSA_INSB_IlSD_SE_SE_EEEEZNS1_13binary_searchIS3_S5_PySG_SI_NS1_21lower_bound_search_opENS9_16wrapped_functionI11custom_lessbEEEE10hipError_tPvRmT1_T2_T3_mmT4_T5_P12ihipStream_tbEUlRKyE_EESP_ST_SU_mSV_SY_bEUlT_E_NS1_11comp_targetILNS1_3genE5ELNS1_11target_archE942ELNS1_3gpuE9ELNS1_3repE0EEENS1_30default_config_static_selectorELNS0_4arch9wavefront6targetE0EEEvSS_ ; -- Begin function _ZN7rocprim17ROCPRIM_400000_NS6detail17trampoline_kernelINS0_14default_configENS1_27lower_bound_config_selectorIylEEZNS1_14transform_implILb0ES3_S5_N6thrust23THRUST_200600_302600_NS6detail15normal_iteratorINS8_7pointerIyNS8_11hip_rocprim5par_tENS8_11use_defaultESE_EEEENSA_INSB_IlSD_SE_SE_EEEEZNS1_13binary_searchIS3_S5_PySG_SI_NS1_21lower_bound_search_opENS9_16wrapped_functionI11custom_lessbEEEE10hipError_tPvRmT1_T2_T3_mmT4_T5_P12ihipStream_tbEUlRKyE_EESP_ST_SU_mSV_SY_bEUlT_E_NS1_11comp_targetILNS1_3genE5ELNS1_11target_archE942ELNS1_3gpuE9ELNS1_3repE0EEENS1_30default_config_static_selectorELNS0_4arch9wavefront6targetE0EEEvSS_
	.globl	_ZN7rocprim17ROCPRIM_400000_NS6detail17trampoline_kernelINS0_14default_configENS1_27lower_bound_config_selectorIylEEZNS1_14transform_implILb0ES3_S5_N6thrust23THRUST_200600_302600_NS6detail15normal_iteratorINS8_7pointerIyNS8_11hip_rocprim5par_tENS8_11use_defaultESE_EEEENSA_INSB_IlSD_SE_SE_EEEEZNS1_13binary_searchIS3_S5_PySG_SI_NS1_21lower_bound_search_opENS9_16wrapped_functionI11custom_lessbEEEE10hipError_tPvRmT1_T2_T3_mmT4_T5_P12ihipStream_tbEUlRKyE_EESP_ST_SU_mSV_SY_bEUlT_E_NS1_11comp_targetILNS1_3genE5ELNS1_11target_archE942ELNS1_3gpuE9ELNS1_3repE0EEENS1_30default_config_static_selectorELNS0_4arch9wavefront6targetE0EEEvSS_
	.p2align	8
	.type	_ZN7rocprim17ROCPRIM_400000_NS6detail17trampoline_kernelINS0_14default_configENS1_27lower_bound_config_selectorIylEEZNS1_14transform_implILb0ES3_S5_N6thrust23THRUST_200600_302600_NS6detail15normal_iteratorINS8_7pointerIyNS8_11hip_rocprim5par_tENS8_11use_defaultESE_EEEENSA_INSB_IlSD_SE_SE_EEEEZNS1_13binary_searchIS3_S5_PySG_SI_NS1_21lower_bound_search_opENS9_16wrapped_functionI11custom_lessbEEEE10hipError_tPvRmT1_T2_T3_mmT4_T5_P12ihipStream_tbEUlRKyE_EESP_ST_SU_mSV_SY_bEUlT_E_NS1_11comp_targetILNS1_3genE5ELNS1_11target_archE942ELNS1_3gpuE9ELNS1_3repE0EEENS1_30default_config_static_selectorELNS0_4arch9wavefront6targetE0EEEvSS_,@function
_ZN7rocprim17ROCPRIM_400000_NS6detail17trampoline_kernelINS0_14default_configENS1_27lower_bound_config_selectorIylEEZNS1_14transform_implILb0ES3_S5_N6thrust23THRUST_200600_302600_NS6detail15normal_iteratorINS8_7pointerIyNS8_11hip_rocprim5par_tENS8_11use_defaultESE_EEEENSA_INSB_IlSD_SE_SE_EEEEZNS1_13binary_searchIS3_S5_PySG_SI_NS1_21lower_bound_search_opENS9_16wrapped_functionI11custom_lessbEEEE10hipError_tPvRmT1_T2_T3_mmT4_T5_P12ihipStream_tbEUlRKyE_EESP_ST_SU_mSV_SY_bEUlT_E_NS1_11comp_targetILNS1_3genE5ELNS1_11target_archE942ELNS1_3gpuE9ELNS1_3repE0EEENS1_30default_config_static_selectorELNS0_4arch9wavefront6targetE0EEEvSS_: ; @_ZN7rocprim17ROCPRIM_400000_NS6detail17trampoline_kernelINS0_14default_configENS1_27lower_bound_config_selectorIylEEZNS1_14transform_implILb0ES3_S5_N6thrust23THRUST_200600_302600_NS6detail15normal_iteratorINS8_7pointerIyNS8_11hip_rocprim5par_tENS8_11use_defaultESE_EEEENSA_INSB_IlSD_SE_SE_EEEEZNS1_13binary_searchIS3_S5_PySG_SI_NS1_21lower_bound_search_opENS9_16wrapped_functionI11custom_lessbEEEE10hipError_tPvRmT1_T2_T3_mmT4_T5_P12ihipStream_tbEUlRKyE_EESP_ST_SU_mSV_SY_bEUlT_E_NS1_11comp_targetILNS1_3genE5ELNS1_11target_archE942ELNS1_3gpuE9ELNS1_3repE0EEENS1_30default_config_static_selectorELNS0_4arch9wavefront6targetE0EEEvSS_
; %bb.0:
	.section	.rodata,"a",@progbits
	.p2align	6, 0x0
	.amdhsa_kernel _ZN7rocprim17ROCPRIM_400000_NS6detail17trampoline_kernelINS0_14default_configENS1_27lower_bound_config_selectorIylEEZNS1_14transform_implILb0ES3_S5_N6thrust23THRUST_200600_302600_NS6detail15normal_iteratorINS8_7pointerIyNS8_11hip_rocprim5par_tENS8_11use_defaultESE_EEEENSA_INSB_IlSD_SE_SE_EEEEZNS1_13binary_searchIS3_S5_PySG_SI_NS1_21lower_bound_search_opENS9_16wrapped_functionI11custom_lessbEEEE10hipError_tPvRmT1_T2_T3_mmT4_T5_P12ihipStream_tbEUlRKyE_EESP_ST_SU_mSV_SY_bEUlT_E_NS1_11comp_targetILNS1_3genE5ELNS1_11target_archE942ELNS1_3gpuE9ELNS1_3repE0EEENS1_30default_config_static_selectorELNS0_4arch9wavefront6targetE0EEEvSS_
		.amdhsa_group_segment_fixed_size 0
		.amdhsa_private_segment_fixed_size 0
		.amdhsa_kernarg_size 56
		.amdhsa_user_sgpr_count 6
		.amdhsa_user_sgpr_private_segment_buffer 1
		.amdhsa_user_sgpr_dispatch_ptr 0
		.amdhsa_user_sgpr_queue_ptr 0
		.amdhsa_user_sgpr_kernarg_segment_ptr 1
		.amdhsa_user_sgpr_dispatch_id 0
		.amdhsa_user_sgpr_flat_scratch_init 0
		.amdhsa_user_sgpr_private_segment_size 0
		.amdhsa_wavefront_size32 1
		.amdhsa_uses_dynamic_stack 0
		.amdhsa_system_sgpr_private_segment_wavefront_offset 0
		.amdhsa_system_sgpr_workgroup_id_x 1
		.amdhsa_system_sgpr_workgroup_id_y 0
		.amdhsa_system_sgpr_workgroup_id_z 0
		.amdhsa_system_sgpr_workgroup_info 0
		.amdhsa_system_vgpr_workitem_id 0
		.amdhsa_next_free_vgpr 1
		.amdhsa_next_free_sgpr 1
		.amdhsa_reserve_vcc 0
		.amdhsa_reserve_flat_scratch 0
		.amdhsa_float_round_mode_32 0
		.amdhsa_float_round_mode_16_64 0
		.amdhsa_float_denorm_mode_32 3
		.amdhsa_float_denorm_mode_16_64 3
		.amdhsa_dx10_clamp 1
		.amdhsa_ieee_mode 1
		.amdhsa_fp16_overflow 0
		.amdhsa_workgroup_processor_mode 1
		.amdhsa_memory_ordered 1
		.amdhsa_forward_progress 1
		.amdhsa_shared_vgpr_count 0
		.amdhsa_exception_fp_ieee_invalid_op 0
		.amdhsa_exception_fp_denorm_src 0
		.amdhsa_exception_fp_ieee_div_zero 0
		.amdhsa_exception_fp_ieee_overflow 0
		.amdhsa_exception_fp_ieee_underflow 0
		.amdhsa_exception_fp_ieee_inexact 0
		.amdhsa_exception_int_div_zero 0
	.end_amdhsa_kernel
	.section	.text._ZN7rocprim17ROCPRIM_400000_NS6detail17trampoline_kernelINS0_14default_configENS1_27lower_bound_config_selectorIylEEZNS1_14transform_implILb0ES3_S5_N6thrust23THRUST_200600_302600_NS6detail15normal_iteratorINS8_7pointerIyNS8_11hip_rocprim5par_tENS8_11use_defaultESE_EEEENSA_INSB_IlSD_SE_SE_EEEEZNS1_13binary_searchIS3_S5_PySG_SI_NS1_21lower_bound_search_opENS9_16wrapped_functionI11custom_lessbEEEE10hipError_tPvRmT1_T2_T3_mmT4_T5_P12ihipStream_tbEUlRKyE_EESP_ST_SU_mSV_SY_bEUlT_E_NS1_11comp_targetILNS1_3genE5ELNS1_11target_archE942ELNS1_3gpuE9ELNS1_3repE0EEENS1_30default_config_static_selectorELNS0_4arch9wavefront6targetE0EEEvSS_,"axG",@progbits,_ZN7rocprim17ROCPRIM_400000_NS6detail17trampoline_kernelINS0_14default_configENS1_27lower_bound_config_selectorIylEEZNS1_14transform_implILb0ES3_S5_N6thrust23THRUST_200600_302600_NS6detail15normal_iteratorINS8_7pointerIyNS8_11hip_rocprim5par_tENS8_11use_defaultESE_EEEENSA_INSB_IlSD_SE_SE_EEEEZNS1_13binary_searchIS3_S5_PySG_SI_NS1_21lower_bound_search_opENS9_16wrapped_functionI11custom_lessbEEEE10hipError_tPvRmT1_T2_T3_mmT4_T5_P12ihipStream_tbEUlRKyE_EESP_ST_SU_mSV_SY_bEUlT_E_NS1_11comp_targetILNS1_3genE5ELNS1_11target_archE942ELNS1_3gpuE9ELNS1_3repE0EEENS1_30default_config_static_selectorELNS0_4arch9wavefront6targetE0EEEvSS_,comdat
.Lfunc_end45:
	.size	_ZN7rocprim17ROCPRIM_400000_NS6detail17trampoline_kernelINS0_14default_configENS1_27lower_bound_config_selectorIylEEZNS1_14transform_implILb0ES3_S5_N6thrust23THRUST_200600_302600_NS6detail15normal_iteratorINS8_7pointerIyNS8_11hip_rocprim5par_tENS8_11use_defaultESE_EEEENSA_INSB_IlSD_SE_SE_EEEEZNS1_13binary_searchIS3_S5_PySG_SI_NS1_21lower_bound_search_opENS9_16wrapped_functionI11custom_lessbEEEE10hipError_tPvRmT1_T2_T3_mmT4_T5_P12ihipStream_tbEUlRKyE_EESP_ST_SU_mSV_SY_bEUlT_E_NS1_11comp_targetILNS1_3genE5ELNS1_11target_archE942ELNS1_3gpuE9ELNS1_3repE0EEENS1_30default_config_static_selectorELNS0_4arch9wavefront6targetE0EEEvSS_, .Lfunc_end45-_ZN7rocprim17ROCPRIM_400000_NS6detail17trampoline_kernelINS0_14default_configENS1_27lower_bound_config_selectorIylEEZNS1_14transform_implILb0ES3_S5_N6thrust23THRUST_200600_302600_NS6detail15normal_iteratorINS8_7pointerIyNS8_11hip_rocprim5par_tENS8_11use_defaultESE_EEEENSA_INSB_IlSD_SE_SE_EEEEZNS1_13binary_searchIS3_S5_PySG_SI_NS1_21lower_bound_search_opENS9_16wrapped_functionI11custom_lessbEEEE10hipError_tPvRmT1_T2_T3_mmT4_T5_P12ihipStream_tbEUlRKyE_EESP_ST_SU_mSV_SY_bEUlT_E_NS1_11comp_targetILNS1_3genE5ELNS1_11target_archE942ELNS1_3gpuE9ELNS1_3repE0EEENS1_30default_config_static_selectorELNS0_4arch9wavefront6targetE0EEEvSS_
                                        ; -- End function
	.set _ZN7rocprim17ROCPRIM_400000_NS6detail17trampoline_kernelINS0_14default_configENS1_27lower_bound_config_selectorIylEEZNS1_14transform_implILb0ES3_S5_N6thrust23THRUST_200600_302600_NS6detail15normal_iteratorINS8_7pointerIyNS8_11hip_rocprim5par_tENS8_11use_defaultESE_EEEENSA_INSB_IlSD_SE_SE_EEEEZNS1_13binary_searchIS3_S5_PySG_SI_NS1_21lower_bound_search_opENS9_16wrapped_functionI11custom_lessbEEEE10hipError_tPvRmT1_T2_T3_mmT4_T5_P12ihipStream_tbEUlRKyE_EESP_ST_SU_mSV_SY_bEUlT_E_NS1_11comp_targetILNS1_3genE5ELNS1_11target_archE942ELNS1_3gpuE9ELNS1_3repE0EEENS1_30default_config_static_selectorELNS0_4arch9wavefront6targetE0EEEvSS_.num_vgpr, 0
	.set _ZN7rocprim17ROCPRIM_400000_NS6detail17trampoline_kernelINS0_14default_configENS1_27lower_bound_config_selectorIylEEZNS1_14transform_implILb0ES3_S5_N6thrust23THRUST_200600_302600_NS6detail15normal_iteratorINS8_7pointerIyNS8_11hip_rocprim5par_tENS8_11use_defaultESE_EEEENSA_INSB_IlSD_SE_SE_EEEEZNS1_13binary_searchIS3_S5_PySG_SI_NS1_21lower_bound_search_opENS9_16wrapped_functionI11custom_lessbEEEE10hipError_tPvRmT1_T2_T3_mmT4_T5_P12ihipStream_tbEUlRKyE_EESP_ST_SU_mSV_SY_bEUlT_E_NS1_11comp_targetILNS1_3genE5ELNS1_11target_archE942ELNS1_3gpuE9ELNS1_3repE0EEENS1_30default_config_static_selectorELNS0_4arch9wavefront6targetE0EEEvSS_.num_agpr, 0
	.set _ZN7rocprim17ROCPRIM_400000_NS6detail17trampoline_kernelINS0_14default_configENS1_27lower_bound_config_selectorIylEEZNS1_14transform_implILb0ES3_S5_N6thrust23THRUST_200600_302600_NS6detail15normal_iteratorINS8_7pointerIyNS8_11hip_rocprim5par_tENS8_11use_defaultESE_EEEENSA_INSB_IlSD_SE_SE_EEEEZNS1_13binary_searchIS3_S5_PySG_SI_NS1_21lower_bound_search_opENS9_16wrapped_functionI11custom_lessbEEEE10hipError_tPvRmT1_T2_T3_mmT4_T5_P12ihipStream_tbEUlRKyE_EESP_ST_SU_mSV_SY_bEUlT_E_NS1_11comp_targetILNS1_3genE5ELNS1_11target_archE942ELNS1_3gpuE9ELNS1_3repE0EEENS1_30default_config_static_selectorELNS0_4arch9wavefront6targetE0EEEvSS_.numbered_sgpr, 0
	.set _ZN7rocprim17ROCPRIM_400000_NS6detail17trampoline_kernelINS0_14default_configENS1_27lower_bound_config_selectorIylEEZNS1_14transform_implILb0ES3_S5_N6thrust23THRUST_200600_302600_NS6detail15normal_iteratorINS8_7pointerIyNS8_11hip_rocprim5par_tENS8_11use_defaultESE_EEEENSA_INSB_IlSD_SE_SE_EEEEZNS1_13binary_searchIS3_S5_PySG_SI_NS1_21lower_bound_search_opENS9_16wrapped_functionI11custom_lessbEEEE10hipError_tPvRmT1_T2_T3_mmT4_T5_P12ihipStream_tbEUlRKyE_EESP_ST_SU_mSV_SY_bEUlT_E_NS1_11comp_targetILNS1_3genE5ELNS1_11target_archE942ELNS1_3gpuE9ELNS1_3repE0EEENS1_30default_config_static_selectorELNS0_4arch9wavefront6targetE0EEEvSS_.num_named_barrier, 0
	.set _ZN7rocprim17ROCPRIM_400000_NS6detail17trampoline_kernelINS0_14default_configENS1_27lower_bound_config_selectorIylEEZNS1_14transform_implILb0ES3_S5_N6thrust23THRUST_200600_302600_NS6detail15normal_iteratorINS8_7pointerIyNS8_11hip_rocprim5par_tENS8_11use_defaultESE_EEEENSA_INSB_IlSD_SE_SE_EEEEZNS1_13binary_searchIS3_S5_PySG_SI_NS1_21lower_bound_search_opENS9_16wrapped_functionI11custom_lessbEEEE10hipError_tPvRmT1_T2_T3_mmT4_T5_P12ihipStream_tbEUlRKyE_EESP_ST_SU_mSV_SY_bEUlT_E_NS1_11comp_targetILNS1_3genE5ELNS1_11target_archE942ELNS1_3gpuE9ELNS1_3repE0EEENS1_30default_config_static_selectorELNS0_4arch9wavefront6targetE0EEEvSS_.private_seg_size, 0
	.set _ZN7rocprim17ROCPRIM_400000_NS6detail17trampoline_kernelINS0_14default_configENS1_27lower_bound_config_selectorIylEEZNS1_14transform_implILb0ES3_S5_N6thrust23THRUST_200600_302600_NS6detail15normal_iteratorINS8_7pointerIyNS8_11hip_rocprim5par_tENS8_11use_defaultESE_EEEENSA_INSB_IlSD_SE_SE_EEEEZNS1_13binary_searchIS3_S5_PySG_SI_NS1_21lower_bound_search_opENS9_16wrapped_functionI11custom_lessbEEEE10hipError_tPvRmT1_T2_T3_mmT4_T5_P12ihipStream_tbEUlRKyE_EESP_ST_SU_mSV_SY_bEUlT_E_NS1_11comp_targetILNS1_3genE5ELNS1_11target_archE942ELNS1_3gpuE9ELNS1_3repE0EEENS1_30default_config_static_selectorELNS0_4arch9wavefront6targetE0EEEvSS_.uses_vcc, 0
	.set _ZN7rocprim17ROCPRIM_400000_NS6detail17trampoline_kernelINS0_14default_configENS1_27lower_bound_config_selectorIylEEZNS1_14transform_implILb0ES3_S5_N6thrust23THRUST_200600_302600_NS6detail15normal_iteratorINS8_7pointerIyNS8_11hip_rocprim5par_tENS8_11use_defaultESE_EEEENSA_INSB_IlSD_SE_SE_EEEEZNS1_13binary_searchIS3_S5_PySG_SI_NS1_21lower_bound_search_opENS9_16wrapped_functionI11custom_lessbEEEE10hipError_tPvRmT1_T2_T3_mmT4_T5_P12ihipStream_tbEUlRKyE_EESP_ST_SU_mSV_SY_bEUlT_E_NS1_11comp_targetILNS1_3genE5ELNS1_11target_archE942ELNS1_3gpuE9ELNS1_3repE0EEENS1_30default_config_static_selectorELNS0_4arch9wavefront6targetE0EEEvSS_.uses_flat_scratch, 0
	.set _ZN7rocprim17ROCPRIM_400000_NS6detail17trampoline_kernelINS0_14default_configENS1_27lower_bound_config_selectorIylEEZNS1_14transform_implILb0ES3_S5_N6thrust23THRUST_200600_302600_NS6detail15normal_iteratorINS8_7pointerIyNS8_11hip_rocprim5par_tENS8_11use_defaultESE_EEEENSA_INSB_IlSD_SE_SE_EEEEZNS1_13binary_searchIS3_S5_PySG_SI_NS1_21lower_bound_search_opENS9_16wrapped_functionI11custom_lessbEEEE10hipError_tPvRmT1_T2_T3_mmT4_T5_P12ihipStream_tbEUlRKyE_EESP_ST_SU_mSV_SY_bEUlT_E_NS1_11comp_targetILNS1_3genE5ELNS1_11target_archE942ELNS1_3gpuE9ELNS1_3repE0EEENS1_30default_config_static_selectorELNS0_4arch9wavefront6targetE0EEEvSS_.has_dyn_sized_stack, 0
	.set _ZN7rocprim17ROCPRIM_400000_NS6detail17trampoline_kernelINS0_14default_configENS1_27lower_bound_config_selectorIylEEZNS1_14transform_implILb0ES3_S5_N6thrust23THRUST_200600_302600_NS6detail15normal_iteratorINS8_7pointerIyNS8_11hip_rocprim5par_tENS8_11use_defaultESE_EEEENSA_INSB_IlSD_SE_SE_EEEEZNS1_13binary_searchIS3_S5_PySG_SI_NS1_21lower_bound_search_opENS9_16wrapped_functionI11custom_lessbEEEE10hipError_tPvRmT1_T2_T3_mmT4_T5_P12ihipStream_tbEUlRKyE_EESP_ST_SU_mSV_SY_bEUlT_E_NS1_11comp_targetILNS1_3genE5ELNS1_11target_archE942ELNS1_3gpuE9ELNS1_3repE0EEENS1_30default_config_static_selectorELNS0_4arch9wavefront6targetE0EEEvSS_.has_recursion, 0
	.set _ZN7rocprim17ROCPRIM_400000_NS6detail17trampoline_kernelINS0_14default_configENS1_27lower_bound_config_selectorIylEEZNS1_14transform_implILb0ES3_S5_N6thrust23THRUST_200600_302600_NS6detail15normal_iteratorINS8_7pointerIyNS8_11hip_rocprim5par_tENS8_11use_defaultESE_EEEENSA_INSB_IlSD_SE_SE_EEEEZNS1_13binary_searchIS3_S5_PySG_SI_NS1_21lower_bound_search_opENS9_16wrapped_functionI11custom_lessbEEEE10hipError_tPvRmT1_T2_T3_mmT4_T5_P12ihipStream_tbEUlRKyE_EESP_ST_SU_mSV_SY_bEUlT_E_NS1_11comp_targetILNS1_3genE5ELNS1_11target_archE942ELNS1_3gpuE9ELNS1_3repE0EEENS1_30default_config_static_selectorELNS0_4arch9wavefront6targetE0EEEvSS_.has_indirect_call, 0
	.section	.AMDGPU.csdata,"",@progbits
; Kernel info:
; codeLenInByte = 0
; TotalNumSgprs: 0
; NumVgprs: 0
; ScratchSize: 0
; MemoryBound: 0
; FloatMode: 240
; IeeeMode: 1
; LDSByteSize: 0 bytes/workgroup (compile time only)
; SGPRBlocks: 0
; VGPRBlocks: 0
; NumSGPRsForWavesPerEU: 1
; NumVGPRsForWavesPerEU: 1
; Occupancy: 16
; WaveLimiterHint : 0
; COMPUTE_PGM_RSRC2:SCRATCH_EN: 0
; COMPUTE_PGM_RSRC2:USER_SGPR: 6
; COMPUTE_PGM_RSRC2:TRAP_HANDLER: 0
; COMPUTE_PGM_RSRC2:TGID_X_EN: 1
; COMPUTE_PGM_RSRC2:TGID_Y_EN: 0
; COMPUTE_PGM_RSRC2:TGID_Z_EN: 0
; COMPUTE_PGM_RSRC2:TIDIG_COMP_CNT: 0
	.section	.text._ZN7rocprim17ROCPRIM_400000_NS6detail17trampoline_kernelINS0_14default_configENS1_27lower_bound_config_selectorIylEEZNS1_14transform_implILb0ES3_S5_N6thrust23THRUST_200600_302600_NS6detail15normal_iteratorINS8_7pointerIyNS8_11hip_rocprim5par_tENS8_11use_defaultESE_EEEENSA_INSB_IlSD_SE_SE_EEEEZNS1_13binary_searchIS3_S5_PySG_SI_NS1_21lower_bound_search_opENS9_16wrapped_functionI11custom_lessbEEEE10hipError_tPvRmT1_T2_T3_mmT4_T5_P12ihipStream_tbEUlRKyE_EESP_ST_SU_mSV_SY_bEUlT_E_NS1_11comp_targetILNS1_3genE4ELNS1_11target_archE910ELNS1_3gpuE8ELNS1_3repE0EEENS1_30default_config_static_selectorELNS0_4arch9wavefront6targetE0EEEvSS_,"axG",@progbits,_ZN7rocprim17ROCPRIM_400000_NS6detail17trampoline_kernelINS0_14default_configENS1_27lower_bound_config_selectorIylEEZNS1_14transform_implILb0ES3_S5_N6thrust23THRUST_200600_302600_NS6detail15normal_iteratorINS8_7pointerIyNS8_11hip_rocprim5par_tENS8_11use_defaultESE_EEEENSA_INSB_IlSD_SE_SE_EEEEZNS1_13binary_searchIS3_S5_PySG_SI_NS1_21lower_bound_search_opENS9_16wrapped_functionI11custom_lessbEEEE10hipError_tPvRmT1_T2_T3_mmT4_T5_P12ihipStream_tbEUlRKyE_EESP_ST_SU_mSV_SY_bEUlT_E_NS1_11comp_targetILNS1_3genE4ELNS1_11target_archE910ELNS1_3gpuE8ELNS1_3repE0EEENS1_30default_config_static_selectorELNS0_4arch9wavefront6targetE0EEEvSS_,comdat
	.protected	_ZN7rocprim17ROCPRIM_400000_NS6detail17trampoline_kernelINS0_14default_configENS1_27lower_bound_config_selectorIylEEZNS1_14transform_implILb0ES3_S5_N6thrust23THRUST_200600_302600_NS6detail15normal_iteratorINS8_7pointerIyNS8_11hip_rocprim5par_tENS8_11use_defaultESE_EEEENSA_INSB_IlSD_SE_SE_EEEEZNS1_13binary_searchIS3_S5_PySG_SI_NS1_21lower_bound_search_opENS9_16wrapped_functionI11custom_lessbEEEE10hipError_tPvRmT1_T2_T3_mmT4_T5_P12ihipStream_tbEUlRKyE_EESP_ST_SU_mSV_SY_bEUlT_E_NS1_11comp_targetILNS1_3genE4ELNS1_11target_archE910ELNS1_3gpuE8ELNS1_3repE0EEENS1_30default_config_static_selectorELNS0_4arch9wavefront6targetE0EEEvSS_ ; -- Begin function _ZN7rocprim17ROCPRIM_400000_NS6detail17trampoline_kernelINS0_14default_configENS1_27lower_bound_config_selectorIylEEZNS1_14transform_implILb0ES3_S5_N6thrust23THRUST_200600_302600_NS6detail15normal_iteratorINS8_7pointerIyNS8_11hip_rocprim5par_tENS8_11use_defaultESE_EEEENSA_INSB_IlSD_SE_SE_EEEEZNS1_13binary_searchIS3_S5_PySG_SI_NS1_21lower_bound_search_opENS9_16wrapped_functionI11custom_lessbEEEE10hipError_tPvRmT1_T2_T3_mmT4_T5_P12ihipStream_tbEUlRKyE_EESP_ST_SU_mSV_SY_bEUlT_E_NS1_11comp_targetILNS1_3genE4ELNS1_11target_archE910ELNS1_3gpuE8ELNS1_3repE0EEENS1_30default_config_static_selectorELNS0_4arch9wavefront6targetE0EEEvSS_
	.globl	_ZN7rocprim17ROCPRIM_400000_NS6detail17trampoline_kernelINS0_14default_configENS1_27lower_bound_config_selectorIylEEZNS1_14transform_implILb0ES3_S5_N6thrust23THRUST_200600_302600_NS6detail15normal_iteratorINS8_7pointerIyNS8_11hip_rocprim5par_tENS8_11use_defaultESE_EEEENSA_INSB_IlSD_SE_SE_EEEEZNS1_13binary_searchIS3_S5_PySG_SI_NS1_21lower_bound_search_opENS9_16wrapped_functionI11custom_lessbEEEE10hipError_tPvRmT1_T2_T3_mmT4_T5_P12ihipStream_tbEUlRKyE_EESP_ST_SU_mSV_SY_bEUlT_E_NS1_11comp_targetILNS1_3genE4ELNS1_11target_archE910ELNS1_3gpuE8ELNS1_3repE0EEENS1_30default_config_static_selectorELNS0_4arch9wavefront6targetE0EEEvSS_
	.p2align	8
	.type	_ZN7rocprim17ROCPRIM_400000_NS6detail17trampoline_kernelINS0_14default_configENS1_27lower_bound_config_selectorIylEEZNS1_14transform_implILb0ES3_S5_N6thrust23THRUST_200600_302600_NS6detail15normal_iteratorINS8_7pointerIyNS8_11hip_rocprim5par_tENS8_11use_defaultESE_EEEENSA_INSB_IlSD_SE_SE_EEEEZNS1_13binary_searchIS3_S5_PySG_SI_NS1_21lower_bound_search_opENS9_16wrapped_functionI11custom_lessbEEEE10hipError_tPvRmT1_T2_T3_mmT4_T5_P12ihipStream_tbEUlRKyE_EESP_ST_SU_mSV_SY_bEUlT_E_NS1_11comp_targetILNS1_3genE4ELNS1_11target_archE910ELNS1_3gpuE8ELNS1_3repE0EEENS1_30default_config_static_selectorELNS0_4arch9wavefront6targetE0EEEvSS_,@function
_ZN7rocprim17ROCPRIM_400000_NS6detail17trampoline_kernelINS0_14default_configENS1_27lower_bound_config_selectorIylEEZNS1_14transform_implILb0ES3_S5_N6thrust23THRUST_200600_302600_NS6detail15normal_iteratorINS8_7pointerIyNS8_11hip_rocprim5par_tENS8_11use_defaultESE_EEEENSA_INSB_IlSD_SE_SE_EEEEZNS1_13binary_searchIS3_S5_PySG_SI_NS1_21lower_bound_search_opENS9_16wrapped_functionI11custom_lessbEEEE10hipError_tPvRmT1_T2_T3_mmT4_T5_P12ihipStream_tbEUlRKyE_EESP_ST_SU_mSV_SY_bEUlT_E_NS1_11comp_targetILNS1_3genE4ELNS1_11target_archE910ELNS1_3gpuE8ELNS1_3repE0EEENS1_30default_config_static_selectorELNS0_4arch9wavefront6targetE0EEEvSS_: ; @_ZN7rocprim17ROCPRIM_400000_NS6detail17trampoline_kernelINS0_14default_configENS1_27lower_bound_config_selectorIylEEZNS1_14transform_implILb0ES3_S5_N6thrust23THRUST_200600_302600_NS6detail15normal_iteratorINS8_7pointerIyNS8_11hip_rocprim5par_tENS8_11use_defaultESE_EEEENSA_INSB_IlSD_SE_SE_EEEEZNS1_13binary_searchIS3_S5_PySG_SI_NS1_21lower_bound_search_opENS9_16wrapped_functionI11custom_lessbEEEE10hipError_tPvRmT1_T2_T3_mmT4_T5_P12ihipStream_tbEUlRKyE_EESP_ST_SU_mSV_SY_bEUlT_E_NS1_11comp_targetILNS1_3genE4ELNS1_11target_archE910ELNS1_3gpuE8ELNS1_3repE0EEENS1_30default_config_static_selectorELNS0_4arch9wavefront6targetE0EEEvSS_
; %bb.0:
	.section	.rodata,"a",@progbits
	.p2align	6, 0x0
	.amdhsa_kernel _ZN7rocprim17ROCPRIM_400000_NS6detail17trampoline_kernelINS0_14default_configENS1_27lower_bound_config_selectorIylEEZNS1_14transform_implILb0ES3_S5_N6thrust23THRUST_200600_302600_NS6detail15normal_iteratorINS8_7pointerIyNS8_11hip_rocprim5par_tENS8_11use_defaultESE_EEEENSA_INSB_IlSD_SE_SE_EEEEZNS1_13binary_searchIS3_S5_PySG_SI_NS1_21lower_bound_search_opENS9_16wrapped_functionI11custom_lessbEEEE10hipError_tPvRmT1_T2_T3_mmT4_T5_P12ihipStream_tbEUlRKyE_EESP_ST_SU_mSV_SY_bEUlT_E_NS1_11comp_targetILNS1_3genE4ELNS1_11target_archE910ELNS1_3gpuE8ELNS1_3repE0EEENS1_30default_config_static_selectorELNS0_4arch9wavefront6targetE0EEEvSS_
		.amdhsa_group_segment_fixed_size 0
		.amdhsa_private_segment_fixed_size 0
		.amdhsa_kernarg_size 56
		.amdhsa_user_sgpr_count 6
		.amdhsa_user_sgpr_private_segment_buffer 1
		.amdhsa_user_sgpr_dispatch_ptr 0
		.amdhsa_user_sgpr_queue_ptr 0
		.amdhsa_user_sgpr_kernarg_segment_ptr 1
		.amdhsa_user_sgpr_dispatch_id 0
		.amdhsa_user_sgpr_flat_scratch_init 0
		.amdhsa_user_sgpr_private_segment_size 0
		.amdhsa_wavefront_size32 1
		.amdhsa_uses_dynamic_stack 0
		.amdhsa_system_sgpr_private_segment_wavefront_offset 0
		.amdhsa_system_sgpr_workgroup_id_x 1
		.amdhsa_system_sgpr_workgroup_id_y 0
		.amdhsa_system_sgpr_workgroup_id_z 0
		.amdhsa_system_sgpr_workgroup_info 0
		.amdhsa_system_vgpr_workitem_id 0
		.amdhsa_next_free_vgpr 1
		.amdhsa_next_free_sgpr 1
		.amdhsa_reserve_vcc 0
		.amdhsa_reserve_flat_scratch 0
		.amdhsa_float_round_mode_32 0
		.amdhsa_float_round_mode_16_64 0
		.amdhsa_float_denorm_mode_32 3
		.amdhsa_float_denorm_mode_16_64 3
		.amdhsa_dx10_clamp 1
		.amdhsa_ieee_mode 1
		.amdhsa_fp16_overflow 0
		.amdhsa_workgroup_processor_mode 1
		.amdhsa_memory_ordered 1
		.amdhsa_forward_progress 1
		.amdhsa_shared_vgpr_count 0
		.amdhsa_exception_fp_ieee_invalid_op 0
		.amdhsa_exception_fp_denorm_src 0
		.amdhsa_exception_fp_ieee_div_zero 0
		.amdhsa_exception_fp_ieee_overflow 0
		.amdhsa_exception_fp_ieee_underflow 0
		.amdhsa_exception_fp_ieee_inexact 0
		.amdhsa_exception_int_div_zero 0
	.end_amdhsa_kernel
	.section	.text._ZN7rocprim17ROCPRIM_400000_NS6detail17trampoline_kernelINS0_14default_configENS1_27lower_bound_config_selectorIylEEZNS1_14transform_implILb0ES3_S5_N6thrust23THRUST_200600_302600_NS6detail15normal_iteratorINS8_7pointerIyNS8_11hip_rocprim5par_tENS8_11use_defaultESE_EEEENSA_INSB_IlSD_SE_SE_EEEEZNS1_13binary_searchIS3_S5_PySG_SI_NS1_21lower_bound_search_opENS9_16wrapped_functionI11custom_lessbEEEE10hipError_tPvRmT1_T2_T3_mmT4_T5_P12ihipStream_tbEUlRKyE_EESP_ST_SU_mSV_SY_bEUlT_E_NS1_11comp_targetILNS1_3genE4ELNS1_11target_archE910ELNS1_3gpuE8ELNS1_3repE0EEENS1_30default_config_static_selectorELNS0_4arch9wavefront6targetE0EEEvSS_,"axG",@progbits,_ZN7rocprim17ROCPRIM_400000_NS6detail17trampoline_kernelINS0_14default_configENS1_27lower_bound_config_selectorIylEEZNS1_14transform_implILb0ES3_S5_N6thrust23THRUST_200600_302600_NS6detail15normal_iteratorINS8_7pointerIyNS8_11hip_rocprim5par_tENS8_11use_defaultESE_EEEENSA_INSB_IlSD_SE_SE_EEEEZNS1_13binary_searchIS3_S5_PySG_SI_NS1_21lower_bound_search_opENS9_16wrapped_functionI11custom_lessbEEEE10hipError_tPvRmT1_T2_T3_mmT4_T5_P12ihipStream_tbEUlRKyE_EESP_ST_SU_mSV_SY_bEUlT_E_NS1_11comp_targetILNS1_3genE4ELNS1_11target_archE910ELNS1_3gpuE8ELNS1_3repE0EEENS1_30default_config_static_selectorELNS0_4arch9wavefront6targetE0EEEvSS_,comdat
.Lfunc_end46:
	.size	_ZN7rocprim17ROCPRIM_400000_NS6detail17trampoline_kernelINS0_14default_configENS1_27lower_bound_config_selectorIylEEZNS1_14transform_implILb0ES3_S5_N6thrust23THRUST_200600_302600_NS6detail15normal_iteratorINS8_7pointerIyNS8_11hip_rocprim5par_tENS8_11use_defaultESE_EEEENSA_INSB_IlSD_SE_SE_EEEEZNS1_13binary_searchIS3_S5_PySG_SI_NS1_21lower_bound_search_opENS9_16wrapped_functionI11custom_lessbEEEE10hipError_tPvRmT1_T2_T3_mmT4_T5_P12ihipStream_tbEUlRKyE_EESP_ST_SU_mSV_SY_bEUlT_E_NS1_11comp_targetILNS1_3genE4ELNS1_11target_archE910ELNS1_3gpuE8ELNS1_3repE0EEENS1_30default_config_static_selectorELNS0_4arch9wavefront6targetE0EEEvSS_, .Lfunc_end46-_ZN7rocprim17ROCPRIM_400000_NS6detail17trampoline_kernelINS0_14default_configENS1_27lower_bound_config_selectorIylEEZNS1_14transform_implILb0ES3_S5_N6thrust23THRUST_200600_302600_NS6detail15normal_iteratorINS8_7pointerIyNS8_11hip_rocprim5par_tENS8_11use_defaultESE_EEEENSA_INSB_IlSD_SE_SE_EEEEZNS1_13binary_searchIS3_S5_PySG_SI_NS1_21lower_bound_search_opENS9_16wrapped_functionI11custom_lessbEEEE10hipError_tPvRmT1_T2_T3_mmT4_T5_P12ihipStream_tbEUlRKyE_EESP_ST_SU_mSV_SY_bEUlT_E_NS1_11comp_targetILNS1_3genE4ELNS1_11target_archE910ELNS1_3gpuE8ELNS1_3repE0EEENS1_30default_config_static_selectorELNS0_4arch9wavefront6targetE0EEEvSS_
                                        ; -- End function
	.set _ZN7rocprim17ROCPRIM_400000_NS6detail17trampoline_kernelINS0_14default_configENS1_27lower_bound_config_selectorIylEEZNS1_14transform_implILb0ES3_S5_N6thrust23THRUST_200600_302600_NS6detail15normal_iteratorINS8_7pointerIyNS8_11hip_rocprim5par_tENS8_11use_defaultESE_EEEENSA_INSB_IlSD_SE_SE_EEEEZNS1_13binary_searchIS3_S5_PySG_SI_NS1_21lower_bound_search_opENS9_16wrapped_functionI11custom_lessbEEEE10hipError_tPvRmT1_T2_T3_mmT4_T5_P12ihipStream_tbEUlRKyE_EESP_ST_SU_mSV_SY_bEUlT_E_NS1_11comp_targetILNS1_3genE4ELNS1_11target_archE910ELNS1_3gpuE8ELNS1_3repE0EEENS1_30default_config_static_selectorELNS0_4arch9wavefront6targetE0EEEvSS_.num_vgpr, 0
	.set _ZN7rocprim17ROCPRIM_400000_NS6detail17trampoline_kernelINS0_14default_configENS1_27lower_bound_config_selectorIylEEZNS1_14transform_implILb0ES3_S5_N6thrust23THRUST_200600_302600_NS6detail15normal_iteratorINS8_7pointerIyNS8_11hip_rocprim5par_tENS8_11use_defaultESE_EEEENSA_INSB_IlSD_SE_SE_EEEEZNS1_13binary_searchIS3_S5_PySG_SI_NS1_21lower_bound_search_opENS9_16wrapped_functionI11custom_lessbEEEE10hipError_tPvRmT1_T2_T3_mmT4_T5_P12ihipStream_tbEUlRKyE_EESP_ST_SU_mSV_SY_bEUlT_E_NS1_11comp_targetILNS1_3genE4ELNS1_11target_archE910ELNS1_3gpuE8ELNS1_3repE0EEENS1_30default_config_static_selectorELNS0_4arch9wavefront6targetE0EEEvSS_.num_agpr, 0
	.set _ZN7rocprim17ROCPRIM_400000_NS6detail17trampoline_kernelINS0_14default_configENS1_27lower_bound_config_selectorIylEEZNS1_14transform_implILb0ES3_S5_N6thrust23THRUST_200600_302600_NS6detail15normal_iteratorINS8_7pointerIyNS8_11hip_rocprim5par_tENS8_11use_defaultESE_EEEENSA_INSB_IlSD_SE_SE_EEEEZNS1_13binary_searchIS3_S5_PySG_SI_NS1_21lower_bound_search_opENS9_16wrapped_functionI11custom_lessbEEEE10hipError_tPvRmT1_T2_T3_mmT4_T5_P12ihipStream_tbEUlRKyE_EESP_ST_SU_mSV_SY_bEUlT_E_NS1_11comp_targetILNS1_3genE4ELNS1_11target_archE910ELNS1_3gpuE8ELNS1_3repE0EEENS1_30default_config_static_selectorELNS0_4arch9wavefront6targetE0EEEvSS_.numbered_sgpr, 0
	.set _ZN7rocprim17ROCPRIM_400000_NS6detail17trampoline_kernelINS0_14default_configENS1_27lower_bound_config_selectorIylEEZNS1_14transform_implILb0ES3_S5_N6thrust23THRUST_200600_302600_NS6detail15normal_iteratorINS8_7pointerIyNS8_11hip_rocprim5par_tENS8_11use_defaultESE_EEEENSA_INSB_IlSD_SE_SE_EEEEZNS1_13binary_searchIS3_S5_PySG_SI_NS1_21lower_bound_search_opENS9_16wrapped_functionI11custom_lessbEEEE10hipError_tPvRmT1_T2_T3_mmT4_T5_P12ihipStream_tbEUlRKyE_EESP_ST_SU_mSV_SY_bEUlT_E_NS1_11comp_targetILNS1_3genE4ELNS1_11target_archE910ELNS1_3gpuE8ELNS1_3repE0EEENS1_30default_config_static_selectorELNS0_4arch9wavefront6targetE0EEEvSS_.num_named_barrier, 0
	.set _ZN7rocprim17ROCPRIM_400000_NS6detail17trampoline_kernelINS0_14default_configENS1_27lower_bound_config_selectorIylEEZNS1_14transform_implILb0ES3_S5_N6thrust23THRUST_200600_302600_NS6detail15normal_iteratorINS8_7pointerIyNS8_11hip_rocprim5par_tENS8_11use_defaultESE_EEEENSA_INSB_IlSD_SE_SE_EEEEZNS1_13binary_searchIS3_S5_PySG_SI_NS1_21lower_bound_search_opENS9_16wrapped_functionI11custom_lessbEEEE10hipError_tPvRmT1_T2_T3_mmT4_T5_P12ihipStream_tbEUlRKyE_EESP_ST_SU_mSV_SY_bEUlT_E_NS1_11comp_targetILNS1_3genE4ELNS1_11target_archE910ELNS1_3gpuE8ELNS1_3repE0EEENS1_30default_config_static_selectorELNS0_4arch9wavefront6targetE0EEEvSS_.private_seg_size, 0
	.set _ZN7rocprim17ROCPRIM_400000_NS6detail17trampoline_kernelINS0_14default_configENS1_27lower_bound_config_selectorIylEEZNS1_14transform_implILb0ES3_S5_N6thrust23THRUST_200600_302600_NS6detail15normal_iteratorINS8_7pointerIyNS8_11hip_rocprim5par_tENS8_11use_defaultESE_EEEENSA_INSB_IlSD_SE_SE_EEEEZNS1_13binary_searchIS3_S5_PySG_SI_NS1_21lower_bound_search_opENS9_16wrapped_functionI11custom_lessbEEEE10hipError_tPvRmT1_T2_T3_mmT4_T5_P12ihipStream_tbEUlRKyE_EESP_ST_SU_mSV_SY_bEUlT_E_NS1_11comp_targetILNS1_3genE4ELNS1_11target_archE910ELNS1_3gpuE8ELNS1_3repE0EEENS1_30default_config_static_selectorELNS0_4arch9wavefront6targetE0EEEvSS_.uses_vcc, 0
	.set _ZN7rocprim17ROCPRIM_400000_NS6detail17trampoline_kernelINS0_14default_configENS1_27lower_bound_config_selectorIylEEZNS1_14transform_implILb0ES3_S5_N6thrust23THRUST_200600_302600_NS6detail15normal_iteratorINS8_7pointerIyNS8_11hip_rocprim5par_tENS8_11use_defaultESE_EEEENSA_INSB_IlSD_SE_SE_EEEEZNS1_13binary_searchIS3_S5_PySG_SI_NS1_21lower_bound_search_opENS9_16wrapped_functionI11custom_lessbEEEE10hipError_tPvRmT1_T2_T3_mmT4_T5_P12ihipStream_tbEUlRKyE_EESP_ST_SU_mSV_SY_bEUlT_E_NS1_11comp_targetILNS1_3genE4ELNS1_11target_archE910ELNS1_3gpuE8ELNS1_3repE0EEENS1_30default_config_static_selectorELNS0_4arch9wavefront6targetE0EEEvSS_.uses_flat_scratch, 0
	.set _ZN7rocprim17ROCPRIM_400000_NS6detail17trampoline_kernelINS0_14default_configENS1_27lower_bound_config_selectorIylEEZNS1_14transform_implILb0ES3_S5_N6thrust23THRUST_200600_302600_NS6detail15normal_iteratorINS8_7pointerIyNS8_11hip_rocprim5par_tENS8_11use_defaultESE_EEEENSA_INSB_IlSD_SE_SE_EEEEZNS1_13binary_searchIS3_S5_PySG_SI_NS1_21lower_bound_search_opENS9_16wrapped_functionI11custom_lessbEEEE10hipError_tPvRmT1_T2_T3_mmT4_T5_P12ihipStream_tbEUlRKyE_EESP_ST_SU_mSV_SY_bEUlT_E_NS1_11comp_targetILNS1_3genE4ELNS1_11target_archE910ELNS1_3gpuE8ELNS1_3repE0EEENS1_30default_config_static_selectorELNS0_4arch9wavefront6targetE0EEEvSS_.has_dyn_sized_stack, 0
	.set _ZN7rocprim17ROCPRIM_400000_NS6detail17trampoline_kernelINS0_14default_configENS1_27lower_bound_config_selectorIylEEZNS1_14transform_implILb0ES3_S5_N6thrust23THRUST_200600_302600_NS6detail15normal_iteratorINS8_7pointerIyNS8_11hip_rocprim5par_tENS8_11use_defaultESE_EEEENSA_INSB_IlSD_SE_SE_EEEEZNS1_13binary_searchIS3_S5_PySG_SI_NS1_21lower_bound_search_opENS9_16wrapped_functionI11custom_lessbEEEE10hipError_tPvRmT1_T2_T3_mmT4_T5_P12ihipStream_tbEUlRKyE_EESP_ST_SU_mSV_SY_bEUlT_E_NS1_11comp_targetILNS1_3genE4ELNS1_11target_archE910ELNS1_3gpuE8ELNS1_3repE0EEENS1_30default_config_static_selectorELNS0_4arch9wavefront6targetE0EEEvSS_.has_recursion, 0
	.set _ZN7rocprim17ROCPRIM_400000_NS6detail17trampoline_kernelINS0_14default_configENS1_27lower_bound_config_selectorIylEEZNS1_14transform_implILb0ES3_S5_N6thrust23THRUST_200600_302600_NS6detail15normal_iteratorINS8_7pointerIyNS8_11hip_rocprim5par_tENS8_11use_defaultESE_EEEENSA_INSB_IlSD_SE_SE_EEEEZNS1_13binary_searchIS3_S5_PySG_SI_NS1_21lower_bound_search_opENS9_16wrapped_functionI11custom_lessbEEEE10hipError_tPvRmT1_T2_T3_mmT4_T5_P12ihipStream_tbEUlRKyE_EESP_ST_SU_mSV_SY_bEUlT_E_NS1_11comp_targetILNS1_3genE4ELNS1_11target_archE910ELNS1_3gpuE8ELNS1_3repE0EEENS1_30default_config_static_selectorELNS0_4arch9wavefront6targetE0EEEvSS_.has_indirect_call, 0
	.section	.AMDGPU.csdata,"",@progbits
; Kernel info:
; codeLenInByte = 0
; TotalNumSgprs: 0
; NumVgprs: 0
; ScratchSize: 0
; MemoryBound: 0
; FloatMode: 240
; IeeeMode: 1
; LDSByteSize: 0 bytes/workgroup (compile time only)
; SGPRBlocks: 0
; VGPRBlocks: 0
; NumSGPRsForWavesPerEU: 1
; NumVGPRsForWavesPerEU: 1
; Occupancy: 16
; WaveLimiterHint : 0
; COMPUTE_PGM_RSRC2:SCRATCH_EN: 0
; COMPUTE_PGM_RSRC2:USER_SGPR: 6
; COMPUTE_PGM_RSRC2:TRAP_HANDLER: 0
; COMPUTE_PGM_RSRC2:TGID_X_EN: 1
; COMPUTE_PGM_RSRC2:TGID_Y_EN: 0
; COMPUTE_PGM_RSRC2:TGID_Z_EN: 0
; COMPUTE_PGM_RSRC2:TIDIG_COMP_CNT: 0
	.section	.text._ZN7rocprim17ROCPRIM_400000_NS6detail17trampoline_kernelINS0_14default_configENS1_27lower_bound_config_selectorIylEEZNS1_14transform_implILb0ES3_S5_N6thrust23THRUST_200600_302600_NS6detail15normal_iteratorINS8_7pointerIyNS8_11hip_rocprim5par_tENS8_11use_defaultESE_EEEENSA_INSB_IlSD_SE_SE_EEEEZNS1_13binary_searchIS3_S5_PySG_SI_NS1_21lower_bound_search_opENS9_16wrapped_functionI11custom_lessbEEEE10hipError_tPvRmT1_T2_T3_mmT4_T5_P12ihipStream_tbEUlRKyE_EESP_ST_SU_mSV_SY_bEUlT_E_NS1_11comp_targetILNS1_3genE3ELNS1_11target_archE908ELNS1_3gpuE7ELNS1_3repE0EEENS1_30default_config_static_selectorELNS0_4arch9wavefront6targetE0EEEvSS_,"axG",@progbits,_ZN7rocprim17ROCPRIM_400000_NS6detail17trampoline_kernelINS0_14default_configENS1_27lower_bound_config_selectorIylEEZNS1_14transform_implILb0ES3_S5_N6thrust23THRUST_200600_302600_NS6detail15normal_iteratorINS8_7pointerIyNS8_11hip_rocprim5par_tENS8_11use_defaultESE_EEEENSA_INSB_IlSD_SE_SE_EEEEZNS1_13binary_searchIS3_S5_PySG_SI_NS1_21lower_bound_search_opENS9_16wrapped_functionI11custom_lessbEEEE10hipError_tPvRmT1_T2_T3_mmT4_T5_P12ihipStream_tbEUlRKyE_EESP_ST_SU_mSV_SY_bEUlT_E_NS1_11comp_targetILNS1_3genE3ELNS1_11target_archE908ELNS1_3gpuE7ELNS1_3repE0EEENS1_30default_config_static_selectorELNS0_4arch9wavefront6targetE0EEEvSS_,comdat
	.protected	_ZN7rocprim17ROCPRIM_400000_NS6detail17trampoline_kernelINS0_14default_configENS1_27lower_bound_config_selectorIylEEZNS1_14transform_implILb0ES3_S5_N6thrust23THRUST_200600_302600_NS6detail15normal_iteratorINS8_7pointerIyNS8_11hip_rocprim5par_tENS8_11use_defaultESE_EEEENSA_INSB_IlSD_SE_SE_EEEEZNS1_13binary_searchIS3_S5_PySG_SI_NS1_21lower_bound_search_opENS9_16wrapped_functionI11custom_lessbEEEE10hipError_tPvRmT1_T2_T3_mmT4_T5_P12ihipStream_tbEUlRKyE_EESP_ST_SU_mSV_SY_bEUlT_E_NS1_11comp_targetILNS1_3genE3ELNS1_11target_archE908ELNS1_3gpuE7ELNS1_3repE0EEENS1_30default_config_static_selectorELNS0_4arch9wavefront6targetE0EEEvSS_ ; -- Begin function _ZN7rocprim17ROCPRIM_400000_NS6detail17trampoline_kernelINS0_14default_configENS1_27lower_bound_config_selectorIylEEZNS1_14transform_implILb0ES3_S5_N6thrust23THRUST_200600_302600_NS6detail15normal_iteratorINS8_7pointerIyNS8_11hip_rocprim5par_tENS8_11use_defaultESE_EEEENSA_INSB_IlSD_SE_SE_EEEEZNS1_13binary_searchIS3_S5_PySG_SI_NS1_21lower_bound_search_opENS9_16wrapped_functionI11custom_lessbEEEE10hipError_tPvRmT1_T2_T3_mmT4_T5_P12ihipStream_tbEUlRKyE_EESP_ST_SU_mSV_SY_bEUlT_E_NS1_11comp_targetILNS1_3genE3ELNS1_11target_archE908ELNS1_3gpuE7ELNS1_3repE0EEENS1_30default_config_static_selectorELNS0_4arch9wavefront6targetE0EEEvSS_
	.globl	_ZN7rocprim17ROCPRIM_400000_NS6detail17trampoline_kernelINS0_14default_configENS1_27lower_bound_config_selectorIylEEZNS1_14transform_implILb0ES3_S5_N6thrust23THRUST_200600_302600_NS6detail15normal_iteratorINS8_7pointerIyNS8_11hip_rocprim5par_tENS8_11use_defaultESE_EEEENSA_INSB_IlSD_SE_SE_EEEEZNS1_13binary_searchIS3_S5_PySG_SI_NS1_21lower_bound_search_opENS9_16wrapped_functionI11custom_lessbEEEE10hipError_tPvRmT1_T2_T3_mmT4_T5_P12ihipStream_tbEUlRKyE_EESP_ST_SU_mSV_SY_bEUlT_E_NS1_11comp_targetILNS1_3genE3ELNS1_11target_archE908ELNS1_3gpuE7ELNS1_3repE0EEENS1_30default_config_static_selectorELNS0_4arch9wavefront6targetE0EEEvSS_
	.p2align	8
	.type	_ZN7rocprim17ROCPRIM_400000_NS6detail17trampoline_kernelINS0_14default_configENS1_27lower_bound_config_selectorIylEEZNS1_14transform_implILb0ES3_S5_N6thrust23THRUST_200600_302600_NS6detail15normal_iteratorINS8_7pointerIyNS8_11hip_rocprim5par_tENS8_11use_defaultESE_EEEENSA_INSB_IlSD_SE_SE_EEEEZNS1_13binary_searchIS3_S5_PySG_SI_NS1_21lower_bound_search_opENS9_16wrapped_functionI11custom_lessbEEEE10hipError_tPvRmT1_T2_T3_mmT4_T5_P12ihipStream_tbEUlRKyE_EESP_ST_SU_mSV_SY_bEUlT_E_NS1_11comp_targetILNS1_3genE3ELNS1_11target_archE908ELNS1_3gpuE7ELNS1_3repE0EEENS1_30default_config_static_selectorELNS0_4arch9wavefront6targetE0EEEvSS_,@function
_ZN7rocprim17ROCPRIM_400000_NS6detail17trampoline_kernelINS0_14default_configENS1_27lower_bound_config_selectorIylEEZNS1_14transform_implILb0ES3_S5_N6thrust23THRUST_200600_302600_NS6detail15normal_iteratorINS8_7pointerIyNS8_11hip_rocprim5par_tENS8_11use_defaultESE_EEEENSA_INSB_IlSD_SE_SE_EEEEZNS1_13binary_searchIS3_S5_PySG_SI_NS1_21lower_bound_search_opENS9_16wrapped_functionI11custom_lessbEEEE10hipError_tPvRmT1_T2_T3_mmT4_T5_P12ihipStream_tbEUlRKyE_EESP_ST_SU_mSV_SY_bEUlT_E_NS1_11comp_targetILNS1_3genE3ELNS1_11target_archE908ELNS1_3gpuE7ELNS1_3repE0EEENS1_30default_config_static_selectorELNS0_4arch9wavefront6targetE0EEEvSS_: ; @_ZN7rocprim17ROCPRIM_400000_NS6detail17trampoline_kernelINS0_14default_configENS1_27lower_bound_config_selectorIylEEZNS1_14transform_implILb0ES3_S5_N6thrust23THRUST_200600_302600_NS6detail15normal_iteratorINS8_7pointerIyNS8_11hip_rocprim5par_tENS8_11use_defaultESE_EEEENSA_INSB_IlSD_SE_SE_EEEEZNS1_13binary_searchIS3_S5_PySG_SI_NS1_21lower_bound_search_opENS9_16wrapped_functionI11custom_lessbEEEE10hipError_tPvRmT1_T2_T3_mmT4_T5_P12ihipStream_tbEUlRKyE_EESP_ST_SU_mSV_SY_bEUlT_E_NS1_11comp_targetILNS1_3genE3ELNS1_11target_archE908ELNS1_3gpuE7ELNS1_3repE0EEENS1_30default_config_static_selectorELNS0_4arch9wavefront6targetE0EEEvSS_
; %bb.0:
	.section	.rodata,"a",@progbits
	.p2align	6, 0x0
	.amdhsa_kernel _ZN7rocprim17ROCPRIM_400000_NS6detail17trampoline_kernelINS0_14default_configENS1_27lower_bound_config_selectorIylEEZNS1_14transform_implILb0ES3_S5_N6thrust23THRUST_200600_302600_NS6detail15normal_iteratorINS8_7pointerIyNS8_11hip_rocprim5par_tENS8_11use_defaultESE_EEEENSA_INSB_IlSD_SE_SE_EEEEZNS1_13binary_searchIS3_S5_PySG_SI_NS1_21lower_bound_search_opENS9_16wrapped_functionI11custom_lessbEEEE10hipError_tPvRmT1_T2_T3_mmT4_T5_P12ihipStream_tbEUlRKyE_EESP_ST_SU_mSV_SY_bEUlT_E_NS1_11comp_targetILNS1_3genE3ELNS1_11target_archE908ELNS1_3gpuE7ELNS1_3repE0EEENS1_30default_config_static_selectorELNS0_4arch9wavefront6targetE0EEEvSS_
		.amdhsa_group_segment_fixed_size 0
		.amdhsa_private_segment_fixed_size 0
		.amdhsa_kernarg_size 56
		.amdhsa_user_sgpr_count 6
		.amdhsa_user_sgpr_private_segment_buffer 1
		.amdhsa_user_sgpr_dispatch_ptr 0
		.amdhsa_user_sgpr_queue_ptr 0
		.amdhsa_user_sgpr_kernarg_segment_ptr 1
		.amdhsa_user_sgpr_dispatch_id 0
		.amdhsa_user_sgpr_flat_scratch_init 0
		.amdhsa_user_sgpr_private_segment_size 0
		.amdhsa_wavefront_size32 1
		.amdhsa_uses_dynamic_stack 0
		.amdhsa_system_sgpr_private_segment_wavefront_offset 0
		.amdhsa_system_sgpr_workgroup_id_x 1
		.amdhsa_system_sgpr_workgroup_id_y 0
		.amdhsa_system_sgpr_workgroup_id_z 0
		.amdhsa_system_sgpr_workgroup_info 0
		.amdhsa_system_vgpr_workitem_id 0
		.amdhsa_next_free_vgpr 1
		.amdhsa_next_free_sgpr 1
		.amdhsa_reserve_vcc 0
		.amdhsa_reserve_flat_scratch 0
		.amdhsa_float_round_mode_32 0
		.amdhsa_float_round_mode_16_64 0
		.amdhsa_float_denorm_mode_32 3
		.amdhsa_float_denorm_mode_16_64 3
		.amdhsa_dx10_clamp 1
		.amdhsa_ieee_mode 1
		.amdhsa_fp16_overflow 0
		.amdhsa_workgroup_processor_mode 1
		.amdhsa_memory_ordered 1
		.amdhsa_forward_progress 1
		.amdhsa_shared_vgpr_count 0
		.amdhsa_exception_fp_ieee_invalid_op 0
		.amdhsa_exception_fp_denorm_src 0
		.amdhsa_exception_fp_ieee_div_zero 0
		.amdhsa_exception_fp_ieee_overflow 0
		.amdhsa_exception_fp_ieee_underflow 0
		.amdhsa_exception_fp_ieee_inexact 0
		.amdhsa_exception_int_div_zero 0
	.end_amdhsa_kernel
	.section	.text._ZN7rocprim17ROCPRIM_400000_NS6detail17trampoline_kernelINS0_14default_configENS1_27lower_bound_config_selectorIylEEZNS1_14transform_implILb0ES3_S5_N6thrust23THRUST_200600_302600_NS6detail15normal_iteratorINS8_7pointerIyNS8_11hip_rocprim5par_tENS8_11use_defaultESE_EEEENSA_INSB_IlSD_SE_SE_EEEEZNS1_13binary_searchIS3_S5_PySG_SI_NS1_21lower_bound_search_opENS9_16wrapped_functionI11custom_lessbEEEE10hipError_tPvRmT1_T2_T3_mmT4_T5_P12ihipStream_tbEUlRKyE_EESP_ST_SU_mSV_SY_bEUlT_E_NS1_11comp_targetILNS1_3genE3ELNS1_11target_archE908ELNS1_3gpuE7ELNS1_3repE0EEENS1_30default_config_static_selectorELNS0_4arch9wavefront6targetE0EEEvSS_,"axG",@progbits,_ZN7rocprim17ROCPRIM_400000_NS6detail17trampoline_kernelINS0_14default_configENS1_27lower_bound_config_selectorIylEEZNS1_14transform_implILb0ES3_S5_N6thrust23THRUST_200600_302600_NS6detail15normal_iteratorINS8_7pointerIyNS8_11hip_rocprim5par_tENS8_11use_defaultESE_EEEENSA_INSB_IlSD_SE_SE_EEEEZNS1_13binary_searchIS3_S5_PySG_SI_NS1_21lower_bound_search_opENS9_16wrapped_functionI11custom_lessbEEEE10hipError_tPvRmT1_T2_T3_mmT4_T5_P12ihipStream_tbEUlRKyE_EESP_ST_SU_mSV_SY_bEUlT_E_NS1_11comp_targetILNS1_3genE3ELNS1_11target_archE908ELNS1_3gpuE7ELNS1_3repE0EEENS1_30default_config_static_selectorELNS0_4arch9wavefront6targetE0EEEvSS_,comdat
.Lfunc_end47:
	.size	_ZN7rocprim17ROCPRIM_400000_NS6detail17trampoline_kernelINS0_14default_configENS1_27lower_bound_config_selectorIylEEZNS1_14transform_implILb0ES3_S5_N6thrust23THRUST_200600_302600_NS6detail15normal_iteratorINS8_7pointerIyNS8_11hip_rocprim5par_tENS8_11use_defaultESE_EEEENSA_INSB_IlSD_SE_SE_EEEEZNS1_13binary_searchIS3_S5_PySG_SI_NS1_21lower_bound_search_opENS9_16wrapped_functionI11custom_lessbEEEE10hipError_tPvRmT1_T2_T3_mmT4_T5_P12ihipStream_tbEUlRKyE_EESP_ST_SU_mSV_SY_bEUlT_E_NS1_11comp_targetILNS1_3genE3ELNS1_11target_archE908ELNS1_3gpuE7ELNS1_3repE0EEENS1_30default_config_static_selectorELNS0_4arch9wavefront6targetE0EEEvSS_, .Lfunc_end47-_ZN7rocprim17ROCPRIM_400000_NS6detail17trampoline_kernelINS0_14default_configENS1_27lower_bound_config_selectorIylEEZNS1_14transform_implILb0ES3_S5_N6thrust23THRUST_200600_302600_NS6detail15normal_iteratorINS8_7pointerIyNS8_11hip_rocprim5par_tENS8_11use_defaultESE_EEEENSA_INSB_IlSD_SE_SE_EEEEZNS1_13binary_searchIS3_S5_PySG_SI_NS1_21lower_bound_search_opENS9_16wrapped_functionI11custom_lessbEEEE10hipError_tPvRmT1_T2_T3_mmT4_T5_P12ihipStream_tbEUlRKyE_EESP_ST_SU_mSV_SY_bEUlT_E_NS1_11comp_targetILNS1_3genE3ELNS1_11target_archE908ELNS1_3gpuE7ELNS1_3repE0EEENS1_30default_config_static_selectorELNS0_4arch9wavefront6targetE0EEEvSS_
                                        ; -- End function
	.set _ZN7rocprim17ROCPRIM_400000_NS6detail17trampoline_kernelINS0_14default_configENS1_27lower_bound_config_selectorIylEEZNS1_14transform_implILb0ES3_S5_N6thrust23THRUST_200600_302600_NS6detail15normal_iteratorINS8_7pointerIyNS8_11hip_rocprim5par_tENS8_11use_defaultESE_EEEENSA_INSB_IlSD_SE_SE_EEEEZNS1_13binary_searchIS3_S5_PySG_SI_NS1_21lower_bound_search_opENS9_16wrapped_functionI11custom_lessbEEEE10hipError_tPvRmT1_T2_T3_mmT4_T5_P12ihipStream_tbEUlRKyE_EESP_ST_SU_mSV_SY_bEUlT_E_NS1_11comp_targetILNS1_3genE3ELNS1_11target_archE908ELNS1_3gpuE7ELNS1_3repE0EEENS1_30default_config_static_selectorELNS0_4arch9wavefront6targetE0EEEvSS_.num_vgpr, 0
	.set _ZN7rocprim17ROCPRIM_400000_NS6detail17trampoline_kernelINS0_14default_configENS1_27lower_bound_config_selectorIylEEZNS1_14transform_implILb0ES3_S5_N6thrust23THRUST_200600_302600_NS6detail15normal_iteratorINS8_7pointerIyNS8_11hip_rocprim5par_tENS8_11use_defaultESE_EEEENSA_INSB_IlSD_SE_SE_EEEEZNS1_13binary_searchIS3_S5_PySG_SI_NS1_21lower_bound_search_opENS9_16wrapped_functionI11custom_lessbEEEE10hipError_tPvRmT1_T2_T3_mmT4_T5_P12ihipStream_tbEUlRKyE_EESP_ST_SU_mSV_SY_bEUlT_E_NS1_11comp_targetILNS1_3genE3ELNS1_11target_archE908ELNS1_3gpuE7ELNS1_3repE0EEENS1_30default_config_static_selectorELNS0_4arch9wavefront6targetE0EEEvSS_.num_agpr, 0
	.set _ZN7rocprim17ROCPRIM_400000_NS6detail17trampoline_kernelINS0_14default_configENS1_27lower_bound_config_selectorIylEEZNS1_14transform_implILb0ES3_S5_N6thrust23THRUST_200600_302600_NS6detail15normal_iteratorINS8_7pointerIyNS8_11hip_rocprim5par_tENS8_11use_defaultESE_EEEENSA_INSB_IlSD_SE_SE_EEEEZNS1_13binary_searchIS3_S5_PySG_SI_NS1_21lower_bound_search_opENS9_16wrapped_functionI11custom_lessbEEEE10hipError_tPvRmT1_T2_T3_mmT4_T5_P12ihipStream_tbEUlRKyE_EESP_ST_SU_mSV_SY_bEUlT_E_NS1_11comp_targetILNS1_3genE3ELNS1_11target_archE908ELNS1_3gpuE7ELNS1_3repE0EEENS1_30default_config_static_selectorELNS0_4arch9wavefront6targetE0EEEvSS_.numbered_sgpr, 0
	.set _ZN7rocprim17ROCPRIM_400000_NS6detail17trampoline_kernelINS0_14default_configENS1_27lower_bound_config_selectorIylEEZNS1_14transform_implILb0ES3_S5_N6thrust23THRUST_200600_302600_NS6detail15normal_iteratorINS8_7pointerIyNS8_11hip_rocprim5par_tENS8_11use_defaultESE_EEEENSA_INSB_IlSD_SE_SE_EEEEZNS1_13binary_searchIS3_S5_PySG_SI_NS1_21lower_bound_search_opENS9_16wrapped_functionI11custom_lessbEEEE10hipError_tPvRmT1_T2_T3_mmT4_T5_P12ihipStream_tbEUlRKyE_EESP_ST_SU_mSV_SY_bEUlT_E_NS1_11comp_targetILNS1_3genE3ELNS1_11target_archE908ELNS1_3gpuE7ELNS1_3repE0EEENS1_30default_config_static_selectorELNS0_4arch9wavefront6targetE0EEEvSS_.num_named_barrier, 0
	.set _ZN7rocprim17ROCPRIM_400000_NS6detail17trampoline_kernelINS0_14default_configENS1_27lower_bound_config_selectorIylEEZNS1_14transform_implILb0ES3_S5_N6thrust23THRUST_200600_302600_NS6detail15normal_iteratorINS8_7pointerIyNS8_11hip_rocprim5par_tENS8_11use_defaultESE_EEEENSA_INSB_IlSD_SE_SE_EEEEZNS1_13binary_searchIS3_S5_PySG_SI_NS1_21lower_bound_search_opENS9_16wrapped_functionI11custom_lessbEEEE10hipError_tPvRmT1_T2_T3_mmT4_T5_P12ihipStream_tbEUlRKyE_EESP_ST_SU_mSV_SY_bEUlT_E_NS1_11comp_targetILNS1_3genE3ELNS1_11target_archE908ELNS1_3gpuE7ELNS1_3repE0EEENS1_30default_config_static_selectorELNS0_4arch9wavefront6targetE0EEEvSS_.private_seg_size, 0
	.set _ZN7rocprim17ROCPRIM_400000_NS6detail17trampoline_kernelINS0_14default_configENS1_27lower_bound_config_selectorIylEEZNS1_14transform_implILb0ES3_S5_N6thrust23THRUST_200600_302600_NS6detail15normal_iteratorINS8_7pointerIyNS8_11hip_rocprim5par_tENS8_11use_defaultESE_EEEENSA_INSB_IlSD_SE_SE_EEEEZNS1_13binary_searchIS3_S5_PySG_SI_NS1_21lower_bound_search_opENS9_16wrapped_functionI11custom_lessbEEEE10hipError_tPvRmT1_T2_T3_mmT4_T5_P12ihipStream_tbEUlRKyE_EESP_ST_SU_mSV_SY_bEUlT_E_NS1_11comp_targetILNS1_3genE3ELNS1_11target_archE908ELNS1_3gpuE7ELNS1_3repE0EEENS1_30default_config_static_selectorELNS0_4arch9wavefront6targetE0EEEvSS_.uses_vcc, 0
	.set _ZN7rocprim17ROCPRIM_400000_NS6detail17trampoline_kernelINS0_14default_configENS1_27lower_bound_config_selectorIylEEZNS1_14transform_implILb0ES3_S5_N6thrust23THRUST_200600_302600_NS6detail15normal_iteratorINS8_7pointerIyNS8_11hip_rocprim5par_tENS8_11use_defaultESE_EEEENSA_INSB_IlSD_SE_SE_EEEEZNS1_13binary_searchIS3_S5_PySG_SI_NS1_21lower_bound_search_opENS9_16wrapped_functionI11custom_lessbEEEE10hipError_tPvRmT1_T2_T3_mmT4_T5_P12ihipStream_tbEUlRKyE_EESP_ST_SU_mSV_SY_bEUlT_E_NS1_11comp_targetILNS1_3genE3ELNS1_11target_archE908ELNS1_3gpuE7ELNS1_3repE0EEENS1_30default_config_static_selectorELNS0_4arch9wavefront6targetE0EEEvSS_.uses_flat_scratch, 0
	.set _ZN7rocprim17ROCPRIM_400000_NS6detail17trampoline_kernelINS0_14default_configENS1_27lower_bound_config_selectorIylEEZNS1_14transform_implILb0ES3_S5_N6thrust23THRUST_200600_302600_NS6detail15normal_iteratorINS8_7pointerIyNS8_11hip_rocprim5par_tENS8_11use_defaultESE_EEEENSA_INSB_IlSD_SE_SE_EEEEZNS1_13binary_searchIS3_S5_PySG_SI_NS1_21lower_bound_search_opENS9_16wrapped_functionI11custom_lessbEEEE10hipError_tPvRmT1_T2_T3_mmT4_T5_P12ihipStream_tbEUlRKyE_EESP_ST_SU_mSV_SY_bEUlT_E_NS1_11comp_targetILNS1_3genE3ELNS1_11target_archE908ELNS1_3gpuE7ELNS1_3repE0EEENS1_30default_config_static_selectorELNS0_4arch9wavefront6targetE0EEEvSS_.has_dyn_sized_stack, 0
	.set _ZN7rocprim17ROCPRIM_400000_NS6detail17trampoline_kernelINS0_14default_configENS1_27lower_bound_config_selectorIylEEZNS1_14transform_implILb0ES3_S5_N6thrust23THRUST_200600_302600_NS6detail15normal_iteratorINS8_7pointerIyNS8_11hip_rocprim5par_tENS8_11use_defaultESE_EEEENSA_INSB_IlSD_SE_SE_EEEEZNS1_13binary_searchIS3_S5_PySG_SI_NS1_21lower_bound_search_opENS9_16wrapped_functionI11custom_lessbEEEE10hipError_tPvRmT1_T2_T3_mmT4_T5_P12ihipStream_tbEUlRKyE_EESP_ST_SU_mSV_SY_bEUlT_E_NS1_11comp_targetILNS1_3genE3ELNS1_11target_archE908ELNS1_3gpuE7ELNS1_3repE0EEENS1_30default_config_static_selectorELNS0_4arch9wavefront6targetE0EEEvSS_.has_recursion, 0
	.set _ZN7rocprim17ROCPRIM_400000_NS6detail17trampoline_kernelINS0_14default_configENS1_27lower_bound_config_selectorIylEEZNS1_14transform_implILb0ES3_S5_N6thrust23THRUST_200600_302600_NS6detail15normal_iteratorINS8_7pointerIyNS8_11hip_rocprim5par_tENS8_11use_defaultESE_EEEENSA_INSB_IlSD_SE_SE_EEEEZNS1_13binary_searchIS3_S5_PySG_SI_NS1_21lower_bound_search_opENS9_16wrapped_functionI11custom_lessbEEEE10hipError_tPvRmT1_T2_T3_mmT4_T5_P12ihipStream_tbEUlRKyE_EESP_ST_SU_mSV_SY_bEUlT_E_NS1_11comp_targetILNS1_3genE3ELNS1_11target_archE908ELNS1_3gpuE7ELNS1_3repE0EEENS1_30default_config_static_selectorELNS0_4arch9wavefront6targetE0EEEvSS_.has_indirect_call, 0
	.section	.AMDGPU.csdata,"",@progbits
; Kernel info:
; codeLenInByte = 0
; TotalNumSgprs: 0
; NumVgprs: 0
; ScratchSize: 0
; MemoryBound: 0
; FloatMode: 240
; IeeeMode: 1
; LDSByteSize: 0 bytes/workgroup (compile time only)
; SGPRBlocks: 0
; VGPRBlocks: 0
; NumSGPRsForWavesPerEU: 1
; NumVGPRsForWavesPerEU: 1
; Occupancy: 16
; WaveLimiterHint : 0
; COMPUTE_PGM_RSRC2:SCRATCH_EN: 0
; COMPUTE_PGM_RSRC2:USER_SGPR: 6
; COMPUTE_PGM_RSRC2:TRAP_HANDLER: 0
; COMPUTE_PGM_RSRC2:TGID_X_EN: 1
; COMPUTE_PGM_RSRC2:TGID_Y_EN: 0
; COMPUTE_PGM_RSRC2:TGID_Z_EN: 0
; COMPUTE_PGM_RSRC2:TIDIG_COMP_CNT: 0
	.section	.text._ZN7rocprim17ROCPRIM_400000_NS6detail17trampoline_kernelINS0_14default_configENS1_27lower_bound_config_selectorIylEEZNS1_14transform_implILb0ES3_S5_N6thrust23THRUST_200600_302600_NS6detail15normal_iteratorINS8_7pointerIyNS8_11hip_rocprim5par_tENS8_11use_defaultESE_EEEENSA_INSB_IlSD_SE_SE_EEEEZNS1_13binary_searchIS3_S5_PySG_SI_NS1_21lower_bound_search_opENS9_16wrapped_functionI11custom_lessbEEEE10hipError_tPvRmT1_T2_T3_mmT4_T5_P12ihipStream_tbEUlRKyE_EESP_ST_SU_mSV_SY_bEUlT_E_NS1_11comp_targetILNS1_3genE2ELNS1_11target_archE906ELNS1_3gpuE6ELNS1_3repE0EEENS1_30default_config_static_selectorELNS0_4arch9wavefront6targetE0EEEvSS_,"axG",@progbits,_ZN7rocprim17ROCPRIM_400000_NS6detail17trampoline_kernelINS0_14default_configENS1_27lower_bound_config_selectorIylEEZNS1_14transform_implILb0ES3_S5_N6thrust23THRUST_200600_302600_NS6detail15normal_iteratorINS8_7pointerIyNS8_11hip_rocprim5par_tENS8_11use_defaultESE_EEEENSA_INSB_IlSD_SE_SE_EEEEZNS1_13binary_searchIS3_S5_PySG_SI_NS1_21lower_bound_search_opENS9_16wrapped_functionI11custom_lessbEEEE10hipError_tPvRmT1_T2_T3_mmT4_T5_P12ihipStream_tbEUlRKyE_EESP_ST_SU_mSV_SY_bEUlT_E_NS1_11comp_targetILNS1_3genE2ELNS1_11target_archE906ELNS1_3gpuE6ELNS1_3repE0EEENS1_30default_config_static_selectorELNS0_4arch9wavefront6targetE0EEEvSS_,comdat
	.protected	_ZN7rocprim17ROCPRIM_400000_NS6detail17trampoline_kernelINS0_14default_configENS1_27lower_bound_config_selectorIylEEZNS1_14transform_implILb0ES3_S5_N6thrust23THRUST_200600_302600_NS6detail15normal_iteratorINS8_7pointerIyNS8_11hip_rocprim5par_tENS8_11use_defaultESE_EEEENSA_INSB_IlSD_SE_SE_EEEEZNS1_13binary_searchIS3_S5_PySG_SI_NS1_21lower_bound_search_opENS9_16wrapped_functionI11custom_lessbEEEE10hipError_tPvRmT1_T2_T3_mmT4_T5_P12ihipStream_tbEUlRKyE_EESP_ST_SU_mSV_SY_bEUlT_E_NS1_11comp_targetILNS1_3genE2ELNS1_11target_archE906ELNS1_3gpuE6ELNS1_3repE0EEENS1_30default_config_static_selectorELNS0_4arch9wavefront6targetE0EEEvSS_ ; -- Begin function _ZN7rocprim17ROCPRIM_400000_NS6detail17trampoline_kernelINS0_14default_configENS1_27lower_bound_config_selectorIylEEZNS1_14transform_implILb0ES3_S5_N6thrust23THRUST_200600_302600_NS6detail15normal_iteratorINS8_7pointerIyNS8_11hip_rocprim5par_tENS8_11use_defaultESE_EEEENSA_INSB_IlSD_SE_SE_EEEEZNS1_13binary_searchIS3_S5_PySG_SI_NS1_21lower_bound_search_opENS9_16wrapped_functionI11custom_lessbEEEE10hipError_tPvRmT1_T2_T3_mmT4_T5_P12ihipStream_tbEUlRKyE_EESP_ST_SU_mSV_SY_bEUlT_E_NS1_11comp_targetILNS1_3genE2ELNS1_11target_archE906ELNS1_3gpuE6ELNS1_3repE0EEENS1_30default_config_static_selectorELNS0_4arch9wavefront6targetE0EEEvSS_
	.globl	_ZN7rocprim17ROCPRIM_400000_NS6detail17trampoline_kernelINS0_14default_configENS1_27lower_bound_config_selectorIylEEZNS1_14transform_implILb0ES3_S5_N6thrust23THRUST_200600_302600_NS6detail15normal_iteratorINS8_7pointerIyNS8_11hip_rocprim5par_tENS8_11use_defaultESE_EEEENSA_INSB_IlSD_SE_SE_EEEEZNS1_13binary_searchIS3_S5_PySG_SI_NS1_21lower_bound_search_opENS9_16wrapped_functionI11custom_lessbEEEE10hipError_tPvRmT1_T2_T3_mmT4_T5_P12ihipStream_tbEUlRKyE_EESP_ST_SU_mSV_SY_bEUlT_E_NS1_11comp_targetILNS1_3genE2ELNS1_11target_archE906ELNS1_3gpuE6ELNS1_3repE0EEENS1_30default_config_static_selectorELNS0_4arch9wavefront6targetE0EEEvSS_
	.p2align	8
	.type	_ZN7rocprim17ROCPRIM_400000_NS6detail17trampoline_kernelINS0_14default_configENS1_27lower_bound_config_selectorIylEEZNS1_14transform_implILb0ES3_S5_N6thrust23THRUST_200600_302600_NS6detail15normal_iteratorINS8_7pointerIyNS8_11hip_rocprim5par_tENS8_11use_defaultESE_EEEENSA_INSB_IlSD_SE_SE_EEEEZNS1_13binary_searchIS3_S5_PySG_SI_NS1_21lower_bound_search_opENS9_16wrapped_functionI11custom_lessbEEEE10hipError_tPvRmT1_T2_T3_mmT4_T5_P12ihipStream_tbEUlRKyE_EESP_ST_SU_mSV_SY_bEUlT_E_NS1_11comp_targetILNS1_3genE2ELNS1_11target_archE906ELNS1_3gpuE6ELNS1_3repE0EEENS1_30default_config_static_selectorELNS0_4arch9wavefront6targetE0EEEvSS_,@function
_ZN7rocprim17ROCPRIM_400000_NS6detail17trampoline_kernelINS0_14default_configENS1_27lower_bound_config_selectorIylEEZNS1_14transform_implILb0ES3_S5_N6thrust23THRUST_200600_302600_NS6detail15normal_iteratorINS8_7pointerIyNS8_11hip_rocprim5par_tENS8_11use_defaultESE_EEEENSA_INSB_IlSD_SE_SE_EEEEZNS1_13binary_searchIS3_S5_PySG_SI_NS1_21lower_bound_search_opENS9_16wrapped_functionI11custom_lessbEEEE10hipError_tPvRmT1_T2_T3_mmT4_T5_P12ihipStream_tbEUlRKyE_EESP_ST_SU_mSV_SY_bEUlT_E_NS1_11comp_targetILNS1_3genE2ELNS1_11target_archE906ELNS1_3gpuE6ELNS1_3repE0EEENS1_30default_config_static_selectorELNS0_4arch9wavefront6targetE0EEEvSS_: ; @_ZN7rocprim17ROCPRIM_400000_NS6detail17trampoline_kernelINS0_14default_configENS1_27lower_bound_config_selectorIylEEZNS1_14transform_implILb0ES3_S5_N6thrust23THRUST_200600_302600_NS6detail15normal_iteratorINS8_7pointerIyNS8_11hip_rocprim5par_tENS8_11use_defaultESE_EEEENSA_INSB_IlSD_SE_SE_EEEEZNS1_13binary_searchIS3_S5_PySG_SI_NS1_21lower_bound_search_opENS9_16wrapped_functionI11custom_lessbEEEE10hipError_tPvRmT1_T2_T3_mmT4_T5_P12ihipStream_tbEUlRKyE_EESP_ST_SU_mSV_SY_bEUlT_E_NS1_11comp_targetILNS1_3genE2ELNS1_11target_archE906ELNS1_3gpuE6ELNS1_3repE0EEENS1_30default_config_static_selectorELNS0_4arch9wavefront6targetE0EEEvSS_
; %bb.0:
	.section	.rodata,"a",@progbits
	.p2align	6, 0x0
	.amdhsa_kernel _ZN7rocprim17ROCPRIM_400000_NS6detail17trampoline_kernelINS0_14default_configENS1_27lower_bound_config_selectorIylEEZNS1_14transform_implILb0ES3_S5_N6thrust23THRUST_200600_302600_NS6detail15normal_iteratorINS8_7pointerIyNS8_11hip_rocprim5par_tENS8_11use_defaultESE_EEEENSA_INSB_IlSD_SE_SE_EEEEZNS1_13binary_searchIS3_S5_PySG_SI_NS1_21lower_bound_search_opENS9_16wrapped_functionI11custom_lessbEEEE10hipError_tPvRmT1_T2_T3_mmT4_T5_P12ihipStream_tbEUlRKyE_EESP_ST_SU_mSV_SY_bEUlT_E_NS1_11comp_targetILNS1_3genE2ELNS1_11target_archE906ELNS1_3gpuE6ELNS1_3repE0EEENS1_30default_config_static_selectorELNS0_4arch9wavefront6targetE0EEEvSS_
		.amdhsa_group_segment_fixed_size 0
		.amdhsa_private_segment_fixed_size 0
		.amdhsa_kernarg_size 56
		.amdhsa_user_sgpr_count 6
		.amdhsa_user_sgpr_private_segment_buffer 1
		.amdhsa_user_sgpr_dispatch_ptr 0
		.amdhsa_user_sgpr_queue_ptr 0
		.amdhsa_user_sgpr_kernarg_segment_ptr 1
		.amdhsa_user_sgpr_dispatch_id 0
		.amdhsa_user_sgpr_flat_scratch_init 0
		.amdhsa_user_sgpr_private_segment_size 0
		.amdhsa_wavefront_size32 1
		.amdhsa_uses_dynamic_stack 0
		.amdhsa_system_sgpr_private_segment_wavefront_offset 0
		.amdhsa_system_sgpr_workgroup_id_x 1
		.amdhsa_system_sgpr_workgroup_id_y 0
		.amdhsa_system_sgpr_workgroup_id_z 0
		.amdhsa_system_sgpr_workgroup_info 0
		.amdhsa_system_vgpr_workitem_id 0
		.amdhsa_next_free_vgpr 1
		.amdhsa_next_free_sgpr 1
		.amdhsa_reserve_vcc 0
		.amdhsa_reserve_flat_scratch 0
		.amdhsa_float_round_mode_32 0
		.amdhsa_float_round_mode_16_64 0
		.amdhsa_float_denorm_mode_32 3
		.amdhsa_float_denorm_mode_16_64 3
		.amdhsa_dx10_clamp 1
		.amdhsa_ieee_mode 1
		.amdhsa_fp16_overflow 0
		.amdhsa_workgroup_processor_mode 1
		.amdhsa_memory_ordered 1
		.amdhsa_forward_progress 1
		.amdhsa_shared_vgpr_count 0
		.amdhsa_exception_fp_ieee_invalid_op 0
		.amdhsa_exception_fp_denorm_src 0
		.amdhsa_exception_fp_ieee_div_zero 0
		.amdhsa_exception_fp_ieee_overflow 0
		.amdhsa_exception_fp_ieee_underflow 0
		.amdhsa_exception_fp_ieee_inexact 0
		.amdhsa_exception_int_div_zero 0
	.end_amdhsa_kernel
	.section	.text._ZN7rocprim17ROCPRIM_400000_NS6detail17trampoline_kernelINS0_14default_configENS1_27lower_bound_config_selectorIylEEZNS1_14transform_implILb0ES3_S5_N6thrust23THRUST_200600_302600_NS6detail15normal_iteratorINS8_7pointerIyNS8_11hip_rocprim5par_tENS8_11use_defaultESE_EEEENSA_INSB_IlSD_SE_SE_EEEEZNS1_13binary_searchIS3_S5_PySG_SI_NS1_21lower_bound_search_opENS9_16wrapped_functionI11custom_lessbEEEE10hipError_tPvRmT1_T2_T3_mmT4_T5_P12ihipStream_tbEUlRKyE_EESP_ST_SU_mSV_SY_bEUlT_E_NS1_11comp_targetILNS1_3genE2ELNS1_11target_archE906ELNS1_3gpuE6ELNS1_3repE0EEENS1_30default_config_static_selectorELNS0_4arch9wavefront6targetE0EEEvSS_,"axG",@progbits,_ZN7rocprim17ROCPRIM_400000_NS6detail17trampoline_kernelINS0_14default_configENS1_27lower_bound_config_selectorIylEEZNS1_14transform_implILb0ES3_S5_N6thrust23THRUST_200600_302600_NS6detail15normal_iteratorINS8_7pointerIyNS8_11hip_rocprim5par_tENS8_11use_defaultESE_EEEENSA_INSB_IlSD_SE_SE_EEEEZNS1_13binary_searchIS3_S5_PySG_SI_NS1_21lower_bound_search_opENS9_16wrapped_functionI11custom_lessbEEEE10hipError_tPvRmT1_T2_T3_mmT4_T5_P12ihipStream_tbEUlRKyE_EESP_ST_SU_mSV_SY_bEUlT_E_NS1_11comp_targetILNS1_3genE2ELNS1_11target_archE906ELNS1_3gpuE6ELNS1_3repE0EEENS1_30default_config_static_selectorELNS0_4arch9wavefront6targetE0EEEvSS_,comdat
.Lfunc_end48:
	.size	_ZN7rocprim17ROCPRIM_400000_NS6detail17trampoline_kernelINS0_14default_configENS1_27lower_bound_config_selectorIylEEZNS1_14transform_implILb0ES3_S5_N6thrust23THRUST_200600_302600_NS6detail15normal_iteratorINS8_7pointerIyNS8_11hip_rocprim5par_tENS8_11use_defaultESE_EEEENSA_INSB_IlSD_SE_SE_EEEEZNS1_13binary_searchIS3_S5_PySG_SI_NS1_21lower_bound_search_opENS9_16wrapped_functionI11custom_lessbEEEE10hipError_tPvRmT1_T2_T3_mmT4_T5_P12ihipStream_tbEUlRKyE_EESP_ST_SU_mSV_SY_bEUlT_E_NS1_11comp_targetILNS1_3genE2ELNS1_11target_archE906ELNS1_3gpuE6ELNS1_3repE0EEENS1_30default_config_static_selectorELNS0_4arch9wavefront6targetE0EEEvSS_, .Lfunc_end48-_ZN7rocprim17ROCPRIM_400000_NS6detail17trampoline_kernelINS0_14default_configENS1_27lower_bound_config_selectorIylEEZNS1_14transform_implILb0ES3_S5_N6thrust23THRUST_200600_302600_NS6detail15normal_iteratorINS8_7pointerIyNS8_11hip_rocprim5par_tENS8_11use_defaultESE_EEEENSA_INSB_IlSD_SE_SE_EEEEZNS1_13binary_searchIS3_S5_PySG_SI_NS1_21lower_bound_search_opENS9_16wrapped_functionI11custom_lessbEEEE10hipError_tPvRmT1_T2_T3_mmT4_T5_P12ihipStream_tbEUlRKyE_EESP_ST_SU_mSV_SY_bEUlT_E_NS1_11comp_targetILNS1_3genE2ELNS1_11target_archE906ELNS1_3gpuE6ELNS1_3repE0EEENS1_30default_config_static_selectorELNS0_4arch9wavefront6targetE0EEEvSS_
                                        ; -- End function
	.set _ZN7rocprim17ROCPRIM_400000_NS6detail17trampoline_kernelINS0_14default_configENS1_27lower_bound_config_selectorIylEEZNS1_14transform_implILb0ES3_S5_N6thrust23THRUST_200600_302600_NS6detail15normal_iteratorINS8_7pointerIyNS8_11hip_rocprim5par_tENS8_11use_defaultESE_EEEENSA_INSB_IlSD_SE_SE_EEEEZNS1_13binary_searchIS3_S5_PySG_SI_NS1_21lower_bound_search_opENS9_16wrapped_functionI11custom_lessbEEEE10hipError_tPvRmT1_T2_T3_mmT4_T5_P12ihipStream_tbEUlRKyE_EESP_ST_SU_mSV_SY_bEUlT_E_NS1_11comp_targetILNS1_3genE2ELNS1_11target_archE906ELNS1_3gpuE6ELNS1_3repE0EEENS1_30default_config_static_selectorELNS0_4arch9wavefront6targetE0EEEvSS_.num_vgpr, 0
	.set _ZN7rocprim17ROCPRIM_400000_NS6detail17trampoline_kernelINS0_14default_configENS1_27lower_bound_config_selectorIylEEZNS1_14transform_implILb0ES3_S5_N6thrust23THRUST_200600_302600_NS6detail15normal_iteratorINS8_7pointerIyNS8_11hip_rocprim5par_tENS8_11use_defaultESE_EEEENSA_INSB_IlSD_SE_SE_EEEEZNS1_13binary_searchIS3_S5_PySG_SI_NS1_21lower_bound_search_opENS9_16wrapped_functionI11custom_lessbEEEE10hipError_tPvRmT1_T2_T3_mmT4_T5_P12ihipStream_tbEUlRKyE_EESP_ST_SU_mSV_SY_bEUlT_E_NS1_11comp_targetILNS1_3genE2ELNS1_11target_archE906ELNS1_3gpuE6ELNS1_3repE0EEENS1_30default_config_static_selectorELNS0_4arch9wavefront6targetE0EEEvSS_.num_agpr, 0
	.set _ZN7rocprim17ROCPRIM_400000_NS6detail17trampoline_kernelINS0_14default_configENS1_27lower_bound_config_selectorIylEEZNS1_14transform_implILb0ES3_S5_N6thrust23THRUST_200600_302600_NS6detail15normal_iteratorINS8_7pointerIyNS8_11hip_rocprim5par_tENS8_11use_defaultESE_EEEENSA_INSB_IlSD_SE_SE_EEEEZNS1_13binary_searchIS3_S5_PySG_SI_NS1_21lower_bound_search_opENS9_16wrapped_functionI11custom_lessbEEEE10hipError_tPvRmT1_T2_T3_mmT4_T5_P12ihipStream_tbEUlRKyE_EESP_ST_SU_mSV_SY_bEUlT_E_NS1_11comp_targetILNS1_3genE2ELNS1_11target_archE906ELNS1_3gpuE6ELNS1_3repE0EEENS1_30default_config_static_selectorELNS0_4arch9wavefront6targetE0EEEvSS_.numbered_sgpr, 0
	.set _ZN7rocprim17ROCPRIM_400000_NS6detail17trampoline_kernelINS0_14default_configENS1_27lower_bound_config_selectorIylEEZNS1_14transform_implILb0ES3_S5_N6thrust23THRUST_200600_302600_NS6detail15normal_iteratorINS8_7pointerIyNS8_11hip_rocprim5par_tENS8_11use_defaultESE_EEEENSA_INSB_IlSD_SE_SE_EEEEZNS1_13binary_searchIS3_S5_PySG_SI_NS1_21lower_bound_search_opENS9_16wrapped_functionI11custom_lessbEEEE10hipError_tPvRmT1_T2_T3_mmT4_T5_P12ihipStream_tbEUlRKyE_EESP_ST_SU_mSV_SY_bEUlT_E_NS1_11comp_targetILNS1_3genE2ELNS1_11target_archE906ELNS1_3gpuE6ELNS1_3repE0EEENS1_30default_config_static_selectorELNS0_4arch9wavefront6targetE0EEEvSS_.num_named_barrier, 0
	.set _ZN7rocprim17ROCPRIM_400000_NS6detail17trampoline_kernelINS0_14default_configENS1_27lower_bound_config_selectorIylEEZNS1_14transform_implILb0ES3_S5_N6thrust23THRUST_200600_302600_NS6detail15normal_iteratorINS8_7pointerIyNS8_11hip_rocprim5par_tENS8_11use_defaultESE_EEEENSA_INSB_IlSD_SE_SE_EEEEZNS1_13binary_searchIS3_S5_PySG_SI_NS1_21lower_bound_search_opENS9_16wrapped_functionI11custom_lessbEEEE10hipError_tPvRmT1_T2_T3_mmT4_T5_P12ihipStream_tbEUlRKyE_EESP_ST_SU_mSV_SY_bEUlT_E_NS1_11comp_targetILNS1_3genE2ELNS1_11target_archE906ELNS1_3gpuE6ELNS1_3repE0EEENS1_30default_config_static_selectorELNS0_4arch9wavefront6targetE0EEEvSS_.private_seg_size, 0
	.set _ZN7rocprim17ROCPRIM_400000_NS6detail17trampoline_kernelINS0_14default_configENS1_27lower_bound_config_selectorIylEEZNS1_14transform_implILb0ES3_S5_N6thrust23THRUST_200600_302600_NS6detail15normal_iteratorINS8_7pointerIyNS8_11hip_rocprim5par_tENS8_11use_defaultESE_EEEENSA_INSB_IlSD_SE_SE_EEEEZNS1_13binary_searchIS3_S5_PySG_SI_NS1_21lower_bound_search_opENS9_16wrapped_functionI11custom_lessbEEEE10hipError_tPvRmT1_T2_T3_mmT4_T5_P12ihipStream_tbEUlRKyE_EESP_ST_SU_mSV_SY_bEUlT_E_NS1_11comp_targetILNS1_3genE2ELNS1_11target_archE906ELNS1_3gpuE6ELNS1_3repE0EEENS1_30default_config_static_selectorELNS0_4arch9wavefront6targetE0EEEvSS_.uses_vcc, 0
	.set _ZN7rocprim17ROCPRIM_400000_NS6detail17trampoline_kernelINS0_14default_configENS1_27lower_bound_config_selectorIylEEZNS1_14transform_implILb0ES3_S5_N6thrust23THRUST_200600_302600_NS6detail15normal_iteratorINS8_7pointerIyNS8_11hip_rocprim5par_tENS8_11use_defaultESE_EEEENSA_INSB_IlSD_SE_SE_EEEEZNS1_13binary_searchIS3_S5_PySG_SI_NS1_21lower_bound_search_opENS9_16wrapped_functionI11custom_lessbEEEE10hipError_tPvRmT1_T2_T3_mmT4_T5_P12ihipStream_tbEUlRKyE_EESP_ST_SU_mSV_SY_bEUlT_E_NS1_11comp_targetILNS1_3genE2ELNS1_11target_archE906ELNS1_3gpuE6ELNS1_3repE0EEENS1_30default_config_static_selectorELNS0_4arch9wavefront6targetE0EEEvSS_.uses_flat_scratch, 0
	.set _ZN7rocprim17ROCPRIM_400000_NS6detail17trampoline_kernelINS0_14default_configENS1_27lower_bound_config_selectorIylEEZNS1_14transform_implILb0ES3_S5_N6thrust23THRUST_200600_302600_NS6detail15normal_iteratorINS8_7pointerIyNS8_11hip_rocprim5par_tENS8_11use_defaultESE_EEEENSA_INSB_IlSD_SE_SE_EEEEZNS1_13binary_searchIS3_S5_PySG_SI_NS1_21lower_bound_search_opENS9_16wrapped_functionI11custom_lessbEEEE10hipError_tPvRmT1_T2_T3_mmT4_T5_P12ihipStream_tbEUlRKyE_EESP_ST_SU_mSV_SY_bEUlT_E_NS1_11comp_targetILNS1_3genE2ELNS1_11target_archE906ELNS1_3gpuE6ELNS1_3repE0EEENS1_30default_config_static_selectorELNS0_4arch9wavefront6targetE0EEEvSS_.has_dyn_sized_stack, 0
	.set _ZN7rocprim17ROCPRIM_400000_NS6detail17trampoline_kernelINS0_14default_configENS1_27lower_bound_config_selectorIylEEZNS1_14transform_implILb0ES3_S5_N6thrust23THRUST_200600_302600_NS6detail15normal_iteratorINS8_7pointerIyNS8_11hip_rocprim5par_tENS8_11use_defaultESE_EEEENSA_INSB_IlSD_SE_SE_EEEEZNS1_13binary_searchIS3_S5_PySG_SI_NS1_21lower_bound_search_opENS9_16wrapped_functionI11custom_lessbEEEE10hipError_tPvRmT1_T2_T3_mmT4_T5_P12ihipStream_tbEUlRKyE_EESP_ST_SU_mSV_SY_bEUlT_E_NS1_11comp_targetILNS1_3genE2ELNS1_11target_archE906ELNS1_3gpuE6ELNS1_3repE0EEENS1_30default_config_static_selectorELNS0_4arch9wavefront6targetE0EEEvSS_.has_recursion, 0
	.set _ZN7rocprim17ROCPRIM_400000_NS6detail17trampoline_kernelINS0_14default_configENS1_27lower_bound_config_selectorIylEEZNS1_14transform_implILb0ES3_S5_N6thrust23THRUST_200600_302600_NS6detail15normal_iteratorINS8_7pointerIyNS8_11hip_rocprim5par_tENS8_11use_defaultESE_EEEENSA_INSB_IlSD_SE_SE_EEEEZNS1_13binary_searchIS3_S5_PySG_SI_NS1_21lower_bound_search_opENS9_16wrapped_functionI11custom_lessbEEEE10hipError_tPvRmT1_T2_T3_mmT4_T5_P12ihipStream_tbEUlRKyE_EESP_ST_SU_mSV_SY_bEUlT_E_NS1_11comp_targetILNS1_3genE2ELNS1_11target_archE906ELNS1_3gpuE6ELNS1_3repE0EEENS1_30default_config_static_selectorELNS0_4arch9wavefront6targetE0EEEvSS_.has_indirect_call, 0
	.section	.AMDGPU.csdata,"",@progbits
; Kernel info:
; codeLenInByte = 0
; TotalNumSgprs: 0
; NumVgprs: 0
; ScratchSize: 0
; MemoryBound: 0
; FloatMode: 240
; IeeeMode: 1
; LDSByteSize: 0 bytes/workgroup (compile time only)
; SGPRBlocks: 0
; VGPRBlocks: 0
; NumSGPRsForWavesPerEU: 1
; NumVGPRsForWavesPerEU: 1
; Occupancy: 16
; WaveLimiterHint : 0
; COMPUTE_PGM_RSRC2:SCRATCH_EN: 0
; COMPUTE_PGM_RSRC2:USER_SGPR: 6
; COMPUTE_PGM_RSRC2:TRAP_HANDLER: 0
; COMPUTE_PGM_RSRC2:TGID_X_EN: 1
; COMPUTE_PGM_RSRC2:TGID_Y_EN: 0
; COMPUTE_PGM_RSRC2:TGID_Z_EN: 0
; COMPUTE_PGM_RSRC2:TIDIG_COMP_CNT: 0
	.section	.text._ZN7rocprim17ROCPRIM_400000_NS6detail17trampoline_kernelINS0_14default_configENS1_27lower_bound_config_selectorIylEEZNS1_14transform_implILb0ES3_S5_N6thrust23THRUST_200600_302600_NS6detail15normal_iteratorINS8_7pointerIyNS8_11hip_rocprim5par_tENS8_11use_defaultESE_EEEENSA_INSB_IlSD_SE_SE_EEEEZNS1_13binary_searchIS3_S5_PySG_SI_NS1_21lower_bound_search_opENS9_16wrapped_functionI11custom_lessbEEEE10hipError_tPvRmT1_T2_T3_mmT4_T5_P12ihipStream_tbEUlRKyE_EESP_ST_SU_mSV_SY_bEUlT_E_NS1_11comp_targetILNS1_3genE10ELNS1_11target_archE1201ELNS1_3gpuE5ELNS1_3repE0EEENS1_30default_config_static_selectorELNS0_4arch9wavefront6targetE0EEEvSS_,"axG",@progbits,_ZN7rocprim17ROCPRIM_400000_NS6detail17trampoline_kernelINS0_14default_configENS1_27lower_bound_config_selectorIylEEZNS1_14transform_implILb0ES3_S5_N6thrust23THRUST_200600_302600_NS6detail15normal_iteratorINS8_7pointerIyNS8_11hip_rocprim5par_tENS8_11use_defaultESE_EEEENSA_INSB_IlSD_SE_SE_EEEEZNS1_13binary_searchIS3_S5_PySG_SI_NS1_21lower_bound_search_opENS9_16wrapped_functionI11custom_lessbEEEE10hipError_tPvRmT1_T2_T3_mmT4_T5_P12ihipStream_tbEUlRKyE_EESP_ST_SU_mSV_SY_bEUlT_E_NS1_11comp_targetILNS1_3genE10ELNS1_11target_archE1201ELNS1_3gpuE5ELNS1_3repE0EEENS1_30default_config_static_selectorELNS0_4arch9wavefront6targetE0EEEvSS_,comdat
	.protected	_ZN7rocprim17ROCPRIM_400000_NS6detail17trampoline_kernelINS0_14default_configENS1_27lower_bound_config_selectorIylEEZNS1_14transform_implILb0ES3_S5_N6thrust23THRUST_200600_302600_NS6detail15normal_iteratorINS8_7pointerIyNS8_11hip_rocprim5par_tENS8_11use_defaultESE_EEEENSA_INSB_IlSD_SE_SE_EEEEZNS1_13binary_searchIS3_S5_PySG_SI_NS1_21lower_bound_search_opENS9_16wrapped_functionI11custom_lessbEEEE10hipError_tPvRmT1_T2_T3_mmT4_T5_P12ihipStream_tbEUlRKyE_EESP_ST_SU_mSV_SY_bEUlT_E_NS1_11comp_targetILNS1_3genE10ELNS1_11target_archE1201ELNS1_3gpuE5ELNS1_3repE0EEENS1_30default_config_static_selectorELNS0_4arch9wavefront6targetE0EEEvSS_ ; -- Begin function _ZN7rocprim17ROCPRIM_400000_NS6detail17trampoline_kernelINS0_14default_configENS1_27lower_bound_config_selectorIylEEZNS1_14transform_implILb0ES3_S5_N6thrust23THRUST_200600_302600_NS6detail15normal_iteratorINS8_7pointerIyNS8_11hip_rocprim5par_tENS8_11use_defaultESE_EEEENSA_INSB_IlSD_SE_SE_EEEEZNS1_13binary_searchIS3_S5_PySG_SI_NS1_21lower_bound_search_opENS9_16wrapped_functionI11custom_lessbEEEE10hipError_tPvRmT1_T2_T3_mmT4_T5_P12ihipStream_tbEUlRKyE_EESP_ST_SU_mSV_SY_bEUlT_E_NS1_11comp_targetILNS1_3genE10ELNS1_11target_archE1201ELNS1_3gpuE5ELNS1_3repE0EEENS1_30default_config_static_selectorELNS0_4arch9wavefront6targetE0EEEvSS_
	.globl	_ZN7rocprim17ROCPRIM_400000_NS6detail17trampoline_kernelINS0_14default_configENS1_27lower_bound_config_selectorIylEEZNS1_14transform_implILb0ES3_S5_N6thrust23THRUST_200600_302600_NS6detail15normal_iteratorINS8_7pointerIyNS8_11hip_rocprim5par_tENS8_11use_defaultESE_EEEENSA_INSB_IlSD_SE_SE_EEEEZNS1_13binary_searchIS3_S5_PySG_SI_NS1_21lower_bound_search_opENS9_16wrapped_functionI11custom_lessbEEEE10hipError_tPvRmT1_T2_T3_mmT4_T5_P12ihipStream_tbEUlRKyE_EESP_ST_SU_mSV_SY_bEUlT_E_NS1_11comp_targetILNS1_3genE10ELNS1_11target_archE1201ELNS1_3gpuE5ELNS1_3repE0EEENS1_30default_config_static_selectorELNS0_4arch9wavefront6targetE0EEEvSS_
	.p2align	8
	.type	_ZN7rocprim17ROCPRIM_400000_NS6detail17trampoline_kernelINS0_14default_configENS1_27lower_bound_config_selectorIylEEZNS1_14transform_implILb0ES3_S5_N6thrust23THRUST_200600_302600_NS6detail15normal_iteratorINS8_7pointerIyNS8_11hip_rocprim5par_tENS8_11use_defaultESE_EEEENSA_INSB_IlSD_SE_SE_EEEEZNS1_13binary_searchIS3_S5_PySG_SI_NS1_21lower_bound_search_opENS9_16wrapped_functionI11custom_lessbEEEE10hipError_tPvRmT1_T2_T3_mmT4_T5_P12ihipStream_tbEUlRKyE_EESP_ST_SU_mSV_SY_bEUlT_E_NS1_11comp_targetILNS1_3genE10ELNS1_11target_archE1201ELNS1_3gpuE5ELNS1_3repE0EEENS1_30default_config_static_selectorELNS0_4arch9wavefront6targetE0EEEvSS_,@function
_ZN7rocprim17ROCPRIM_400000_NS6detail17trampoline_kernelINS0_14default_configENS1_27lower_bound_config_selectorIylEEZNS1_14transform_implILb0ES3_S5_N6thrust23THRUST_200600_302600_NS6detail15normal_iteratorINS8_7pointerIyNS8_11hip_rocprim5par_tENS8_11use_defaultESE_EEEENSA_INSB_IlSD_SE_SE_EEEEZNS1_13binary_searchIS3_S5_PySG_SI_NS1_21lower_bound_search_opENS9_16wrapped_functionI11custom_lessbEEEE10hipError_tPvRmT1_T2_T3_mmT4_T5_P12ihipStream_tbEUlRKyE_EESP_ST_SU_mSV_SY_bEUlT_E_NS1_11comp_targetILNS1_3genE10ELNS1_11target_archE1201ELNS1_3gpuE5ELNS1_3repE0EEENS1_30default_config_static_selectorELNS0_4arch9wavefront6targetE0EEEvSS_: ; @_ZN7rocprim17ROCPRIM_400000_NS6detail17trampoline_kernelINS0_14default_configENS1_27lower_bound_config_selectorIylEEZNS1_14transform_implILb0ES3_S5_N6thrust23THRUST_200600_302600_NS6detail15normal_iteratorINS8_7pointerIyNS8_11hip_rocprim5par_tENS8_11use_defaultESE_EEEENSA_INSB_IlSD_SE_SE_EEEEZNS1_13binary_searchIS3_S5_PySG_SI_NS1_21lower_bound_search_opENS9_16wrapped_functionI11custom_lessbEEEE10hipError_tPvRmT1_T2_T3_mmT4_T5_P12ihipStream_tbEUlRKyE_EESP_ST_SU_mSV_SY_bEUlT_E_NS1_11comp_targetILNS1_3genE10ELNS1_11target_archE1201ELNS1_3gpuE5ELNS1_3repE0EEENS1_30default_config_static_selectorELNS0_4arch9wavefront6targetE0EEEvSS_
; %bb.0:
	.section	.rodata,"a",@progbits
	.p2align	6, 0x0
	.amdhsa_kernel _ZN7rocprim17ROCPRIM_400000_NS6detail17trampoline_kernelINS0_14default_configENS1_27lower_bound_config_selectorIylEEZNS1_14transform_implILb0ES3_S5_N6thrust23THRUST_200600_302600_NS6detail15normal_iteratorINS8_7pointerIyNS8_11hip_rocprim5par_tENS8_11use_defaultESE_EEEENSA_INSB_IlSD_SE_SE_EEEEZNS1_13binary_searchIS3_S5_PySG_SI_NS1_21lower_bound_search_opENS9_16wrapped_functionI11custom_lessbEEEE10hipError_tPvRmT1_T2_T3_mmT4_T5_P12ihipStream_tbEUlRKyE_EESP_ST_SU_mSV_SY_bEUlT_E_NS1_11comp_targetILNS1_3genE10ELNS1_11target_archE1201ELNS1_3gpuE5ELNS1_3repE0EEENS1_30default_config_static_selectorELNS0_4arch9wavefront6targetE0EEEvSS_
		.amdhsa_group_segment_fixed_size 0
		.amdhsa_private_segment_fixed_size 0
		.amdhsa_kernarg_size 56
		.amdhsa_user_sgpr_count 6
		.amdhsa_user_sgpr_private_segment_buffer 1
		.amdhsa_user_sgpr_dispatch_ptr 0
		.amdhsa_user_sgpr_queue_ptr 0
		.amdhsa_user_sgpr_kernarg_segment_ptr 1
		.amdhsa_user_sgpr_dispatch_id 0
		.amdhsa_user_sgpr_flat_scratch_init 0
		.amdhsa_user_sgpr_private_segment_size 0
		.amdhsa_wavefront_size32 1
		.amdhsa_uses_dynamic_stack 0
		.amdhsa_system_sgpr_private_segment_wavefront_offset 0
		.amdhsa_system_sgpr_workgroup_id_x 1
		.amdhsa_system_sgpr_workgroup_id_y 0
		.amdhsa_system_sgpr_workgroup_id_z 0
		.amdhsa_system_sgpr_workgroup_info 0
		.amdhsa_system_vgpr_workitem_id 0
		.amdhsa_next_free_vgpr 1
		.amdhsa_next_free_sgpr 1
		.amdhsa_reserve_vcc 0
		.amdhsa_reserve_flat_scratch 0
		.amdhsa_float_round_mode_32 0
		.amdhsa_float_round_mode_16_64 0
		.amdhsa_float_denorm_mode_32 3
		.amdhsa_float_denorm_mode_16_64 3
		.amdhsa_dx10_clamp 1
		.amdhsa_ieee_mode 1
		.amdhsa_fp16_overflow 0
		.amdhsa_workgroup_processor_mode 1
		.amdhsa_memory_ordered 1
		.amdhsa_forward_progress 1
		.amdhsa_shared_vgpr_count 0
		.amdhsa_exception_fp_ieee_invalid_op 0
		.amdhsa_exception_fp_denorm_src 0
		.amdhsa_exception_fp_ieee_div_zero 0
		.amdhsa_exception_fp_ieee_overflow 0
		.amdhsa_exception_fp_ieee_underflow 0
		.amdhsa_exception_fp_ieee_inexact 0
		.amdhsa_exception_int_div_zero 0
	.end_amdhsa_kernel
	.section	.text._ZN7rocprim17ROCPRIM_400000_NS6detail17trampoline_kernelINS0_14default_configENS1_27lower_bound_config_selectorIylEEZNS1_14transform_implILb0ES3_S5_N6thrust23THRUST_200600_302600_NS6detail15normal_iteratorINS8_7pointerIyNS8_11hip_rocprim5par_tENS8_11use_defaultESE_EEEENSA_INSB_IlSD_SE_SE_EEEEZNS1_13binary_searchIS3_S5_PySG_SI_NS1_21lower_bound_search_opENS9_16wrapped_functionI11custom_lessbEEEE10hipError_tPvRmT1_T2_T3_mmT4_T5_P12ihipStream_tbEUlRKyE_EESP_ST_SU_mSV_SY_bEUlT_E_NS1_11comp_targetILNS1_3genE10ELNS1_11target_archE1201ELNS1_3gpuE5ELNS1_3repE0EEENS1_30default_config_static_selectorELNS0_4arch9wavefront6targetE0EEEvSS_,"axG",@progbits,_ZN7rocprim17ROCPRIM_400000_NS6detail17trampoline_kernelINS0_14default_configENS1_27lower_bound_config_selectorIylEEZNS1_14transform_implILb0ES3_S5_N6thrust23THRUST_200600_302600_NS6detail15normal_iteratorINS8_7pointerIyNS8_11hip_rocprim5par_tENS8_11use_defaultESE_EEEENSA_INSB_IlSD_SE_SE_EEEEZNS1_13binary_searchIS3_S5_PySG_SI_NS1_21lower_bound_search_opENS9_16wrapped_functionI11custom_lessbEEEE10hipError_tPvRmT1_T2_T3_mmT4_T5_P12ihipStream_tbEUlRKyE_EESP_ST_SU_mSV_SY_bEUlT_E_NS1_11comp_targetILNS1_3genE10ELNS1_11target_archE1201ELNS1_3gpuE5ELNS1_3repE0EEENS1_30default_config_static_selectorELNS0_4arch9wavefront6targetE0EEEvSS_,comdat
.Lfunc_end49:
	.size	_ZN7rocprim17ROCPRIM_400000_NS6detail17trampoline_kernelINS0_14default_configENS1_27lower_bound_config_selectorIylEEZNS1_14transform_implILb0ES3_S5_N6thrust23THRUST_200600_302600_NS6detail15normal_iteratorINS8_7pointerIyNS8_11hip_rocprim5par_tENS8_11use_defaultESE_EEEENSA_INSB_IlSD_SE_SE_EEEEZNS1_13binary_searchIS3_S5_PySG_SI_NS1_21lower_bound_search_opENS9_16wrapped_functionI11custom_lessbEEEE10hipError_tPvRmT1_T2_T3_mmT4_T5_P12ihipStream_tbEUlRKyE_EESP_ST_SU_mSV_SY_bEUlT_E_NS1_11comp_targetILNS1_3genE10ELNS1_11target_archE1201ELNS1_3gpuE5ELNS1_3repE0EEENS1_30default_config_static_selectorELNS0_4arch9wavefront6targetE0EEEvSS_, .Lfunc_end49-_ZN7rocprim17ROCPRIM_400000_NS6detail17trampoline_kernelINS0_14default_configENS1_27lower_bound_config_selectorIylEEZNS1_14transform_implILb0ES3_S5_N6thrust23THRUST_200600_302600_NS6detail15normal_iteratorINS8_7pointerIyNS8_11hip_rocprim5par_tENS8_11use_defaultESE_EEEENSA_INSB_IlSD_SE_SE_EEEEZNS1_13binary_searchIS3_S5_PySG_SI_NS1_21lower_bound_search_opENS9_16wrapped_functionI11custom_lessbEEEE10hipError_tPvRmT1_T2_T3_mmT4_T5_P12ihipStream_tbEUlRKyE_EESP_ST_SU_mSV_SY_bEUlT_E_NS1_11comp_targetILNS1_3genE10ELNS1_11target_archE1201ELNS1_3gpuE5ELNS1_3repE0EEENS1_30default_config_static_selectorELNS0_4arch9wavefront6targetE0EEEvSS_
                                        ; -- End function
	.set _ZN7rocprim17ROCPRIM_400000_NS6detail17trampoline_kernelINS0_14default_configENS1_27lower_bound_config_selectorIylEEZNS1_14transform_implILb0ES3_S5_N6thrust23THRUST_200600_302600_NS6detail15normal_iteratorINS8_7pointerIyNS8_11hip_rocprim5par_tENS8_11use_defaultESE_EEEENSA_INSB_IlSD_SE_SE_EEEEZNS1_13binary_searchIS3_S5_PySG_SI_NS1_21lower_bound_search_opENS9_16wrapped_functionI11custom_lessbEEEE10hipError_tPvRmT1_T2_T3_mmT4_T5_P12ihipStream_tbEUlRKyE_EESP_ST_SU_mSV_SY_bEUlT_E_NS1_11comp_targetILNS1_3genE10ELNS1_11target_archE1201ELNS1_3gpuE5ELNS1_3repE0EEENS1_30default_config_static_selectorELNS0_4arch9wavefront6targetE0EEEvSS_.num_vgpr, 0
	.set _ZN7rocprim17ROCPRIM_400000_NS6detail17trampoline_kernelINS0_14default_configENS1_27lower_bound_config_selectorIylEEZNS1_14transform_implILb0ES3_S5_N6thrust23THRUST_200600_302600_NS6detail15normal_iteratorINS8_7pointerIyNS8_11hip_rocprim5par_tENS8_11use_defaultESE_EEEENSA_INSB_IlSD_SE_SE_EEEEZNS1_13binary_searchIS3_S5_PySG_SI_NS1_21lower_bound_search_opENS9_16wrapped_functionI11custom_lessbEEEE10hipError_tPvRmT1_T2_T3_mmT4_T5_P12ihipStream_tbEUlRKyE_EESP_ST_SU_mSV_SY_bEUlT_E_NS1_11comp_targetILNS1_3genE10ELNS1_11target_archE1201ELNS1_3gpuE5ELNS1_3repE0EEENS1_30default_config_static_selectorELNS0_4arch9wavefront6targetE0EEEvSS_.num_agpr, 0
	.set _ZN7rocprim17ROCPRIM_400000_NS6detail17trampoline_kernelINS0_14default_configENS1_27lower_bound_config_selectorIylEEZNS1_14transform_implILb0ES3_S5_N6thrust23THRUST_200600_302600_NS6detail15normal_iteratorINS8_7pointerIyNS8_11hip_rocprim5par_tENS8_11use_defaultESE_EEEENSA_INSB_IlSD_SE_SE_EEEEZNS1_13binary_searchIS3_S5_PySG_SI_NS1_21lower_bound_search_opENS9_16wrapped_functionI11custom_lessbEEEE10hipError_tPvRmT1_T2_T3_mmT4_T5_P12ihipStream_tbEUlRKyE_EESP_ST_SU_mSV_SY_bEUlT_E_NS1_11comp_targetILNS1_3genE10ELNS1_11target_archE1201ELNS1_3gpuE5ELNS1_3repE0EEENS1_30default_config_static_selectorELNS0_4arch9wavefront6targetE0EEEvSS_.numbered_sgpr, 0
	.set _ZN7rocprim17ROCPRIM_400000_NS6detail17trampoline_kernelINS0_14default_configENS1_27lower_bound_config_selectorIylEEZNS1_14transform_implILb0ES3_S5_N6thrust23THRUST_200600_302600_NS6detail15normal_iteratorINS8_7pointerIyNS8_11hip_rocprim5par_tENS8_11use_defaultESE_EEEENSA_INSB_IlSD_SE_SE_EEEEZNS1_13binary_searchIS3_S5_PySG_SI_NS1_21lower_bound_search_opENS9_16wrapped_functionI11custom_lessbEEEE10hipError_tPvRmT1_T2_T3_mmT4_T5_P12ihipStream_tbEUlRKyE_EESP_ST_SU_mSV_SY_bEUlT_E_NS1_11comp_targetILNS1_3genE10ELNS1_11target_archE1201ELNS1_3gpuE5ELNS1_3repE0EEENS1_30default_config_static_selectorELNS0_4arch9wavefront6targetE0EEEvSS_.num_named_barrier, 0
	.set _ZN7rocprim17ROCPRIM_400000_NS6detail17trampoline_kernelINS0_14default_configENS1_27lower_bound_config_selectorIylEEZNS1_14transform_implILb0ES3_S5_N6thrust23THRUST_200600_302600_NS6detail15normal_iteratorINS8_7pointerIyNS8_11hip_rocprim5par_tENS8_11use_defaultESE_EEEENSA_INSB_IlSD_SE_SE_EEEEZNS1_13binary_searchIS3_S5_PySG_SI_NS1_21lower_bound_search_opENS9_16wrapped_functionI11custom_lessbEEEE10hipError_tPvRmT1_T2_T3_mmT4_T5_P12ihipStream_tbEUlRKyE_EESP_ST_SU_mSV_SY_bEUlT_E_NS1_11comp_targetILNS1_3genE10ELNS1_11target_archE1201ELNS1_3gpuE5ELNS1_3repE0EEENS1_30default_config_static_selectorELNS0_4arch9wavefront6targetE0EEEvSS_.private_seg_size, 0
	.set _ZN7rocprim17ROCPRIM_400000_NS6detail17trampoline_kernelINS0_14default_configENS1_27lower_bound_config_selectorIylEEZNS1_14transform_implILb0ES3_S5_N6thrust23THRUST_200600_302600_NS6detail15normal_iteratorINS8_7pointerIyNS8_11hip_rocprim5par_tENS8_11use_defaultESE_EEEENSA_INSB_IlSD_SE_SE_EEEEZNS1_13binary_searchIS3_S5_PySG_SI_NS1_21lower_bound_search_opENS9_16wrapped_functionI11custom_lessbEEEE10hipError_tPvRmT1_T2_T3_mmT4_T5_P12ihipStream_tbEUlRKyE_EESP_ST_SU_mSV_SY_bEUlT_E_NS1_11comp_targetILNS1_3genE10ELNS1_11target_archE1201ELNS1_3gpuE5ELNS1_3repE0EEENS1_30default_config_static_selectorELNS0_4arch9wavefront6targetE0EEEvSS_.uses_vcc, 0
	.set _ZN7rocprim17ROCPRIM_400000_NS6detail17trampoline_kernelINS0_14default_configENS1_27lower_bound_config_selectorIylEEZNS1_14transform_implILb0ES3_S5_N6thrust23THRUST_200600_302600_NS6detail15normal_iteratorINS8_7pointerIyNS8_11hip_rocprim5par_tENS8_11use_defaultESE_EEEENSA_INSB_IlSD_SE_SE_EEEEZNS1_13binary_searchIS3_S5_PySG_SI_NS1_21lower_bound_search_opENS9_16wrapped_functionI11custom_lessbEEEE10hipError_tPvRmT1_T2_T3_mmT4_T5_P12ihipStream_tbEUlRKyE_EESP_ST_SU_mSV_SY_bEUlT_E_NS1_11comp_targetILNS1_3genE10ELNS1_11target_archE1201ELNS1_3gpuE5ELNS1_3repE0EEENS1_30default_config_static_selectorELNS0_4arch9wavefront6targetE0EEEvSS_.uses_flat_scratch, 0
	.set _ZN7rocprim17ROCPRIM_400000_NS6detail17trampoline_kernelINS0_14default_configENS1_27lower_bound_config_selectorIylEEZNS1_14transform_implILb0ES3_S5_N6thrust23THRUST_200600_302600_NS6detail15normal_iteratorINS8_7pointerIyNS8_11hip_rocprim5par_tENS8_11use_defaultESE_EEEENSA_INSB_IlSD_SE_SE_EEEEZNS1_13binary_searchIS3_S5_PySG_SI_NS1_21lower_bound_search_opENS9_16wrapped_functionI11custom_lessbEEEE10hipError_tPvRmT1_T2_T3_mmT4_T5_P12ihipStream_tbEUlRKyE_EESP_ST_SU_mSV_SY_bEUlT_E_NS1_11comp_targetILNS1_3genE10ELNS1_11target_archE1201ELNS1_3gpuE5ELNS1_3repE0EEENS1_30default_config_static_selectorELNS0_4arch9wavefront6targetE0EEEvSS_.has_dyn_sized_stack, 0
	.set _ZN7rocprim17ROCPRIM_400000_NS6detail17trampoline_kernelINS0_14default_configENS1_27lower_bound_config_selectorIylEEZNS1_14transform_implILb0ES3_S5_N6thrust23THRUST_200600_302600_NS6detail15normal_iteratorINS8_7pointerIyNS8_11hip_rocprim5par_tENS8_11use_defaultESE_EEEENSA_INSB_IlSD_SE_SE_EEEEZNS1_13binary_searchIS3_S5_PySG_SI_NS1_21lower_bound_search_opENS9_16wrapped_functionI11custom_lessbEEEE10hipError_tPvRmT1_T2_T3_mmT4_T5_P12ihipStream_tbEUlRKyE_EESP_ST_SU_mSV_SY_bEUlT_E_NS1_11comp_targetILNS1_3genE10ELNS1_11target_archE1201ELNS1_3gpuE5ELNS1_3repE0EEENS1_30default_config_static_selectorELNS0_4arch9wavefront6targetE0EEEvSS_.has_recursion, 0
	.set _ZN7rocprim17ROCPRIM_400000_NS6detail17trampoline_kernelINS0_14default_configENS1_27lower_bound_config_selectorIylEEZNS1_14transform_implILb0ES3_S5_N6thrust23THRUST_200600_302600_NS6detail15normal_iteratorINS8_7pointerIyNS8_11hip_rocprim5par_tENS8_11use_defaultESE_EEEENSA_INSB_IlSD_SE_SE_EEEEZNS1_13binary_searchIS3_S5_PySG_SI_NS1_21lower_bound_search_opENS9_16wrapped_functionI11custom_lessbEEEE10hipError_tPvRmT1_T2_T3_mmT4_T5_P12ihipStream_tbEUlRKyE_EESP_ST_SU_mSV_SY_bEUlT_E_NS1_11comp_targetILNS1_3genE10ELNS1_11target_archE1201ELNS1_3gpuE5ELNS1_3repE0EEENS1_30default_config_static_selectorELNS0_4arch9wavefront6targetE0EEEvSS_.has_indirect_call, 0
	.section	.AMDGPU.csdata,"",@progbits
; Kernel info:
; codeLenInByte = 0
; TotalNumSgprs: 0
; NumVgprs: 0
; ScratchSize: 0
; MemoryBound: 0
; FloatMode: 240
; IeeeMode: 1
; LDSByteSize: 0 bytes/workgroup (compile time only)
; SGPRBlocks: 0
; VGPRBlocks: 0
; NumSGPRsForWavesPerEU: 1
; NumVGPRsForWavesPerEU: 1
; Occupancy: 16
; WaveLimiterHint : 0
; COMPUTE_PGM_RSRC2:SCRATCH_EN: 0
; COMPUTE_PGM_RSRC2:USER_SGPR: 6
; COMPUTE_PGM_RSRC2:TRAP_HANDLER: 0
; COMPUTE_PGM_RSRC2:TGID_X_EN: 1
; COMPUTE_PGM_RSRC2:TGID_Y_EN: 0
; COMPUTE_PGM_RSRC2:TGID_Z_EN: 0
; COMPUTE_PGM_RSRC2:TIDIG_COMP_CNT: 0
	.section	.text._ZN7rocprim17ROCPRIM_400000_NS6detail17trampoline_kernelINS0_14default_configENS1_27lower_bound_config_selectorIylEEZNS1_14transform_implILb0ES3_S5_N6thrust23THRUST_200600_302600_NS6detail15normal_iteratorINS8_7pointerIyNS8_11hip_rocprim5par_tENS8_11use_defaultESE_EEEENSA_INSB_IlSD_SE_SE_EEEEZNS1_13binary_searchIS3_S5_PySG_SI_NS1_21lower_bound_search_opENS9_16wrapped_functionI11custom_lessbEEEE10hipError_tPvRmT1_T2_T3_mmT4_T5_P12ihipStream_tbEUlRKyE_EESP_ST_SU_mSV_SY_bEUlT_E_NS1_11comp_targetILNS1_3genE10ELNS1_11target_archE1200ELNS1_3gpuE4ELNS1_3repE0EEENS1_30default_config_static_selectorELNS0_4arch9wavefront6targetE0EEEvSS_,"axG",@progbits,_ZN7rocprim17ROCPRIM_400000_NS6detail17trampoline_kernelINS0_14default_configENS1_27lower_bound_config_selectorIylEEZNS1_14transform_implILb0ES3_S5_N6thrust23THRUST_200600_302600_NS6detail15normal_iteratorINS8_7pointerIyNS8_11hip_rocprim5par_tENS8_11use_defaultESE_EEEENSA_INSB_IlSD_SE_SE_EEEEZNS1_13binary_searchIS3_S5_PySG_SI_NS1_21lower_bound_search_opENS9_16wrapped_functionI11custom_lessbEEEE10hipError_tPvRmT1_T2_T3_mmT4_T5_P12ihipStream_tbEUlRKyE_EESP_ST_SU_mSV_SY_bEUlT_E_NS1_11comp_targetILNS1_3genE10ELNS1_11target_archE1200ELNS1_3gpuE4ELNS1_3repE0EEENS1_30default_config_static_selectorELNS0_4arch9wavefront6targetE0EEEvSS_,comdat
	.protected	_ZN7rocprim17ROCPRIM_400000_NS6detail17trampoline_kernelINS0_14default_configENS1_27lower_bound_config_selectorIylEEZNS1_14transform_implILb0ES3_S5_N6thrust23THRUST_200600_302600_NS6detail15normal_iteratorINS8_7pointerIyNS8_11hip_rocprim5par_tENS8_11use_defaultESE_EEEENSA_INSB_IlSD_SE_SE_EEEEZNS1_13binary_searchIS3_S5_PySG_SI_NS1_21lower_bound_search_opENS9_16wrapped_functionI11custom_lessbEEEE10hipError_tPvRmT1_T2_T3_mmT4_T5_P12ihipStream_tbEUlRKyE_EESP_ST_SU_mSV_SY_bEUlT_E_NS1_11comp_targetILNS1_3genE10ELNS1_11target_archE1200ELNS1_3gpuE4ELNS1_3repE0EEENS1_30default_config_static_selectorELNS0_4arch9wavefront6targetE0EEEvSS_ ; -- Begin function _ZN7rocprim17ROCPRIM_400000_NS6detail17trampoline_kernelINS0_14default_configENS1_27lower_bound_config_selectorIylEEZNS1_14transform_implILb0ES3_S5_N6thrust23THRUST_200600_302600_NS6detail15normal_iteratorINS8_7pointerIyNS8_11hip_rocprim5par_tENS8_11use_defaultESE_EEEENSA_INSB_IlSD_SE_SE_EEEEZNS1_13binary_searchIS3_S5_PySG_SI_NS1_21lower_bound_search_opENS9_16wrapped_functionI11custom_lessbEEEE10hipError_tPvRmT1_T2_T3_mmT4_T5_P12ihipStream_tbEUlRKyE_EESP_ST_SU_mSV_SY_bEUlT_E_NS1_11comp_targetILNS1_3genE10ELNS1_11target_archE1200ELNS1_3gpuE4ELNS1_3repE0EEENS1_30default_config_static_selectorELNS0_4arch9wavefront6targetE0EEEvSS_
	.globl	_ZN7rocprim17ROCPRIM_400000_NS6detail17trampoline_kernelINS0_14default_configENS1_27lower_bound_config_selectorIylEEZNS1_14transform_implILb0ES3_S5_N6thrust23THRUST_200600_302600_NS6detail15normal_iteratorINS8_7pointerIyNS8_11hip_rocprim5par_tENS8_11use_defaultESE_EEEENSA_INSB_IlSD_SE_SE_EEEEZNS1_13binary_searchIS3_S5_PySG_SI_NS1_21lower_bound_search_opENS9_16wrapped_functionI11custom_lessbEEEE10hipError_tPvRmT1_T2_T3_mmT4_T5_P12ihipStream_tbEUlRKyE_EESP_ST_SU_mSV_SY_bEUlT_E_NS1_11comp_targetILNS1_3genE10ELNS1_11target_archE1200ELNS1_3gpuE4ELNS1_3repE0EEENS1_30default_config_static_selectorELNS0_4arch9wavefront6targetE0EEEvSS_
	.p2align	8
	.type	_ZN7rocprim17ROCPRIM_400000_NS6detail17trampoline_kernelINS0_14default_configENS1_27lower_bound_config_selectorIylEEZNS1_14transform_implILb0ES3_S5_N6thrust23THRUST_200600_302600_NS6detail15normal_iteratorINS8_7pointerIyNS8_11hip_rocprim5par_tENS8_11use_defaultESE_EEEENSA_INSB_IlSD_SE_SE_EEEEZNS1_13binary_searchIS3_S5_PySG_SI_NS1_21lower_bound_search_opENS9_16wrapped_functionI11custom_lessbEEEE10hipError_tPvRmT1_T2_T3_mmT4_T5_P12ihipStream_tbEUlRKyE_EESP_ST_SU_mSV_SY_bEUlT_E_NS1_11comp_targetILNS1_3genE10ELNS1_11target_archE1200ELNS1_3gpuE4ELNS1_3repE0EEENS1_30default_config_static_selectorELNS0_4arch9wavefront6targetE0EEEvSS_,@function
_ZN7rocprim17ROCPRIM_400000_NS6detail17trampoline_kernelINS0_14default_configENS1_27lower_bound_config_selectorIylEEZNS1_14transform_implILb0ES3_S5_N6thrust23THRUST_200600_302600_NS6detail15normal_iteratorINS8_7pointerIyNS8_11hip_rocprim5par_tENS8_11use_defaultESE_EEEENSA_INSB_IlSD_SE_SE_EEEEZNS1_13binary_searchIS3_S5_PySG_SI_NS1_21lower_bound_search_opENS9_16wrapped_functionI11custom_lessbEEEE10hipError_tPvRmT1_T2_T3_mmT4_T5_P12ihipStream_tbEUlRKyE_EESP_ST_SU_mSV_SY_bEUlT_E_NS1_11comp_targetILNS1_3genE10ELNS1_11target_archE1200ELNS1_3gpuE4ELNS1_3repE0EEENS1_30default_config_static_selectorELNS0_4arch9wavefront6targetE0EEEvSS_: ; @_ZN7rocprim17ROCPRIM_400000_NS6detail17trampoline_kernelINS0_14default_configENS1_27lower_bound_config_selectorIylEEZNS1_14transform_implILb0ES3_S5_N6thrust23THRUST_200600_302600_NS6detail15normal_iteratorINS8_7pointerIyNS8_11hip_rocprim5par_tENS8_11use_defaultESE_EEEENSA_INSB_IlSD_SE_SE_EEEEZNS1_13binary_searchIS3_S5_PySG_SI_NS1_21lower_bound_search_opENS9_16wrapped_functionI11custom_lessbEEEE10hipError_tPvRmT1_T2_T3_mmT4_T5_P12ihipStream_tbEUlRKyE_EESP_ST_SU_mSV_SY_bEUlT_E_NS1_11comp_targetILNS1_3genE10ELNS1_11target_archE1200ELNS1_3gpuE4ELNS1_3repE0EEENS1_30default_config_static_selectorELNS0_4arch9wavefront6targetE0EEEvSS_
; %bb.0:
	.section	.rodata,"a",@progbits
	.p2align	6, 0x0
	.amdhsa_kernel _ZN7rocprim17ROCPRIM_400000_NS6detail17trampoline_kernelINS0_14default_configENS1_27lower_bound_config_selectorIylEEZNS1_14transform_implILb0ES3_S5_N6thrust23THRUST_200600_302600_NS6detail15normal_iteratorINS8_7pointerIyNS8_11hip_rocprim5par_tENS8_11use_defaultESE_EEEENSA_INSB_IlSD_SE_SE_EEEEZNS1_13binary_searchIS3_S5_PySG_SI_NS1_21lower_bound_search_opENS9_16wrapped_functionI11custom_lessbEEEE10hipError_tPvRmT1_T2_T3_mmT4_T5_P12ihipStream_tbEUlRKyE_EESP_ST_SU_mSV_SY_bEUlT_E_NS1_11comp_targetILNS1_3genE10ELNS1_11target_archE1200ELNS1_3gpuE4ELNS1_3repE0EEENS1_30default_config_static_selectorELNS0_4arch9wavefront6targetE0EEEvSS_
		.amdhsa_group_segment_fixed_size 0
		.amdhsa_private_segment_fixed_size 0
		.amdhsa_kernarg_size 56
		.amdhsa_user_sgpr_count 6
		.amdhsa_user_sgpr_private_segment_buffer 1
		.amdhsa_user_sgpr_dispatch_ptr 0
		.amdhsa_user_sgpr_queue_ptr 0
		.amdhsa_user_sgpr_kernarg_segment_ptr 1
		.amdhsa_user_sgpr_dispatch_id 0
		.amdhsa_user_sgpr_flat_scratch_init 0
		.amdhsa_user_sgpr_private_segment_size 0
		.amdhsa_wavefront_size32 1
		.amdhsa_uses_dynamic_stack 0
		.amdhsa_system_sgpr_private_segment_wavefront_offset 0
		.amdhsa_system_sgpr_workgroup_id_x 1
		.amdhsa_system_sgpr_workgroup_id_y 0
		.amdhsa_system_sgpr_workgroup_id_z 0
		.amdhsa_system_sgpr_workgroup_info 0
		.amdhsa_system_vgpr_workitem_id 0
		.amdhsa_next_free_vgpr 1
		.amdhsa_next_free_sgpr 1
		.amdhsa_reserve_vcc 0
		.amdhsa_reserve_flat_scratch 0
		.amdhsa_float_round_mode_32 0
		.amdhsa_float_round_mode_16_64 0
		.amdhsa_float_denorm_mode_32 3
		.amdhsa_float_denorm_mode_16_64 3
		.amdhsa_dx10_clamp 1
		.amdhsa_ieee_mode 1
		.amdhsa_fp16_overflow 0
		.amdhsa_workgroup_processor_mode 1
		.amdhsa_memory_ordered 1
		.amdhsa_forward_progress 1
		.amdhsa_shared_vgpr_count 0
		.amdhsa_exception_fp_ieee_invalid_op 0
		.amdhsa_exception_fp_denorm_src 0
		.amdhsa_exception_fp_ieee_div_zero 0
		.amdhsa_exception_fp_ieee_overflow 0
		.amdhsa_exception_fp_ieee_underflow 0
		.amdhsa_exception_fp_ieee_inexact 0
		.amdhsa_exception_int_div_zero 0
	.end_amdhsa_kernel
	.section	.text._ZN7rocprim17ROCPRIM_400000_NS6detail17trampoline_kernelINS0_14default_configENS1_27lower_bound_config_selectorIylEEZNS1_14transform_implILb0ES3_S5_N6thrust23THRUST_200600_302600_NS6detail15normal_iteratorINS8_7pointerIyNS8_11hip_rocprim5par_tENS8_11use_defaultESE_EEEENSA_INSB_IlSD_SE_SE_EEEEZNS1_13binary_searchIS3_S5_PySG_SI_NS1_21lower_bound_search_opENS9_16wrapped_functionI11custom_lessbEEEE10hipError_tPvRmT1_T2_T3_mmT4_T5_P12ihipStream_tbEUlRKyE_EESP_ST_SU_mSV_SY_bEUlT_E_NS1_11comp_targetILNS1_3genE10ELNS1_11target_archE1200ELNS1_3gpuE4ELNS1_3repE0EEENS1_30default_config_static_selectorELNS0_4arch9wavefront6targetE0EEEvSS_,"axG",@progbits,_ZN7rocprim17ROCPRIM_400000_NS6detail17trampoline_kernelINS0_14default_configENS1_27lower_bound_config_selectorIylEEZNS1_14transform_implILb0ES3_S5_N6thrust23THRUST_200600_302600_NS6detail15normal_iteratorINS8_7pointerIyNS8_11hip_rocprim5par_tENS8_11use_defaultESE_EEEENSA_INSB_IlSD_SE_SE_EEEEZNS1_13binary_searchIS3_S5_PySG_SI_NS1_21lower_bound_search_opENS9_16wrapped_functionI11custom_lessbEEEE10hipError_tPvRmT1_T2_T3_mmT4_T5_P12ihipStream_tbEUlRKyE_EESP_ST_SU_mSV_SY_bEUlT_E_NS1_11comp_targetILNS1_3genE10ELNS1_11target_archE1200ELNS1_3gpuE4ELNS1_3repE0EEENS1_30default_config_static_selectorELNS0_4arch9wavefront6targetE0EEEvSS_,comdat
.Lfunc_end50:
	.size	_ZN7rocprim17ROCPRIM_400000_NS6detail17trampoline_kernelINS0_14default_configENS1_27lower_bound_config_selectorIylEEZNS1_14transform_implILb0ES3_S5_N6thrust23THRUST_200600_302600_NS6detail15normal_iteratorINS8_7pointerIyNS8_11hip_rocprim5par_tENS8_11use_defaultESE_EEEENSA_INSB_IlSD_SE_SE_EEEEZNS1_13binary_searchIS3_S5_PySG_SI_NS1_21lower_bound_search_opENS9_16wrapped_functionI11custom_lessbEEEE10hipError_tPvRmT1_T2_T3_mmT4_T5_P12ihipStream_tbEUlRKyE_EESP_ST_SU_mSV_SY_bEUlT_E_NS1_11comp_targetILNS1_3genE10ELNS1_11target_archE1200ELNS1_3gpuE4ELNS1_3repE0EEENS1_30default_config_static_selectorELNS0_4arch9wavefront6targetE0EEEvSS_, .Lfunc_end50-_ZN7rocprim17ROCPRIM_400000_NS6detail17trampoline_kernelINS0_14default_configENS1_27lower_bound_config_selectorIylEEZNS1_14transform_implILb0ES3_S5_N6thrust23THRUST_200600_302600_NS6detail15normal_iteratorINS8_7pointerIyNS8_11hip_rocprim5par_tENS8_11use_defaultESE_EEEENSA_INSB_IlSD_SE_SE_EEEEZNS1_13binary_searchIS3_S5_PySG_SI_NS1_21lower_bound_search_opENS9_16wrapped_functionI11custom_lessbEEEE10hipError_tPvRmT1_T2_T3_mmT4_T5_P12ihipStream_tbEUlRKyE_EESP_ST_SU_mSV_SY_bEUlT_E_NS1_11comp_targetILNS1_3genE10ELNS1_11target_archE1200ELNS1_3gpuE4ELNS1_3repE0EEENS1_30default_config_static_selectorELNS0_4arch9wavefront6targetE0EEEvSS_
                                        ; -- End function
	.set _ZN7rocprim17ROCPRIM_400000_NS6detail17trampoline_kernelINS0_14default_configENS1_27lower_bound_config_selectorIylEEZNS1_14transform_implILb0ES3_S5_N6thrust23THRUST_200600_302600_NS6detail15normal_iteratorINS8_7pointerIyNS8_11hip_rocprim5par_tENS8_11use_defaultESE_EEEENSA_INSB_IlSD_SE_SE_EEEEZNS1_13binary_searchIS3_S5_PySG_SI_NS1_21lower_bound_search_opENS9_16wrapped_functionI11custom_lessbEEEE10hipError_tPvRmT1_T2_T3_mmT4_T5_P12ihipStream_tbEUlRKyE_EESP_ST_SU_mSV_SY_bEUlT_E_NS1_11comp_targetILNS1_3genE10ELNS1_11target_archE1200ELNS1_3gpuE4ELNS1_3repE0EEENS1_30default_config_static_selectorELNS0_4arch9wavefront6targetE0EEEvSS_.num_vgpr, 0
	.set _ZN7rocprim17ROCPRIM_400000_NS6detail17trampoline_kernelINS0_14default_configENS1_27lower_bound_config_selectorIylEEZNS1_14transform_implILb0ES3_S5_N6thrust23THRUST_200600_302600_NS6detail15normal_iteratorINS8_7pointerIyNS8_11hip_rocprim5par_tENS8_11use_defaultESE_EEEENSA_INSB_IlSD_SE_SE_EEEEZNS1_13binary_searchIS3_S5_PySG_SI_NS1_21lower_bound_search_opENS9_16wrapped_functionI11custom_lessbEEEE10hipError_tPvRmT1_T2_T3_mmT4_T5_P12ihipStream_tbEUlRKyE_EESP_ST_SU_mSV_SY_bEUlT_E_NS1_11comp_targetILNS1_3genE10ELNS1_11target_archE1200ELNS1_3gpuE4ELNS1_3repE0EEENS1_30default_config_static_selectorELNS0_4arch9wavefront6targetE0EEEvSS_.num_agpr, 0
	.set _ZN7rocprim17ROCPRIM_400000_NS6detail17trampoline_kernelINS0_14default_configENS1_27lower_bound_config_selectorIylEEZNS1_14transform_implILb0ES3_S5_N6thrust23THRUST_200600_302600_NS6detail15normal_iteratorINS8_7pointerIyNS8_11hip_rocprim5par_tENS8_11use_defaultESE_EEEENSA_INSB_IlSD_SE_SE_EEEEZNS1_13binary_searchIS3_S5_PySG_SI_NS1_21lower_bound_search_opENS9_16wrapped_functionI11custom_lessbEEEE10hipError_tPvRmT1_T2_T3_mmT4_T5_P12ihipStream_tbEUlRKyE_EESP_ST_SU_mSV_SY_bEUlT_E_NS1_11comp_targetILNS1_3genE10ELNS1_11target_archE1200ELNS1_3gpuE4ELNS1_3repE0EEENS1_30default_config_static_selectorELNS0_4arch9wavefront6targetE0EEEvSS_.numbered_sgpr, 0
	.set _ZN7rocprim17ROCPRIM_400000_NS6detail17trampoline_kernelINS0_14default_configENS1_27lower_bound_config_selectorIylEEZNS1_14transform_implILb0ES3_S5_N6thrust23THRUST_200600_302600_NS6detail15normal_iteratorINS8_7pointerIyNS8_11hip_rocprim5par_tENS8_11use_defaultESE_EEEENSA_INSB_IlSD_SE_SE_EEEEZNS1_13binary_searchIS3_S5_PySG_SI_NS1_21lower_bound_search_opENS9_16wrapped_functionI11custom_lessbEEEE10hipError_tPvRmT1_T2_T3_mmT4_T5_P12ihipStream_tbEUlRKyE_EESP_ST_SU_mSV_SY_bEUlT_E_NS1_11comp_targetILNS1_3genE10ELNS1_11target_archE1200ELNS1_3gpuE4ELNS1_3repE0EEENS1_30default_config_static_selectorELNS0_4arch9wavefront6targetE0EEEvSS_.num_named_barrier, 0
	.set _ZN7rocprim17ROCPRIM_400000_NS6detail17trampoline_kernelINS0_14default_configENS1_27lower_bound_config_selectorIylEEZNS1_14transform_implILb0ES3_S5_N6thrust23THRUST_200600_302600_NS6detail15normal_iteratorINS8_7pointerIyNS8_11hip_rocprim5par_tENS8_11use_defaultESE_EEEENSA_INSB_IlSD_SE_SE_EEEEZNS1_13binary_searchIS3_S5_PySG_SI_NS1_21lower_bound_search_opENS9_16wrapped_functionI11custom_lessbEEEE10hipError_tPvRmT1_T2_T3_mmT4_T5_P12ihipStream_tbEUlRKyE_EESP_ST_SU_mSV_SY_bEUlT_E_NS1_11comp_targetILNS1_3genE10ELNS1_11target_archE1200ELNS1_3gpuE4ELNS1_3repE0EEENS1_30default_config_static_selectorELNS0_4arch9wavefront6targetE0EEEvSS_.private_seg_size, 0
	.set _ZN7rocprim17ROCPRIM_400000_NS6detail17trampoline_kernelINS0_14default_configENS1_27lower_bound_config_selectorIylEEZNS1_14transform_implILb0ES3_S5_N6thrust23THRUST_200600_302600_NS6detail15normal_iteratorINS8_7pointerIyNS8_11hip_rocprim5par_tENS8_11use_defaultESE_EEEENSA_INSB_IlSD_SE_SE_EEEEZNS1_13binary_searchIS3_S5_PySG_SI_NS1_21lower_bound_search_opENS9_16wrapped_functionI11custom_lessbEEEE10hipError_tPvRmT1_T2_T3_mmT4_T5_P12ihipStream_tbEUlRKyE_EESP_ST_SU_mSV_SY_bEUlT_E_NS1_11comp_targetILNS1_3genE10ELNS1_11target_archE1200ELNS1_3gpuE4ELNS1_3repE0EEENS1_30default_config_static_selectorELNS0_4arch9wavefront6targetE0EEEvSS_.uses_vcc, 0
	.set _ZN7rocprim17ROCPRIM_400000_NS6detail17trampoline_kernelINS0_14default_configENS1_27lower_bound_config_selectorIylEEZNS1_14transform_implILb0ES3_S5_N6thrust23THRUST_200600_302600_NS6detail15normal_iteratorINS8_7pointerIyNS8_11hip_rocprim5par_tENS8_11use_defaultESE_EEEENSA_INSB_IlSD_SE_SE_EEEEZNS1_13binary_searchIS3_S5_PySG_SI_NS1_21lower_bound_search_opENS9_16wrapped_functionI11custom_lessbEEEE10hipError_tPvRmT1_T2_T3_mmT4_T5_P12ihipStream_tbEUlRKyE_EESP_ST_SU_mSV_SY_bEUlT_E_NS1_11comp_targetILNS1_3genE10ELNS1_11target_archE1200ELNS1_3gpuE4ELNS1_3repE0EEENS1_30default_config_static_selectorELNS0_4arch9wavefront6targetE0EEEvSS_.uses_flat_scratch, 0
	.set _ZN7rocprim17ROCPRIM_400000_NS6detail17trampoline_kernelINS0_14default_configENS1_27lower_bound_config_selectorIylEEZNS1_14transform_implILb0ES3_S5_N6thrust23THRUST_200600_302600_NS6detail15normal_iteratorINS8_7pointerIyNS8_11hip_rocprim5par_tENS8_11use_defaultESE_EEEENSA_INSB_IlSD_SE_SE_EEEEZNS1_13binary_searchIS3_S5_PySG_SI_NS1_21lower_bound_search_opENS9_16wrapped_functionI11custom_lessbEEEE10hipError_tPvRmT1_T2_T3_mmT4_T5_P12ihipStream_tbEUlRKyE_EESP_ST_SU_mSV_SY_bEUlT_E_NS1_11comp_targetILNS1_3genE10ELNS1_11target_archE1200ELNS1_3gpuE4ELNS1_3repE0EEENS1_30default_config_static_selectorELNS0_4arch9wavefront6targetE0EEEvSS_.has_dyn_sized_stack, 0
	.set _ZN7rocprim17ROCPRIM_400000_NS6detail17trampoline_kernelINS0_14default_configENS1_27lower_bound_config_selectorIylEEZNS1_14transform_implILb0ES3_S5_N6thrust23THRUST_200600_302600_NS6detail15normal_iteratorINS8_7pointerIyNS8_11hip_rocprim5par_tENS8_11use_defaultESE_EEEENSA_INSB_IlSD_SE_SE_EEEEZNS1_13binary_searchIS3_S5_PySG_SI_NS1_21lower_bound_search_opENS9_16wrapped_functionI11custom_lessbEEEE10hipError_tPvRmT1_T2_T3_mmT4_T5_P12ihipStream_tbEUlRKyE_EESP_ST_SU_mSV_SY_bEUlT_E_NS1_11comp_targetILNS1_3genE10ELNS1_11target_archE1200ELNS1_3gpuE4ELNS1_3repE0EEENS1_30default_config_static_selectorELNS0_4arch9wavefront6targetE0EEEvSS_.has_recursion, 0
	.set _ZN7rocprim17ROCPRIM_400000_NS6detail17trampoline_kernelINS0_14default_configENS1_27lower_bound_config_selectorIylEEZNS1_14transform_implILb0ES3_S5_N6thrust23THRUST_200600_302600_NS6detail15normal_iteratorINS8_7pointerIyNS8_11hip_rocprim5par_tENS8_11use_defaultESE_EEEENSA_INSB_IlSD_SE_SE_EEEEZNS1_13binary_searchIS3_S5_PySG_SI_NS1_21lower_bound_search_opENS9_16wrapped_functionI11custom_lessbEEEE10hipError_tPvRmT1_T2_T3_mmT4_T5_P12ihipStream_tbEUlRKyE_EESP_ST_SU_mSV_SY_bEUlT_E_NS1_11comp_targetILNS1_3genE10ELNS1_11target_archE1200ELNS1_3gpuE4ELNS1_3repE0EEENS1_30default_config_static_selectorELNS0_4arch9wavefront6targetE0EEEvSS_.has_indirect_call, 0
	.section	.AMDGPU.csdata,"",@progbits
; Kernel info:
; codeLenInByte = 0
; TotalNumSgprs: 0
; NumVgprs: 0
; ScratchSize: 0
; MemoryBound: 0
; FloatMode: 240
; IeeeMode: 1
; LDSByteSize: 0 bytes/workgroup (compile time only)
; SGPRBlocks: 0
; VGPRBlocks: 0
; NumSGPRsForWavesPerEU: 1
; NumVGPRsForWavesPerEU: 1
; Occupancy: 16
; WaveLimiterHint : 0
; COMPUTE_PGM_RSRC2:SCRATCH_EN: 0
; COMPUTE_PGM_RSRC2:USER_SGPR: 6
; COMPUTE_PGM_RSRC2:TRAP_HANDLER: 0
; COMPUTE_PGM_RSRC2:TGID_X_EN: 1
; COMPUTE_PGM_RSRC2:TGID_Y_EN: 0
; COMPUTE_PGM_RSRC2:TGID_Z_EN: 0
; COMPUTE_PGM_RSRC2:TIDIG_COMP_CNT: 0
	.section	.text._ZN7rocprim17ROCPRIM_400000_NS6detail17trampoline_kernelINS0_14default_configENS1_27lower_bound_config_selectorIylEEZNS1_14transform_implILb0ES3_S5_N6thrust23THRUST_200600_302600_NS6detail15normal_iteratorINS8_7pointerIyNS8_11hip_rocprim5par_tENS8_11use_defaultESE_EEEENSA_INSB_IlSD_SE_SE_EEEEZNS1_13binary_searchIS3_S5_PySG_SI_NS1_21lower_bound_search_opENS9_16wrapped_functionI11custom_lessbEEEE10hipError_tPvRmT1_T2_T3_mmT4_T5_P12ihipStream_tbEUlRKyE_EESP_ST_SU_mSV_SY_bEUlT_E_NS1_11comp_targetILNS1_3genE9ELNS1_11target_archE1100ELNS1_3gpuE3ELNS1_3repE0EEENS1_30default_config_static_selectorELNS0_4arch9wavefront6targetE0EEEvSS_,"axG",@progbits,_ZN7rocprim17ROCPRIM_400000_NS6detail17trampoline_kernelINS0_14default_configENS1_27lower_bound_config_selectorIylEEZNS1_14transform_implILb0ES3_S5_N6thrust23THRUST_200600_302600_NS6detail15normal_iteratorINS8_7pointerIyNS8_11hip_rocprim5par_tENS8_11use_defaultESE_EEEENSA_INSB_IlSD_SE_SE_EEEEZNS1_13binary_searchIS3_S5_PySG_SI_NS1_21lower_bound_search_opENS9_16wrapped_functionI11custom_lessbEEEE10hipError_tPvRmT1_T2_T3_mmT4_T5_P12ihipStream_tbEUlRKyE_EESP_ST_SU_mSV_SY_bEUlT_E_NS1_11comp_targetILNS1_3genE9ELNS1_11target_archE1100ELNS1_3gpuE3ELNS1_3repE0EEENS1_30default_config_static_selectorELNS0_4arch9wavefront6targetE0EEEvSS_,comdat
	.protected	_ZN7rocprim17ROCPRIM_400000_NS6detail17trampoline_kernelINS0_14default_configENS1_27lower_bound_config_selectorIylEEZNS1_14transform_implILb0ES3_S5_N6thrust23THRUST_200600_302600_NS6detail15normal_iteratorINS8_7pointerIyNS8_11hip_rocprim5par_tENS8_11use_defaultESE_EEEENSA_INSB_IlSD_SE_SE_EEEEZNS1_13binary_searchIS3_S5_PySG_SI_NS1_21lower_bound_search_opENS9_16wrapped_functionI11custom_lessbEEEE10hipError_tPvRmT1_T2_T3_mmT4_T5_P12ihipStream_tbEUlRKyE_EESP_ST_SU_mSV_SY_bEUlT_E_NS1_11comp_targetILNS1_3genE9ELNS1_11target_archE1100ELNS1_3gpuE3ELNS1_3repE0EEENS1_30default_config_static_selectorELNS0_4arch9wavefront6targetE0EEEvSS_ ; -- Begin function _ZN7rocprim17ROCPRIM_400000_NS6detail17trampoline_kernelINS0_14default_configENS1_27lower_bound_config_selectorIylEEZNS1_14transform_implILb0ES3_S5_N6thrust23THRUST_200600_302600_NS6detail15normal_iteratorINS8_7pointerIyNS8_11hip_rocprim5par_tENS8_11use_defaultESE_EEEENSA_INSB_IlSD_SE_SE_EEEEZNS1_13binary_searchIS3_S5_PySG_SI_NS1_21lower_bound_search_opENS9_16wrapped_functionI11custom_lessbEEEE10hipError_tPvRmT1_T2_T3_mmT4_T5_P12ihipStream_tbEUlRKyE_EESP_ST_SU_mSV_SY_bEUlT_E_NS1_11comp_targetILNS1_3genE9ELNS1_11target_archE1100ELNS1_3gpuE3ELNS1_3repE0EEENS1_30default_config_static_selectorELNS0_4arch9wavefront6targetE0EEEvSS_
	.globl	_ZN7rocprim17ROCPRIM_400000_NS6detail17trampoline_kernelINS0_14default_configENS1_27lower_bound_config_selectorIylEEZNS1_14transform_implILb0ES3_S5_N6thrust23THRUST_200600_302600_NS6detail15normal_iteratorINS8_7pointerIyNS8_11hip_rocprim5par_tENS8_11use_defaultESE_EEEENSA_INSB_IlSD_SE_SE_EEEEZNS1_13binary_searchIS3_S5_PySG_SI_NS1_21lower_bound_search_opENS9_16wrapped_functionI11custom_lessbEEEE10hipError_tPvRmT1_T2_T3_mmT4_T5_P12ihipStream_tbEUlRKyE_EESP_ST_SU_mSV_SY_bEUlT_E_NS1_11comp_targetILNS1_3genE9ELNS1_11target_archE1100ELNS1_3gpuE3ELNS1_3repE0EEENS1_30default_config_static_selectorELNS0_4arch9wavefront6targetE0EEEvSS_
	.p2align	8
	.type	_ZN7rocprim17ROCPRIM_400000_NS6detail17trampoline_kernelINS0_14default_configENS1_27lower_bound_config_selectorIylEEZNS1_14transform_implILb0ES3_S5_N6thrust23THRUST_200600_302600_NS6detail15normal_iteratorINS8_7pointerIyNS8_11hip_rocprim5par_tENS8_11use_defaultESE_EEEENSA_INSB_IlSD_SE_SE_EEEEZNS1_13binary_searchIS3_S5_PySG_SI_NS1_21lower_bound_search_opENS9_16wrapped_functionI11custom_lessbEEEE10hipError_tPvRmT1_T2_T3_mmT4_T5_P12ihipStream_tbEUlRKyE_EESP_ST_SU_mSV_SY_bEUlT_E_NS1_11comp_targetILNS1_3genE9ELNS1_11target_archE1100ELNS1_3gpuE3ELNS1_3repE0EEENS1_30default_config_static_selectorELNS0_4arch9wavefront6targetE0EEEvSS_,@function
_ZN7rocprim17ROCPRIM_400000_NS6detail17trampoline_kernelINS0_14default_configENS1_27lower_bound_config_selectorIylEEZNS1_14transform_implILb0ES3_S5_N6thrust23THRUST_200600_302600_NS6detail15normal_iteratorINS8_7pointerIyNS8_11hip_rocprim5par_tENS8_11use_defaultESE_EEEENSA_INSB_IlSD_SE_SE_EEEEZNS1_13binary_searchIS3_S5_PySG_SI_NS1_21lower_bound_search_opENS9_16wrapped_functionI11custom_lessbEEEE10hipError_tPvRmT1_T2_T3_mmT4_T5_P12ihipStream_tbEUlRKyE_EESP_ST_SU_mSV_SY_bEUlT_E_NS1_11comp_targetILNS1_3genE9ELNS1_11target_archE1100ELNS1_3gpuE3ELNS1_3repE0EEENS1_30default_config_static_selectorELNS0_4arch9wavefront6targetE0EEEvSS_: ; @_ZN7rocprim17ROCPRIM_400000_NS6detail17trampoline_kernelINS0_14default_configENS1_27lower_bound_config_selectorIylEEZNS1_14transform_implILb0ES3_S5_N6thrust23THRUST_200600_302600_NS6detail15normal_iteratorINS8_7pointerIyNS8_11hip_rocprim5par_tENS8_11use_defaultESE_EEEENSA_INSB_IlSD_SE_SE_EEEEZNS1_13binary_searchIS3_S5_PySG_SI_NS1_21lower_bound_search_opENS9_16wrapped_functionI11custom_lessbEEEE10hipError_tPvRmT1_T2_T3_mmT4_T5_P12ihipStream_tbEUlRKyE_EESP_ST_SU_mSV_SY_bEUlT_E_NS1_11comp_targetILNS1_3genE9ELNS1_11target_archE1100ELNS1_3gpuE3ELNS1_3repE0EEENS1_30default_config_static_selectorELNS0_4arch9wavefront6targetE0EEEvSS_
; %bb.0:
	.section	.rodata,"a",@progbits
	.p2align	6, 0x0
	.amdhsa_kernel _ZN7rocprim17ROCPRIM_400000_NS6detail17trampoline_kernelINS0_14default_configENS1_27lower_bound_config_selectorIylEEZNS1_14transform_implILb0ES3_S5_N6thrust23THRUST_200600_302600_NS6detail15normal_iteratorINS8_7pointerIyNS8_11hip_rocprim5par_tENS8_11use_defaultESE_EEEENSA_INSB_IlSD_SE_SE_EEEEZNS1_13binary_searchIS3_S5_PySG_SI_NS1_21lower_bound_search_opENS9_16wrapped_functionI11custom_lessbEEEE10hipError_tPvRmT1_T2_T3_mmT4_T5_P12ihipStream_tbEUlRKyE_EESP_ST_SU_mSV_SY_bEUlT_E_NS1_11comp_targetILNS1_3genE9ELNS1_11target_archE1100ELNS1_3gpuE3ELNS1_3repE0EEENS1_30default_config_static_selectorELNS0_4arch9wavefront6targetE0EEEvSS_
		.amdhsa_group_segment_fixed_size 0
		.amdhsa_private_segment_fixed_size 0
		.amdhsa_kernarg_size 56
		.amdhsa_user_sgpr_count 6
		.amdhsa_user_sgpr_private_segment_buffer 1
		.amdhsa_user_sgpr_dispatch_ptr 0
		.amdhsa_user_sgpr_queue_ptr 0
		.amdhsa_user_sgpr_kernarg_segment_ptr 1
		.amdhsa_user_sgpr_dispatch_id 0
		.amdhsa_user_sgpr_flat_scratch_init 0
		.amdhsa_user_sgpr_private_segment_size 0
		.amdhsa_wavefront_size32 1
		.amdhsa_uses_dynamic_stack 0
		.amdhsa_system_sgpr_private_segment_wavefront_offset 0
		.amdhsa_system_sgpr_workgroup_id_x 1
		.amdhsa_system_sgpr_workgroup_id_y 0
		.amdhsa_system_sgpr_workgroup_id_z 0
		.amdhsa_system_sgpr_workgroup_info 0
		.amdhsa_system_vgpr_workitem_id 0
		.amdhsa_next_free_vgpr 1
		.amdhsa_next_free_sgpr 1
		.amdhsa_reserve_vcc 0
		.amdhsa_reserve_flat_scratch 0
		.amdhsa_float_round_mode_32 0
		.amdhsa_float_round_mode_16_64 0
		.amdhsa_float_denorm_mode_32 3
		.amdhsa_float_denorm_mode_16_64 3
		.amdhsa_dx10_clamp 1
		.amdhsa_ieee_mode 1
		.amdhsa_fp16_overflow 0
		.amdhsa_workgroup_processor_mode 1
		.amdhsa_memory_ordered 1
		.amdhsa_forward_progress 1
		.amdhsa_shared_vgpr_count 0
		.amdhsa_exception_fp_ieee_invalid_op 0
		.amdhsa_exception_fp_denorm_src 0
		.amdhsa_exception_fp_ieee_div_zero 0
		.amdhsa_exception_fp_ieee_overflow 0
		.amdhsa_exception_fp_ieee_underflow 0
		.amdhsa_exception_fp_ieee_inexact 0
		.amdhsa_exception_int_div_zero 0
	.end_amdhsa_kernel
	.section	.text._ZN7rocprim17ROCPRIM_400000_NS6detail17trampoline_kernelINS0_14default_configENS1_27lower_bound_config_selectorIylEEZNS1_14transform_implILb0ES3_S5_N6thrust23THRUST_200600_302600_NS6detail15normal_iteratorINS8_7pointerIyNS8_11hip_rocprim5par_tENS8_11use_defaultESE_EEEENSA_INSB_IlSD_SE_SE_EEEEZNS1_13binary_searchIS3_S5_PySG_SI_NS1_21lower_bound_search_opENS9_16wrapped_functionI11custom_lessbEEEE10hipError_tPvRmT1_T2_T3_mmT4_T5_P12ihipStream_tbEUlRKyE_EESP_ST_SU_mSV_SY_bEUlT_E_NS1_11comp_targetILNS1_3genE9ELNS1_11target_archE1100ELNS1_3gpuE3ELNS1_3repE0EEENS1_30default_config_static_selectorELNS0_4arch9wavefront6targetE0EEEvSS_,"axG",@progbits,_ZN7rocprim17ROCPRIM_400000_NS6detail17trampoline_kernelINS0_14default_configENS1_27lower_bound_config_selectorIylEEZNS1_14transform_implILb0ES3_S5_N6thrust23THRUST_200600_302600_NS6detail15normal_iteratorINS8_7pointerIyNS8_11hip_rocprim5par_tENS8_11use_defaultESE_EEEENSA_INSB_IlSD_SE_SE_EEEEZNS1_13binary_searchIS3_S5_PySG_SI_NS1_21lower_bound_search_opENS9_16wrapped_functionI11custom_lessbEEEE10hipError_tPvRmT1_T2_T3_mmT4_T5_P12ihipStream_tbEUlRKyE_EESP_ST_SU_mSV_SY_bEUlT_E_NS1_11comp_targetILNS1_3genE9ELNS1_11target_archE1100ELNS1_3gpuE3ELNS1_3repE0EEENS1_30default_config_static_selectorELNS0_4arch9wavefront6targetE0EEEvSS_,comdat
.Lfunc_end51:
	.size	_ZN7rocprim17ROCPRIM_400000_NS6detail17trampoline_kernelINS0_14default_configENS1_27lower_bound_config_selectorIylEEZNS1_14transform_implILb0ES3_S5_N6thrust23THRUST_200600_302600_NS6detail15normal_iteratorINS8_7pointerIyNS8_11hip_rocprim5par_tENS8_11use_defaultESE_EEEENSA_INSB_IlSD_SE_SE_EEEEZNS1_13binary_searchIS3_S5_PySG_SI_NS1_21lower_bound_search_opENS9_16wrapped_functionI11custom_lessbEEEE10hipError_tPvRmT1_T2_T3_mmT4_T5_P12ihipStream_tbEUlRKyE_EESP_ST_SU_mSV_SY_bEUlT_E_NS1_11comp_targetILNS1_3genE9ELNS1_11target_archE1100ELNS1_3gpuE3ELNS1_3repE0EEENS1_30default_config_static_selectorELNS0_4arch9wavefront6targetE0EEEvSS_, .Lfunc_end51-_ZN7rocprim17ROCPRIM_400000_NS6detail17trampoline_kernelINS0_14default_configENS1_27lower_bound_config_selectorIylEEZNS1_14transform_implILb0ES3_S5_N6thrust23THRUST_200600_302600_NS6detail15normal_iteratorINS8_7pointerIyNS8_11hip_rocprim5par_tENS8_11use_defaultESE_EEEENSA_INSB_IlSD_SE_SE_EEEEZNS1_13binary_searchIS3_S5_PySG_SI_NS1_21lower_bound_search_opENS9_16wrapped_functionI11custom_lessbEEEE10hipError_tPvRmT1_T2_T3_mmT4_T5_P12ihipStream_tbEUlRKyE_EESP_ST_SU_mSV_SY_bEUlT_E_NS1_11comp_targetILNS1_3genE9ELNS1_11target_archE1100ELNS1_3gpuE3ELNS1_3repE0EEENS1_30default_config_static_selectorELNS0_4arch9wavefront6targetE0EEEvSS_
                                        ; -- End function
	.set _ZN7rocprim17ROCPRIM_400000_NS6detail17trampoline_kernelINS0_14default_configENS1_27lower_bound_config_selectorIylEEZNS1_14transform_implILb0ES3_S5_N6thrust23THRUST_200600_302600_NS6detail15normal_iteratorINS8_7pointerIyNS8_11hip_rocprim5par_tENS8_11use_defaultESE_EEEENSA_INSB_IlSD_SE_SE_EEEEZNS1_13binary_searchIS3_S5_PySG_SI_NS1_21lower_bound_search_opENS9_16wrapped_functionI11custom_lessbEEEE10hipError_tPvRmT1_T2_T3_mmT4_T5_P12ihipStream_tbEUlRKyE_EESP_ST_SU_mSV_SY_bEUlT_E_NS1_11comp_targetILNS1_3genE9ELNS1_11target_archE1100ELNS1_3gpuE3ELNS1_3repE0EEENS1_30default_config_static_selectorELNS0_4arch9wavefront6targetE0EEEvSS_.num_vgpr, 0
	.set _ZN7rocprim17ROCPRIM_400000_NS6detail17trampoline_kernelINS0_14default_configENS1_27lower_bound_config_selectorIylEEZNS1_14transform_implILb0ES3_S5_N6thrust23THRUST_200600_302600_NS6detail15normal_iteratorINS8_7pointerIyNS8_11hip_rocprim5par_tENS8_11use_defaultESE_EEEENSA_INSB_IlSD_SE_SE_EEEEZNS1_13binary_searchIS3_S5_PySG_SI_NS1_21lower_bound_search_opENS9_16wrapped_functionI11custom_lessbEEEE10hipError_tPvRmT1_T2_T3_mmT4_T5_P12ihipStream_tbEUlRKyE_EESP_ST_SU_mSV_SY_bEUlT_E_NS1_11comp_targetILNS1_3genE9ELNS1_11target_archE1100ELNS1_3gpuE3ELNS1_3repE0EEENS1_30default_config_static_selectorELNS0_4arch9wavefront6targetE0EEEvSS_.num_agpr, 0
	.set _ZN7rocprim17ROCPRIM_400000_NS6detail17trampoline_kernelINS0_14default_configENS1_27lower_bound_config_selectorIylEEZNS1_14transform_implILb0ES3_S5_N6thrust23THRUST_200600_302600_NS6detail15normal_iteratorINS8_7pointerIyNS8_11hip_rocprim5par_tENS8_11use_defaultESE_EEEENSA_INSB_IlSD_SE_SE_EEEEZNS1_13binary_searchIS3_S5_PySG_SI_NS1_21lower_bound_search_opENS9_16wrapped_functionI11custom_lessbEEEE10hipError_tPvRmT1_T2_T3_mmT4_T5_P12ihipStream_tbEUlRKyE_EESP_ST_SU_mSV_SY_bEUlT_E_NS1_11comp_targetILNS1_3genE9ELNS1_11target_archE1100ELNS1_3gpuE3ELNS1_3repE0EEENS1_30default_config_static_selectorELNS0_4arch9wavefront6targetE0EEEvSS_.numbered_sgpr, 0
	.set _ZN7rocprim17ROCPRIM_400000_NS6detail17trampoline_kernelINS0_14default_configENS1_27lower_bound_config_selectorIylEEZNS1_14transform_implILb0ES3_S5_N6thrust23THRUST_200600_302600_NS6detail15normal_iteratorINS8_7pointerIyNS8_11hip_rocprim5par_tENS8_11use_defaultESE_EEEENSA_INSB_IlSD_SE_SE_EEEEZNS1_13binary_searchIS3_S5_PySG_SI_NS1_21lower_bound_search_opENS9_16wrapped_functionI11custom_lessbEEEE10hipError_tPvRmT1_T2_T3_mmT4_T5_P12ihipStream_tbEUlRKyE_EESP_ST_SU_mSV_SY_bEUlT_E_NS1_11comp_targetILNS1_3genE9ELNS1_11target_archE1100ELNS1_3gpuE3ELNS1_3repE0EEENS1_30default_config_static_selectorELNS0_4arch9wavefront6targetE0EEEvSS_.num_named_barrier, 0
	.set _ZN7rocprim17ROCPRIM_400000_NS6detail17trampoline_kernelINS0_14default_configENS1_27lower_bound_config_selectorIylEEZNS1_14transform_implILb0ES3_S5_N6thrust23THRUST_200600_302600_NS6detail15normal_iteratorINS8_7pointerIyNS8_11hip_rocprim5par_tENS8_11use_defaultESE_EEEENSA_INSB_IlSD_SE_SE_EEEEZNS1_13binary_searchIS3_S5_PySG_SI_NS1_21lower_bound_search_opENS9_16wrapped_functionI11custom_lessbEEEE10hipError_tPvRmT1_T2_T3_mmT4_T5_P12ihipStream_tbEUlRKyE_EESP_ST_SU_mSV_SY_bEUlT_E_NS1_11comp_targetILNS1_3genE9ELNS1_11target_archE1100ELNS1_3gpuE3ELNS1_3repE0EEENS1_30default_config_static_selectorELNS0_4arch9wavefront6targetE0EEEvSS_.private_seg_size, 0
	.set _ZN7rocprim17ROCPRIM_400000_NS6detail17trampoline_kernelINS0_14default_configENS1_27lower_bound_config_selectorIylEEZNS1_14transform_implILb0ES3_S5_N6thrust23THRUST_200600_302600_NS6detail15normal_iteratorINS8_7pointerIyNS8_11hip_rocprim5par_tENS8_11use_defaultESE_EEEENSA_INSB_IlSD_SE_SE_EEEEZNS1_13binary_searchIS3_S5_PySG_SI_NS1_21lower_bound_search_opENS9_16wrapped_functionI11custom_lessbEEEE10hipError_tPvRmT1_T2_T3_mmT4_T5_P12ihipStream_tbEUlRKyE_EESP_ST_SU_mSV_SY_bEUlT_E_NS1_11comp_targetILNS1_3genE9ELNS1_11target_archE1100ELNS1_3gpuE3ELNS1_3repE0EEENS1_30default_config_static_selectorELNS0_4arch9wavefront6targetE0EEEvSS_.uses_vcc, 0
	.set _ZN7rocprim17ROCPRIM_400000_NS6detail17trampoline_kernelINS0_14default_configENS1_27lower_bound_config_selectorIylEEZNS1_14transform_implILb0ES3_S5_N6thrust23THRUST_200600_302600_NS6detail15normal_iteratorINS8_7pointerIyNS8_11hip_rocprim5par_tENS8_11use_defaultESE_EEEENSA_INSB_IlSD_SE_SE_EEEEZNS1_13binary_searchIS3_S5_PySG_SI_NS1_21lower_bound_search_opENS9_16wrapped_functionI11custom_lessbEEEE10hipError_tPvRmT1_T2_T3_mmT4_T5_P12ihipStream_tbEUlRKyE_EESP_ST_SU_mSV_SY_bEUlT_E_NS1_11comp_targetILNS1_3genE9ELNS1_11target_archE1100ELNS1_3gpuE3ELNS1_3repE0EEENS1_30default_config_static_selectorELNS0_4arch9wavefront6targetE0EEEvSS_.uses_flat_scratch, 0
	.set _ZN7rocprim17ROCPRIM_400000_NS6detail17trampoline_kernelINS0_14default_configENS1_27lower_bound_config_selectorIylEEZNS1_14transform_implILb0ES3_S5_N6thrust23THRUST_200600_302600_NS6detail15normal_iteratorINS8_7pointerIyNS8_11hip_rocprim5par_tENS8_11use_defaultESE_EEEENSA_INSB_IlSD_SE_SE_EEEEZNS1_13binary_searchIS3_S5_PySG_SI_NS1_21lower_bound_search_opENS9_16wrapped_functionI11custom_lessbEEEE10hipError_tPvRmT1_T2_T3_mmT4_T5_P12ihipStream_tbEUlRKyE_EESP_ST_SU_mSV_SY_bEUlT_E_NS1_11comp_targetILNS1_3genE9ELNS1_11target_archE1100ELNS1_3gpuE3ELNS1_3repE0EEENS1_30default_config_static_selectorELNS0_4arch9wavefront6targetE0EEEvSS_.has_dyn_sized_stack, 0
	.set _ZN7rocprim17ROCPRIM_400000_NS6detail17trampoline_kernelINS0_14default_configENS1_27lower_bound_config_selectorIylEEZNS1_14transform_implILb0ES3_S5_N6thrust23THRUST_200600_302600_NS6detail15normal_iteratorINS8_7pointerIyNS8_11hip_rocprim5par_tENS8_11use_defaultESE_EEEENSA_INSB_IlSD_SE_SE_EEEEZNS1_13binary_searchIS3_S5_PySG_SI_NS1_21lower_bound_search_opENS9_16wrapped_functionI11custom_lessbEEEE10hipError_tPvRmT1_T2_T3_mmT4_T5_P12ihipStream_tbEUlRKyE_EESP_ST_SU_mSV_SY_bEUlT_E_NS1_11comp_targetILNS1_3genE9ELNS1_11target_archE1100ELNS1_3gpuE3ELNS1_3repE0EEENS1_30default_config_static_selectorELNS0_4arch9wavefront6targetE0EEEvSS_.has_recursion, 0
	.set _ZN7rocprim17ROCPRIM_400000_NS6detail17trampoline_kernelINS0_14default_configENS1_27lower_bound_config_selectorIylEEZNS1_14transform_implILb0ES3_S5_N6thrust23THRUST_200600_302600_NS6detail15normal_iteratorINS8_7pointerIyNS8_11hip_rocprim5par_tENS8_11use_defaultESE_EEEENSA_INSB_IlSD_SE_SE_EEEEZNS1_13binary_searchIS3_S5_PySG_SI_NS1_21lower_bound_search_opENS9_16wrapped_functionI11custom_lessbEEEE10hipError_tPvRmT1_T2_T3_mmT4_T5_P12ihipStream_tbEUlRKyE_EESP_ST_SU_mSV_SY_bEUlT_E_NS1_11comp_targetILNS1_3genE9ELNS1_11target_archE1100ELNS1_3gpuE3ELNS1_3repE0EEENS1_30default_config_static_selectorELNS0_4arch9wavefront6targetE0EEEvSS_.has_indirect_call, 0
	.section	.AMDGPU.csdata,"",@progbits
; Kernel info:
; codeLenInByte = 0
; TotalNumSgprs: 0
; NumVgprs: 0
; ScratchSize: 0
; MemoryBound: 0
; FloatMode: 240
; IeeeMode: 1
; LDSByteSize: 0 bytes/workgroup (compile time only)
; SGPRBlocks: 0
; VGPRBlocks: 0
; NumSGPRsForWavesPerEU: 1
; NumVGPRsForWavesPerEU: 1
; Occupancy: 16
; WaveLimiterHint : 0
; COMPUTE_PGM_RSRC2:SCRATCH_EN: 0
; COMPUTE_PGM_RSRC2:USER_SGPR: 6
; COMPUTE_PGM_RSRC2:TRAP_HANDLER: 0
; COMPUTE_PGM_RSRC2:TGID_X_EN: 1
; COMPUTE_PGM_RSRC2:TGID_Y_EN: 0
; COMPUTE_PGM_RSRC2:TGID_Z_EN: 0
; COMPUTE_PGM_RSRC2:TIDIG_COMP_CNT: 0
	.section	.text._ZN7rocprim17ROCPRIM_400000_NS6detail17trampoline_kernelINS0_14default_configENS1_27lower_bound_config_selectorIylEEZNS1_14transform_implILb0ES3_S5_N6thrust23THRUST_200600_302600_NS6detail15normal_iteratorINS8_7pointerIyNS8_11hip_rocprim5par_tENS8_11use_defaultESE_EEEENSA_INSB_IlSD_SE_SE_EEEEZNS1_13binary_searchIS3_S5_PySG_SI_NS1_21lower_bound_search_opENS9_16wrapped_functionI11custom_lessbEEEE10hipError_tPvRmT1_T2_T3_mmT4_T5_P12ihipStream_tbEUlRKyE_EESP_ST_SU_mSV_SY_bEUlT_E_NS1_11comp_targetILNS1_3genE8ELNS1_11target_archE1030ELNS1_3gpuE2ELNS1_3repE0EEENS1_30default_config_static_selectorELNS0_4arch9wavefront6targetE0EEEvSS_,"axG",@progbits,_ZN7rocprim17ROCPRIM_400000_NS6detail17trampoline_kernelINS0_14default_configENS1_27lower_bound_config_selectorIylEEZNS1_14transform_implILb0ES3_S5_N6thrust23THRUST_200600_302600_NS6detail15normal_iteratorINS8_7pointerIyNS8_11hip_rocprim5par_tENS8_11use_defaultESE_EEEENSA_INSB_IlSD_SE_SE_EEEEZNS1_13binary_searchIS3_S5_PySG_SI_NS1_21lower_bound_search_opENS9_16wrapped_functionI11custom_lessbEEEE10hipError_tPvRmT1_T2_T3_mmT4_T5_P12ihipStream_tbEUlRKyE_EESP_ST_SU_mSV_SY_bEUlT_E_NS1_11comp_targetILNS1_3genE8ELNS1_11target_archE1030ELNS1_3gpuE2ELNS1_3repE0EEENS1_30default_config_static_selectorELNS0_4arch9wavefront6targetE0EEEvSS_,comdat
	.protected	_ZN7rocprim17ROCPRIM_400000_NS6detail17trampoline_kernelINS0_14default_configENS1_27lower_bound_config_selectorIylEEZNS1_14transform_implILb0ES3_S5_N6thrust23THRUST_200600_302600_NS6detail15normal_iteratorINS8_7pointerIyNS8_11hip_rocprim5par_tENS8_11use_defaultESE_EEEENSA_INSB_IlSD_SE_SE_EEEEZNS1_13binary_searchIS3_S5_PySG_SI_NS1_21lower_bound_search_opENS9_16wrapped_functionI11custom_lessbEEEE10hipError_tPvRmT1_T2_T3_mmT4_T5_P12ihipStream_tbEUlRKyE_EESP_ST_SU_mSV_SY_bEUlT_E_NS1_11comp_targetILNS1_3genE8ELNS1_11target_archE1030ELNS1_3gpuE2ELNS1_3repE0EEENS1_30default_config_static_selectorELNS0_4arch9wavefront6targetE0EEEvSS_ ; -- Begin function _ZN7rocprim17ROCPRIM_400000_NS6detail17trampoline_kernelINS0_14default_configENS1_27lower_bound_config_selectorIylEEZNS1_14transform_implILb0ES3_S5_N6thrust23THRUST_200600_302600_NS6detail15normal_iteratorINS8_7pointerIyNS8_11hip_rocprim5par_tENS8_11use_defaultESE_EEEENSA_INSB_IlSD_SE_SE_EEEEZNS1_13binary_searchIS3_S5_PySG_SI_NS1_21lower_bound_search_opENS9_16wrapped_functionI11custom_lessbEEEE10hipError_tPvRmT1_T2_T3_mmT4_T5_P12ihipStream_tbEUlRKyE_EESP_ST_SU_mSV_SY_bEUlT_E_NS1_11comp_targetILNS1_3genE8ELNS1_11target_archE1030ELNS1_3gpuE2ELNS1_3repE0EEENS1_30default_config_static_selectorELNS0_4arch9wavefront6targetE0EEEvSS_
	.globl	_ZN7rocprim17ROCPRIM_400000_NS6detail17trampoline_kernelINS0_14default_configENS1_27lower_bound_config_selectorIylEEZNS1_14transform_implILb0ES3_S5_N6thrust23THRUST_200600_302600_NS6detail15normal_iteratorINS8_7pointerIyNS8_11hip_rocprim5par_tENS8_11use_defaultESE_EEEENSA_INSB_IlSD_SE_SE_EEEEZNS1_13binary_searchIS3_S5_PySG_SI_NS1_21lower_bound_search_opENS9_16wrapped_functionI11custom_lessbEEEE10hipError_tPvRmT1_T2_T3_mmT4_T5_P12ihipStream_tbEUlRKyE_EESP_ST_SU_mSV_SY_bEUlT_E_NS1_11comp_targetILNS1_3genE8ELNS1_11target_archE1030ELNS1_3gpuE2ELNS1_3repE0EEENS1_30default_config_static_selectorELNS0_4arch9wavefront6targetE0EEEvSS_
	.p2align	8
	.type	_ZN7rocprim17ROCPRIM_400000_NS6detail17trampoline_kernelINS0_14default_configENS1_27lower_bound_config_selectorIylEEZNS1_14transform_implILb0ES3_S5_N6thrust23THRUST_200600_302600_NS6detail15normal_iteratorINS8_7pointerIyNS8_11hip_rocprim5par_tENS8_11use_defaultESE_EEEENSA_INSB_IlSD_SE_SE_EEEEZNS1_13binary_searchIS3_S5_PySG_SI_NS1_21lower_bound_search_opENS9_16wrapped_functionI11custom_lessbEEEE10hipError_tPvRmT1_T2_T3_mmT4_T5_P12ihipStream_tbEUlRKyE_EESP_ST_SU_mSV_SY_bEUlT_E_NS1_11comp_targetILNS1_3genE8ELNS1_11target_archE1030ELNS1_3gpuE2ELNS1_3repE0EEENS1_30default_config_static_selectorELNS0_4arch9wavefront6targetE0EEEvSS_,@function
_ZN7rocprim17ROCPRIM_400000_NS6detail17trampoline_kernelINS0_14default_configENS1_27lower_bound_config_selectorIylEEZNS1_14transform_implILb0ES3_S5_N6thrust23THRUST_200600_302600_NS6detail15normal_iteratorINS8_7pointerIyNS8_11hip_rocprim5par_tENS8_11use_defaultESE_EEEENSA_INSB_IlSD_SE_SE_EEEEZNS1_13binary_searchIS3_S5_PySG_SI_NS1_21lower_bound_search_opENS9_16wrapped_functionI11custom_lessbEEEE10hipError_tPvRmT1_T2_T3_mmT4_T5_P12ihipStream_tbEUlRKyE_EESP_ST_SU_mSV_SY_bEUlT_E_NS1_11comp_targetILNS1_3genE8ELNS1_11target_archE1030ELNS1_3gpuE2ELNS1_3repE0EEENS1_30default_config_static_selectorELNS0_4arch9wavefront6targetE0EEEvSS_: ; @_ZN7rocprim17ROCPRIM_400000_NS6detail17trampoline_kernelINS0_14default_configENS1_27lower_bound_config_selectorIylEEZNS1_14transform_implILb0ES3_S5_N6thrust23THRUST_200600_302600_NS6detail15normal_iteratorINS8_7pointerIyNS8_11hip_rocprim5par_tENS8_11use_defaultESE_EEEENSA_INSB_IlSD_SE_SE_EEEEZNS1_13binary_searchIS3_S5_PySG_SI_NS1_21lower_bound_search_opENS9_16wrapped_functionI11custom_lessbEEEE10hipError_tPvRmT1_T2_T3_mmT4_T5_P12ihipStream_tbEUlRKyE_EESP_ST_SU_mSV_SY_bEUlT_E_NS1_11comp_targetILNS1_3genE8ELNS1_11target_archE1030ELNS1_3gpuE2ELNS1_3repE0EEENS1_30default_config_static_selectorELNS0_4arch9wavefront6targetE0EEEvSS_
; %bb.0:
	s_clause 0x3
	s_load_dwordx4 s[16:19], s[4:5], 0x0
	s_load_dwordx4 s[0:3], s[4:5], 0x18
	s_load_dword s15, s[4:5], 0x38
	s_load_dwordx2 s[10:11], s[4:5], 0x28
	s_waitcnt lgkmcnt(0)
	s_lshl_b64 s[8:9], s[18:19], 3
	s_add_u32 s13, s16, s8
	s_addc_u32 s14, s17, s9
	s_add_u32 s7, s0, s8
	s_addc_u32 s12, s1, s9
	s_add_i32 s15, s15, -1
	s_lshl_b32 s8, s6, 8
	s_mov_b32 s9, 0
	s_cmp_lg_u32 s6, s15
	s_mov_b32 s0, -1
	s_cbranch_scc0 .LBB52_7
; %bb.1:
	s_cmp_eq_u64 s[10:11], 0
	s_cbranch_scc1 .LBB52_5
; %bb.2:
	v_lshlrev_b32_e32 v1, 3, v0
	s_lshl_b64 s[0:1], s[8:9], 3
	v_mov_b32_e32 v5, s10
	s_add_u32 s0, s13, s0
	s_addc_u32 s1, s14, s1
	v_add_co_u32 v1, s0, s0, v1
	v_add_co_ci_u32_e64 v2, null, s1, 0, s0
	v_mov_b32_e32 v6, s11
	s_mov_b32 s1, 0
	flat_load_dwordx2 v[3:4], v[1:2]
	v_mov_b32_e32 v1, 0
	v_mov_b32_e32 v2, 0
	s_inst_prefetch 0x1
	.p2align	6
.LBB52_3:                               ; =>This Inner Loop Header: Depth=1
	v_sub_co_u32 v7, vcc_lo, v5, v1
	v_sub_co_ci_u32_e64 v8, null, v6, v2, vcc_lo
	v_lshrrev_b64 v[9:10], 1, v[7:8]
	v_lshrrev_b64 v[7:8], 6, v[7:8]
	v_add_co_u32 v9, vcc_lo, v9, v1
	v_add_co_ci_u32_e64 v10, null, v10, v2, vcc_lo
	v_add_co_u32 v7, vcc_lo, v9, v7
	v_add_co_ci_u32_e64 v8, null, v10, v8, vcc_lo
	v_lshlrev_b64 v[9:10], 3, v[7:8]
	v_add_co_u32 v9, vcc_lo, s2, v9
	v_add_co_ci_u32_e64 v10, null, s3, v10, vcc_lo
	v_add_co_u32 v11, vcc_lo, v7, 1
	global_load_dwordx2 v[9:10], v[9:10], off
	s_waitcnt vmcnt(0) lgkmcnt(0)
	v_cmp_lt_u64_e64 s0, v[9:10], v[3:4]
	v_add_co_ci_u32_e64 v9, null, 0, v8, vcc_lo
	v_cndmask_b32_e64 v6, v8, v6, s0
	v_cndmask_b32_e64 v5, v7, v5, s0
	;; [unrolled: 1-line block ×4, first 2 shown]
	v_cmp_ge_u64_e32 vcc_lo, v[1:2], v[5:6]
	s_or_b32 s1, vcc_lo, s1
	s_andn2_b32 exec_lo, exec_lo, s1
	s_cbranch_execnz .LBB52_3
; %bb.4:
	s_inst_prefetch 0x2
	s_or_b32 exec_lo, exec_lo, s1
	s_branch .LBB52_6
.LBB52_5:
	v_mov_b32_e32 v1, 0
	v_mov_b32_e32 v2, 0
.LBB52_6:
	v_lshlrev_b32_e32 v3, 3, v0
	s_lshl_b64 s[0:1], s[8:9], 3
	s_add_u32 s0, s7, s0
	s_addc_u32 s1, s12, s1
	v_add_co_u32 v3, s0, s0, v3
	v_add_co_ci_u32_e64 v4, null, s1, 0, s0
	s_mov_b32 s0, 0
	flat_store_dwordx2 v[3:4], v[1:2]
.LBB52_7:
	s_and_b32 vcc_lo, exec_lo, s0
	s_cbranch_vccz .LBB52_16
; %bb.8:
	s_load_dword s0, s[4:5], 0x10
                                        ; implicit-def: $vgpr3_vgpr4
	s_waitcnt lgkmcnt(0)
	s_sub_i32 s1, s0, s8
	v_cmp_le_u32_e64 s0, s1, v0
	v_cmp_gt_u32_e32 vcc_lo, s1, v0
	s_and_saveexec_b32 s1, vcc_lo
	s_cbranch_execz .LBB52_10
; %bb.9:
	v_lshlrev_b32_e32 v1, 3, v0
	s_lshl_b64 s[4:5], s[8:9], 3
	s_add_u32 s4, s13, s4
	s_addc_u32 s5, s14, s5
	v_add_co_u32 v1, s4, s4, v1
	v_add_co_ci_u32_e64 v2, null, s5, 0, s4
	flat_load_dwordx2 v[3:4], v[1:2]
.LBB52_10:
	s_or_b32 exec_lo, exec_lo, s1
	s_cmp_lg_u64 s[10:11], 0
	v_mov_b32_e32 v1, 0
	v_mov_b32_e32 v2, 0
	s_cselect_b32 s1, -1, 0
	s_xor_b32 s0, s0, -1
	s_and_b32 s0, s0, s1
	s_and_saveexec_b32 s4, s0
	s_cbranch_execz .LBB52_14
; %bb.11:
	v_mov_b32_e32 v1, 0
	v_mov_b32_e32 v5, s10
	;; [unrolled: 1-line block ×4, first 2 shown]
	s_mov_b32 s5, 0
	s_inst_prefetch 0x1
	.p2align	6
.LBB52_12:                              ; =>This Inner Loop Header: Depth=1
	v_sub_co_u32 v7, s0, v5, v1
	v_sub_co_ci_u32_e64 v8, null, v6, v2, s0
	v_lshrrev_b64 v[9:10], 1, v[7:8]
	v_lshrrev_b64 v[7:8], 6, v[7:8]
	v_add_co_u32 v9, s0, v9, v1
	v_add_co_ci_u32_e64 v10, null, v10, v2, s0
	v_add_co_u32 v7, s0, v9, v7
	v_add_co_ci_u32_e64 v8, null, v10, v8, s0
	v_lshlrev_b64 v[9:10], 3, v[7:8]
	v_add_co_u32 v9, s0, s2, v9
	v_add_co_ci_u32_e64 v10, null, s3, v10, s0
	v_add_co_u32 v11, s0, v7, 1
	global_load_dwordx2 v[9:10], v[9:10], off
	s_waitcnt vmcnt(0) lgkmcnt(0)
	v_cmp_lt_u64_e64 s1, v[9:10], v[3:4]
	v_add_co_ci_u32_e64 v9, null, 0, v8, s0
	v_cndmask_b32_e64 v6, v8, v6, s1
	v_cndmask_b32_e64 v5, v7, v5, s1
	;; [unrolled: 1-line block ×4, first 2 shown]
	v_cmp_ge_u64_e64 s0, v[1:2], v[5:6]
	s_or_b32 s5, s0, s5
	s_andn2_b32 exec_lo, exec_lo, s5
	s_cbranch_execnz .LBB52_12
; %bb.13:
	s_inst_prefetch 0x2
	s_or_b32 exec_lo, exec_lo, s5
.LBB52_14:
	s_or_b32 exec_lo, exec_lo, s4
	s_and_saveexec_b32 s0, vcc_lo
	s_cbranch_execz .LBB52_16
; %bb.15:
	v_lshlrev_b32_e32 v0, 3, v0
	s_lshl_b64 s[0:1], s[8:9], 3
	s_add_u32 s0, s7, s0
	s_addc_u32 s1, s12, s1
	s_waitcnt vmcnt(0) lgkmcnt(0)
	v_add_co_u32 v3, s0, s0, v0
	v_add_co_ci_u32_e64 v4, null, s1, 0, s0
	flat_store_dwordx2 v[3:4], v[1:2]
.LBB52_16:
	s_endpgm
	.section	.rodata,"a",@progbits
	.p2align	6, 0x0
	.amdhsa_kernel _ZN7rocprim17ROCPRIM_400000_NS6detail17trampoline_kernelINS0_14default_configENS1_27lower_bound_config_selectorIylEEZNS1_14transform_implILb0ES3_S5_N6thrust23THRUST_200600_302600_NS6detail15normal_iteratorINS8_7pointerIyNS8_11hip_rocprim5par_tENS8_11use_defaultESE_EEEENSA_INSB_IlSD_SE_SE_EEEEZNS1_13binary_searchIS3_S5_PySG_SI_NS1_21lower_bound_search_opENS9_16wrapped_functionI11custom_lessbEEEE10hipError_tPvRmT1_T2_T3_mmT4_T5_P12ihipStream_tbEUlRKyE_EESP_ST_SU_mSV_SY_bEUlT_E_NS1_11comp_targetILNS1_3genE8ELNS1_11target_archE1030ELNS1_3gpuE2ELNS1_3repE0EEENS1_30default_config_static_selectorELNS0_4arch9wavefront6targetE0EEEvSS_
		.amdhsa_group_segment_fixed_size 0
		.amdhsa_private_segment_fixed_size 0
		.amdhsa_kernarg_size 312
		.amdhsa_user_sgpr_count 6
		.amdhsa_user_sgpr_private_segment_buffer 1
		.amdhsa_user_sgpr_dispatch_ptr 0
		.amdhsa_user_sgpr_queue_ptr 0
		.amdhsa_user_sgpr_kernarg_segment_ptr 1
		.amdhsa_user_sgpr_dispatch_id 0
		.amdhsa_user_sgpr_flat_scratch_init 0
		.amdhsa_user_sgpr_private_segment_size 0
		.amdhsa_wavefront_size32 1
		.amdhsa_uses_dynamic_stack 0
		.amdhsa_system_sgpr_private_segment_wavefront_offset 0
		.amdhsa_system_sgpr_workgroup_id_x 1
		.amdhsa_system_sgpr_workgroup_id_y 0
		.amdhsa_system_sgpr_workgroup_id_z 0
		.amdhsa_system_sgpr_workgroup_info 0
		.amdhsa_system_vgpr_workitem_id 0
		.amdhsa_next_free_vgpr 12
		.amdhsa_next_free_sgpr 20
		.amdhsa_reserve_vcc 1
		.amdhsa_reserve_flat_scratch 0
		.amdhsa_float_round_mode_32 0
		.amdhsa_float_round_mode_16_64 0
		.amdhsa_float_denorm_mode_32 3
		.amdhsa_float_denorm_mode_16_64 3
		.amdhsa_dx10_clamp 1
		.amdhsa_ieee_mode 1
		.amdhsa_fp16_overflow 0
		.amdhsa_workgroup_processor_mode 1
		.amdhsa_memory_ordered 1
		.amdhsa_forward_progress 1
		.amdhsa_shared_vgpr_count 0
		.amdhsa_exception_fp_ieee_invalid_op 0
		.amdhsa_exception_fp_denorm_src 0
		.amdhsa_exception_fp_ieee_div_zero 0
		.amdhsa_exception_fp_ieee_overflow 0
		.amdhsa_exception_fp_ieee_underflow 0
		.amdhsa_exception_fp_ieee_inexact 0
		.amdhsa_exception_int_div_zero 0
	.end_amdhsa_kernel
	.section	.text._ZN7rocprim17ROCPRIM_400000_NS6detail17trampoline_kernelINS0_14default_configENS1_27lower_bound_config_selectorIylEEZNS1_14transform_implILb0ES3_S5_N6thrust23THRUST_200600_302600_NS6detail15normal_iteratorINS8_7pointerIyNS8_11hip_rocprim5par_tENS8_11use_defaultESE_EEEENSA_INSB_IlSD_SE_SE_EEEEZNS1_13binary_searchIS3_S5_PySG_SI_NS1_21lower_bound_search_opENS9_16wrapped_functionI11custom_lessbEEEE10hipError_tPvRmT1_T2_T3_mmT4_T5_P12ihipStream_tbEUlRKyE_EESP_ST_SU_mSV_SY_bEUlT_E_NS1_11comp_targetILNS1_3genE8ELNS1_11target_archE1030ELNS1_3gpuE2ELNS1_3repE0EEENS1_30default_config_static_selectorELNS0_4arch9wavefront6targetE0EEEvSS_,"axG",@progbits,_ZN7rocprim17ROCPRIM_400000_NS6detail17trampoline_kernelINS0_14default_configENS1_27lower_bound_config_selectorIylEEZNS1_14transform_implILb0ES3_S5_N6thrust23THRUST_200600_302600_NS6detail15normal_iteratorINS8_7pointerIyNS8_11hip_rocprim5par_tENS8_11use_defaultESE_EEEENSA_INSB_IlSD_SE_SE_EEEEZNS1_13binary_searchIS3_S5_PySG_SI_NS1_21lower_bound_search_opENS9_16wrapped_functionI11custom_lessbEEEE10hipError_tPvRmT1_T2_T3_mmT4_T5_P12ihipStream_tbEUlRKyE_EESP_ST_SU_mSV_SY_bEUlT_E_NS1_11comp_targetILNS1_3genE8ELNS1_11target_archE1030ELNS1_3gpuE2ELNS1_3repE0EEENS1_30default_config_static_selectorELNS0_4arch9wavefront6targetE0EEEvSS_,comdat
.Lfunc_end52:
	.size	_ZN7rocprim17ROCPRIM_400000_NS6detail17trampoline_kernelINS0_14default_configENS1_27lower_bound_config_selectorIylEEZNS1_14transform_implILb0ES3_S5_N6thrust23THRUST_200600_302600_NS6detail15normal_iteratorINS8_7pointerIyNS8_11hip_rocprim5par_tENS8_11use_defaultESE_EEEENSA_INSB_IlSD_SE_SE_EEEEZNS1_13binary_searchIS3_S5_PySG_SI_NS1_21lower_bound_search_opENS9_16wrapped_functionI11custom_lessbEEEE10hipError_tPvRmT1_T2_T3_mmT4_T5_P12ihipStream_tbEUlRKyE_EESP_ST_SU_mSV_SY_bEUlT_E_NS1_11comp_targetILNS1_3genE8ELNS1_11target_archE1030ELNS1_3gpuE2ELNS1_3repE0EEENS1_30default_config_static_selectorELNS0_4arch9wavefront6targetE0EEEvSS_, .Lfunc_end52-_ZN7rocprim17ROCPRIM_400000_NS6detail17trampoline_kernelINS0_14default_configENS1_27lower_bound_config_selectorIylEEZNS1_14transform_implILb0ES3_S5_N6thrust23THRUST_200600_302600_NS6detail15normal_iteratorINS8_7pointerIyNS8_11hip_rocprim5par_tENS8_11use_defaultESE_EEEENSA_INSB_IlSD_SE_SE_EEEEZNS1_13binary_searchIS3_S5_PySG_SI_NS1_21lower_bound_search_opENS9_16wrapped_functionI11custom_lessbEEEE10hipError_tPvRmT1_T2_T3_mmT4_T5_P12ihipStream_tbEUlRKyE_EESP_ST_SU_mSV_SY_bEUlT_E_NS1_11comp_targetILNS1_3genE8ELNS1_11target_archE1030ELNS1_3gpuE2ELNS1_3repE0EEENS1_30default_config_static_selectorELNS0_4arch9wavefront6targetE0EEEvSS_
                                        ; -- End function
	.set _ZN7rocprim17ROCPRIM_400000_NS6detail17trampoline_kernelINS0_14default_configENS1_27lower_bound_config_selectorIylEEZNS1_14transform_implILb0ES3_S5_N6thrust23THRUST_200600_302600_NS6detail15normal_iteratorINS8_7pointerIyNS8_11hip_rocprim5par_tENS8_11use_defaultESE_EEEENSA_INSB_IlSD_SE_SE_EEEEZNS1_13binary_searchIS3_S5_PySG_SI_NS1_21lower_bound_search_opENS9_16wrapped_functionI11custom_lessbEEEE10hipError_tPvRmT1_T2_T3_mmT4_T5_P12ihipStream_tbEUlRKyE_EESP_ST_SU_mSV_SY_bEUlT_E_NS1_11comp_targetILNS1_3genE8ELNS1_11target_archE1030ELNS1_3gpuE2ELNS1_3repE0EEENS1_30default_config_static_selectorELNS0_4arch9wavefront6targetE0EEEvSS_.num_vgpr, 12
	.set _ZN7rocprim17ROCPRIM_400000_NS6detail17trampoline_kernelINS0_14default_configENS1_27lower_bound_config_selectorIylEEZNS1_14transform_implILb0ES3_S5_N6thrust23THRUST_200600_302600_NS6detail15normal_iteratorINS8_7pointerIyNS8_11hip_rocprim5par_tENS8_11use_defaultESE_EEEENSA_INSB_IlSD_SE_SE_EEEEZNS1_13binary_searchIS3_S5_PySG_SI_NS1_21lower_bound_search_opENS9_16wrapped_functionI11custom_lessbEEEE10hipError_tPvRmT1_T2_T3_mmT4_T5_P12ihipStream_tbEUlRKyE_EESP_ST_SU_mSV_SY_bEUlT_E_NS1_11comp_targetILNS1_3genE8ELNS1_11target_archE1030ELNS1_3gpuE2ELNS1_3repE0EEENS1_30default_config_static_selectorELNS0_4arch9wavefront6targetE0EEEvSS_.num_agpr, 0
	.set _ZN7rocprim17ROCPRIM_400000_NS6detail17trampoline_kernelINS0_14default_configENS1_27lower_bound_config_selectorIylEEZNS1_14transform_implILb0ES3_S5_N6thrust23THRUST_200600_302600_NS6detail15normal_iteratorINS8_7pointerIyNS8_11hip_rocprim5par_tENS8_11use_defaultESE_EEEENSA_INSB_IlSD_SE_SE_EEEEZNS1_13binary_searchIS3_S5_PySG_SI_NS1_21lower_bound_search_opENS9_16wrapped_functionI11custom_lessbEEEE10hipError_tPvRmT1_T2_T3_mmT4_T5_P12ihipStream_tbEUlRKyE_EESP_ST_SU_mSV_SY_bEUlT_E_NS1_11comp_targetILNS1_3genE8ELNS1_11target_archE1030ELNS1_3gpuE2ELNS1_3repE0EEENS1_30default_config_static_selectorELNS0_4arch9wavefront6targetE0EEEvSS_.numbered_sgpr, 20
	.set _ZN7rocprim17ROCPRIM_400000_NS6detail17trampoline_kernelINS0_14default_configENS1_27lower_bound_config_selectorIylEEZNS1_14transform_implILb0ES3_S5_N6thrust23THRUST_200600_302600_NS6detail15normal_iteratorINS8_7pointerIyNS8_11hip_rocprim5par_tENS8_11use_defaultESE_EEEENSA_INSB_IlSD_SE_SE_EEEEZNS1_13binary_searchIS3_S5_PySG_SI_NS1_21lower_bound_search_opENS9_16wrapped_functionI11custom_lessbEEEE10hipError_tPvRmT1_T2_T3_mmT4_T5_P12ihipStream_tbEUlRKyE_EESP_ST_SU_mSV_SY_bEUlT_E_NS1_11comp_targetILNS1_3genE8ELNS1_11target_archE1030ELNS1_3gpuE2ELNS1_3repE0EEENS1_30default_config_static_selectorELNS0_4arch9wavefront6targetE0EEEvSS_.num_named_barrier, 0
	.set _ZN7rocprim17ROCPRIM_400000_NS6detail17trampoline_kernelINS0_14default_configENS1_27lower_bound_config_selectorIylEEZNS1_14transform_implILb0ES3_S5_N6thrust23THRUST_200600_302600_NS6detail15normal_iteratorINS8_7pointerIyNS8_11hip_rocprim5par_tENS8_11use_defaultESE_EEEENSA_INSB_IlSD_SE_SE_EEEEZNS1_13binary_searchIS3_S5_PySG_SI_NS1_21lower_bound_search_opENS9_16wrapped_functionI11custom_lessbEEEE10hipError_tPvRmT1_T2_T3_mmT4_T5_P12ihipStream_tbEUlRKyE_EESP_ST_SU_mSV_SY_bEUlT_E_NS1_11comp_targetILNS1_3genE8ELNS1_11target_archE1030ELNS1_3gpuE2ELNS1_3repE0EEENS1_30default_config_static_selectorELNS0_4arch9wavefront6targetE0EEEvSS_.private_seg_size, 0
	.set _ZN7rocprim17ROCPRIM_400000_NS6detail17trampoline_kernelINS0_14default_configENS1_27lower_bound_config_selectorIylEEZNS1_14transform_implILb0ES3_S5_N6thrust23THRUST_200600_302600_NS6detail15normal_iteratorINS8_7pointerIyNS8_11hip_rocprim5par_tENS8_11use_defaultESE_EEEENSA_INSB_IlSD_SE_SE_EEEEZNS1_13binary_searchIS3_S5_PySG_SI_NS1_21lower_bound_search_opENS9_16wrapped_functionI11custom_lessbEEEE10hipError_tPvRmT1_T2_T3_mmT4_T5_P12ihipStream_tbEUlRKyE_EESP_ST_SU_mSV_SY_bEUlT_E_NS1_11comp_targetILNS1_3genE8ELNS1_11target_archE1030ELNS1_3gpuE2ELNS1_3repE0EEENS1_30default_config_static_selectorELNS0_4arch9wavefront6targetE0EEEvSS_.uses_vcc, 1
	.set _ZN7rocprim17ROCPRIM_400000_NS6detail17trampoline_kernelINS0_14default_configENS1_27lower_bound_config_selectorIylEEZNS1_14transform_implILb0ES3_S5_N6thrust23THRUST_200600_302600_NS6detail15normal_iteratorINS8_7pointerIyNS8_11hip_rocprim5par_tENS8_11use_defaultESE_EEEENSA_INSB_IlSD_SE_SE_EEEEZNS1_13binary_searchIS3_S5_PySG_SI_NS1_21lower_bound_search_opENS9_16wrapped_functionI11custom_lessbEEEE10hipError_tPvRmT1_T2_T3_mmT4_T5_P12ihipStream_tbEUlRKyE_EESP_ST_SU_mSV_SY_bEUlT_E_NS1_11comp_targetILNS1_3genE8ELNS1_11target_archE1030ELNS1_3gpuE2ELNS1_3repE0EEENS1_30default_config_static_selectorELNS0_4arch9wavefront6targetE0EEEvSS_.uses_flat_scratch, 0
	.set _ZN7rocprim17ROCPRIM_400000_NS6detail17trampoline_kernelINS0_14default_configENS1_27lower_bound_config_selectorIylEEZNS1_14transform_implILb0ES3_S5_N6thrust23THRUST_200600_302600_NS6detail15normal_iteratorINS8_7pointerIyNS8_11hip_rocprim5par_tENS8_11use_defaultESE_EEEENSA_INSB_IlSD_SE_SE_EEEEZNS1_13binary_searchIS3_S5_PySG_SI_NS1_21lower_bound_search_opENS9_16wrapped_functionI11custom_lessbEEEE10hipError_tPvRmT1_T2_T3_mmT4_T5_P12ihipStream_tbEUlRKyE_EESP_ST_SU_mSV_SY_bEUlT_E_NS1_11comp_targetILNS1_3genE8ELNS1_11target_archE1030ELNS1_3gpuE2ELNS1_3repE0EEENS1_30default_config_static_selectorELNS0_4arch9wavefront6targetE0EEEvSS_.has_dyn_sized_stack, 0
	.set _ZN7rocprim17ROCPRIM_400000_NS6detail17trampoline_kernelINS0_14default_configENS1_27lower_bound_config_selectorIylEEZNS1_14transform_implILb0ES3_S5_N6thrust23THRUST_200600_302600_NS6detail15normal_iteratorINS8_7pointerIyNS8_11hip_rocprim5par_tENS8_11use_defaultESE_EEEENSA_INSB_IlSD_SE_SE_EEEEZNS1_13binary_searchIS3_S5_PySG_SI_NS1_21lower_bound_search_opENS9_16wrapped_functionI11custom_lessbEEEE10hipError_tPvRmT1_T2_T3_mmT4_T5_P12ihipStream_tbEUlRKyE_EESP_ST_SU_mSV_SY_bEUlT_E_NS1_11comp_targetILNS1_3genE8ELNS1_11target_archE1030ELNS1_3gpuE2ELNS1_3repE0EEENS1_30default_config_static_selectorELNS0_4arch9wavefront6targetE0EEEvSS_.has_recursion, 0
	.set _ZN7rocprim17ROCPRIM_400000_NS6detail17trampoline_kernelINS0_14default_configENS1_27lower_bound_config_selectorIylEEZNS1_14transform_implILb0ES3_S5_N6thrust23THRUST_200600_302600_NS6detail15normal_iteratorINS8_7pointerIyNS8_11hip_rocprim5par_tENS8_11use_defaultESE_EEEENSA_INSB_IlSD_SE_SE_EEEEZNS1_13binary_searchIS3_S5_PySG_SI_NS1_21lower_bound_search_opENS9_16wrapped_functionI11custom_lessbEEEE10hipError_tPvRmT1_T2_T3_mmT4_T5_P12ihipStream_tbEUlRKyE_EESP_ST_SU_mSV_SY_bEUlT_E_NS1_11comp_targetILNS1_3genE8ELNS1_11target_archE1030ELNS1_3gpuE2ELNS1_3repE0EEENS1_30default_config_static_selectorELNS0_4arch9wavefront6targetE0EEEvSS_.has_indirect_call, 0
	.section	.AMDGPU.csdata,"",@progbits
; Kernel info:
; codeLenInByte = 820
; TotalNumSgprs: 22
; NumVgprs: 12
; ScratchSize: 0
; MemoryBound: 0
; FloatMode: 240
; IeeeMode: 1
; LDSByteSize: 0 bytes/workgroup (compile time only)
; SGPRBlocks: 0
; VGPRBlocks: 1
; NumSGPRsForWavesPerEU: 22
; NumVGPRsForWavesPerEU: 12
; Occupancy: 16
; WaveLimiterHint : 0
; COMPUTE_PGM_RSRC2:SCRATCH_EN: 0
; COMPUTE_PGM_RSRC2:USER_SGPR: 6
; COMPUTE_PGM_RSRC2:TRAP_HANDLER: 0
; COMPUTE_PGM_RSRC2:TGID_X_EN: 1
; COMPUTE_PGM_RSRC2:TGID_Y_EN: 0
; COMPUTE_PGM_RSRC2:TGID_Z_EN: 0
; COMPUTE_PGM_RSRC2:TIDIG_COMP_CNT: 0
	.section	.text._ZN7rocprim17ROCPRIM_400000_NS6detail17trampoline_kernelINS0_14default_configENS1_27lower_bound_config_selectorIylEEZNS1_14transform_implILb0ES3_S5_N6thrust23THRUST_200600_302600_NS6detail15normal_iteratorINS8_7pointerIyNS8_11hip_rocprim5par_tENS8_11use_defaultESE_EEEENSA_INSB_IlSD_SE_SE_EEEEZNS1_13binary_searchIS3_S5_PySG_SI_NS1_21lower_bound_search_opENS9_16wrapped_functionINS8_6system6detail7generic6detail18binary_search_lessEbEEEE10hipError_tPvRmT1_T2_T3_mmT4_T5_P12ihipStream_tbEUlRKyE_EEST_SX_SY_mSZ_S12_bEUlT_E_NS1_11comp_targetILNS1_3genE0ELNS1_11target_archE4294967295ELNS1_3gpuE0ELNS1_3repE0EEENS1_30default_config_static_selectorELNS0_4arch9wavefront6targetE0EEEvSW_,"axG",@progbits,_ZN7rocprim17ROCPRIM_400000_NS6detail17trampoline_kernelINS0_14default_configENS1_27lower_bound_config_selectorIylEEZNS1_14transform_implILb0ES3_S5_N6thrust23THRUST_200600_302600_NS6detail15normal_iteratorINS8_7pointerIyNS8_11hip_rocprim5par_tENS8_11use_defaultESE_EEEENSA_INSB_IlSD_SE_SE_EEEEZNS1_13binary_searchIS3_S5_PySG_SI_NS1_21lower_bound_search_opENS9_16wrapped_functionINS8_6system6detail7generic6detail18binary_search_lessEbEEEE10hipError_tPvRmT1_T2_T3_mmT4_T5_P12ihipStream_tbEUlRKyE_EEST_SX_SY_mSZ_S12_bEUlT_E_NS1_11comp_targetILNS1_3genE0ELNS1_11target_archE4294967295ELNS1_3gpuE0ELNS1_3repE0EEENS1_30default_config_static_selectorELNS0_4arch9wavefront6targetE0EEEvSW_,comdat
	.protected	_ZN7rocprim17ROCPRIM_400000_NS6detail17trampoline_kernelINS0_14default_configENS1_27lower_bound_config_selectorIylEEZNS1_14transform_implILb0ES3_S5_N6thrust23THRUST_200600_302600_NS6detail15normal_iteratorINS8_7pointerIyNS8_11hip_rocprim5par_tENS8_11use_defaultESE_EEEENSA_INSB_IlSD_SE_SE_EEEEZNS1_13binary_searchIS3_S5_PySG_SI_NS1_21lower_bound_search_opENS9_16wrapped_functionINS8_6system6detail7generic6detail18binary_search_lessEbEEEE10hipError_tPvRmT1_T2_T3_mmT4_T5_P12ihipStream_tbEUlRKyE_EEST_SX_SY_mSZ_S12_bEUlT_E_NS1_11comp_targetILNS1_3genE0ELNS1_11target_archE4294967295ELNS1_3gpuE0ELNS1_3repE0EEENS1_30default_config_static_selectorELNS0_4arch9wavefront6targetE0EEEvSW_ ; -- Begin function _ZN7rocprim17ROCPRIM_400000_NS6detail17trampoline_kernelINS0_14default_configENS1_27lower_bound_config_selectorIylEEZNS1_14transform_implILb0ES3_S5_N6thrust23THRUST_200600_302600_NS6detail15normal_iteratorINS8_7pointerIyNS8_11hip_rocprim5par_tENS8_11use_defaultESE_EEEENSA_INSB_IlSD_SE_SE_EEEEZNS1_13binary_searchIS3_S5_PySG_SI_NS1_21lower_bound_search_opENS9_16wrapped_functionINS8_6system6detail7generic6detail18binary_search_lessEbEEEE10hipError_tPvRmT1_T2_T3_mmT4_T5_P12ihipStream_tbEUlRKyE_EEST_SX_SY_mSZ_S12_bEUlT_E_NS1_11comp_targetILNS1_3genE0ELNS1_11target_archE4294967295ELNS1_3gpuE0ELNS1_3repE0EEENS1_30default_config_static_selectorELNS0_4arch9wavefront6targetE0EEEvSW_
	.globl	_ZN7rocprim17ROCPRIM_400000_NS6detail17trampoline_kernelINS0_14default_configENS1_27lower_bound_config_selectorIylEEZNS1_14transform_implILb0ES3_S5_N6thrust23THRUST_200600_302600_NS6detail15normal_iteratorINS8_7pointerIyNS8_11hip_rocprim5par_tENS8_11use_defaultESE_EEEENSA_INSB_IlSD_SE_SE_EEEEZNS1_13binary_searchIS3_S5_PySG_SI_NS1_21lower_bound_search_opENS9_16wrapped_functionINS8_6system6detail7generic6detail18binary_search_lessEbEEEE10hipError_tPvRmT1_T2_T3_mmT4_T5_P12ihipStream_tbEUlRKyE_EEST_SX_SY_mSZ_S12_bEUlT_E_NS1_11comp_targetILNS1_3genE0ELNS1_11target_archE4294967295ELNS1_3gpuE0ELNS1_3repE0EEENS1_30default_config_static_selectorELNS0_4arch9wavefront6targetE0EEEvSW_
	.p2align	8
	.type	_ZN7rocprim17ROCPRIM_400000_NS6detail17trampoline_kernelINS0_14default_configENS1_27lower_bound_config_selectorIylEEZNS1_14transform_implILb0ES3_S5_N6thrust23THRUST_200600_302600_NS6detail15normal_iteratorINS8_7pointerIyNS8_11hip_rocprim5par_tENS8_11use_defaultESE_EEEENSA_INSB_IlSD_SE_SE_EEEEZNS1_13binary_searchIS3_S5_PySG_SI_NS1_21lower_bound_search_opENS9_16wrapped_functionINS8_6system6detail7generic6detail18binary_search_lessEbEEEE10hipError_tPvRmT1_T2_T3_mmT4_T5_P12ihipStream_tbEUlRKyE_EEST_SX_SY_mSZ_S12_bEUlT_E_NS1_11comp_targetILNS1_3genE0ELNS1_11target_archE4294967295ELNS1_3gpuE0ELNS1_3repE0EEENS1_30default_config_static_selectorELNS0_4arch9wavefront6targetE0EEEvSW_,@function
_ZN7rocprim17ROCPRIM_400000_NS6detail17trampoline_kernelINS0_14default_configENS1_27lower_bound_config_selectorIylEEZNS1_14transform_implILb0ES3_S5_N6thrust23THRUST_200600_302600_NS6detail15normal_iteratorINS8_7pointerIyNS8_11hip_rocprim5par_tENS8_11use_defaultESE_EEEENSA_INSB_IlSD_SE_SE_EEEEZNS1_13binary_searchIS3_S5_PySG_SI_NS1_21lower_bound_search_opENS9_16wrapped_functionINS8_6system6detail7generic6detail18binary_search_lessEbEEEE10hipError_tPvRmT1_T2_T3_mmT4_T5_P12ihipStream_tbEUlRKyE_EEST_SX_SY_mSZ_S12_bEUlT_E_NS1_11comp_targetILNS1_3genE0ELNS1_11target_archE4294967295ELNS1_3gpuE0ELNS1_3repE0EEENS1_30default_config_static_selectorELNS0_4arch9wavefront6targetE0EEEvSW_: ; @_ZN7rocprim17ROCPRIM_400000_NS6detail17trampoline_kernelINS0_14default_configENS1_27lower_bound_config_selectorIylEEZNS1_14transform_implILb0ES3_S5_N6thrust23THRUST_200600_302600_NS6detail15normal_iteratorINS8_7pointerIyNS8_11hip_rocprim5par_tENS8_11use_defaultESE_EEEENSA_INSB_IlSD_SE_SE_EEEEZNS1_13binary_searchIS3_S5_PySG_SI_NS1_21lower_bound_search_opENS9_16wrapped_functionINS8_6system6detail7generic6detail18binary_search_lessEbEEEE10hipError_tPvRmT1_T2_T3_mmT4_T5_P12ihipStream_tbEUlRKyE_EEST_SX_SY_mSZ_S12_bEUlT_E_NS1_11comp_targetILNS1_3genE0ELNS1_11target_archE4294967295ELNS1_3gpuE0ELNS1_3repE0EEENS1_30default_config_static_selectorELNS0_4arch9wavefront6targetE0EEEvSW_
; %bb.0:
	.section	.rodata,"a",@progbits
	.p2align	6, 0x0
	.amdhsa_kernel _ZN7rocprim17ROCPRIM_400000_NS6detail17trampoline_kernelINS0_14default_configENS1_27lower_bound_config_selectorIylEEZNS1_14transform_implILb0ES3_S5_N6thrust23THRUST_200600_302600_NS6detail15normal_iteratorINS8_7pointerIyNS8_11hip_rocprim5par_tENS8_11use_defaultESE_EEEENSA_INSB_IlSD_SE_SE_EEEEZNS1_13binary_searchIS3_S5_PySG_SI_NS1_21lower_bound_search_opENS9_16wrapped_functionINS8_6system6detail7generic6detail18binary_search_lessEbEEEE10hipError_tPvRmT1_T2_T3_mmT4_T5_P12ihipStream_tbEUlRKyE_EEST_SX_SY_mSZ_S12_bEUlT_E_NS1_11comp_targetILNS1_3genE0ELNS1_11target_archE4294967295ELNS1_3gpuE0ELNS1_3repE0EEENS1_30default_config_static_selectorELNS0_4arch9wavefront6targetE0EEEvSW_
		.amdhsa_group_segment_fixed_size 0
		.amdhsa_private_segment_fixed_size 0
		.amdhsa_kernarg_size 56
		.amdhsa_user_sgpr_count 6
		.amdhsa_user_sgpr_private_segment_buffer 1
		.amdhsa_user_sgpr_dispatch_ptr 0
		.amdhsa_user_sgpr_queue_ptr 0
		.amdhsa_user_sgpr_kernarg_segment_ptr 1
		.amdhsa_user_sgpr_dispatch_id 0
		.amdhsa_user_sgpr_flat_scratch_init 0
		.amdhsa_user_sgpr_private_segment_size 0
		.amdhsa_wavefront_size32 1
		.amdhsa_uses_dynamic_stack 0
		.amdhsa_system_sgpr_private_segment_wavefront_offset 0
		.amdhsa_system_sgpr_workgroup_id_x 1
		.amdhsa_system_sgpr_workgroup_id_y 0
		.amdhsa_system_sgpr_workgroup_id_z 0
		.amdhsa_system_sgpr_workgroup_info 0
		.amdhsa_system_vgpr_workitem_id 0
		.amdhsa_next_free_vgpr 1
		.amdhsa_next_free_sgpr 1
		.amdhsa_reserve_vcc 0
		.amdhsa_reserve_flat_scratch 0
		.amdhsa_float_round_mode_32 0
		.amdhsa_float_round_mode_16_64 0
		.amdhsa_float_denorm_mode_32 3
		.amdhsa_float_denorm_mode_16_64 3
		.amdhsa_dx10_clamp 1
		.amdhsa_ieee_mode 1
		.amdhsa_fp16_overflow 0
		.amdhsa_workgroup_processor_mode 1
		.amdhsa_memory_ordered 1
		.amdhsa_forward_progress 1
		.amdhsa_shared_vgpr_count 0
		.amdhsa_exception_fp_ieee_invalid_op 0
		.amdhsa_exception_fp_denorm_src 0
		.amdhsa_exception_fp_ieee_div_zero 0
		.amdhsa_exception_fp_ieee_overflow 0
		.amdhsa_exception_fp_ieee_underflow 0
		.amdhsa_exception_fp_ieee_inexact 0
		.amdhsa_exception_int_div_zero 0
	.end_amdhsa_kernel
	.section	.text._ZN7rocprim17ROCPRIM_400000_NS6detail17trampoline_kernelINS0_14default_configENS1_27lower_bound_config_selectorIylEEZNS1_14transform_implILb0ES3_S5_N6thrust23THRUST_200600_302600_NS6detail15normal_iteratorINS8_7pointerIyNS8_11hip_rocprim5par_tENS8_11use_defaultESE_EEEENSA_INSB_IlSD_SE_SE_EEEEZNS1_13binary_searchIS3_S5_PySG_SI_NS1_21lower_bound_search_opENS9_16wrapped_functionINS8_6system6detail7generic6detail18binary_search_lessEbEEEE10hipError_tPvRmT1_T2_T3_mmT4_T5_P12ihipStream_tbEUlRKyE_EEST_SX_SY_mSZ_S12_bEUlT_E_NS1_11comp_targetILNS1_3genE0ELNS1_11target_archE4294967295ELNS1_3gpuE0ELNS1_3repE0EEENS1_30default_config_static_selectorELNS0_4arch9wavefront6targetE0EEEvSW_,"axG",@progbits,_ZN7rocprim17ROCPRIM_400000_NS6detail17trampoline_kernelINS0_14default_configENS1_27lower_bound_config_selectorIylEEZNS1_14transform_implILb0ES3_S5_N6thrust23THRUST_200600_302600_NS6detail15normal_iteratorINS8_7pointerIyNS8_11hip_rocprim5par_tENS8_11use_defaultESE_EEEENSA_INSB_IlSD_SE_SE_EEEEZNS1_13binary_searchIS3_S5_PySG_SI_NS1_21lower_bound_search_opENS9_16wrapped_functionINS8_6system6detail7generic6detail18binary_search_lessEbEEEE10hipError_tPvRmT1_T2_T3_mmT4_T5_P12ihipStream_tbEUlRKyE_EEST_SX_SY_mSZ_S12_bEUlT_E_NS1_11comp_targetILNS1_3genE0ELNS1_11target_archE4294967295ELNS1_3gpuE0ELNS1_3repE0EEENS1_30default_config_static_selectorELNS0_4arch9wavefront6targetE0EEEvSW_,comdat
.Lfunc_end53:
	.size	_ZN7rocprim17ROCPRIM_400000_NS6detail17trampoline_kernelINS0_14default_configENS1_27lower_bound_config_selectorIylEEZNS1_14transform_implILb0ES3_S5_N6thrust23THRUST_200600_302600_NS6detail15normal_iteratorINS8_7pointerIyNS8_11hip_rocprim5par_tENS8_11use_defaultESE_EEEENSA_INSB_IlSD_SE_SE_EEEEZNS1_13binary_searchIS3_S5_PySG_SI_NS1_21lower_bound_search_opENS9_16wrapped_functionINS8_6system6detail7generic6detail18binary_search_lessEbEEEE10hipError_tPvRmT1_T2_T3_mmT4_T5_P12ihipStream_tbEUlRKyE_EEST_SX_SY_mSZ_S12_bEUlT_E_NS1_11comp_targetILNS1_3genE0ELNS1_11target_archE4294967295ELNS1_3gpuE0ELNS1_3repE0EEENS1_30default_config_static_selectorELNS0_4arch9wavefront6targetE0EEEvSW_, .Lfunc_end53-_ZN7rocprim17ROCPRIM_400000_NS6detail17trampoline_kernelINS0_14default_configENS1_27lower_bound_config_selectorIylEEZNS1_14transform_implILb0ES3_S5_N6thrust23THRUST_200600_302600_NS6detail15normal_iteratorINS8_7pointerIyNS8_11hip_rocprim5par_tENS8_11use_defaultESE_EEEENSA_INSB_IlSD_SE_SE_EEEEZNS1_13binary_searchIS3_S5_PySG_SI_NS1_21lower_bound_search_opENS9_16wrapped_functionINS8_6system6detail7generic6detail18binary_search_lessEbEEEE10hipError_tPvRmT1_T2_T3_mmT4_T5_P12ihipStream_tbEUlRKyE_EEST_SX_SY_mSZ_S12_bEUlT_E_NS1_11comp_targetILNS1_3genE0ELNS1_11target_archE4294967295ELNS1_3gpuE0ELNS1_3repE0EEENS1_30default_config_static_selectorELNS0_4arch9wavefront6targetE0EEEvSW_
                                        ; -- End function
	.set _ZN7rocprim17ROCPRIM_400000_NS6detail17trampoline_kernelINS0_14default_configENS1_27lower_bound_config_selectorIylEEZNS1_14transform_implILb0ES3_S5_N6thrust23THRUST_200600_302600_NS6detail15normal_iteratorINS8_7pointerIyNS8_11hip_rocprim5par_tENS8_11use_defaultESE_EEEENSA_INSB_IlSD_SE_SE_EEEEZNS1_13binary_searchIS3_S5_PySG_SI_NS1_21lower_bound_search_opENS9_16wrapped_functionINS8_6system6detail7generic6detail18binary_search_lessEbEEEE10hipError_tPvRmT1_T2_T3_mmT4_T5_P12ihipStream_tbEUlRKyE_EEST_SX_SY_mSZ_S12_bEUlT_E_NS1_11comp_targetILNS1_3genE0ELNS1_11target_archE4294967295ELNS1_3gpuE0ELNS1_3repE0EEENS1_30default_config_static_selectorELNS0_4arch9wavefront6targetE0EEEvSW_.num_vgpr, 0
	.set _ZN7rocprim17ROCPRIM_400000_NS6detail17trampoline_kernelINS0_14default_configENS1_27lower_bound_config_selectorIylEEZNS1_14transform_implILb0ES3_S5_N6thrust23THRUST_200600_302600_NS6detail15normal_iteratorINS8_7pointerIyNS8_11hip_rocprim5par_tENS8_11use_defaultESE_EEEENSA_INSB_IlSD_SE_SE_EEEEZNS1_13binary_searchIS3_S5_PySG_SI_NS1_21lower_bound_search_opENS9_16wrapped_functionINS8_6system6detail7generic6detail18binary_search_lessEbEEEE10hipError_tPvRmT1_T2_T3_mmT4_T5_P12ihipStream_tbEUlRKyE_EEST_SX_SY_mSZ_S12_bEUlT_E_NS1_11comp_targetILNS1_3genE0ELNS1_11target_archE4294967295ELNS1_3gpuE0ELNS1_3repE0EEENS1_30default_config_static_selectorELNS0_4arch9wavefront6targetE0EEEvSW_.num_agpr, 0
	.set _ZN7rocprim17ROCPRIM_400000_NS6detail17trampoline_kernelINS0_14default_configENS1_27lower_bound_config_selectorIylEEZNS1_14transform_implILb0ES3_S5_N6thrust23THRUST_200600_302600_NS6detail15normal_iteratorINS8_7pointerIyNS8_11hip_rocprim5par_tENS8_11use_defaultESE_EEEENSA_INSB_IlSD_SE_SE_EEEEZNS1_13binary_searchIS3_S5_PySG_SI_NS1_21lower_bound_search_opENS9_16wrapped_functionINS8_6system6detail7generic6detail18binary_search_lessEbEEEE10hipError_tPvRmT1_T2_T3_mmT4_T5_P12ihipStream_tbEUlRKyE_EEST_SX_SY_mSZ_S12_bEUlT_E_NS1_11comp_targetILNS1_3genE0ELNS1_11target_archE4294967295ELNS1_3gpuE0ELNS1_3repE0EEENS1_30default_config_static_selectorELNS0_4arch9wavefront6targetE0EEEvSW_.numbered_sgpr, 0
	.set _ZN7rocprim17ROCPRIM_400000_NS6detail17trampoline_kernelINS0_14default_configENS1_27lower_bound_config_selectorIylEEZNS1_14transform_implILb0ES3_S5_N6thrust23THRUST_200600_302600_NS6detail15normal_iteratorINS8_7pointerIyNS8_11hip_rocprim5par_tENS8_11use_defaultESE_EEEENSA_INSB_IlSD_SE_SE_EEEEZNS1_13binary_searchIS3_S5_PySG_SI_NS1_21lower_bound_search_opENS9_16wrapped_functionINS8_6system6detail7generic6detail18binary_search_lessEbEEEE10hipError_tPvRmT1_T2_T3_mmT4_T5_P12ihipStream_tbEUlRKyE_EEST_SX_SY_mSZ_S12_bEUlT_E_NS1_11comp_targetILNS1_3genE0ELNS1_11target_archE4294967295ELNS1_3gpuE0ELNS1_3repE0EEENS1_30default_config_static_selectorELNS0_4arch9wavefront6targetE0EEEvSW_.num_named_barrier, 0
	.set _ZN7rocprim17ROCPRIM_400000_NS6detail17trampoline_kernelINS0_14default_configENS1_27lower_bound_config_selectorIylEEZNS1_14transform_implILb0ES3_S5_N6thrust23THRUST_200600_302600_NS6detail15normal_iteratorINS8_7pointerIyNS8_11hip_rocprim5par_tENS8_11use_defaultESE_EEEENSA_INSB_IlSD_SE_SE_EEEEZNS1_13binary_searchIS3_S5_PySG_SI_NS1_21lower_bound_search_opENS9_16wrapped_functionINS8_6system6detail7generic6detail18binary_search_lessEbEEEE10hipError_tPvRmT1_T2_T3_mmT4_T5_P12ihipStream_tbEUlRKyE_EEST_SX_SY_mSZ_S12_bEUlT_E_NS1_11comp_targetILNS1_3genE0ELNS1_11target_archE4294967295ELNS1_3gpuE0ELNS1_3repE0EEENS1_30default_config_static_selectorELNS0_4arch9wavefront6targetE0EEEvSW_.private_seg_size, 0
	.set _ZN7rocprim17ROCPRIM_400000_NS6detail17trampoline_kernelINS0_14default_configENS1_27lower_bound_config_selectorIylEEZNS1_14transform_implILb0ES3_S5_N6thrust23THRUST_200600_302600_NS6detail15normal_iteratorINS8_7pointerIyNS8_11hip_rocprim5par_tENS8_11use_defaultESE_EEEENSA_INSB_IlSD_SE_SE_EEEEZNS1_13binary_searchIS3_S5_PySG_SI_NS1_21lower_bound_search_opENS9_16wrapped_functionINS8_6system6detail7generic6detail18binary_search_lessEbEEEE10hipError_tPvRmT1_T2_T3_mmT4_T5_P12ihipStream_tbEUlRKyE_EEST_SX_SY_mSZ_S12_bEUlT_E_NS1_11comp_targetILNS1_3genE0ELNS1_11target_archE4294967295ELNS1_3gpuE0ELNS1_3repE0EEENS1_30default_config_static_selectorELNS0_4arch9wavefront6targetE0EEEvSW_.uses_vcc, 0
	.set _ZN7rocprim17ROCPRIM_400000_NS6detail17trampoline_kernelINS0_14default_configENS1_27lower_bound_config_selectorIylEEZNS1_14transform_implILb0ES3_S5_N6thrust23THRUST_200600_302600_NS6detail15normal_iteratorINS8_7pointerIyNS8_11hip_rocprim5par_tENS8_11use_defaultESE_EEEENSA_INSB_IlSD_SE_SE_EEEEZNS1_13binary_searchIS3_S5_PySG_SI_NS1_21lower_bound_search_opENS9_16wrapped_functionINS8_6system6detail7generic6detail18binary_search_lessEbEEEE10hipError_tPvRmT1_T2_T3_mmT4_T5_P12ihipStream_tbEUlRKyE_EEST_SX_SY_mSZ_S12_bEUlT_E_NS1_11comp_targetILNS1_3genE0ELNS1_11target_archE4294967295ELNS1_3gpuE0ELNS1_3repE0EEENS1_30default_config_static_selectorELNS0_4arch9wavefront6targetE0EEEvSW_.uses_flat_scratch, 0
	.set _ZN7rocprim17ROCPRIM_400000_NS6detail17trampoline_kernelINS0_14default_configENS1_27lower_bound_config_selectorIylEEZNS1_14transform_implILb0ES3_S5_N6thrust23THRUST_200600_302600_NS6detail15normal_iteratorINS8_7pointerIyNS8_11hip_rocprim5par_tENS8_11use_defaultESE_EEEENSA_INSB_IlSD_SE_SE_EEEEZNS1_13binary_searchIS3_S5_PySG_SI_NS1_21lower_bound_search_opENS9_16wrapped_functionINS8_6system6detail7generic6detail18binary_search_lessEbEEEE10hipError_tPvRmT1_T2_T3_mmT4_T5_P12ihipStream_tbEUlRKyE_EEST_SX_SY_mSZ_S12_bEUlT_E_NS1_11comp_targetILNS1_3genE0ELNS1_11target_archE4294967295ELNS1_3gpuE0ELNS1_3repE0EEENS1_30default_config_static_selectorELNS0_4arch9wavefront6targetE0EEEvSW_.has_dyn_sized_stack, 0
	.set _ZN7rocprim17ROCPRIM_400000_NS6detail17trampoline_kernelINS0_14default_configENS1_27lower_bound_config_selectorIylEEZNS1_14transform_implILb0ES3_S5_N6thrust23THRUST_200600_302600_NS6detail15normal_iteratorINS8_7pointerIyNS8_11hip_rocprim5par_tENS8_11use_defaultESE_EEEENSA_INSB_IlSD_SE_SE_EEEEZNS1_13binary_searchIS3_S5_PySG_SI_NS1_21lower_bound_search_opENS9_16wrapped_functionINS8_6system6detail7generic6detail18binary_search_lessEbEEEE10hipError_tPvRmT1_T2_T3_mmT4_T5_P12ihipStream_tbEUlRKyE_EEST_SX_SY_mSZ_S12_bEUlT_E_NS1_11comp_targetILNS1_3genE0ELNS1_11target_archE4294967295ELNS1_3gpuE0ELNS1_3repE0EEENS1_30default_config_static_selectorELNS0_4arch9wavefront6targetE0EEEvSW_.has_recursion, 0
	.set _ZN7rocprim17ROCPRIM_400000_NS6detail17trampoline_kernelINS0_14default_configENS1_27lower_bound_config_selectorIylEEZNS1_14transform_implILb0ES3_S5_N6thrust23THRUST_200600_302600_NS6detail15normal_iteratorINS8_7pointerIyNS8_11hip_rocprim5par_tENS8_11use_defaultESE_EEEENSA_INSB_IlSD_SE_SE_EEEEZNS1_13binary_searchIS3_S5_PySG_SI_NS1_21lower_bound_search_opENS9_16wrapped_functionINS8_6system6detail7generic6detail18binary_search_lessEbEEEE10hipError_tPvRmT1_T2_T3_mmT4_T5_P12ihipStream_tbEUlRKyE_EEST_SX_SY_mSZ_S12_bEUlT_E_NS1_11comp_targetILNS1_3genE0ELNS1_11target_archE4294967295ELNS1_3gpuE0ELNS1_3repE0EEENS1_30default_config_static_selectorELNS0_4arch9wavefront6targetE0EEEvSW_.has_indirect_call, 0
	.section	.AMDGPU.csdata,"",@progbits
; Kernel info:
; codeLenInByte = 0
; TotalNumSgprs: 0
; NumVgprs: 0
; ScratchSize: 0
; MemoryBound: 0
; FloatMode: 240
; IeeeMode: 1
; LDSByteSize: 0 bytes/workgroup (compile time only)
; SGPRBlocks: 0
; VGPRBlocks: 0
; NumSGPRsForWavesPerEU: 1
; NumVGPRsForWavesPerEU: 1
; Occupancy: 16
; WaveLimiterHint : 0
; COMPUTE_PGM_RSRC2:SCRATCH_EN: 0
; COMPUTE_PGM_RSRC2:USER_SGPR: 6
; COMPUTE_PGM_RSRC2:TRAP_HANDLER: 0
; COMPUTE_PGM_RSRC2:TGID_X_EN: 1
; COMPUTE_PGM_RSRC2:TGID_Y_EN: 0
; COMPUTE_PGM_RSRC2:TGID_Z_EN: 0
; COMPUTE_PGM_RSRC2:TIDIG_COMP_CNT: 0
	.section	.text._ZN7rocprim17ROCPRIM_400000_NS6detail17trampoline_kernelINS0_14default_configENS1_27lower_bound_config_selectorIylEEZNS1_14transform_implILb0ES3_S5_N6thrust23THRUST_200600_302600_NS6detail15normal_iteratorINS8_7pointerIyNS8_11hip_rocprim5par_tENS8_11use_defaultESE_EEEENSA_INSB_IlSD_SE_SE_EEEEZNS1_13binary_searchIS3_S5_PySG_SI_NS1_21lower_bound_search_opENS9_16wrapped_functionINS8_6system6detail7generic6detail18binary_search_lessEbEEEE10hipError_tPvRmT1_T2_T3_mmT4_T5_P12ihipStream_tbEUlRKyE_EEST_SX_SY_mSZ_S12_bEUlT_E_NS1_11comp_targetILNS1_3genE5ELNS1_11target_archE942ELNS1_3gpuE9ELNS1_3repE0EEENS1_30default_config_static_selectorELNS0_4arch9wavefront6targetE0EEEvSW_,"axG",@progbits,_ZN7rocprim17ROCPRIM_400000_NS6detail17trampoline_kernelINS0_14default_configENS1_27lower_bound_config_selectorIylEEZNS1_14transform_implILb0ES3_S5_N6thrust23THRUST_200600_302600_NS6detail15normal_iteratorINS8_7pointerIyNS8_11hip_rocprim5par_tENS8_11use_defaultESE_EEEENSA_INSB_IlSD_SE_SE_EEEEZNS1_13binary_searchIS3_S5_PySG_SI_NS1_21lower_bound_search_opENS9_16wrapped_functionINS8_6system6detail7generic6detail18binary_search_lessEbEEEE10hipError_tPvRmT1_T2_T3_mmT4_T5_P12ihipStream_tbEUlRKyE_EEST_SX_SY_mSZ_S12_bEUlT_E_NS1_11comp_targetILNS1_3genE5ELNS1_11target_archE942ELNS1_3gpuE9ELNS1_3repE0EEENS1_30default_config_static_selectorELNS0_4arch9wavefront6targetE0EEEvSW_,comdat
	.protected	_ZN7rocprim17ROCPRIM_400000_NS6detail17trampoline_kernelINS0_14default_configENS1_27lower_bound_config_selectorIylEEZNS1_14transform_implILb0ES3_S5_N6thrust23THRUST_200600_302600_NS6detail15normal_iteratorINS8_7pointerIyNS8_11hip_rocprim5par_tENS8_11use_defaultESE_EEEENSA_INSB_IlSD_SE_SE_EEEEZNS1_13binary_searchIS3_S5_PySG_SI_NS1_21lower_bound_search_opENS9_16wrapped_functionINS8_6system6detail7generic6detail18binary_search_lessEbEEEE10hipError_tPvRmT1_T2_T3_mmT4_T5_P12ihipStream_tbEUlRKyE_EEST_SX_SY_mSZ_S12_bEUlT_E_NS1_11comp_targetILNS1_3genE5ELNS1_11target_archE942ELNS1_3gpuE9ELNS1_3repE0EEENS1_30default_config_static_selectorELNS0_4arch9wavefront6targetE0EEEvSW_ ; -- Begin function _ZN7rocprim17ROCPRIM_400000_NS6detail17trampoline_kernelINS0_14default_configENS1_27lower_bound_config_selectorIylEEZNS1_14transform_implILb0ES3_S5_N6thrust23THRUST_200600_302600_NS6detail15normal_iteratorINS8_7pointerIyNS8_11hip_rocprim5par_tENS8_11use_defaultESE_EEEENSA_INSB_IlSD_SE_SE_EEEEZNS1_13binary_searchIS3_S5_PySG_SI_NS1_21lower_bound_search_opENS9_16wrapped_functionINS8_6system6detail7generic6detail18binary_search_lessEbEEEE10hipError_tPvRmT1_T2_T3_mmT4_T5_P12ihipStream_tbEUlRKyE_EEST_SX_SY_mSZ_S12_bEUlT_E_NS1_11comp_targetILNS1_3genE5ELNS1_11target_archE942ELNS1_3gpuE9ELNS1_3repE0EEENS1_30default_config_static_selectorELNS0_4arch9wavefront6targetE0EEEvSW_
	.globl	_ZN7rocprim17ROCPRIM_400000_NS6detail17trampoline_kernelINS0_14default_configENS1_27lower_bound_config_selectorIylEEZNS1_14transform_implILb0ES3_S5_N6thrust23THRUST_200600_302600_NS6detail15normal_iteratorINS8_7pointerIyNS8_11hip_rocprim5par_tENS8_11use_defaultESE_EEEENSA_INSB_IlSD_SE_SE_EEEEZNS1_13binary_searchIS3_S5_PySG_SI_NS1_21lower_bound_search_opENS9_16wrapped_functionINS8_6system6detail7generic6detail18binary_search_lessEbEEEE10hipError_tPvRmT1_T2_T3_mmT4_T5_P12ihipStream_tbEUlRKyE_EEST_SX_SY_mSZ_S12_bEUlT_E_NS1_11comp_targetILNS1_3genE5ELNS1_11target_archE942ELNS1_3gpuE9ELNS1_3repE0EEENS1_30default_config_static_selectorELNS0_4arch9wavefront6targetE0EEEvSW_
	.p2align	8
	.type	_ZN7rocprim17ROCPRIM_400000_NS6detail17trampoline_kernelINS0_14default_configENS1_27lower_bound_config_selectorIylEEZNS1_14transform_implILb0ES3_S5_N6thrust23THRUST_200600_302600_NS6detail15normal_iteratorINS8_7pointerIyNS8_11hip_rocprim5par_tENS8_11use_defaultESE_EEEENSA_INSB_IlSD_SE_SE_EEEEZNS1_13binary_searchIS3_S5_PySG_SI_NS1_21lower_bound_search_opENS9_16wrapped_functionINS8_6system6detail7generic6detail18binary_search_lessEbEEEE10hipError_tPvRmT1_T2_T3_mmT4_T5_P12ihipStream_tbEUlRKyE_EEST_SX_SY_mSZ_S12_bEUlT_E_NS1_11comp_targetILNS1_3genE5ELNS1_11target_archE942ELNS1_3gpuE9ELNS1_3repE0EEENS1_30default_config_static_selectorELNS0_4arch9wavefront6targetE0EEEvSW_,@function
_ZN7rocprim17ROCPRIM_400000_NS6detail17trampoline_kernelINS0_14default_configENS1_27lower_bound_config_selectorIylEEZNS1_14transform_implILb0ES3_S5_N6thrust23THRUST_200600_302600_NS6detail15normal_iteratorINS8_7pointerIyNS8_11hip_rocprim5par_tENS8_11use_defaultESE_EEEENSA_INSB_IlSD_SE_SE_EEEEZNS1_13binary_searchIS3_S5_PySG_SI_NS1_21lower_bound_search_opENS9_16wrapped_functionINS8_6system6detail7generic6detail18binary_search_lessEbEEEE10hipError_tPvRmT1_T2_T3_mmT4_T5_P12ihipStream_tbEUlRKyE_EEST_SX_SY_mSZ_S12_bEUlT_E_NS1_11comp_targetILNS1_3genE5ELNS1_11target_archE942ELNS1_3gpuE9ELNS1_3repE0EEENS1_30default_config_static_selectorELNS0_4arch9wavefront6targetE0EEEvSW_: ; @_ZN7rocprim17ROCPRIM_400000_NS6detail17trampoline_kernelINS0_14default_configENS1_27lower_bound_config_selectorIylEEZNS1_14transform_implILb0ES3_S5_N6thrust23THRUST_200600_302600_NS6detail15normal_iteratorINS8_7pointerIyNS8_11hip_rocprim5par_tENS8_11use_defaultESE_EEEENSA_INSB_IlSD_SE_SE_EEEEZNS1_13binary_searchIS3_S5_PySG_SI_NS1_21lower_bound_search_opENS9_16wrapped_functionINS8_6system6detail7generic6detail18binary_search_lessEbEEEE10hipError_tPvRmT1_T2_T3_mmT4_T5_P12ihipStream_tbEUlRKyE_EEST_SX_SY_mSZ_S12_bEUlT_E_NS1_11comp_targetILNS1_3genE5ELNS1_11target_archE942ELNS1_3gpuE9ELNS1_3repE0EEENS1_30default_config_static_selectorELNS0_4arch9wavefront6targetE0EEEvSW_
; %bb.0:
	.section	.rodata,"a",@progbits
	.p2align	6, 0x0
	.amdhsa_kernel _ZN7rocprim17ROCPRIM_400000_NS6detail17trampoline_kernelINS0_14default_configENS1_27lower_bound_config_selectorIylEEZNS1_14transform_implILb0ES3_S5_N6thrust23THRUST_200600_302600_NS6detail15normal_iteratorINS8_7pointerIyNS8_11hip_rocprim5par_tENS8_11use_defaultESE_EEEENSA_INSB_IlSD_SE_SE_EEEEZNS1_13binary_searchIS3_S5_PySG_SI_NS1_21lower_bound_search_opENS9_16wrapped_functionINS8_6system6detail7generic6detail18binary_search_lessEbEEEE10hipError_tPvRmT1_T2_T3_mmT4_T5_P12ihipStream_tbEUlRKyE_EEST_SX_SY_mSZ_S12_bEUlT_E_NS1_11comp_targetILNS1_3genE5ELNS1_11target_archE942ELNS1_3gpuE9ELNS1_3repE0EEENS1_30default_config_static_selectorELNS0_4arch9wavefront6targetE0EEEvSW_
		.amdhsa_group_segment_fixed_size 0
		.amdhsa_private_segment_fixed_size 0
		.amdhsa_kernarg_size 56
		.amdhsa_user_sgpr_count 6
		.amdhsa_user_sgpr_private_segment_buffer 1
		.amdhsa_user_sgpr_dispatch_ptr 0
		.amdhsa_user_sgpr_queue_ptr 0
		.amdhsa_user_sgpr_kernarg_segment_ptr 1
		.amdhsa_user_sgpr_dispatch_id 0
		.amdhsa_user_sgpr_flat_scratch_init 0
		.amdhsa_user_sgpr_private_segment_size 0
		.amdhsa_wavefront_size32 1
		.amdhsa_uses_dynamic_stack 0
		.amdhsa_system_sgpr_private_segment_wavefront_offset 0
		.amdhsa_system_sgpr_workgroup_id_x 1
		.amdhsa_system_sgpr_workgroup_id_y 0
		.amdhsa_system_sgpr_workgroup_id_z 0
		.amdhsa_system_sgpr_workgroup_info 0
		.amdhsa_system_vgpr_workitem_id 0
		.amdhsa_next_free_vgpr 1
		.amdhsa_next_free_sgpr 1
		.amdhsa_reserve_vcc 0
		.amdhsa_reserve_flat_scratch 0
		.amdhsa_float_round_mode_32 0
		.amdhsa_float_round_mode_16_64 0
		.amdhsa_float_denorm_mode_32 3
		.amdhsa_float_denorm_mode_16_64 3
		.amdhsa_dx10_clamp 1
		.amdhsa_ieee_mode 1
		.amdhsa_fp16_overflow 0
		.amdhsa_workgroup_processor_mode 1
		.amdhsa_memory_ordered 1
		.amdhsa_forward_progress 1
		.amdhsa_shared_vgpr_count 0
		.amdhsa_exception_fp_ieee_invalid_op 0
		.amdhsa_exception_fp_denorm_src 0
		.amdhsa_exception_fp_ieee_div_zero 0
		.amdhsa_exception_fp_ieee_overflow 0
		.amdhsa_exception_fp_ieee_underflow 0
		.amdhsa_exception_fp_ieee_inexact 0
		.amdhsa_exception_int_div_zero 0
	.end_amdhsa_kernel
	.section	.text._ZN7rocprim17ROCPRIM_400000_NS6detail17trampoline_kernelINS0_14default_configENS1_27lower_bound_config_selectorIylEEZNS1_14transform_implILb0ES3_S5_N6thrust23THRUST_200600_302600_NS6detail15normal_iteratorINS8_7pointerIyNS8_11hip_rocprim5par_tENS8_11use_defaultESE_EEEENSA_INSB_IlSD_SE_SE_EEEEZNS1_13binary_searchIS3_S5_PySG_SI_NS1_21lower_bound_search_opENS9_16wrapped_functionINS8_6system6detail7generic6detail18binary_search_lessEbEEEE10hipError_tPvRmT1_T2_T3_mmT4_T5_P12ihipStream_tbEUlRKyE_EEST_SX_SY_mSZ_S12_bEUlT_E_NS1_11comp_targetILNS1_3genE5ELNS1_11target_archE942ELNS1_3gpuE9ELNS1_3repE0EEENS1_30default_config_static_selectorELNS0_4arch9wavefront6targetE0EEEvSW_,"axG",@progbits,_ZN7rocprim17ROCPRIM_400000_NS6detail17trampoline_kernelINS0_14default_configENS1_27lower_bound_config_selectorIylEEZNS1_14transform_implILb0ES3_S5_N6thrust23THRUST_200600_302600_NS6detail15normal_iteratorINS8_7pointerIyNS8_11hip_rocprim5par_tENS8_11use_defaultESE_EEEENSA_INSB_IlSD_SE_SE_EEEEZNS1_13binary_searchIS3_S5_PySG_SI_NS1_21lower_bound_search_opENS9_16wrapped_functionINS8_6system6detail7generic6detail18binary_search_lessEbEEEE10hipError_tPvRmT1_T2_T3_mmT4_T5_P12ihipStream_tbEUlRKyE_EEST_SX_SY_mSZ_S12_bEUlT_E_NS1_11comp_targetILNS1_3genE5ELNS1_11target_archE942ELNS1_3gpuE9ELNS1_3repE0EEENS1_30default_config_static_selectorELNS0_4arch9wavefront6targetE0EEEvSW_,comdat
.Lfunc_end54:
	.size	_ZN7rocprim17ROCPRIM_400000_NS6detail17trampoline_kernelINS0_14default_configENS1_27lower_bound_config_selectorIylEEZNS1_14transform_implILb0ES3_S5_N6thrust23THRUST_200600_302600_NS6detail15normal_iteratorINS8_7pointerIyNS8_11hip_rocprim5par_tENS8_11use_defaultESE_EEEENSA_INSB_IlSD_SE_SE_EEEEZNS1_13binary_searchIS3_S5_PySG_SI_NS1_21lower_bound_search_opENS9_16wrapped_functionINS8_6system6detail7generic6detail18binary_search_lessEbEEEE10hipError_tPvRmT1_T2_T3_mmT4_T5_P12ihipStream_tbEUlRKyE_EEST_SX_SY_mSZ_S12_bEUlT_E_NS1_11comp_targetILNS1_3genE5ELNS1_11target_archE942ELNS1_3gpuE9ELNS1_3repE0EEENS1_30default_config_static_selectorELNS0_4arch9wavefront6targetE0EEEvSW_, .Lfunc_end54-_ZN7rocprim17ROCPRIM_400000_NS6detail17trampoline_kernelINS0_14default_configENS1_27lower_bound_config_selectorIylEEZNS1_14transform_implILb0ES3_S5_N6thrust23THRUST_200600_302600_NS6detail15normal_iteratorINS8_7pointerIyNS8_11hip_rocprim5par_tENS8_11use_defaultESE_EEEENSA_INSB_IlSD_SE_SE_EEEEZNS1_13binary_searchIS3_S5_PySG_SI_NS1_21lower_bound_search_opENS9_16wrapped_functionINS8_6system6detail7generic6detail18binary_search_lessEbEEEE10hipError_tPvRmT1_T2_T3_mmT4_T5_P12ihipStream_tbEUlRKyE_EEST_SX_SY_mSZ_S12_bEUlT_E_NS1_11comp_targetILNS1_3genE5ELNS1_11target_archE942ELNS1_3gpuE9ELNS1_3repE0EEENS1_30default_config_static_selectorELNS0_4arch9wavefront6targetE0EEEvSW_
                                        ; -- End function
	.set _ZN7rocprim17ROCPRIM_400000_NS6detail17trampoline_kernelINS0_14default_configENS1_27lower_bound_config_selectorIylEEZNS1_14transform_implILb0ES3_S5_N6thrust23THRUST_200600_302600_NS6detail15normal_iteratorINS8_7pointerIyNS8_11hip_rocprim5par_tENS8_11use_defaultESE_EEEENSA_INSB_IlSD_SE_SE_EEEEZNS1_13binary_searchIS3_S5_PySG_SI_NS1_21lower_bound_search_opENS9_16wrapped_functionINS8_6system6detail7generic6detail18binary_search_lessEbEEEE10hipError_tPvRmT1_T2_T3_mmT4_T5_P12ihipStream_tbEUlRKyE_EEST_SX_SY_mSZ_S12_bEUlT_E_NS1_11comp_targetILNS1_3genE5ELNS1_11target_archE942ELNS1_3gpuE9ELNS1_3repE0EEENS1_30default_config_static_selectorELNS0_4arch9wavefront6targetE0EEEvSW_.num_vgpr, 0
	.set _ZN7rocprim17ROCPRIM_400000_NS6detail17trampoline_kernelINS0_14default_configENS1_27lower_bound_config_selectorIylEEZNS1_14transform_implILb0ES3_S5_N6thrust23THRUST_200600_302600_NS6detail15normal_iteratorINS8_7pointerIyNS8_11hip_rocprim5par_tENS8_11use_defaultESE_EEEENSA_INSB_IlSD_SE_SE_EEEEZNS1_13binary_searchIS3_S5_PySG_SI_NS1_21lower_bound_search_opENS9_16wrapped_functionINS8_6system6detail7generic6detail18binary_search_lessEbEEEE10hipError_tPvRmT1_T2_T3_mmT4_T5_P12ihipStream_tbEUlRKyE_EEST_SX_SY_mSZ_S12_bEUlT_E_NS1_11comp_targetILNS1_3genE5ELNS1_11target_archE942ELNS1_3gpuE9ELNS1_3repE0EEENS1_30default_config_static_selectorELNS0_4arch9wavefront6targetE0EEEvSW_.num_agpr, 0
	.set _ZN7rocprim17ROCPRIM_400000_NS6detail17trampoline_kernelINS0_14default_configENS1_27lower_bound_config_selectorIylEEZNS1_14transform_implILb0ES3_S5_N6thrust23THRUST_200600_302600_NS6detail15normal_iteratorINS8_7pointerIyNS8_11hip_rocprim5par_tENS8_11use_defaultESE_EEEENSA_INSB_IlSD_SE_SE_EEEEZNS1_13binary_searchIS3_S5_PySG_SI_NS1_21lower_bound_search_opENS9_16wrapped_functionINS8_6system6detail7generic6detail18binary_search_lessEbEEEE10hipError_tPvRmT1_T2_T3_mmT4_T5_P12ihipStream_tbEUlRKyE_EEST_SX_SY_mSZ_S12_bEUlT_E_NS1_11comp_targetILNS1_3genE5ELNS1_11target_archE942ELNS1_3gpuE9ELNS1_3repE0EEENS1_30default_config_static_selectorELNS0_4arch9wavefront6targetE0EEEvSW_.numbered_sgpr, 0
	.set _ZN7rocprim17ROCPRIM_400000_NS6detail17trampoline_kernelINS0_14default_configENS1_27lower_bound_config_selectorIylEEZNS1_14transform_implILb0ES3_S5_N6thrust23THRUST_200600_302600_NS6detail15normal_iteratorINS8_7pointerIyNS8_11hip_rocprim5par_tENS8_11use_defaultESE_EEEENSA_INSB_IlSD_SE_SE_EEEEZNS1_13binary_searchIS3_S5_PySG_SI_NS1_21lower_bound_search_opENS9_16wrapped_functionINS8_6system6detail7generic6detail18binary_search_lessEbEEEE10hipError_tPvRmT1_T2_T3_mmT4_T5_P12ihipStream_tbEUlRKyE_EEST_SX_SY_mSZ_S12_bEUlT_E_NS1_11comp_targetILNS1_3genE5ELNS1_11target_archE942ELNS1_3gpuE9ELNS1_3repE0EEENS1_30default_config_static_selectorELNS0_4arch9wavefront6targetE0EEEvSW_.num_named_barrier, 0
	.set _ZN7rocprim17ROCPRIM_400000_NS6detail17trampoline_kernelINS0_14default_configENS1_27lower_bound_config_selectorIylEEZNS1_14transform_implILb0ES3_S5_N6thrust23THRUST_200600_302600_NS6detail15normal_iteratorINS8_7pointerIyNS8_11hip_rocprim5par_tENS8_11use_defaultESE_EEEENSA_INSB_IlSD_SE_SE_EEEEZNS1_13binary_searchIS3_S5_PySG_SI_NS1_21lower_bound_search_opENS9_16wrapped_functionINS8_6system6detail7generic6detail18binary_search_lessEbEEEE10hipError_tPvRmT1_T2_T3_mmT4_T5_P12ihipStream_tbEUlRKyE_EEST_SX_SY_mSZ_S12_bEUlT_E_NS1_11comp_targetILNS1_3genE5ELNS1_11target_archE942ELNS1_3gpuE9ELNS1_3repE0EEENS1_30default_config_static_selectorELNS0_4arch9wavefront6targetE0EEEvSW_.private_seg_size, 0
	.set _ZN7rocprim17ROCPRIM_400000_NS6detail17trampoline_kernelINS0_14default_configENS1_27lower_bound_config_selectorIylEEZNS1_14transform_implILb0ES3_S5_N6thrust23THRUST_200600_302600_NS6detail15normal_iteratorINS8_7pointerIyNS8_11hip_rocprim5par_tENS8_11use_defaultESE_EEEENSA_INSB_IlSD_SE_SE_EEEEZNS1_13binary_searchIS3_S5_PySG_SI_NS1_21lower_bound_search_opENS9_16wrapped_functionINS8_6system6detail7generic6detail18binary_search_lessEbEEEE10hipError_tPvRmT1_T2_T3_mmT4_T5_P12ihipStream_tbEUlRKyE_EEST_SX_SY_mSZ_S12_bEUlT_E_NS1_11comp_targetILNS1_3genE5ELNS1_11target_archE942ELNS1_3gpuE9ELNS1_3repE0EEENS1_30default_config_static_selectorELNS0_4arch9wavefront6targetE0EEEvSW_.uses_vcc, 0
	.set _ZN7rocprim17ROCPRIM_400000_NS6detail17trampoline_kernelINS0_14default_configENS1_27lower_bound_config_selectorIylEEZNS1_14transform_implILb0ES3_S5_N6thrust23THRUST_200600_302600_NS6detail15normal_iteratorINS8_7pointerIyNS8_11hip_rocprim5par_tENS8_11use_defaultESE_EEEENSA_INSB_IlSD_SE_SE_EEEEZNS1_13binary_searchIS3_S5_PySG_SI_NS1_21lower_bound_search_opENS9_16wrapped_functionINS8_6system6detail7generic6detail18binary_search_lessEbEEEE10hipError_tPvRmT1_T2_T3_mmT4_T5_P12ihipStream_tbEUlRKyE_EEST_SX_SY_mSZ_S12_bEUlT_E_NS1_11comp_targetILNS1_3genE5ELNS1_11target_archE942ELNS1_3gpuE9ELNS1_3repE0EEENS1_30default_config_static_selectorELNS0_4arch9wavefront6targetE0EEEvSW_.uses_flat_scratch, 0
	.set _ZN7rocprim17ROCPRIM_400000_NS6detail17trampoline_kernelINS0_14default_configENS1_27lower_bound_config_selectorIylEEZNS1_14transform_implILb0ES3_S5_N6thrust23THRUST_200600_302600_NS6detail15normal_iteratorINS8_7pointerIyNS8_11hip_rocprim5par_tENS8_11use_defaultESE_EEEENSA_INSB_IlSD_SE_SE_EEEEZNS1_13binary_searchIS3_S5_PySG_SI_NS1_21lower_bound_search_opENS9_16wrapped_functionINS8_6system6detail7generic6detail18binary_search_lessEbEEEE10hipError_tPvRmT1_T2_T3_mmT4_T5_P12ihipStream_tbEUlRKyE_EEST_SX_SY_mSZ_S12_bEUlT_E_NS1_11comp_targetILNS1_3genE5ELNS1_11target_archE942ELNS1_3gpuE9ELNS1_3repE0EEENS1_30default_config_static_selectorELNS0_4arch9wavefront6targetE0EEEvSW_.has_dyn_sized_stack, 0
	.set _ZN7rocprim17ROCPRIM_400000_NS6detail17trampoline_kernelINS0_14default_configENS1_27lower_bound_config_selectorIylEEZNS1_14transform_implILb0ES3_S5_N6thrust23THRUST_200600_302600_NS6detail15normal_iteratorINS8_7pointerIyNS8_11hip_rocprim5par_tENS8_11use_defaultESE_EEEENSA_INSB_IlSD_SE_SE_EEEEZNS1_13binary_searchIS3_S5_PySG_SI_NS1_21lower_bound_search_opENS9_16wrapped_functionINS8_6system6detail7generic6detail18binary_search_lessEbEEEE10hipError_tPvRmT1_T2_T3_mmT4_T5_P12ihipStream_tbEUlRKyE_EEST_SX_SY_mSZ_S12_bEUlT_E_NS1_11comp_targetILNS1_3genE5ELNS1_11target_archE942ELNS1_3gpuE9ELNS1_3repE0EEENS1_30default_config_static_selectorELNS0_4arch9wavefront6targetE0EEEvSW_.has_recursion, 0
	.set _ZN7rocprim17ROCPRIM_400000_NS6detail17trampoline_kernelINS0_14default_configENS1_27lower_bound_config_selectorIylEEZNS1_14transform_implILb0ES3_S5_N6thrust23THRUST_200600_302600_NS6detail15normal_iteratorINS8_7pointerIyNS8_11hip_rocprim5par_tENS8_11use_defaultESE_EEEENSA_INSB_IlSD_SE_SE_EEEEZNS1_13binary_searchIS3_S5_PySG_SI_NS1_21lower_bound_search_opENS9_16wrapped_functionINS8_6system6detail7generic6detail18binary_search_lessEbEEEE10hipError_tPvRmT1_T2_T3_mmT4_T5_P12ihipStream_tbEUlRKyE_EEST_SX_SY_mSZ_S12_bEUlT_E_NS1_11comp_targetILNS1_3genE5ELNS1_11target_archE942ELNS1_3gpuE9ELNS1_3repE0EEENS1_30default_config_static_selectorELNS0_4arch9wavefront6targetE0EEEvSW_.has_indirect_call, 0
	.section	.AMDGPU.csdata,"",@progbits
; Kernel info:
; codeLenInByte = 0
; TotalNumSgprs: 0
; NumVgprs: 0
; ScratchSize: 0
; MemoryBound: 0
; FloatMode: 240
; IeeeMode: 1
; LDSByteSize: 0 bytes/workgroup (compile time only)
; SGPRBlocks: 0
; VGPRBlocks: 0
; NumSGPRsForWavesPerEU: 1
; NumVGPRsForWavesPerEU: 1
; Occupancy: 16
; WaveLimiterHint : 0
; COMPUTE_PGM_RSRC2:SCRATCH_EN: 0
; COMPUTE_PGM_RSRC2:USER_SGPR: 6
; COMPUTE_PGM_RSRC2:TRAP_HANDLER: 0
; COMPUTE_PGM_RSRC2:TGID_X_EN: 1
; COMPUTE_PGM_RSRC2:TGID_Y_EN: 0
; COMPUTE_PGM_RSRC2:TGID_Z_EN: 0
; COMPUTE_PGM_RSRC2:TIDIG_COMP_CNT: 0
	.section	.text._ZN7rocprim17ROCPRIM_400000_NS6detail17trampoline_kernelINS0_14default_configENS1_27lower_bound_config_selectorIylEEZNS1_14transform_implILb0ES3_S5_N6thrust23THRUST_200600_302600_NS6detail15normal_iteratorINS8_7pointerIyNS8_11hip_rocprim5par_tENS8_11use_defaultESE_EEEENSA_INSB_IlSD_SE_SE_EEEEZNS1_13binary_searchIS3_S5_PySG_SI_NS1_21lower_bound_search_opENS9_16wrapped_functionINS8_6system6detail7generic6detail18binary_search_lessEbEEEE10hipError_tPvRmT1_T2_T3_mmT4_T5_P12ihipStream_tbEUlRKyE_EEST_SX_SY_mSZ_S12_bEUlT_E_NS1_11comp_targetILNS1_3genE4ELNS1_11target_archE910ELNS1_3gpuE8ELNS1_3repE0EEENS1_30default_config_static_selectorELNS0_4arch9wavefront6targetE0EEEvSW_,"axG",@progbits,_ZN7rocprim17ROCPRIM_400000_NS6detail17trampoline_kernelINS0_14default_configENS1_27lower_bound_config_selectorIylEEZNS1_14transform_implILb0ES3_S5_N6thrust23THRUST_200600_302600_NS6detail15normal_iteratorINS8_7pointerIyNS8_11hip_rocprim5par_tENS8_11use_defaultESE_EEEENSA_INSB_IlSD_SE_SE_EEEEZNS1_13binary_searchIS3_S5_PySG_SI_NS1_21lower_bound_search_opENS9_16wrapped_functionINS8_6system6detail7generic6detail18binary_search_lessEbEEEE10hipError_tPvRmT1_T2_T3_mmT4_T5_P12ihipStream_tbEUlRKyE_EEST_SX_SY_mSZ_S12_bEUlT_E_NS1_11comp_targetILNS1_3genE4ELNS1_11target_archE910ELNS1_3gpuE8ELNS1_3repE0EEENS1_30default_config_static_selectorELNS0_4arch9wavefront6targetE0EEEvSW_,comdat
	.protected	_ZN7rocprim17ROCPRIM_400000_NS6detail17trampoline_kernelINS0_14default_configENS1_27lower_bound_config_selectorIylEEZNS1_14transform_implILb0ES3_S5_N6thrust23THRUST_200600_302600_NS6detail15normal_iteratorINS8_7pointerIyNS8_11hip_rocprim5par_tENS8_11use_defaultESE_EEEENSA_INSB_IlSD_SE_SE_EEEEZNS1_13binary_searchIS3_S5_PySG_SI_NS1_21lower_bound_search_opENS9_16wrapped_functionINS8_6system6detail7generic6detail18binary_search_lessEbEEEE10hipError_tPvRmT1_T2_T3_mmT4_T5_P12ihipStream_tbEUlRKyE_EEST_SX_SY_mSZ_S12_bEUlT_E_NS1_11comp_targetILNS1_3genE4ELNS1_11target_archE910ELNS1_3gpuE8ELNS1_3repE0EEENS1_30default_config_static_selectorELNS0_4arch9wavefront6targetE0EEEvSW_ ; -- Begin function _ZN7rocprim17ROCPRIM_400000_NS6detail17trampoline_kernelINS0_14default_configENS1_27lower_bound_config_selectorIylEEZNS1_14transform_implILb0ES3_S5_N6thrust23THRUST_200600_302600_NS6detail15normal_iteratorINS8_7pointerIyNS8_11hip_rocprim5par_tENS8_11use_defaultESE_EEEENSA_INSB_IlSD_SE_SE_EEEEZNS1_13binary_searchIS3_S5_PySG_SI_NS1_21lower_bound_search_opENS9_16wrapped_functionINS8_6system6detail7generic6detail18binary_search_lessEbEEEE10hipError_tPvRmT1_T2_T3_mmT4_T5_P12ihipStream_tbEUlRKyE_EEST_SX_SY_mSZ_S12_bEUlT_E_NS1_11comp_targetILNS1_3genE4ELNS1_11target_archE910ELNS1_3gpuE8ELNS1_3repE0EEENS1_30default_config_static_selectorELNS0_4arch9wavefront6targetE0EEEvSW_
	.globl	_ZN7rocprim17ROCPRIM_400000_NS6detail17trampoline_kernelINS0_14default_configENS1_27lower_bound_config_selectorIylEEZNS1_14transform_implILb0ES3_S5_N6thrust23THRUST_200600_302600_NS6detail15normal_iteratorINS8_7pointerIyNS8_11hip_rocprim5par_tENS8_11use_defaultESE_EEEENSA_INSB_IlSD_SE_SE_EEEEZNS1_13binary_searchIS3_S5_PySG_SI_NS1_21lower_bound_search_opENS9_16wrapped_functionINS8_6system6detail7generic6detail18binary_search_lessEbEEEE10hipError_tPvRmT1_T2_T3_mmT4_T5_P12ihipStream_tbEUlRKyE_EEST_SX_SY_mSZ_S12_bEUlT_E_NS1_11comp_targetILNS1_3genE4ELNS1_11target_archE910ELNS1_3gpuE8ELNS1_3repE0EEENS1_30default_config_static_selectorELNS0_4arch9wavefront6targetE0EEEvSW_
	.p2align	8
	.type	_ZN7rocprim17ROCPRIM_400000_NS6detail17trampoline_kernelINS0_14default_configENS1_27lower_bound_config_selectorIylEEZNS1_14transform_implILb0ES3_S5_N6thrust23THRUST_200600_302600_NS6detail15normal_iteratorINS8_7pointerIyNS8_11hip_rocprim5par_tENS8_11use_defaultESE_EEEENSA_INSB_IlSD_SE_SE_EEEEZNS1_13binary_searchIS3_S5_PySG_SI_NS1_21lower_bound_search_opENS9_16wrapped_functionINS8_6system6detail7generic6detail18binary_search_lessEbEEEE10hipError_tPvRmT1_T2_T3_mmT4_T5_P12ihipStream_tbEUlRKyE_EEST_SX_SY_mSZ_S12_bEUlT_E_NS1_11comp_targetILNS1_3genE4ELNS1_11target_archE910ELNS1_3gpuE8ELNS1_3repE0EEENS1_30default_config_static_selectorELNS0_4arch9wavefront6targetE0EEEvSW_,@function
_ZN7rocprim17ROCPRIM_400000_NS6detail17trampoline_kernelINS0_14default_configENS1_27lower_bound_config_selectorIylEEZNS1_14transform_implILb0ES3_S5_N6thrust23THRUST_200600_302600_NS6detail15normal_iteratorINS8_7pointerIyNS8_11hip_rocprim5par_tENS8_11use_defaultESE_EEEENSA_INSB_IlSD_SE_SE_EEEEZNS1_13binary_searchIS3_S5_PySG_SI_NS1_21lower_bound_search_opENS9_16wrapped_functionINS8_6system6detail7generic6detail18binary_search_lessEbEEEE10hipError_tPvRmT1_T2_T3_mmT4_T5_P12ihipStream_tbEUlRKyE_EEST_SX_SY_mSZ_S12_bEUlT_E_NS1_11comp_targetILNS1_3genE4ELNS1_11target_archE910ELNS1_3gpuE8ELNS1_3repE0EEENS1_30default_config_static_selectorELNS0_4arch9wavefront6targetE0EEEvSW_: ; @_ZN7rocprim17ROCPRIM_400000_NS6detail17trampoline_kernelINS0_14default_configENS1_27lower_bound_config_selectorIylEEZNS1_14transform_implILb0ES3_S5_N6thrust23THRUST_200600_302600_NS6detail15normal_iteratorINS8_7pointerIyNS8_11hip_rocprim5par_tENS8_11use_defaultESE_EEEENSA_INSB_IlSD_SE_SE_EEEEZNS1_13binary_searchIS3_S5_PySG_SI_NS1_21lower_bound_search_opENS9_16wrapped_functionINS8_6system6detail7generic6detail18binary_search_lessEbEEEE10hipError_tPvRmT1_T2_T3_mmT4_T5_P12ihipStream_tbEUlRKyE_EEST_SX_SY_mSZ_S12_bEUlT_E_NS1_11comp_targetILNS1_3genE4ELNS1_11target_archE910ELNS1_3gpuE8ELNS1_3repE0EEENS1_30default_config_static_selectorELNS0_4arch9wavefront6targetE0EEEvSW_
; %bb.0:
	.section	.rodata,"a",@progbits
	.p2align	6, 0x0
	.amdhsa_kernel _ZN7rocprim17ROCPRIM_400000_NS6detail17trampoline_kernelINS0_14default_configENS1_27lower_bound_config_selectorIylEEZNS1_14transform_implILb0ES3_S5_N6thrust23THRUST_200600_302600_NS6detail15normal_iteratorINS8_7pointerIyNS8_11hip_rocprim5par_tENS8_11use_defaultESE_EEEENSA_INSB_IlSD_SE_SE_EEEEZNS1_13binary_searchIS3_S5_PySG_SI_NS1_21lower_bound_search_opENS9_16wrapped_functionINS8_6system6detail7generic6detail18binary_search_lessEbEEEE10hipError_tPvRmT1_T2_T3_mmT4_T5_P12ihipStream_tbEUlRKyE_EEST_SX_SY_mSZ_S12_bEUlT_E_NS1_11comp_targetILNS1_3genE4ELNS1_11target_archE910ELNS1_3gpuE8ELNS1_3repE0EEENS1_30default_config_static_selectorELNS0_4arch9wavefront6targetE0EEEvSW_
		.amdhsa_group_segment_fixed_size 0
		.amdhsa_private_segment_fixed_size 0
		.amdhsa_kernarg_size 56
		.amdhsa_user_sgpr_count 6
		.amdhsa_user_sgpr_private_segment_buffer 1
		.amdhsa_user_sgpr_dispatch_ptr 0
		.amdhsa_user_sgpr_queue_ptr 0
		.amdhsa_user_sgpr_kernarg_segment_ptr 1
		.amdhsa_user_sgpr_dispatch_id 0
		.amdhsa_user_sgpr_flat_scratch_init 0
		.amdhsa_user_sgpr_private_segment_size 0
		.amdhsa_wavefront_size32 1
		.amdhsa_uses_dynamic_stack 0
		.amdhsa_system_sgpr_private_segment_wavefront_offset 0
		.amdhsa_system_sgpr_workgroup_id_x 1
		.amdhsa_system_sgpr_workgroup_id_y 0
		.amdhsa_system_sgpr_workgroup_id_z 0
		.amdhsa_system_sgpr_workgroup_info 0
		.amdhsa_system_vgpr_workitem_id 0
		.amdhsa_next_free_vgpr 1
		.amdhsa_next_free_sgpr 1
		.amdhsa_reserve_vcc 0
		.amdhsa_reserve_flat_scratch 0
		.amdhsa_float_round_mode_32 0
		.amdhsa_float_round_mode_16_64 0
		.amdhsa_float_denorm_mode_32 3
		.amdhsa_float_denorm_mode_16_64 3
		.amdhsa_dx10_clamp 1
		.amdhsa_ieee_mode 1
		.amdhsa_fp16_overflow 0
		.amdhsa_workgroup_processor_mode 1
		.amdhsa_memory_ordered 1
		.amdhsa_forward_progress 1
		.amdhsa_shared_vgpr_count 0
		.amdhsa_exception_fp_ieee_invalid_op 0
		.amdhsa_exception_fp_denorm_src 0
		.amdhsa_exception_fp_ieee_div_zero 0
		.amdhsa_exception_fp_ieee_overflow 0
		.amdhsa_exception_fp_ieee_underflow 0
		.amdhsa_exception_fp_ieee_inexact 0
		.amdhsa_exception_int_div_zero 0
	.end_amdhsa_kernel
	.section	.text._ZN7rocprim17ROCPRIM_400000_NS6detail17trampoline_kernelINS0_14default_configENS1_27lower_bound_config_selectorIylEEZNS1_14transform_implILb0ES3_S5_N6thrust23THRUST_200600_302600_NS6detail15normal_iteratorINS8_7pointerIyNS8_11hip_rocprim5par_tENS8_11use_defaultESE_EEEENSA_INSB_IlSD_SE_SE_EEEEZNS1_13binary_searchIS3_S5_PySG_SI_NS1_21lower_bound_search_opENS9_16wrapped_functionINS8_6system6detail7generic6detail18binary_search_lessEbEEEE10hipError_tPvRmT1_T2_T3_mmT4_T5_P12ihipStream_tbEUlRKyE_EEST_SX_SY_mSZ_S12_bEUlT_E_NS1_11comp_targetILNS1_3genE4ELNS1_11target_archE910ELNS1_3gpuE8ELNS1_3repE0EEENS1_30default_config_static_selectorELNS0_4arch9wavefront6targetE0EEEvSW_,"axG",@progbits,_ZN7rocprim17ROCPRIM_400000_NS6detail17trampoline_kernelINS0_14default_configENS1_27lower_bound_config_selectorIylEEZNS1_14transform_implILb0ES3_S5_N6thrust23THRUST_200600_302600_NS6detail15normal_iteratorINS8_7pointerIyNS8_11hip_rocprim5par_tENS8_11use_defaultESE_EEEENSA_INSB_IlSD_SE_SE_EEEEZNS1_13binary_searchIS3_S5_PySG_SI_NS1_21lower_bound_search_opENS9_16wrapped_functionINS8_6system6detail7generic6detail18binary_search_lessEbEEEE10hipError_tPvRmT1_T2_T3_mmT4_T5_P12ihipStream_tbEUlRKyE_EEST_SX_SY_mSZ_S12_bEUlT_E_NS1_11comp_targetILNS1_3genE4ELNS1_11target_archE910ELNS1_3gpuE8ELNS1_3repE0EEENS1_30default_config_static_selectorELNS0_4arch9wavefront6targetE0EEEvSW_,comdat
.Lfunc_end55:
	.size	_ZN7rocprim17ROCPRIM_400000_NS6detail17trampoline_kernelINS0_14default_configENS1_27lower_bound_config_selectorIylEEZNS1_14transform_implILb0ES3_S5_N6thrust23THRUST_200600_302600_NS6detail15normal_iteratorINS8_7pointerIyNS8_11hip_rocprim5par_tENS8_11use_defaultESE_EEEENSA_INSB_IlSD_SE_SE_EEEEZNS1_13binary_searchIS3_S5_PySG_SI_NS1_21lower_bound_search_opENS9_16wrapped_functionINS8_6system6detail7generic6detail18binary_search_lessEbEEEE10hipError_tPvRmT1_T2_T3_mmT4_T5_P12ihipStream_tbEUlRKyE_EEST_SX_SY_mSZ_S12_bEUlT_E_NS1_11comp_targetILNS1_3genE4ELNS1_11target_archE910ELNS1_3gpuE8ELNS1_3repE0EEENS1_30default_config_static_selectorELNS0_4arch9wavefront6targetE0EEEvSW_, .Lfunc_end55-_ZN7rocprim17ROCPRIM_400000_NS6detail17trampoline_kernelINS0_14default_configENS1_27lower_bound_config_selectorIylEEZNS1_14transform_implILb0ES3_S5_N6thrust23THRUST_200600_302600_NS6detail15normal_iteratorINS8_7pointerIyNS8_11hip_rocprim5par_tENS8_11use_defaultESE_EEEENSA_INSB_IlSD_SE_SE_EEEEZNS1_13binary_searchIS3_S5_PySG_SI_NS1_21lower_bound_search_opENS9_16wrapped_functionINS8_6system6detail7generic6detail18binary_search_lessEbEEEE10hipError_tPvRmT1_T2_T3_mmT4_T5_P12ihipStream_tbEUlRKyE_EEST_SX_SY_mSZ_S12_bEUlT_E_NS1_11comp_targetILNS1_3genE4ELNS1_11target_archE910ELNS1_3gpuE8ELNS1_3repE0EEENS1_30default_config_static_selectorELNS0_4arch9wavefront6targetE0EEEvSW_
                                        ; -- End function
	.set _ZN7rocprim17ROCPRIM_400000_NS6detail17trampoline_kernelINS0_14default_configENS1_27lower_bound_config_selectorIylEEZNS1_14transform_implILb0ES3_S5_N6thrust23THRUST_200600_302600_NS6detail15normal_iteratorINS8_7pointerIyNS8_11hip_rocprim5par_tENS8_11use_defaultESE_EEEENSA_INSB_IlSD_SE_SE_EEEEZNS1_13binary_searchIS3_S5_PySG_SI_NS1_21lower_bound_search_opENS9_16wrapped_functionINS8_6system6detail7generic6detail18binary_search_lessEbEEEE10hipError_tPvRmT1_T2_T3_mmT4_T5_P12ihipStream_tbEUlRKyE_EEST_SX_SY_mSZ_S12_bEUlT_E_NS1_11comp_targetILNS1_3genE4ELNS1_11target_archE910ELNS1_3gpuE8ELNS1_3repE0EEENS1_30default_config_static_selectorELNS0_4arch9wavefront6targetE0EEEvSW_.num_vgpr, 0
	.set _ZN7rocprim17ROCPRIM_400000_NS6detail17trampoline_kernelINS0_14default_configENS1_27lower_bound_config_selectorIylEEZNS1_14transform_implILb0ES3_S5_N6thrust23THRUST_200600_302600_NS6detail15normal_iteratorINS8_7pointerIyNS8_11hip_rocprim5par_tENS8_11use_defaultESE_EEEENSA_INSB_IlSD_SE_SE_EEEEZNS1_13binary_searchIS3_S5_PySG_SI_NS1_21lower_bound_search_opENS9_16wrapped_functionINS8_6system6detail7generic6detail18binary_search_lessEbEEEE10hipError_tPvRmT1_T2_T3_mmT4_T5_P12ihipStream_tbEUlRKyE_EEST_SX_SY_mSZ_S12_bEUlT_E_NS1_11comp_targetILNS1_3genE4ELNS1_11target_archE910ELNS1_3gpuE8ELNS1_3repE0EEENS1_30default_config_static_selectorELNS0_4arch9wavefront6targetE0EEEvSW_.num_agpr, 0
	.set _ZN7rocprim17ROCPRIM_400000_NS6detail17trampoline_kernelINS0_14default_configENS1_27lower_bound_config_selectorIylEEZNS1_14transform_implILb0ES3_S5_N6thrust23THRUST_200600_302600_NS6detail15normal_iteratorINS8_7pointerIyNS8_11hip_rocprim5par_tENS8_11use_defaultESE_EEEENSA_INSB_IlSD_SE_SE_EEEEZNS1_13binary_searchIS3_S5_PySG_SI_NS1_21lower_bound_search_opENS9_16wrapped_functionINS8_6system6detail7generic6detail18binary_search_lessEbEEEE10hipError_tPvRmT1_T2_T3_mmT4_T5_P12ihipStream_tbEUlRKyE_EEST_SX_SY_mSZ_S12_bEUlT_E_NS1_11comp_targetILNS1_3genE4ELNS1_11target_archE910ELNS1_3gpuE8ELNS1_3repE0EEENS1_30default_config_static_selectorELNS0_4arch9wavefront6targetE0EEEvSW_.numbered_sgpr, 0
	.set _ZN7rocprim17ROCPRIM_400000_NS6detail17trampoline_kernelINS0_14default_configENS1_27lower_bound_config_selectorIylEEZNS1_14transform_implILb0ES3_S5_N6thrust23THRUST_200600_302600_NS6detail15normal_iteratorINS8_7pointerIyNS8_11hip_rocprim5par_tENS8_11use_defaultESE_EEEENSA_INSB_IlSD_SE_SE_EEEEZNS1_13binary_searchIS3_S5_PySG_SI_NS1_21lower_bound_search_opENS9_16wrapped_functionINS8_6system6detail7generic6detail18binary_search_lessEbEEEE10hipError_tPvRmT1_T2_T3_mmT4_T5_P12ihipStream_tbEUlRKyE_EEST_SX_SY_mSZ_S12_bEUlT_E_NS1_11comp_targetILNS1_3genE4ELNS1_11target_archE910ELNS1_3gpuE8ELNS1_3repE0EEENS1_30default_config_static_selectorELNS0_4arch9wavefront6targetE0EEEvSW_.num_named_barrier, 0
	.set _ZN7rocprim17ROCPRIM_400000_NS6detail17trampoline_kernelINS0_14default_configENS1_27lower_bound_config_selectorIylEEZNS1_14transform_implILb0ES3_S5_N6thrust23THRUST_200600_302600_NS6detail15normal_iteratorINS8_7pointerIyNS8_11hip_rocprim5par_tENS8_11use_defaultESE_EEEENSA_INSB_IlSD_SE_SE_EEEEZNS1_13binary_searchIS3_S5_PySG_SI_NS1_21lower_bound_search_opENS9_16wrapped_functionINS8_6system6detail7generic6detail18binary_search_lessEbEEEE10hipError_tPvRmT1_T2_T3_mmT4_T5_P12ihipStream_tbEUlRKyE_EEST_SX_SY_mSZ_S12_bEUlT_E_NS1_11comp_targetILNS1_3genE4ELNS1_11target_archE910ELNS1_3gpuE8ELNS1_3repE0EEENS1_30default_config_static_selectorELNS0_4arch9wavefront6targetE0EEEvSW_.private_seg_size, 0
	.set _ZN7rocprim17ROCPRIM_400000_NS6detail17trampoline_kernelINS0_14default_configENS1_27lower_bound_config_selectorIylEEZNS1_14transform_implILb0ES3_S5_N6thrust23THRUST_200600_302600_NS6detail15normal_iteratorINS8_7pointerIyNS8_11hip_rocprim5par_tENS8_11use_defaultESE_EEEENSA_INSB_IlSD_SE_SE_EEEEZNS1_13binary_searchIS3_S5_PySG_SI_NS1_21lower_bound_search_opENS9_16wrapped_functionINS8_6system6detail7generic6detail18binary_search_lessEbEEEE10hipError_tPvRmT1_T2_T3_mmT4_T5_P12ihipStream_tbEUlRKyE_EEST_SX_SY_mSZ_S12_bEUlT_E_NS1_11comp_targetILNS1_3genE4ELNS1_11target_archE910ELNS1_3gpuE8ELNS1_3repE0EEENS1_30default_config_static_selectorELNS0_4arch9wavefront6targetE0EEEvSW_.uses_vcc, 0
	.set _ZN7rocprim17ROCPRIM_400000_NS6detail17trampoline_kernelINS0_14default_configENS1_27lower_bound_config_selectorIylEEZNS1_14transform_implILb0ES3_S5_N6thrust23THRUST_200600_302600_NS6detail15normal_iteratorINS8_7pointerIyNS8_11hip_rocprim5par_tENS8_11use_defaultESE_EEEENSA_INSB_IlSD_SE_SE_EEEEZNS1_13binary_searchIS3_S5_PySG_SI_NS1_21lower_bound_search_opENS9_16wrapped_functionINS8_6system6detail7generic6detail18binary_search_lessEbEEEE10hipError_tPvRmT1_T2_T3_mmT4_T5_P12ihipStream_tbEUlRKyE_EEST_SX_SY_mSZ_S12_bEUlT_E_NS1_11comp_targetILNS1_3genE4ELNS1_11target_archE910ELNS1_3gpuE8ELNS1_3repE0EEENS1_30default_config_static_selectorELNS0_4arch9wavefront6targetE0EEEvSW_.uses_flat_scratch, 0
	.set _ZN7rocprim17ROCPRIM_400000_NS6detail17trampoline_kernelINS0_14default_configENS1_27lower_bound_config_selectorIylEEZNS1_14transform_implILb0ES3_S5_N6thrust23THRUST_200600_302600_NS6detail15normal_iteratorINS8_7pointerIyNS8_11hip_rocprim5par_tENS8_11use_defaultESE_EEEENSA_INSB_IlSD_SE_SE_EEEEZNS1_13binary_searchIS3_S5_PySG_SI_NS1_21lower_bound_search_opENS9_16wrapped_functionINS8_6system6detail7generic6detail18binary_search_lessEbEEEE10hipError_tPvRmT1_T2_T3_mmT4_T5_P12ihipStream_tbEUlRKyE_EEST_SX_SY_mSZ_S12_bEUlT_E_NS1_11comp_targetILNS1_3genE4ELNS1_11target_archE910ELNS1_3gpuE8ELNS1_3repE0EEENS1_30default_config_static_selectorELNS0_4arch9wavefront6targetE0EEEvSW_.has_dyn_sized_stack, 0
	.set _ZN7rocprim17ROCPRIM_400000_NS6detail17trampoline_kernelINS0_14default_configENS1_27lower_bound_config_selectorIylEEZNS1_14transform_implILb0ES3_S5_N6thrust23THRUST_200600_302600_NS6detail15normal_iteratorINS8_7pointerIyNS8_11hip_rocprim5par_tENS8_11use_defaultESE_EEEENSA_INSB_IlSD_SE_SE_EEEEZNS1_13binary_searchIS3_S5_PySG_SI_NS1_21lower_bound_search_opENS9_16wrapped_functionINS8_6system6detail7generic6detail18binary_search_lessEbEEEE10hipError_tPvRmT1_T2_T3_mmT4_T5_P12ihipStream_tbEUlRKyE_EEST_SX_SY_mSZ_S12_bEUlT_E_NS1_11comp_targetILNS1_3genE4ELNS1_11target_archE910ELNS1_3gpuE8ELNS1_3repE0EEENS1_30default_config_static_selectorELNS0_4arch9wavefront6targetE0EEEvSW_.has_recursion, 0
	.set _ZN7rocprim17ROCPRIM_400000_NS6detail17trampoline_kernelINS0_14default_configENS1_27lower_bound_config_selectorIylEEZNS1_14transform_implILb0ES3_S5_N6thrust23THRUST_200600_302600_NS6detail15normal_iteratorINS8_7pointerIyNS8_11hip_rocprim5par_tENS8_11use_defaultESE_EEEENSA_INSB_IlSD_SE_SE_EEEEZNS1_13binary_searchIS3_S5_PySG_SI_NS1_21lower_bound_search_opENS9_16wrapped_functionINS8_6system6detail7generic6detail18binary_search_lessEbEEEE10hipError_tPvRmT1_T2_T3_mmT4_T5_P12ihipStream_tbEUlRKyE_EEST_SX_SY_mSZ_S12_bEUlT_E_NS1_11comp_targetILNS1_3genE4ELNS1_11target_archE910ELNS1_3gpuE8ELNS1_3repE0EEENS1_30default_config_static_selectorELNS0_4arch9wavefront6targetE0EEEvSW_.has_indirect_call, 0
	.section	.AMDGPU.csdata,"",@progbits
; Kernel info:
; codeLenInByte = 0
; TotalNumSgprs: 0
; NumVgprs: 0
; ScratchSize: 0
; MemoryBound: 0
; FloatMode: 240
; IeeeMode: 1
; LDSByteSize: 0 bytes/workgroup (compile time only)
; SGPRBlocks: 0
; VGPRBlocks: 0
; NumSGPRsForWavesPerEU: 1
; NumVGPRsForWavesPerEU: 1
; Occupancy: 16
; WaveLimiterHint : 0
; COMPUTE_PGM_RSRC2:SCRATCH_EN: 0
; COMPUTE_PGM_RSRC2:USER_SGPR: 6
; COMPUTE_PGM_RSRC2:TRAP_HANDLER: 0
; COMPUTE_PGM_RSRC2:TGID_X_EN: 1
; COMPUTE_PGM_RSRC2:TGID_Y_EN: 0
; COMPUTE_PGM_RSRC2:TGID_Z_EN: 0
; COMPUTE_PGM_RSRC2:TIDIG_COMP_CNT: 0
	.section	.text._ZN7rocprim17ROCPRIM_400000_NS6detail17trampoline_kernelINS0_14default_configENS1_27lower_bound_config_selectorIylEEZNS1_14transform_implILb0ES3_S5_N6thrust23THRUST_200600_302600_NS6detail15normal_iteratorINS8_7pointerIyNS8_11hip_rocprim5par_tENS8_11use_defaultESE_EEEENSA_INSB_IlSD_SE_SE_EEEEZNS1_13binary_searchIS3_S5_PySG_SI_NS1_21lower_bound_search_opENS9_16wrapped_functionINS8_6system6detail7generic6detail18binary_search_lessEbEEEE10hipError_tPvRmT1_T2_T3_mmT4_T5_P12ihipStream_tbEUlRKyE_EEST_SX_SY_mSZ_S12_bEUlT_E_NS1_11comp_targetILNS1_3genE3ELNS1_11target_archE908ELNS1_3gpuE7ELNS1_3repE0EEENS1_30default_config_static_selectorELNS0_4arch9wavefront6targetE0EEEvSW_,"axG",@progbits,_ZN7rocprim17ROCPRIM_400000_NS6detail17trampoline_kernelINS0_14default_configENS1_27lower_bound_config_selectorIylEEZNS1_14transform_implILb0ES3_S5_N6thrust23THRUST_200600_302600_NS6detail15normal_iteratorINS8_7pointerIyNS8_11hip_rocprim5par_tENS8_11use_defaultESE_EEEENSA_INSB_IlSD_SE_SE_EEEEZNS1_13binary_searchIS3_S5_PySG_SI_NS1_21lower_bound_search_opENS9_16wrapped_functionINS8_6system6detail7generic6detail18binary_search_lessEbEEEE10hipError_tPvRmT1_T2_T3_mmT4_T5_P12ihipStream_tbEUlRKyE_EEST_SX_SY_mSZ_S12_bEUlT_E_NS1_11comp_targetILNS1_3genE3ELNS1_11target_archE908ELNS1_3gpuE7ELNS1_3repE0EEENS1_30default_config_static_selectorELNS0_4arch9wavefront6targetE0EEEvSW_,comdat
	.protected	_ZN7rocprim17ROCPRIM_400000_NS6detail17trampoline_kernelINS0_14default_configENS1_27lower_bound_config_selectorIylEEZNS1_14transform_implILb0ES3_S5_N6thrust23THRUST_200600_302600_NS6detail15normal_iteratorINS8_7pointerIyNS8_11hip_rocprim5par_tENS8_11use_defaultESE_EEEENSA_INSB_IlSD_SE_SE_EEEEZNS1_13binary_searchIS3_S5_PySG_SI_NS1_21lower_bound_search_opENS9_16wrapped_functionINS8_6system6detail7generic6detail18binary_search_lessEbEEEE10hipError_tPvRmT1_T2_T3_mmT4_T5_P12ihipStream_tbEUlRKyE_EEST_SX_SY_mSZ_S12_bEUlT_E_NS1_11comp_targetILNS1_3genE3ELNS1_11target_archE908ELNS1_3gpuE7ELNS1_3repE0EEENS1_30default_config_static_selectorELNS0_4arch9wavefront6targetE0EEEvSW_ ; -- Begin function _ZN7rocprim17ROCPRIM_400000_NS6detail17trampoline_kernelINS0_14default_configENS1_27lower_bound_config_selectorIylEEZNS1_14transform_implILb0ES3_S5_N6thrust23THRUST_200600_302600_NS6detail15normal_iteratorINS8_7pointerIyNS8_11hip_rocprim5par_tENS8_11use_defaultESE_EEEENSA_INSB_IlSD_SE_SE_EEEEZNS1_13binary_searchIS3_S5_PySG_SI_NS1_21lower_bound_search_opENS9_16wrapped_functionINS8_6system6detail7generic6detail18binary_search_lessEbEEEE10hipError_tPvRmT1_T2_T3_mmT4_T5_P12ihipStream_tbEUlRKyE_EEST_SX_SY_mSZ_S12_bEUlT_E_NS1_11comp_targetILNS1_3genE3ELNS1_11target_archE908ELNS1_3gpuE7ELNS1_3repE0EEENS1_30default_config_static_selectorELNS0_4arch9wavefront6targetE0EEEvSW_
	.globl	_ZN7rocprim17ROCPRIM_400000_NS6detail17trampoline_kernelINS0_14default_configENS1_27lower_bound_config_selectorIylEEZNS1_14transform_implILb0ES3_S5_N6thrust23THRUST_200600_302600_NS6detail15normal_iteratorINS8_7pointerIyNS8_11hip_rocprim5par_tENS8_11use_defaultESE_EEEENSA_INSB_IlSD_SE_SE_EEEEZNS1_13binary_searchIS3_S5_PySG_SI_NS1_21lower_bound_search_opENS9_16wrapped_functionINS8_6system6detail7generic6detail18binary_search_lessEbEEEE10hipError_tPvRmT1_T2_T3_mmT4_T5_P12ihipStream_tbEUlRKyE_EEST_SX_SY_mSZ_S12_bEUlT_E_NS1_11comp_targetILNS1_3genE3ELNS1_11target_archE908ELNS1_3gpuE7ELNS1_3repE0EEENS1_30default_config_static_selectorELNS0_4arch9wavefront6targetE0EEEvSW_
	.p2align	8
	.type	_ZN7rocprim17ROCPRIM_400000_NS6detail17trampoline_kernelINS0_14default_configENS1_27lower_bound_config_selectorIylEEZNS1_14transform_implILb0ES3_S5_N6thrust23THRUST_200600_302600_NS6detail15normal_iteratorINS8_7pointerIyNS8_11hip_rocprim5par_tENS8_11use_defaultESE_EEEENSA_INSB_IlSD_SE_SE_EEEEZNS1_13binary_searchIS3_S5_PySG_SI_NS1_21lower_bound_search_opENS9_16wrapped_functionINS8_6system6detail7generic6detail18binary_search_lessEbEEEE10hipError_tPvRmT1_T2_T3_mmT4_T5_P12ihipStream_tbEUlRKyE_EEST_SX_SY_mSZ_S12_bEUlT_E_NS1_11comp_targetILNS1_3genE3ELNS1_11target_archE908ELNS1_3gpuE7ELNS1_3repE0EEENS1_30default_config_static_selectorELNS0_4arch9wavefront6targetE0EEEvSW_,@function
_ZN7rocprim17ROCPRIM_400000_NS6detail17trampoline_kernelINS0_14default_configENS1_27lower_bound_config_selectorIylEEZNS1_14transform_implILb0ES3_S5_N6thrust23THRUST_200600_302600_NS6detail15normal_iteratorINS8_7pointerIyNS8_11hip_rocprim5par_tENS8_11use_defaultESE_EEEENSA_INSB_IlSD_SE_SE_EEEEZNS1_13binary_searchIS3_S5_PySG_SI_NS1_21lower_bound_search_opENS9_16wrapped_functionINS8_6system6detail7generic6detail18binary_search_lessEbEEEE10hipError_tPvRmT1_T2_T3_mmT4_T5_P12ihipStream_tbEUlRKyE_EEST_SX_SY_mSZ_S12_bEUlT_E_NS1_11comp_targetILNS1_3genE3ELNS1_11target_archE908ELNS1_3gpuE7ELNS1_3repE0EEENS1_30default_config_static_selectorELNS0_4arch9wavefront6targetE0EEEvSW_: ; @_ZN7rocprim17ROCPRIM_400000_NS6detail17trampoline_kernelINS0_14default_configENS1_27lower_bound_config_selectorIylEEZNS1_14transform_implILb0ES3_S5_N6thrust23THRUST_200600_302600_NS6detail15normal_iteratorINS8_7pointerIyNS8_11hip_rocprim5par_tENS8_11use_defaultESE_EEEENSA_INSB_IlSD_SE_SE_EEEEZNS1_13binary_searchIS3_S5_PySG_SI_NS1_21lower_bound_search_opENS9_16wrapped_functionINS8_6system6detail7generic6detail18binary_search_lessEbEEEE10hipError_tPvRmT1_T2_T3_mmT4_T5_P12ihipStream_tbEUlRKyE_EEST_SX_SY_mSZ_S12_bEUlT_E_NS1_11comp_targetILNS1_3genE3ELNS1_11target_archE908ELNS1_3gpuE7ELNS1_3repE0EEENS1_30default_config_static_selectorELNS0_4arch9wavefront6targetE0EEEvSW_
; %bb.0:
	.section	.rodata,"a",@progbits
	.p2align	6, 0x0
	.amdhsa_kernel _ZN7rocprim17ROCPRIM_400000_NS6detail17trampoline_kernelINS0_14default_configENS1_27lower_bound_config_selectorIylEEZNS1_14transform_implILb0ES3_S5_N6thrust23THRUST_200600_302600_NS6detail15normal_iteratorINS8_7pointerIyNS8_11hip_rocprim5par_tENS8_11use_defaultESE_EEEENSA_INSB_IlSD_SE_SE_EEEEZNS1_13binary_searchIS3_S5_PySG_SI_NS1_21lower_bound_search_opENS9_16wrapped_functionINS8_6system6detail7generic6detail18binary_search_lessEbEEEE10hipError_tPvRmT1_T2_T3_mmT4_T5_P12ihipStream_tbEUlRKyE_EEST_SX_SY_mSZ_S12_bEUlT_E_NS1_11comp_targetILNS1_3genE3ELNS1_11target_archE908ELNS1_3gpuE7ELNS1_3repE0EEENS1_30default_config_static_selectorELNS0_4arch9wavefront6targetE0EEEvSW_
		.amdhsa_group_segment_fixed_size 0
		.amdhsa_private_segment_fixed_size 0
		.amdhsa_kernarg_size 56
		.amdhsa_user_sgpr_count 6
		.amdhsa_user_sgpr_private_segment_buffer 1
		.amdhsa_user_sgpr_dispatch_ptr 0
		.amdhsa_user_sgpr_queue_ptr 0
		.amdhsa_user_sgpr_kernarg_segment_ptr 1
		.amdhsa_user_sgpr_dispatch_id 0
		.amdhsa_user_sgpr_flat_scratch_init 0
		.amdhsa_user_sgpr_private_segment_size 0
		.amdhsa_wavefront_size32 1
		.amdhsa_uses_dynamic_stack 0
		.amdhsa_system_sgpr_private_segment_wavefront_offset 0
		.amdhsa_system_sgpr_workgroup_id_x 1
		.amdhsa_system_sgpr_workgroup_id_y 0
		.amdhsa_system_sgpr_workgroup_id_z 0
		.amdhsa_system_sgpr_workgroup_info 0
		.amdhsa_system_vgpr_workitem_id 0
		.amdhsa_next_free_vgpr 1
		.amdhsa_next_free_sgpr 1
		.amdhsa_reserve_vcc 0
		.amdhsa_reserve_flat_scratch 0
		.amdhsa_float_round_mode_32 0
		.amdhsa_float_round_mode_16_64 0
		.amdhsa_float_denorm_mode_32 3
		.amdhsa_float_denorm_mode_16_64 3
		.amdhsa_dx10_clamp 1
		.amdhsa_ieee_mode 1
		.amdhsa_fp16_overflow 0
		.amdhsa_workgroup_processor_mode 1
		.amdhsa_memory_ordered 1
		.amdhsa_forward_progress 1
		.amdhsa_shared_vgpr_count 0
		.amdhsa_exception_fp_ieee_invalid_op 0
		.amdhsa_exception_fp_denorm_src 0
		.amdhsa_exception_fp_ieee_div_zero 0
		.amdhsa_exception_fp_ieee_overflow 0
		.amdhsa_exception_fp_ieee_underflow 0
		.amdhsa_exception_fp_ieee_inexact 0
		.amdhsa_exception_int_div_zero 0
	.end_amdhsa_kernel
	.section	.text._ZN7rocprim17ROCPRIM_400000_NS6detail17trampoline_kernelINS0_14default_configENS1_27lower_bound_config_selectorIylEEZNS1_14transform_implILb0ES3_S5_N6thrust23THRUST_200600_302600_NS6detail15normal_iteratorINS8_7pointerIyNS8_11hip_rocprim5par_tENS8_11use_defaultESE_EEEENSA_INSB_IlSD_SE_SE_EEEEZNS1_13binary_searchIS3_S5_PySG_SI_NS1_21lower_bound_search_opENS9_16wrapped_functionINS8_6system6detail7generic6detail18binary_search_lessEbEEEE10hipError_tPvRmT1_T2_T3_mmT4_T5_P12ihipStream_tbEUlRKyE_EEST_SX_SY_mSZ_S12_bEUlT_E_NS1_11comp_targetILNS1_3genE3ELNS1_11target_archE908ELNS1_3gpuE7ELNS1_3repE0EEENS1_30default_config_static_selectorELNS0_4arch9wavefront6targetE0EEEvSW_,"axG",@progbits,_ZN7rocprim17ROCPRIM_400000_NS6detail17trampoline_kernelINS0_14default_configENS1_27lower_bound_config_selectorIylEEZNS1_14transform_implILb0ES3_S5_N6thrust23THRUST_200600_302600_NS6detail15normal_iteratorINS8_7pointerIyNS8_11hip_rocprim5par_tENS8_11use_defaultESE_EEEENSA_INSB_IlSD_SE_SE_EEEEZNS1_13binary_searchIS3_S5_PySG_SI_NS1_21lower_bound_search_opENS9_16wrapped_functionINS8_6system6detail7generic6detail18binary_search_lessEbEEEE10hipError_tPvRmT1_T2_T3_mmT4_T5_P12ihipStream_tbEUlRKyE_EEST_SX_SY_mSZ_S12_bEUlT_E_NS1_11comp_targetILNS1_3genE3ELNS1_11target_archE908ELNS1_3gpuE7ELNS1_3repE0EEENS1_30default_config_static_selectorELNS0_4arch9wavefront6targetE0EEEvSW_,comdat
.Lfunc_end56:
	.size	_ZN7rocprim17ROCPRIM_400000_NS6detail17trampoline_kernelINS0_14default_configENS1_27lower_bound_config_selectorIylEEZNS1_14transform_implILb0ES3_S5_N6thrust23THRUST_200600_302600_NS6detail15normal_iteratorINS8_7pointerIyNS8_11hip_rocprim5par_tENS8_11use_defaultESE_EEEENSA_INSB_IlSD_SE_SE_EEEEZNS1_13binary_searchIS3_S5_PySG_SI_NS1_21lower_bound_search_opENS9_16wrapped_functionINS8_6system6detail7generic6detail18binary_search_lessEbEEEE10hipError_tPvRmT1_T2_T3_mmT4_T5_P12ihipStream_tbEUlRKyE_EEST_SX_SY_mSZ_S12_bEUlT_E_NS1_11comp_targetILNS1_3genE3ELNS1_11target_archE908ELNS1_3gpuE7ELNS1_3repE0EEENS1_30default_config_static_selectorELNS0_4arch9wavefront6targetE0EEEvSW_, .Lfunc_end56-_ZN7rocprim17ROCPRIM_400000_NS6detail17trampoline_kernelINS0_14default_configENS1_27lower_bound_config_selectorIylEEZNS1_14transform_implILb0ES3_S5_N6thrust23THRUST_200600_302600_NS6detail15normal_iteratorINS8_7pointerIyNS8_11hip_rocprim5par_tENS8_11use_defaultESE_EEEENSA_INSB_IlSD_SE_SE_EEEEZNS1_13binary_searchIS3_S5_PySG_SI_NS1_21lower_bound_search_opENS9_16wrapped_functionINS8_6system6detail7generic6detail18binary_search_lessEbEEEE10hipError_tPvRmT1_T2_T3_mmT4_T5_P12ihipStream_tbEUlRKyE_EEST_SX_SY_mSZ_S12_bEUlT_E_NS1_11comp_targetILNS1_3genE3ELNS1_11target_archE908ELNS1_3gpuE7ELNS1_3repE0EEENS1_30default_config_static_selectorELNS0_4arch9wavefront6targetE0EEEvSW_
                                        ; -- End function
	.set _ZN7rocprim17ROCPRIM_400000_NS6detail17trampoline_kernelINS0_14default_configENS1_27lower_bound_config_selectorIylEEZNS1_14transform_implILb0ES3_S5_N6thrust23THRUST_200600_302600_NS6detail15normal_iteratorINS8_7pointerIyNS8_11hip_rocprim5par_tENS8_11use_defaultESE_EEEENSA_INSB_IlSD_SE_SE_EEEEZNS1_13binary_searchIS3_S5_PySG_SI_NS1_21lower_bound_search_opENS9_16wrapped_functionINS8_6system6detail7generic6detail18binary_search_lessEbEEEE10hipError_tPvRmT1_T2_T3_mmT4_T5_P12ihipStream_tbEUlRKyE_EEST_SX_SY_mSZ_S12_bEUlT_E_NS1_11comp_targetILNS1_3genE3ELNS1_11target_archE908ELNS1_3gpuE7ELNS1_3repE0EEENS1_30default_config_static_selectorELNS0_4arch9wavefront6targetE0EEEvSW_.num_vgpr, 0
	.set _ZN7rocprim17ROCPRIM_400000_NS6detail17trampoline_kernelINS0_14default_configENS1_27lower_bound_config_selectorIylEEZNS1_14transform_implILb0ES3_S5_N6thrust23THRUST_200600_302600_NS6detail15normal_iteratorINS8_7pointerIyNS8_11hip_rocprim5par_tENS8_11use_defaultESE_EEEENSA_INSB_IlSD_SE_SE_EEEEZNS1_13binary_searchIS3_S5_PySG_SI_NS1_21lower_bound_search_opENS9_16wrapped_functionINS8_6system6detail7generic6detail18binary_search_lessEbEEEE10hipError_tPvRmT1_T2_T3_mmT4_T5_P12ihipStream_tbEUlRKyE_EEST_SX_SY_mSZ_S12_bEUlT_E_NS1_11comp_targetILNS1_3genE3ELNS1_11target_archE908ELNS1_3gpuE7ELNS1_3repE0EEENS1_30default_config_static_selectorELNS0_4arch9wavefront6targetE0EEEvSW_.num_agpr, 0
	.set _ZN7rocprim17ROCPRIM_400000_NS6detail17trampoline_kernelINS0_14default_configENS1_27lower_bound_config_selectorIylEEZNS1_14transform_implILb0ES3_S5_N6thrust23THRUST_200600_302600_NS6detail15normal_iteratorINS8_7pointerIyNS8_11hip_rocprim5par_tENS8_11use_defaultESE_EEEENSA_INSB_IlSD_SE_SE_EEEEZNS1_13binary_searchIS3_S5_PySG_SI_NS1_21lower_bound_search_opENS9_16wrapped_functionINS8_6system6detail7generic6detail18binary_search_lessEbEEEE10hipError_tPvRmT1_T2_T3_mmT4_T5_P12ihipStream_tbEUlRKyE_EEST_SX_SY_mSZ_S12_bEUlT_E_NS1_11comp_targetILNS1_3genE3ELNS1_11target_archE908ELNS1_3gpuE7ELNS1_3repE0EEENS1_30default_config_static_selectorELNS0_4arch9wavefront6targetE0EEEvSW_.numbered_sgpr, 0
	.set _ZN7rocprim17ROCPRIM_400000_NS6detail17trampoline_kernelINS0_14default_configENS1_27lower_bound_config_selectorIylEEZNS1_14transform_implILb0ES3_S5_N6thrust23THRUST_200600_302600_NS6detail15normal_iteratorINS8_7pointerIyNS8_11hip_rocprim5par_tENS8_11use_defaultESE_EEEENSA_INSB_IlSD_SE_SE_EEEEZNS1_13binary_searchIS3_S5_PySG_SI_NS1_21lower_bound_search_opENS9_16wrapped_functionINS8_6system6detail7generic6detail18binary_search_lessEbEEEE10hipError_tPvRmT1_T2_T3_mmT4_T5_P12ihipStream_tbEUlRKyE_EEST_SX_SY_mSZ_S12_bEUlT_E_NS1_11comp_targetILNS1_3genE3ELNS1_11target_archE908ELNS1_3gpuE7ELNS1_3repE0EEENS1_30default_config_static_selectorELNS0_4arch9wavefront6targetE0EEEvSW_.num_named_barrier, 0
	.set _ZN7rocprim17ROCPRIM_400000_NS6detail17trampoline_kernelINS0_14default_configENS1_27lower_bound_config_selectorIylEEZNS1_14transform_implILb0ES3_S5_N6thrust23THRUST_200600_302600_NS6detail15normal_iteratorINS8_7pointerIyNS8_11hip_rocprim5par_tENS8_11use_defaultESE_EEEENSA_INSB_IlSD_SE_SE_EEEEZNS1_13binary_searchIS3_S5_PySG_SI_NS1_21lower_bound_search_opENS9_16wrapped_functionINS8_6system6detail7generic6detail18binary_search_lessEbEEEE10hipError_tPvRmT1_T2_T3_mmT4_T5_P12ihipStream_tbEUlRKyE_EEST_SX_SY_mSZ_S12_bEUlT_E_NS1_11comp_targetILNS1_3genE3ELNS1_11target_archE908ELNS1_3gpuE7ELNS1_3repE0EEENS1_30default_config_static_selectorELNS0_4arch9wavefront6targetE0EEEvSW_.private_seg_size, 0
	.set _ZN7rocprim17ROCPRIM_400000_NS6detail17trampoline_kernelINS0_14default_configENS1_27lower_bound_config_selectorIylEEZNS1_14transform_implILb0ES3_S5_N6thrust23THRUST_200600_302600_NS6detail15normal_iteratorINS8_7pointerIyNS8_11hip_rocprim5par_tENS8_11use_defaultESE_EEEENSA_INSB_IlSD_SE_SE_EEEEZNS1_13binary_searchIS3_S5_PySG_SI_NS1_21lower_bound_search_opENS9_16wrapped_functionINS8_6system6detail7generic6detail18binary_search_lessEbEEEE10hipError_tPvRmT1_T2_T3_mmT4_T5_P12ihipStream_tbEUlRKyE_EEST_SX_SY_mSZ_S12_bEUlT_E_NS1_11comp_targetILNS1_3genE3ELNS1_11target_archE908ELNS1_3gpuE7ELNS1_3repE0EEENS1_30default_config_static_selectorELNS0_4arch9wavefront6targetE0EEEvSW_.uses_vcc, 0
	.set _ZN7rocprim17ROCPRIM_400000_NS6detail17trampoline_kernelINS0_14default_configENS1_27lower_bound_config_selectorIylEEZNS1_14transform_implILb0ES3_S5_N6thrust23THRUST_200600_302600_NS6detail15normal_iteratorINS8_7pointerIyNS8_11hip_rocprim5par_tENS8_11use_defaultESE_EEEENSA_INSB_IlSD_SE_SE_EEEEZNS1_13binary_searchIS3_S5_PySG_SI_NS1_21lower_bound_search_opENS9_16wrapped_functionINS8_6system6detail7generic6detail18binary_search_lessEbEEEE10hipError_tPvRmT1_T2_T3_mmT4_T5_P12ihipStream_tbEUlRKyE_EEST_SX_SY_mSZ_S12_bEUlT_E_NS1_11comp_targetILNS1_3genE3ELNS1_11target_archE908ELNS1_3gpuE7ELNS1_3repE0EEENS1_30default_config_static_selectorELNS0_4arch9wavefront6targetE0EEEvSW_.uses_flat_scratch, 0
	.set _ZN7rocprim17ROCPRIM_400000_NS6detail17trampoline_kernelINS0_14default_configENS1_27lower_bound_config_selectorIylEEZNS1_14transform_implILb0ES3_S5_N6thrust23THRUST_200600_302600_NS6detail15normal_iteratorINS8_7pointerIyNS8_11hip_rocprim5par_tENS8_11use_defaultESE_EEEENSA_INSB_IlSD_SE_SE_EEEEZNS1_13binary_searchIS3_S5_PySG_SI_NS1_21lower_bound_search_opENS9_16wrapped_functionINS8_6system6detail7generic6detail18binary_search_lessEbEEEE10hipError_tPvRmT1_T2_T3_mmT4_T5_P12ihipStream_tbEUlRKyE_EEST_SX_SY_mSZ_S12_bEUlT_E_NS1_11comp_targetILNS1_3genE3ELNS1_11target_archE908ELNS1_3gpuE7ELNS1_3repE0EEENS1_30default_config_static_selectorELNS0_4arch9wavefront6targetE0EEEvSW_.has_dyn_sized_stack, 0
	.set _ZN7rocprim17ROCPRIM_400000_NS6detail17trampoline_kernelINS0_14default_configENS1_27lower_bound_config_selectorIylEEZNS1_14transform_implILb0ES3_S5_N6thrust23THRUST_200600_302600_NS6detail15normal_iteratorINS8_7pointerIyNS8_11hip_rocprim5par_tENS8_11use_defaultESE_EEEENSA_INSB_IlSD_SE_SE_EEEEZNS1_13binary_searchIS3_S5_PySG_SI_NS1_21lower_bound_search_opENS9_16wrapped_functionINS8_6system6detail7generic6detail18binary_search_lessEbEEEE10hipError_tPvRmT1_T2_T3_mmT4_T5_P12ihipStream_tbEUlRKyE_EEST_SX_SY_mSZ_S12_bEUlT_E_NS1_11comp_targetILNS1_3genE3ELNS1_11target_archE908ELNS1_3gpuE7ELNS1_3repE0EEENS1_30default_config_static_selectorELNS0_4arch9wavefront6targetE0EEEvSW_.has_recursion, 0
	.set _ZN7rocprim17ROCPRIM_400000_NS6detail17trampoline_kernelINS0_14default_configENS1_27lower_bound_config_selectorIylEEZNS1_14transform_implILb0ES3_S5_N6thrust23THRUST_200600_302600_NS6detail15normal_iteratorINS8_7pointerIyNS8_11hip_rocprim5par_tENS8_11use_defaultESE_EEEENSA_INSB_IlSD_SE_SE_EEEEZNS1_13binary_searchIS3_S5_PySG_SI_NS1_21lower_bound_search_opENS9_16wrapped_functionINS8_6system6detail7generic6detail18binary_search_lessEbEEEE10hipError_tPvRmT1_T2_T3_mmT4_T5_P12ihipStream_tbEUlRKyE_EEST_SX_SY_mSZ_S12_bEUlT_E_NS1_11comp_targetILNS1_3genE3ELNS1_11target_archE908ELNS1_3gpuE7ELNS1_3repE0EEENS1_30default_config_static_selectorELNS0_4arch9wavefront6targetE0EEEvSW_.has_indirect_call, 0
	.section	.AMDGPU.csdata,"",@progbits
; Kernel info:
; codeLenInByte = 0
; TotalNumSgprs: 0
; NumVgprs: 0
; ScratchSize: 0
; MemoryBound: 0
; FloatMode: 240
; IeeeMode: 1
; LDSByteSize: 0 bytes/workgroup (compile time only)
; SGPRBlocks: 0
; VGPRBlocks: 0
; NumSGPRsForWavesPerEU: 1
; NumVGPRsForWavesPerEU: 1
; Occupancy: 16
; WaveLimiterHint : 0
; COMPUTE_PGM_RSRC2:SCRATCH_EN: 0
; COMPUTE_PGM_RSRC2:USER_SGPR: 6
; COMPUTE_PGM_RSRC2:TRAP_HANDLER: 0
; COMPUTE_PGM_RSRC2:TGID_X_EN: 1
; COMPUTE_PGM_RSRC2:TGID_Y_EN: 0
; COMPUTE_PGM_RSRC2:TGID_Z_EN: 0
; COMPUTE_PGM_RSRC2:TIDIG_COMP_CNT: 0
	.section	.text._ZN7rocprim17ROCPRIM_400000_NS6detail17trampoline_kernelINS0_14default_configENS1_27lower_bound_config_selectorIylEEZNS1_14transform_implILb0ES3_S5_N6thrust23THRUST_200600_302600_NS6detail15normal_iteratorINS8_7pointerIyNS8_11hip_rocprim5par_tENS8_11use_defaultESE_EEEENSA_INSB_IlSD_SE_SE_EEEEZNS1_13binary_searchIS3_S5_PySG_SI_NS1_21lower_bound_search_opENS9_16wrapped_functionINS8_6system6detail7generic6detail18binary_search_lessEbEEEE10hipError_tPvRmT1_T2_T3_mmT4_T5_P12ihipStream_tbEUlRKyE_EEST_SX_SY_mSZ_S12_bEUlT_E_NS1_11comp_targetILNS1_3genE2ELNS1_11target_archE906ELNS1_3gpuE6ELNS1_3repE0EEENS1_30default_config_static_selectorELNS0_4arch9wavefront6targetE0EEEvSW_,"axG",@progbits,_ZN7rocprim17ROCPRIM_400000_NS6detail17trampoline_kernelINS0_14default_configENS1_27lower_bound_config_selectorIylEEZNS1_14transform_implILb0ES3_S5_N6thrust23THRUST_200600_302600_NS6detail15normal_iteratorINS8_7pointerIyNS8_11hip_rocprim5par_tENS8_11use_defaultESE_EEEENSA_INSB_IlSD_SE_SE_EEEEZNS1_13binary_searchIS3_S5_PySG_SI_NS1_21lower_bound_search_opENS9_16wrapped_functionINS8_6system6detail7generic6detail18binary_search_lessEbEEEE10hipError_tPvRmT1_T2_T3_mmT4_T5_P12ihipStream_tbEUlRKyE_EEST_SX_SY_mSZ_S12_bEUlT_E_NS1_11comp_targetILNS1_3genE2ELNS1_11target_archE906ELNS1_3gpuE6ELNS1_3repE0EEENS1_30default_config_static_selectorELNS0_4arch9wavefront6targetE0EEEvSW_,comdat
	.protected	_ZN7rocprim17ROCPRIM_400000_NS6detail17trampoline_kernelINS0_14default_configENS1_27lower_bound_config_selectorIylEEZNS1_14transform_implILb0ES3_S5_N6thrust23THRUST_200600_302600_NS6detail15normal_iteratorINS8_7pointerIyNS8_11hip_rocprim5par_tENS8_11use_defaultESE_EEEENSA_INSB_IlSD_SE_SE_EEEEZNS1_13binary_searchIS3_S5_PySG_SI_NS1_21lower_bound_search_opENS9_16wrapped_functionINS8_6system6detail7generic6detail18binary_search_lessEbEEEE10hipError_tPvRmT1_T2_T3_mmT4_T5_P12ihipStream_tbEUlRKyE_EEST_SX_SY_mSZ_S12_bEUlT_E_NS1_11comp_targetILNS1_3genE2ELNS1_11target_archE906ELNS1_3gpuE6ELNS1_3repE0EEENS1_30default_config_static_selectorELNS0_4arch9wavefront6targetE0EEEvSW_ ; -- Begin function _ZN7rocprim17ROCPRIM_400000_NS6detail17trampoline_kernelINS0_14default_configENS1_27lower_bound_config_selectorIylEEZNS1_14transform_implILb0ES3_S5_N6thrust23THRUST_200600_302600_NS6detail15normal_iteratorINS8_7pointerIyNS8_11hip_rocprim5par_tENS8_11use_defaultESE_EEEENSA_INSB_IlSD_SE_SE_EEEEZNS1_13binary_searchIS3_S5_PySG_SI_NS1_21lower_bound_search_opENS9_16wrapped_functionINS8_6system6detail7generic6detail18binary_search_lessEbEEEE10hipError_tPvRmT1_T2_T3_mmT4_T5_P12ihipStream_tbEUlRKyE_EEST_SX_SY_mSZ_S12_bEUlT_E_NS1_11comp_targetILNS1_3genE2ELNS1_11target_archE906ELNS1_3gpuE6ELNS1_3repE0EEENS1_30default_config_static_selectorELNS0_4arch9wavefront6targetE0EEEvSW_
	.globl	_ZN7rocprim17ROCPRIM_400000_NS6detail17trampoline_kernelINS0_14default_configENS1_27lower_bound_config_selectorIylEEZNS1_14transform_implILb0ES3_S5_N6thrust23THRUST_200600_302600_NS6detail15normal_iteratorINS8_7pointerIyNS8_11hip_rocprim5par_tENS8_11use_defaultESE_EEEENSA_INSB_IlSD_SE_SE_EEEEZNS1_13binary_searchIS3_S5_PySG_SI_NS1_21lower_bound_search_opENS9_16wrapped_functionINS8_6system6detail7generic6detail18binary_search_lessEbEEEE10hipError_tPvRmT1_T2_T3_mmT4_T5_P12ihipStream_tbEUlRKyE_EEST_SX_SY_mSZ_S12_bEUlT_E_NS1_11comp_targetILNS1_3genE2ELNS1_11target_archE906ELNS1_3gpuE6ELNS1_3repE0EEENS1_30default_config_static_selectorELNS0_4arch9wavefront6targetE0EEEvSW_
	.p2align	8
	.type	_ZN7rocprim17ROCPRIM_400000_NS6detail17trampoline_kernelINS0_14default_configENS1_27lower_bound_config_selectorIylEEZNS1_14transform_implILb0ES3_S5_N6thrust23THRUST_200600_302600_NS6detail15normal_iteratorINS8_7pointerIyNS8_11hip_rocprim5par_tENS8_11use_defaultESE_EEEENSA_INSB_IlSD_SE_SE_EEEEZNS1_13binary_searchIS3_S5_PySG_SI_NS1_21lower_bound_search_opENS9_16wrapped_functionINS8_6system6detail7generic6detail18binary_search_lessEbEEEE10hipError_tPvRmT1_T2_T3_mmT4_T5_P12ihipStream_tbEUlRKyE_EEST_SX_SY_mSZ_S12_bEUlT_E_NS1_11comp_targetILNS1_3genE2ELNS1_11target_archE906ELNS1_3gpuE6ELNS1_3repE0EEENS1_30default_config_static_selectorELNS0_4arch9wavefront6targetE0EEEvSW_,@function
_ZN7rocprim17ROCPRIM_400000_NS6detail17trampoline_kernelINS0_14default_configENS1_27lower_bound_config_selectorIylEEZNS1_14transform_implILb0ES3_S5_N6thrust23THRUST_200600_302600_NS6detail15normal_iteratorINS8_7pointerIyNS8_11hip_rocprim5par_tENS8_11use_defaultESE_EEEENSA_INSB_IlSD_SE_SE_EEEEZNS1_13binary_searchIS3_S5_PySG_SI_NS1_21lower_bound_search_opENS9_16wrapped_functionINS8_6system6detail7generic6detail18binary_search_lessEbEEEE10hipError_tPvRmT1_T2_T3_mmT4_T5_P12ihipStream_tbEUlRKyE_EEST_SX_SY_mSZ_S12_bEUlT_E_NS1_11comp_targetILNS1_3genE2ELNS1_11target_archE906ELNS1_3gpuE6ELNS1_3repE0EEENS1_30default_config_static_selectorELNS0_4arch9wavefront6targetE0EEEvSW_: ; @_ZN7rocprim17ROCPRIM_400000_NS6detail17trampoline_kernelINS0_14default_configENS1_27lower_bound_config_selectorIylEEZNS1_14transform_implILb0ES3_S5_N6thrust23THRUST_200600_302600_NS6detail15normal_iteratorINS8_7pointerIyNS8_11hip_rocprim5par_tENS8_11use_defaultESE_EEEENSA_INSB_IlSD_SE_SE_EEEEZNS1_13binary_searchIS3_S5_PySG_SI_NS1_21lower_bound_search_opENS9_16wrapped_functionINS8_6system6detail7generic6detail18binary_search_lessEbEEEE10hipError_tPvRmT1_T2_T3_mmT4_T5_P12ihipStream_tbEUlRKyE_EEST_SX_SY_mSZ_S12_bEUlT_E_NS1_11comp_targetILNS1_3genE2ELNS1_11target_archE906ELNS1_3gpuE6ELNS1_3repE0EEENS1_30default_config_static_selectorELNS0_4arch9wavefront6targetE0EEEvSW_
; %bb.0:
	.section	.rodata,"a",@progbits
	.p2align	6, 0x0
	.amdhsa_kernel _ZN7rocprim17ROCPRIM_400000_NS6detail17trampoline_kernelINS0_14default_configENS1_27lower_bound_config_selectorIylEEZNS1_14transform_implILb0ES3_S5_N6thrust23THRUST_200600_302600_NS6detail15normal_iteratorINS8_7pointerIyNS8_11hip_rocprim5par_tENS8_11use_defaultESE_EEEENSA_INSB_IlSD_SE_SE_EEEEZNS1_13binary_searchIS3_S5_PySG_SI_NS1_21lower_bound_search_opENS9_16wrapped_functionINS8_6system6detail7generic6detail18binary_search_lessEbEEEE10hipError_tPvRmT1_T2_T3_mmT4_T5_P12ihipStream_tbEUlRKyE_EEST_SX_SY_mSZ_S12_bEUlT_E_NS1_11comp_targetILNS1_3genE2ELNS1_11target_archE906ELNS1_3gpuE6ELNS1_3repE0EEENS1_30default_config_static_selectorELNS0_4arch9wavefront6targetE0EEEvSW_
		.amdhsa_group_segment_fixed_size 0
		.amdhsa_private_segment_fixed_size 0
		.amdhsa_kernarg_size 56
		.amdhsa_user_sgpr_count 6
		.amdhsa_user_sgpr_private_segment_buffer 1
		.amdhsa_user_sgpr_dispatch_ptr 0
		.amdhsa_user_sgpr_queue_ptr 0
		.amdhsa_user_sgpr_kernarg_segment_ptr 1
		.amdhsa_user_sgpr_dispatch_id 0
		.amdhsa_user_sgpr_flat_scratch_init 0
		.amdhsa_user_sgpr_private_segment_size 0
		.amdhsa_wavefront_size32 1
		.amdhsa_uses_dynamic_stack 0
		.amdhsa_system_sgpr_private_segment_wavefront_offset 0
		.amdhsa_system_sgpr_workgroup_id_x 1
		.amdhsa_system_sgpr_workgroup_id_y 0
		.amdhsa_system_sgpr_workgroup_id_z 0
		.amdhsa_system_sgpr_workgroup_info 0
		.amdhsa_system_vgpr_workitem_id 0
		.amdhsa_next_free_vgpr 1
		.amdhsa_next_free_sgpr 1
		.amdhsa_reserve_vcc 0
		.amdhsa_reserve_flat_scratch 0
		.amdhsa_float_round_mode_32 0
		.amdhsa_float_round_mode_16_64 0
		.amdhsa_float_denorm_mode_32 3
		.amdhsa_float_denorm_mode_16_64 3
		.amdhsa_dx10_clamp 1
		.amdhsa_ieee_mode 1
		.amdhsa_fp16_overflow 0
		.amdhsa_workgroup_processor_mode 1
		.amdhsa_memory_ordered 1
		.amdhsa_forward_progress 1
		.amdhsa_shared_vgpr_count 0
		.amdhsa_exception_fp_ieee_invalid_op 0
		.amdhsa_exception_fp_denorm_src 0
		.amdhsa_exception_fp_ieee_div_zero 0
		.amdhsa_exception_fp_ieee_overflow 0
		.amdhsa_exception_fp_ieee_underflow 0
		.amdhsa_exception_fp_ieee_inexact 0
		.amdhsa_exception_int_div_zero 0
	.end_amdhsa_kernel
	.section	.text._ZN7rocprim17ROCPRIM_400000_NS6detail17trampoline_kernelINS0_14default_configENS1_27lower_bound_config_selectorIylEEZNS1_14transform_implILb0ES3_S5_N6thrust23THRUST_200600_302600_NS6detail15normal_iteratorINS8_7pointerIyNS8_11hip_rocprim5par_tENS8_11use_defaultESE_EEEENSA_INSB_IlSD_SE_SE_EEEEZNS1_13binary_searchIS3_S5_PySG_SI_NS1_21lower_bound_search_opENS9_16wrapped_functionINS8_6system6detail7generic6detail18binary_search_lessEbEEEE10hipError_tPvRmT1_T2_T3_mmT4_T5_P12ihipStream_tbEUlRKyE_EEST_SX_SY_mSZ_S12_bEUlT_E_NS1_11comp_targetILNS1_3genE2ELNS1_11target_archE906ELNS1_3gpuE6ELNS1_3repE0EEENS1_30default_config_static_selectorELNS0_4arch9wavefront6targetE0EEEvSW_,"axG",@progbits,_ZN7rocprim17ROCPRIM_400000_NS6detail17trampoline_kernelINS0_14default_configENS1_27lower_bound_config_selectorIylEEZNS1_14transform_implILb0ES3_S5_N6thrust23THRUST_200600_302600_NS6detail15normal_iteratorINS8_7pointerIyNS8_11hip_rocprim5par_tENS8_11use_defaultESE_EEEENSA_INSB_IlSD_SE_SE_EEEEZNS1_13binary_searchIS3_S5_PySG_SI_NS1_21lower_bound_search_opENS9_16wrapped_functionINS8_6system6detail7generic6detail18binary_search_lessEbEEEE10hipError_tPvRmT1_T2_T3_mmT4_T5_P12ihipStream_tbEUlRKyE_EEST_SX_SY_mSZ_S12_bEUlT_E_NS1_11comp_targetILNS1_3genE2ELNS1_11target_archE906ELNS1_3gpuE6ELNS1_3repE0EEENS1_30default_config_static_selectorELNS0_4arch9wavefront6targetE0EEEvSW_,comdat
.Lfunc_end57:
	.size	_ZN7rocprim17ROCPRIM_400000_NS6detail17trampoline_kernelINS0_14default_configENS1_27lower_bound_config_selectorIylEEZNS1_14transform_implILb0ES3_S5_N6thrust23THRUST_200600_302600_NS6detail15normal_iteratorINS8_7pointerIyNS8_11hip_rocprim5par_tENS8_11use_defaultESE_EEEENSA_INSB_IlSD_SE_SE_EEEEZNS1_13binary_searchIS3_S5_PySG_SI_NS1_21lower_bound_search_opENS9_16wrapped_functionINS8_6system6detail7generic6detail18binary_search_lessEbEEEE10hipError_tPvRmT1_T2_T3_mmT4_T5_P12ihipStream_tbEUlRKyE_EEST_SX_SY_mSZ_S12_bEUlT_E_NS1_11comp_targetILNS1_3genE2ELNS1_11target_archE906ELNS1_3gpuE6ELNS1_3repE0EEENS1_30default_config_static_selectorELNS0_4arch9wavefront6targetE0EEEvSW_, .Lfunc_end57-_ZN7rocprim17ROCPRIM_400000_NS6detail17trampoline_kernelINS0_14default_configENS1_27lower_bound_config_selectorIylEEZNS1_14transform_implILb0ES3_S5_N6thrust23THRUST_200600_302600_NS6detail15normal_iteratorINS8_7pointerIyNS8_11hip_rocprim5par_tENS8_11use_defaultESE_EEEENSA_INSB_IlSD_SE_SE_EEEEZNS1_13binary_searchIS3_S5_PySG_SI_NS1_21lower_bound_search_opENS9_16wrapped_functionINS8_6system6detail7generic6detail18binary_search_lessEbEEEE10hipError_tPvRmT1_T2_T3_mmT4_T5_P12ihipStream_tbEUlRKyE_EEST_SX_SY_mSZ_S12_bEUlT_E_NS1_11comp_targetILNS1_3genE2ELNS1_11target_archE906ELNS1_3gpuE6ELNS1_3repE0EEENS1_30default_config_static_selectorELNS0_4arch9wavefront6targetE0EEEvSW_
                                        ; -- End function
	.set _ZN7rocprim17ROCPRIM_400000_NS6detail17trampoline_kernelINS0_14default_configENS1_27lower_bound_config_selectorIylEEZNS1_14transform_implILb0ES3_S5_N6thrust23THRUST_200600_302600_NS6detail15normal_iteratorINS8_7pointerIyNS8_11hip_rocprim5par_tENS8_11use_defaultESE_EEEENSA_INSB_IlSD_SE_SE_EEEEZNS1_13binary_searchIS3_S5_PySG_SI_NS1_21lower_bound_search_opENS9_16wrapped_functionINS8_6system6detail7generic6detail18binary_search_lessEbEEEE10hipError_tPvRmT1_T2_T3_mmT4_T5_P12ihipStream_tbEUlRKyE_EEST_SX_SY_mSZ_S12_bEUlT_E_NS1_11comp_targetILNS1_3genE2ELNS1_11target_archE906ELNS1_3gpuE6ELNS1_3repE0EEENS1_30default_config_static_selectorELNS0_4arch9wavefront6targetE0EEEvSW_.num_vgpr, 0
	.set _ZN7rocprim17ROCPRIM_400000_NS6detail17trampoline_kernelINS0_14default_configENS1_27lower_bound_config_selectorIylEEZNS1_14transform_implILb0ES3_S5_N6thrust23THRUST_200600_302600_NS6detail15normal_iteratorINS8_7pointerIyNS8_11hip_rocprim5par_tENS8_11use_defaultESE_EEEENSA_INSB_IlSD_SE_SE_EEEEZNS1_13binary_searchIS3_S5_PySG_SI_NS1_21lower_bound_search_opENS9_16wrapped_functionINS8_6system6detail7generic6detail18binary_search_lessEbEEEE10hipError_tPvRmT1_T2_T3_mmT4_T5_P12ihipStream_tbEUlRKyE_EEST_SX_SY_mSZ_S12_bEUlT_E_NS1_11comp_targetILNS1_3genE2ELNS1_11target_archE906ELNS1_3gpuE6ELNS1_3repE0EEENS1_30default_config_static_selectorELNS0_4arch9wavefront6targetE0EEEvSW_.num_agpr, 0
	.set _ZN7rocprim17ROCPRIM_400000_NS6detail17trampoline_kernelINS0_14default_configENS1_27lower_bound_config_selectorIylEEZNS1_14transform_implILb0ES3_S5_N6thrust23THRUST_200600_302600_NS6detail15normal_iteratorINS8_7pointerIyNS8_11hip_rocprim5par_tENS8_11use_defaultESE_EEEENSA_INSB_IlSD_SE_SE_EEEEZNS1_13binary_searchIS3_S5_PySG_SI_NS1_21lower_bound_search_opENS9_16wrapped_functionINS8_6system6detail7generic6detail18binary_search_lessEbEEEE10hipError_tPvRmT1_T2_T3_mmT4_T5_P12ihipStream_tbEUlRKyE_EEST_SX_SY_mSZ_S12_bEUlT_E_NS1_11comp_targetILNS1_3genE2ELNS1_11target_archE906ELNS1_3gpuE6ELNS1_3repE0EEENS1_30default_config_static_selectorELNS0_4arch9wavefront6targetE0EEEvSW_.numbered_sgpr, 0
	.set _ZN7rocprim17ROCPRIM_400000_NS6detail17trampoline_kernelINS0_14default_configENS1_27lower_bound_config_selectorIylEEZNS1_14transform_implILb0ES3_S5_N6thrust23THRUST_200600_302600_NS6detail15normal_iteratorINS8_7pointerIyNS8_11hip_rocprim5par_tENS8_11use_defaultESE_EEEENSA_INSB_IlSD_SE_SE_EEEEZNS1_13binary_searchIS3_S5_PySG_SI_NS1_21lower_bound_search_opENS9_16wrapped_functionINS8_6system6detail7generic6detail18binary_search_lessEbEEEE10hipError_tPvRmT1_T2_T3_mmT4_T5_P12ihipStream_tbEUlRKyE_EEST_SX_SY_mSZ_S12_bEUlT_E_NS1_11comp_targetILNS1_3genE2ELNS1_11target_archE906ELNS1_3gpuE6ELNS1_3repE0EEENS1_30default_config_static_selectorELNS0_4arch9wavefront6targetE0EEEvSW_.num_named_barrier, 0
	.set _ZN7rocprim17ROCPRIM_400000_NS6detail17trampoline_kernelINS0_14default_configENS1_27lower_bound_config_selectorIylEEZNS1_14transform_implILb0ES3_S5_N6thrust23THRUST_200600_302600_NS6detail15normal_iteratorINS8_7pointerIyNS8_11hip_rocprim5par_tENS8_11use_defaultESE_EEEENSA_INSB_IlSD_SE_SE_EEEEZNS1_13binary_searchIS3_S5_PySG_SI_NS1_21lower_bound_search_opENS9_16wrapped_functionINS8_6system6detail7generic6detail18binary_search_lessEbEEEE10hipError_tPvRmT1_T2_T3_mmT4_T5_P12ihipStream_tbEUlRKyE_EEST_SX_SY_mSZ_S12_bEUlT_E_NS1_11comp_targetILNS1_3genE2ELNS1_11target_archE906ELNS1_3gpuE6ELNS1_3repE0EEENS1_30default_config_static_selectorELNS0_4arch9wavefront6targetE0EEEvSW_.private_seg_size, 0
	.set _ZN7rocprim17ROCPRIM_400000_NS6detail17trampoline_kernelINS0_14default_configENS1_27lower_bound_config_selectorIylEEZNS1_14transform_implILb0ES3_S5_N6thrust23THRUST_200600_302600_NS6detail15normal_iteratorINS8_7pointerIyNS8_11hip_rocprim5par_tENS8_11use_defaultESE_EEEENSA_INSB_IlSD_SE_SE_EEEEZNS1_13binary_searchIS3_S5_PySG_SI_NS1_21lower_bound_search_opENS9_16wrapped_functionINS8_6system6detail7generic6detail18binary_search_lessEbEEEE10hipError_tPvRmT1_T2_T3_mmT4_T5_P12ihipStream_tbEUlRKyE_EEST_SX_SY_mSZ_S12_bEUlT_E_NS1_11comp_targetILNS1_3genE2ELNS1_11target_archE906ELNS1_3gpuE6ELNS1_3repE0EEENS1_30default_config_static_selectorELNS0_4arch9wavefront6targetE0EEEvSW_.uses_vcc, 0
	.set _ZN7rocprim17ROCPRIM_400000_NS6detail17trampoline_kernelINS0_14default_configENS1_27lower_bound_config_selectorIylEEZNS1_14transform_implILb0ES3_S5_N6thrust23THRUST_200600_302600_NS6detail15normal_iteratorINS8_7pointerIyNS8_11hip_rocprim5par_tENS8_11use_defaultESE_EEEENSA_INSB_IlSD_SE_SE_EEEEZNS1_13binary_searchIS3_S5_PySG_SI_NS1_21lower_bound_search_opENS9_16wrapped_functionINS8_6system6detail7generic6detail18binary_search_lessEbEEEE10hipError_tPvRmT1_T2_T3_mmT4_T5_P12ihipStream_tbEUlRKyE_EEST_SX_SY_mSZ_S12_bEUlT_E_NS1_11comp_targetILNS1_3genE2ELNS1_11target_archE906ELNS1_3gpuE6ELNS1_3repE0EEENS1_30default_config_static_selectorELNS0_4arch9wavefront6targetE0EEEvSW_.uses_flat_scratch, 0
	.set _ZN7rocprim17ROCPRIM_400000_NS6detail17trampoline_kernelINS0_14default_configENS1_27lower_bound_config_selectorIylEEZNS1_14transform_implILb0ES3_S5_N6thrust23THRUST_200600_302600_NS6detail15normal_iteratorINS8_7pointerIyNS8_11hip_rocprim5par_tENS8_11use_defaultESE_EEEENSA_INSB_IlSD_SE_SE_EEEEZNS1_13binary_searchIS3_S5_PySG_SI_NS1_21lower_bound_search_opENS9_16wrapped_functionINS8_6system6detail7generic6detail18binary_search_lessEbEEEE10hipError_tPvRmT1_T2_T3_mmT4_T5_P12ihipStream_tbEUlRKyE_EEST_SX_SY_mSZ_S12_bEUlT_E_NS1_11comp_targetILNS1_3genE2ELNS1_11target_archE906ELNS1_3gpuE6ELNS1_3repE0EEENS1_30default_config_static_selectorELNS0_4arch9wavefront6targetE0EEEvSW_.has_dyn_sized_stack, 0
	.set _ZN7rocprim17ROCPRIM_400000_NS6detail17trampoline_kernelINS0_14default_configENS1_27lower_bound_config_selectorIylEEZNS1_14transform_implILb0ES3_S5_N6thrust23THRUST_200600_302600_NS6detail15normal_iteratorINS8_7pointerIyNS8_11hip_rocprim5par_tENS8_11use_defaultESE_EEEENSA_INSB_IlSD_SE_SE_EEEEZNS1_13binary_searchIS3_S5_PySG_SI_NS1_21lower_bound_search_opENS9_16wrapped_functionINS8_6system6detail7generic6detail18binary_search_lessEbEEEE10hipError_tPvRmT1_T2_T3_mmT4_T5_P12ihipStream_tbEUlRKyE_EEST_SX_SY_mSZ_S12_bEUlT_E_NS1_11comp_targetILNS1_3genE2ELNS1_11target_archE906ELNS1_3gpuE6ELNS1_3repE0EEENS1_30default_config_static_selectorELNS0_4arch9wavefront6targetE0EEEvSW_.has_recursion, 0
	.set _ZN7rocprim17ROCPRIM_400000_NS6detail17trampoline_kernelINS0_14default_configENS1_27lower_bound_config_selectorIylEEZNS1_14transform_implILb0ES3_S5_N6thrust23THRUST_200600_302600_NS6detail15normal_iteratorINS8_7pointerIyNS8_11hip_rocprim5par_tENS8_11use_defaultESE_EEEENSA_INSB_IlSD_SE_SE_EEEEZNS1_13binary_searchIS3_S5_PySG_SI_NS1_21lower_bound_search_opENS9_16wrapped_functionINS8_6system6detail7generic6detail18binary_search_lessEbEEEE10hipError_tPvRmT1_T2_T3_mmT4_T5_P12ihipStream_tbEUlRKyE_EEST_SX_SY_mSZ_S12_bEUlT_E_NS1_11comp_targetILNS1_3genE2ELNS1_11target_archE906ELNS1_3gpuE6ELNS1_3repE0EEENS1_30default_config_static_selectorELNS0_4arch9wavefront6targetE0EEEvSW_.has_indirect_call, 0
	.section	.AMDGPU.csdata,"",@progbits
; Kernel info:
; codeLenInByte = 0
; TotalNumSgprs: 0
; NumVgprs: 0
; ScratchSize: 0
; MemoryBound: 0
; FloatMode: 240
; IeeeMode: 1
; LDSByteSize: 0 bytes/workgroup (compile time only)
; SGPRBlocks: 0
; VGPRBlocks: 0
; NumSGPRsForWavesPerEU: 1
; NumVGPRsForWavesPerEU: 1
; Occupancy: 16
; WaveLimiterHint : 0
; COMPUTE_PGM_RSRC2:SCRATCH_EN: 0
; COMPUTE_PGM_RSRC2:USER_SGPR: 6
; COMPUTE_PGM_RSRC2:TRAP_HANDLER: 0
; COMPUTE_PGM_RSRC2:TGID_X_EN: 1
; COMPUTE_PGM_RSRC2:TGID_Y_EN: 0
; COMPUTE_PGM_RSRC2:TGID_Z_EN: 0
; COMPUTE_PGM_RSRC2:TIDIG_COMP_CNT: 0
	.section	.text._ZN7rocprim17ROCPRIM_400000_NS6detail17trampoline_kernelINS0_14default_configENS1_27lower_bound_config_selectorIylEEZNS1_14transform_implILb0ES3_S5_N6thrust23THRUST_200600_302600_NS6detail15normal_iteratorINS8_7pointerIyNS8_11hip_rocprim5par_tENS8_11use_defaultESE_EEEENSA_INSB_IlSD_SE_SE_EEEEZNS1_13binary_searchIS3_S5_PySG_SI_NS1_21lower_bound_search_opENS9_16wrapped_functionINS8_6system6detail7generic6detail18binary_search_lessEbEEEE10hipError_tPvRmT1_T2_T3_mmT4_T5_P12ihipStream_tbEUlRKyE_EEST_SX_SY_mSZ_S12_bEUlT_E_NS1_11comp_targetILNS1_3genE10ELNS1_11target_archE1201ELNS1_3gpuE5ELNS1_3repE0EEENS1_30default_config_static_selectorELNS0_4arch9wavefront6targetE0EEEvSW_,"axG",@progbits,_ZN7rocprim17ROCPRIM_400000_NS6detail17trampoline_kernelINS0_14default_configENS1_27lower_bound_config_selectorIylEEZNS1_14transform_implILb0ES3_S5_N6thrust23THRUST_200600_302600_NS6detail15normal_iteratorINS8_7pointerIyNS8_11hip_rocprim5par_tENS8_11use_defaultESE_EEEENSA_INSB_IlSD_SE_SE_EEEEZNS1_13binary_searchIS3_S5_PySG_SI_NS1_21lower_bound_search_opENS9_16wrapped_functionINS8_6system6detail7generic6detail18binary_search_lessEbEEEE10hipError_tPvRmT1_T2_T3_mmT4_T5_P12ihipStream_tbEUlRKyE_EEST_SX_SY_mSZ_S12_bEUlT_E_NS1_11comp_targetILNS1_3genE10ELNS1_11target_archE1201ELNS1_3gpuE5ELNS1_3repE0EEENS1_30default_config_static_selectorELNS0_4arch9wavefront6targetE0EEEvSW_,comdat
	.protected	_ZN7rocprim17ROCPRIM_400000_NS6detail17trampoline_kernelINS0_14default_configENS1_27lower_bound_config_selectorIylEEZNS1_14transform_implILb0ES3_S5_N6thrust23THRUST_200600_302600_NS6detail15normal_iteratorINS8_7pointerIyNS8_11hip_rocprim5par_tENS8_11use_defaultESE_EEEENSA_INSB_IlSD_SE_SE_EEEEZNS1_13binary_searchIS3_S5_PySG_SI_NS1_21lower_bound_search_opENS9_16wrapped_functionINS8_6system6detail7generic6detail18binary_search_lessEbEEEE10hipError_tPvRmT1_T2_T3_mmT4_T5_P12ihipStream_tbEUlRKyE_EEST_SX_SY_mSZ_S12_bEUlT_E_NS1_11comp_targetILNS1_3genE10ELNS1_11target_archE1201ELNS1_3gpuE5ELNS1_3repE0EEENS1_30default_config_static_selectorELNS0_4arch9wavefront6targetE0EEEvSW_ ; -- Begin function _ZN7rocprim17ROCPRIM_400000_NS6detail17trampoline_kernelINS0_14default_configENS1_27lower_bound_config_selectorIylEEZNS1_14transform_implILb0ES3_S5_N6thrust23THRUST_200600_302600_NS6detail15normal_iteratorINS8_7pointerIyNS8_11hip_rocprim5par_tENS8_11use_defaultESE_EEEENSA_INSB_IlSD_SE_SE_EEEEZNS1_13binary_searchIS3_S5_PySG_SI_NS1_21lower_bound_search_opENS9_16wrapped_functionINS8_6system6detail7generic6detail18binary_search_lessEbEEEE10hipError_tPvRmT1_T2_T3_mmT4_T5_P12ihipStream_tbEUlRKyE_EEST_SX_SY_mSZ_S12_bEUlT_E_NS1_11comp_targetILNS1_3genE10ELNS1_11target_archE1201ELNS1_3gpuE5ELNS1_3repE0EEENS1_30default_config_static_selectorELNS0_4arch9wavefront6targetE0EEEvSW_
	.globl	_ZN7rocprim17ROCPRIM_400000_NS6detail17trampoline_kernelINS0_14default_configENS1_27lower_bound_config_selectorIylEEZNS1_14transform_implILb0ES3_S5_N6thrust23THRUST_200600_302600_NS6detail15normal_iteratorINS8_7pointerIyNS8_11hip_rocprim5par_tENS8_11use_defaultESE_EEEENSA_INSB_IlSD_SE_SE_EEEEZNS1_13binary_searchIS3_S5_PySG_SI_NS1_21lower_bound_search_opENS9_16wrapped_functionINS8_6system6detail7generic6detail18binary_search_lessEbEEEE10hipError_tPvRmT1_T2_T3_mmT4_T5_P12ihipStream_tbEUlRKyE_EEST_SX_SY_mSZ_S12_bEUlT_E_NS1_11comp_targetILNS1_3genE10ELNS1_11target_archE1201ELNS1_3gpuE5ELNS1_3repE0EEENS1_30default_config_static_selectorELNS0_4arch9wavefront6targetE0EEEvSW_
	.p2align	8
	.type	_ZN7rocprim17ROCPRIM_400000_NS6detail17trampoline_kernelINS0_14default_configENS1_27lower_bound_config_selectorIylEEZNS1_14transform_implILb0ES3_S5_N6thrust23THRUST_200600_302600_NS6detail15normal_iteratorINS8_7pointerIyNS8_11hip_rocprim5par_tENS8_11use_defaultESE_EEEENSA_INSB_IlSD_SE_SE_EEEEZNS1_13binary_searchIS3_S5_PySG_SI_NS1_21lower_bound_search_opENS9_16wrapped_functionINS8_6system6detail7generic6detail18binary_search_lessEbEEEE10hipError_tPvRmT1_T2_T3_mmT4_T5_P12ihipStream_tbEUlRKyE_EEST_SX_SY_mSZ_S12_bEUlT_E_NS1_11comp_targetILNS1_3genE10ELNS1_11target_archE1201ELNS1_3gpuE5ELNS1_3repE0EEENS1_30default_config_static_selectorELNS0_4arch9wavefront6targetE0EEEvSW_,@function
_ZN7rocprim17ROCPRIM_400000_NS6detail17trampoline_kernelINS0_14default_configENS1_27lower_bound_config_selectorIylEEZNS1_14transform_implILb0ES3_S5_N6thrust23THRUST_200600_302600_NS6detail15normal_iteratorINS8_7pointerIyNS8_11hip_rocprim5par_tENS8_11use_defaultESE_EEEENSA_INSB_IlSD_SE_SE_EEEEZNS1_13binary_searchIS3_S5_PySG_SI_NS1_21lower_bound_search_opENS9_16wrapped_functionINS8_6system6detail7generic6detail18binary_search_lessEbEEEE10hipError_tPvRmT1_T2_T3_mmT4_T5_P12ihipStream_tbEUlRKyE_EEST_SX_SY_mSZ_S12_bEUlT_E_NS1_11comp_targetILNS1_3genE10ELNS1_11target_archE1201ELNS1_3gpuE5ELNS1_3repE0EEENS1_30default_config_static_selectorELNS0_4arch9wavefront6targetE0EEEvSW_: ; @_ZN7rocprim17ROCPRIM_400000_NS6detail17trampoline_kernelINS0_14default_configENS1_27lower_bound_config_selectorIylEEZNS1_14transform_implILb0ES3_S5_N6thrust23THRUST_200600_302600_NS6detail15normal_iteratorINS8_7pointerIyNS8_11hip_rocprim5par_tENS8_11use_defaultESE_EEEENSA_INSB_IlSD_SE_SE_EEEEZNS1_13binary_searchIS3_S5_PySG_SI_NS1_21lower_bound_search_opENS9_16wrapped_functionINS8_6system6detail7generic6detail18binary_search_lessEbEEEE10hipError_tPvRmT1_T2_T3_mmT4_T5_P12ihipStream_tbEUlRKyE_EEST_SX_SY_mSZ_S12_bEUlT_E_NS1_11comp_targetILNS1_3genE10ELNS1_11target_archE1201ELNS1_3gpuE5ELNS1_3repE0EEENS1_30default_config_static_selectorELNS0_4arch9wavefront6targetE0EEEvSW_
; %bb.0:
	.section	.rodata,"a",@progbits
	.p2align	6, 0x0
	.amdhsa_kernel _ZN7rocprim17ROCPRIM_400000_NS6detail17trampoline_kernelINS0_14default_configENS1_27lower_bound_config_selectorIylEEZNS1_14transform_implILb0ES3_S5_N6thrust23THRUST_200600_302600_NS6detail15normal_iteratorINS8_7pointerIyNS8_11hip_rocprim5par_tENS8_11use_defaultESE_EEEENSA_INSB_IlSD_SE_SE_EEEEZNS1_13binary_searchIS3_S5_PySG_SI_NS1_21lower_bound_search_opENS9_16wrapped_functionINS8_6system6detail7generic6detail18binary_search_lessEbEEEE10hipError_tPvRmT1_T2_T3_mmT4_T5_P12ihipStream_tbEUlRKyE_EEST_SX_SY_mSZ_S12_bEUlT_E_NS1_11comp_targetILNS1_3genE10ELNS1_11target_archE1201ELNS1_3gpuE5ELNS1_3repE0EEENS1_30default_config_static_selectorELNS0_4arch9wavefront6targetE0EEEvSW_
		.amdhsa_group_segment_fixed_size 0
		.amdhsa_private_segment_fixed_size 0
		.amdhsa_kernarg_size 56
		.amdhsa_user_sgpr_count 6
		.amdhsa_user_sgpr_private_segment_buffer 1
		.amdhsa_user_sgpr_dispatch_ptr 0
		.amdhsa_user_sgpr_queue_ptr 0
		.amdhsa_user_sgpr_kernarg_segment_ptr 1
		.amdhsa_user_sgpr_dispatch_id 0
		.amdhsa_user_sgpr_flat_scratch_init 0
		.amdhsa_user_sgpr_private_segment_size 0
		.amdhsa_wavefront_size32 1
		.amdhsa_uses_dynamic_stack 0
		.amdhsa_system_sgpr_private_segment_wavefront_offset 0
		.amdhsa_system_sgpr_workgroup_id_x 1
		.amdhsa_system_sgpr_workgroup_id_y 0
		.amdhsa_system_sgpr_workgroup_id_z 0
		.amdhsa_system_sgpr_workgroup_info 0
		.amdhsa_system_vgpr_workitem_id 0
		.amdhsa_next_free_vgpr 1
		.amdhsa_next_free_sgpr 1
		.amdhsa_reserve_vcc 0
		.amdhsa_reserve_flat_scratch 0
		.amdhsa_float_round_mode_32 0
		.amdhsa_float_round_mode_16_64 0
		.amdhsa_float_denorm_mode_32 3
		.amdhsa_float_denorm_mode_16_64 3
		.amdhsa_dx10_clamp 1
		.amdhsa_ieee_mode 1
		.amdhsa_fp16_overflow 0
		.amdhsa_workgroup_processor_mode 1
		.amdhsa_memory_ordered 1
		.amdhsa_forward_progress 1
		.amdhsa_shared_vgpr_count 0
		.amdhsa_exception_fp_ieee_invalid_op 0
		.amdhsa_exception_fp_denorm_src 0
		.amdhsa_exception_fp_ieee_div_zero 0
		.amdhsa_exception_fp_ieee_overflow 0
		.amdhsa_exception_fp_ieee_underflow 0
		.amdhsa_exception_fp_ieee_inexact 0
		.amdhsa_exception_int_div_zero 0
	.end_amdhsa_kernel
	.section	.text._ZN7rocprim17ROCPRIM_400000_NS6detail17trampoline_kernelINS0_14default_configENS1_27lower_bound_config_selectorIylEEZNS1_14transform_implILb0ES3_S5_N6thrust23THRUST_200600_302600_NS6detail15normal_iteratorINS8_7pointerIyNS8_11hip_rocprim5par_tENS8_11use_defaultESE_EEEENSA_INSB_IlSD_SE_SE_EEEEZNS1_13binary_searchIS3_S5_PySG_SI_NS1_21lower_bound_search_opENS9_16wrapped_functionINS8_6system6detail7generic6detail18binary_search_lessEbEEEE10hipError_tPvRmT1_T2_T3_mmT4_T5_P12ihipStream_tbEUlRKyE_EEST_SX_SY_mSZ_S12_bEUlT_E_NS1_11comp_targetILNS1_3genE10ELNS1_11target_archE1201ELNS1_3gpuE5ELNS1_3repE0EEENS1_30default_config_static_selectorELNS0_4arch9wavefront6targetE0EEEvSW_,"axG",@progbits,_ZN7rocprim17ROCPRIM_400000_NS6detail17trampoline_kernelINS0_14default_configENS1_27lower_bound_config_selectorIylEEZNS1_14transform_implILb0ES3_S5_N6thrust23THRUST_200600_302600_NS6detail15normal_iteratorINS8_7pointerIyNS8_11hip_rocprim5par_tENS8_11use_defaultESE_EEEENSA_INSB_IlSD_SE_SE_EEEEZNS1_13binary_searchIS3_S5_PySG_SI_NS1_21lower_bound_search_opENS9_16wrapped_functionINS8_6system6detail7generic6detail18binary_search_lessEbEEEE10hipError_tPvRmT1_T2_T3_mmT4_T5_P12ihipStream_tbEUlRKyE_EEST_SX_SY_mSZ_S12_bEUlT_E_NS1_11comp_targetILNS1_3genE10ELNS1_11target_archE1201ELNS1_3gpuE5ELNS1_3repE0EEENS1_30default_config_static_selectorELNS0_4arch9wavefront6targetE0EEEvSW_,comdat
.Lfunc_end58:
	.size	_ZN7rocprim17ROCPRIM_400000_NS6detail17trampoline_kernelINS0_14default_configENS1_27lower_bound_config_selectorIylEEZNS1_14transform_implILb0ES3_S5_N6thrust23THRUST_200600_302600_NS6detail15normal_iteratorINS8_7pointerIyNS8_11hip_rocprim5par_tENS8_11use_defaultESE_EEEENSA_INSB_IlSD_SE_SE_EEEEZNS1_13binary_searchIS3_S5_PySG_SI_NS1_21lower_bound_search_opENS9_16wrapped_functionINS8_6system6detail7generic6detail18binary_search_lessEbEEEE10hipError_tPvRmT1_T2_T3_mmT4_T5_P12ihipStream_tbEUlRKyE_EEST_SX_SY_mSZ_S12_bEUlT_E_NS1_11comp_targetILNS1_3genE10ELNS1_11target_archE1201ELNS1_3gpuE5ELNS1_3repE0EEENS1_30default_config_static_selectorELNS0_4arch9wavefront6targetE0EEEvSW_, .Lfunc_end58-_ZN7rocprim17ROCPRIM_400000_NS6detail17trampoline_kernelINS0_14default_configENS1_27lower_bound_config_selectorIylEEZNS1_14transform_implILb0ES3_S5_N6thrust23THRUST_200600_302600_NS6detail15normal_iteratorINS8_7pointerIyNS8_11hip_rocprim5par_tENS8_11use_defaultESE_EEEENSA_INSB_IlSD_SE_SE_EEEEZNS1_13binary_searchIS3_S5_PySG_SI_NS1_21lower_bound_search_opENS9_16wrapped_functionINS8_6system6detail7generic6detail18binary_search_lessEbEEEE10hipError_tPvRmT1_T2_T3_mmT4_T5_P12ihipStream_tbEUlRKyE_EEST_SX_SY_mSZ_S12_bEUlT_E_NS1_11comp_targetILNS1_3genE10ELNS1_11target_archE1201ELNS1_3gpuE5ELNS1_3repE0EEENS1_30default_config_static_selectorELNS0_4arch9wavefront6targetE0EEEvSW_
                                        ; -- End function
	.set _ZN7rocprim17ROCPRIM_400000_NS6detail17trampoline_kernelINS0_14default_configENS1_27lower_bound_config_selectorIylEEZNS1_14transform_implILb0ES3_S5_N6thrust23THRUST_200600_302600_NS6detail15normal_iteratorINS8_7pointerIyNS8_11hip_rocprim5par_tENS8_11use_defaultESE_EEEENSA_INSB_IlSD_SE_SE_EEEEZNS1_13binary_searchIS3_S5_PySG_SI_NS1_21lower_bound_search_opENS9_16wrapped_functionINS8_6system6detail7generic6detail18binary_search_lessEbEEEE10hipError_tPvRmT1_T2_T3_mmT4_T5_P12ihipStream_tbEUlRKyE_EEST_SX_SY_mSZ_S12_bEUlT_E_NS1_11comp_targetILNS1_3genE10ELNS1_11target_archE1201ELNS1_3gpuE5ELNS1_3repE0EEENS1_30default_config_static_selectorELNS0_4arch9wavefront6targetE0EEEvSW_.num_vgpr, 0
	.set _ZN7rocprim17ROCPRIM_400000_NS6detail17trampoline_kernelINS0_14default_configENS1_27lower_bound_config_selectorIylEEZNS1_14transform_implILb0ES3_S5_N6thrust23THRUST_200600_302600_NS6detail15normal_iteratorINS8_7pointerIyNS8_11hip_rocprim5par_tENS8_11use_defaultESE_EEEENSA_INSB_IlSD_SE_SE_EEEEZNS1_13binary_searchIS3_S5_PySG_SI_NS1_21lower_bound_search_opENS9_16wrapped_functionINS8_6system6detail7generic6detail18binary_search_lessEbEEEE10hipError_tPvRmT1_T2_T3_mmT4_T5_P12ihipStream_tbEUlRKyE_EEST_SX_SY_mSZ_S12_bEUlT_E_NS1_11comp_targetILNS1_3genE10ELNS1_11target_archE1201ELNS1_3gpuE5ELNS1_3repE0EEENS1_30default_config_static_selectorELNS0_4arch9wavefront6targetE0EEEvSW_.num_agpr, 0
	.set _ZN7rocprim17ROCPRIM_400000_NS6detail17trampoline_kernelINS0_14default_configENS1_27lower_bound_config_selectorIylEEZNS1_14transform_implILb0ES3_S5_N6thrust23THRUST_200600_302600_NS6detail15normal_iteratorINS8_7pointerIyNS8_11hip_rocprim5par_tENS8_11use_defaultESE_EEEENSA_INSB_IlSD_SE_SE_EEEEZNS1_13binary_searchIS3_S5_PySG_SI_NS1_21lower_bound_search_opENS9_16wrapped_functionINS8_6system6detail7generic6detail18binary_search_lessEbEEEE10hipError_tPvRmT1_T2_T3_mmT4_T5_P12ihipStream_tbEUlRKyE_EEST_SX_SY_mSZ_S12_bEUlT_E_NS1_11comp_targetILNS1_3genE10ELNS1_11target_archE1201ELNS1_3gpuE5ELNS1_3repE0EEENS1_30default_config_static_selectorELNS0_4arch9wavefront6targetE0EEEvSW_.numbered_sgpr, 0
	.set _ZN7rocprim17ROCPRIM_400000_NS6detail17trampoline_kernelINS0_14default_configENS1_27lower_bound_config_selectorIylEEZNS1_14transform_implILb0ES3_S5_N6thrust23THRUST_200600_302600_NS6detail15normal_iteratorINS8_7pointerIyNS8_11hip_rocprim5par_tENS8_11use_defaultESE_EEEENSA_INSB_IlSD_SE_SE_EEEEZNS1_13binary_searchIS3_S5_PySG_SI_NS1_21lower_bound_search_opENS9_16wrapped_functionINS8_6system6detail7generic6detail18binary_search_lessEbEEEE10hipError_tPvRmT1_T2_T3_mmT4_T5_P12ihipStream_tbEUlRKyE_EEST_SX_SY_mSZ_S12_bEUlT_E_NS1_11comp_targetILNS1_3genE10ELNS1_11target_archE1201ELNS1_3gpuE5ELNS1_3repE0EEENS1_30default_config_static_selectorELNS0_4arch9wavefront6targetE0EEEvSW_.num_named_barrier, 0
	.set _ZN7rocprim17ROCPRIM_400000_NS6detail17trampoline_kernelINS0_14default_configENS1_27lower_bound_config_selectorIylEEZNS1_14transform_implILb0ES3_S5_N6thrust23THRUST_200600_302600_NS6detail15normal_iteratorINS8_7pointerIyNS8_11hip_rocprim5par_tENS8_11use_defaultESE_EEEENSA_INSB_IlSD_SE_SE_EEEEZNS1_13binary_searchIS3_S5_PySG_SI_NS1_21lower_bound_search_opENS9_16wrapped_functionINS8_6system6detail7generic6detail18binary_search_lessEbEEEE10hipError_tPvRmT1_T2_T3_mmT4_T5_P12ihipStream_tbEUlRKyE_EEST_SX_SY_mSZ_S12_bEUlT_E_NS1_11comp_targetILNS1_3genE10ELNS1_11target_archE1201ELNS1_3gpuE5ELNS1_3repE0EEENS1_30default_config_static_selectorELNS0_4arch9wavefront6targetE0EEEvSW_.private_seg_size, 0
	.set _ZN7rocprim17ROCPRIM_400000_NS6detail17trampoline_kernelINS0_14default_configENS1_27lower_bound_config_selectorIylEEZNS1_14transform_implILb0ES3_S5_N6thrust23THRUST_200600_302600_NS6detail15normal_iteratorINS8_7pointerIyNS8_11hip_rocprim5par_tENS8_11use_defaultESE_EEEENSA_INSB_IlSD_SE_SE_EEEEZNS1_13binary_searchIS3_S5_PySG_SI_NS1_21lower_bound_search_opENS9_16wrapped_functionINS8_6system6detail7generic6detail18binary_search_lessEbEEEE10hipError_tPvRmT1_T2_T3_mmT4_T5_P12ihipStream_tbEUlRKyE_EEST_SX_SY_mSZ_S12_bEUlT_E_NS1_11comp_targetILNS1_3genE10ELNS1_11target_archE1201ELNS1_3gpuE5ELNS1_3repE0EEENS1_30default_config_static_selectorELNS0_4arch9wavefront6targetE0EEEvSW_.uses_vcc, 0
	.set _ZN7rocprim17ROCPRIM_400000_NS6detail17trampoline_kernelINS0_14default_configENS1_27lower_bound_config_selectorIylEEZNS1_14transform_implILb0ES3_S5_N6thrust23THRUST_200600_302600_NS6detail15normal_iteratorINS8_7pointerIyNS8_11hip_rocprim5par_tENS8_11use_defaultESE_EEEENSA_INSB_IlSD_SE_SE_EEEEZNS1_13binary_searchIS3_S5_PySG_SI_NS1_21lower_bound_search_opENS9_16wrapped_functionINS8_6system6detail7generic6detail18binary_search_lessEbEEEE10hipError_tPvRmT1_T2_T3_mmT4_T5_P12ihipStream_tbEUlRKyE_EEST_SX_SY_mSZ_S12_bEUlT_E_NS1_11comp_targetILNS1_3genE10ELNS1_11target_archE1201ELNS1_3gpuE5ELNS1_3repE0EEENS1_30default_config_static_selectorELNS0_4arch9wavefront6targetE0EEEvSW_.uses_flat_scratch, 0
	.set _ZN7rocprim17ROCPRIM_400000_NS6detail17trampoline_kernelINS0_14default_configENS1_27lower_bound_config_selectorIylEEZNS1_14transform_implILb0ES3_S5_N6thrust23THRUST_200600_302600_NS6detail15normal_iteratorINS8_7pointerIyNS8_11hip_rocprim5par_tENS8_11use_defaultESE_EEEENSA_INSB_IlSD_SE_SE_EEEEZNS1_13binary_searchIS3_S5_PySG_SI_NS1_21lower_bound_search_opENS9_16wrapped_functionINS8_6system6detail7generic6detail18binary_search_lessEbEEEE10hipError_tPvRmT1_T2_T3_mmT4_T5_P12ihipStream_tbEUlRKyE_EEST_SX_SY_mSZ_S12_bEUlT_E_NS1_11comp_targetILNS1_3genE10ELNS1_11target_archE1201ELNS1_3gpuE5ELNS1_3repE0EEENS1_30default_config_static_selectorELNS0_4arch9wavefront6targetE0EEEvSW_.has_dyn_sized_stack, 0
	.set _ZN7rocprim17ROCPRIM_400000_NS6detail17trampoline_kernelINS0_14default_configENS1_27lower_bound_config_selectorIylEEZNS1_14transform_implILb0ES3_S5_N6thrust23THRUST_200600_302600_NS6detail15normal_iteratorINS8_7pointerIyNS8_11hip_rocprim5par_tENS8_11use_defaultESE_EEEENSA_INSB_IlSD_SE_SE_EEEEZNS1_13binary_searchIS3_S5_PySG_SI_NS1_21lower_bound_search_opENS9_16wrapped_functionINS8_6system6detail7generic6detail18binary_search_lessEbEEEE10hipError_tPvRmT1_T2_T3_mmT4_T5_P12ihipStream_tbEUlRKyE_EEST_SX_SY_mSZ_S12_bEUlT_E_NS1_11comp_targetILNS1_3genE10ELNS1_11target_archE1201ELNS1_3gpuE5ELNS1_3repE0EEENS1_30default_config_static_selectorELNS0_4arch9wavefront6targetE0EEEvSW_.has_recursion, 0
	.set _ZN7rocprim17ROCPRIM_400000_NS6detail17trampoline_kernelINS0_14default_configENS1_27lower_bound_config_selectorIylEEZNS1_14transform_implILb0ES3_S5_N6thrust23THRUST_200600_302600_NS6detail15normal_iteratorINS8_7pointerIyNS8_11hip_rocprim5par_tENS8_11use_defaultESE_EEEENSA_INSB_IlSD_SE_SE_EEEEZNS1_13binary_searchIS3_S5_PySG_SI_NS1_21lower_bound_search_opENS9_16wrapped_functionINS8_6system6detail7generic6detail18binary_search_lessEbEEEE10hipError_tPvRmT1_T2_T3_mmT4_T5_P12ihipStream_tbEUlRKyE_EEST_SX_SY_mSZ_S12_bEUlT_E_NS1_11comp_targetILNS1_3genE10ELNS1_11target_archE1201ELNS1_3gpuE5ELNS1_3repE0EEENS1_30default_config_static_selectorELNS0_4arch9wavefront6targetE0EEEvSW_.has_indirect_call, 0
	.section	.AMDGPU.csdata,"",@progbits
; Kernel info:
; codeLenInByte = 0
; TotalNumSgprs: 0
; NumVgprs: 0
; ScratchSize: 0
; MemoryBound: 0
; FloatMode: 240
; IeeeMode: 1
; LDSByteSize: 0 bytes/workgroup (compile time only)
; SGPRBlocks: 0
; VGPRBlocks: 0
; NumSGPRsForWavesPerEU: 1
; NumVGPRsForWavesPerEU: 1
; Occupancy: 16
; WaveLimiterHint : 0
; COMPUTE_PGM_RSRC2:SCRATCH_EN: 0
; COMPUTE_PGM_RSRC2:USER_SGPR: 6
; COMPUTE_PGM_RSRC2:TRAP_HANDLER: 0
; COMPUTE_PGM_RSRC2:TGID_X_EN: 1
; COMPUTE_PGM_RSRC2:TGID_Y_EN: 0
; COMPUTE_PGM_RSRC2:TGID_Z_EN: 0
; COMPUTE_PGM_RSRC2:TIDIG_COMP_CNT: 0
	.section	.text._ZN7rocprim17ROCPRIM_400000_NS6detail17trampoline_kernelINS0_14default_configENS1_27lower_bound_config_selectorIylEEZNS1_14transform_implILb0ES3_S5_N6thrust23THRUST_200600_302600_NS6detail15normal_iteratorINS8_7pointerIyNS8_11hip_rocprim5par_tENS8_11use_defaultESE_EEEENSA_INSB_IlSD_SE_SE_EEEEZNS1_13binary_searchIS3_S5_PySG_SI_NS1_21lower_bound_search_opENS9_16wrapped_functionINS8_6system6detail7generic6detail18binary_search_lessEbEEEE10hipError_tPvRmT1_T2_T3_mmT4_T5_P12ihipStream_tbEUlRKyE_EEST_SX_SY_mSZ_S12_bEUlT_E_NS1_11comp_targetILNS1_3genE10ELNS1_11target_archE1200ELNS1_3gpuE4ELNS1_3repE0EEENS1_30default_config_static_selectorELNS0_4arch9wavefront6targetE0EEEvSW_,"axG",@progbits,_ZN7rocprim17ROCPRIM_400000_NS6detail17trampoline_kernelINS0_14default_configENS1_27lower_bound_config_selectorIylEEZNS1_14transform_implILb0ES3_S5_N6thrust23THRUST_200600_302600_NS6detail15normal_iteratorINS8_7pointerIyNS8_11hip_rocprim5par_tENS8_11use_defaultESE_EEEENSA_INSB_IlSD_SE_SE_EEEEZNS1_13binary_searchIS3_S5_PySG_SI_NS1_21lower_bound_search_opENS9_16wrapped_functionINS8_6system6detail7generic6detail18binary_search_lessEbEEEE10hipError_tPvRmT1_T2_T3_mmT4_T5_P12ihipStream_tbEUlRKyE_EEST_SX_SY_mSZ_S12_bEUlT_E_NS1_11comp_targetILNS1_3genE10ELNS1_11target_archE1200ELNS1_3gpuE4ELNS1_3repE0EEENS1_30default_config_static_selectorELNS0_4arch9wavefront6targetE0EEEvSW_,comdat
	.protected	_ZN7rocprim17ROCPRIM_400000_NS6detail17trampoline_kernelINS0_14default_configENS1_27lower_bound_config_selectorIylEEZNS1_14transform_implILb0ES3_S5_N6thrust23THRUST_200600_302600_NS6detail15normal_iteratorINS8_7pointerIyNS8_11hip_rocprim5par_tENS8_11use_defaultESE_EEEENSA_INSB_IlSD_SE_SE_EEEEZNS1_13binary_searchIS3_S5_PySG_SI_NS1_21lower_bound_search_opENS9_16wrapped_functionINS8_6system6detail7generic6detail18binary_search_lessEbEEEE10hipError_tPvRmT1_T2_T3_mmT4_T5_P12ihipStream_tbEUlRKyE_EEST_SX_SY_mSZ_S12_bEUlT_E_NS1_11comp_targetILNS1_3genE10ELNS1_11target_archE1200ELNS1_3gpuE4ELNS1_3repE0EEENS1_30default_config_static_selectorELNS0_4arch9wavefront6targetE0EEEvSW_ ; -- Begin function _ZN7rocprim17ROCPRIM_400000_NS6detail17trampoline_kernelINS0_14default_configENS1_27lower_bound_config_selectorIylEEZNS1_14transform_implILb0ES3_S5_N6thrust23THRUST_200600_302600_NS6detail15normal_iteratorINS8_7pointerIyNS8_11hip_rocprim5par_tENS8_11use_defaultESE_EEEENSA_INSB_IlSD_SE_SE_EEEEZNS1_13binary_searchIS3_S5_PySG_SI_NS1_21lower_bound_search_opENS9_16wrapped_functionINS8_6system6detail7generic6detail18binary_search_lessEbEEEE10hipError_tPvRmT1_T2_T3_mmT4_T5_P12ihipStream_tbEUlRKyE_EEST_SX_SY_mSZ_S12_bEUlT_E_NS1_11comp_targetILNS1_3genE10ELNS1_11target_archE1200ELNS1_3gpuE4ELNS1_3repE0EEENS1_30default_config_static_selectorELNS0_4arch9wavefront6targetE0EEEvSW_
	.globl	_ZN7rocprim17ROCPRIM_400000_NS6detail17trampoline_kernelINS0_14default_configENS1_27lower_bound_config_selectorIylEEZNS1_14transform_implILb0ES3_S5_N6thrust23THRUST_200600_302600_NS6detail15normal_iteratorINS8_7pointerIyNS8_11hip_rocprim5par_tENS8_11use_defaultESE_EEEENSA_INSB_IlSD_SE_SE_EEEEZNS1_13binary_searchIS3_S5_PySG_SI_NS1_21lower_bound_search_opENS9_16wrapped_functionINS8_6system6detail7generic6detail18binary_search_lessEbEEEE10hipError_tPvRmT1_T2_T3_mmT4_T5_P12ihipStream_tbEUlRKyE_EEST_SX_SY_mSZ_S12_bEUlT_E_NS1_11comp_targetILNS1_3genE10ELNS1_11target_archE1200ELNS1_3gpuE4ELNS1_3repE0EEENS1_30default_config_static_selectorELNS0_4arch9wavefront6targetE0EEEvSW_
	.p2align	8
	.type	_ZN7rocprim17ROCPRIM_400000_NS6detail17trampoline_kernelINS0_14default_configENS1_27lower_bound_config_selectorIylEEZNS1_14transform_implILb0ES3_S5_N6thrust23THRUST_200600_302600_NS6detail15normal_iteratorINS8_7pointerIyNS8_11hip_rocprim5par_tENS8_11use_defaultESE_EEEENSA_INSB_IlSD_SE_SE_EEEEZNS1_13binary_searchIS3_S5_PySG_SI_NS1_21lower_bound_search_opENS9_16wrapped_functionINS8_6system6detail7generic6detail18binary_search_lessEbEEEE10hipError_tPvRmT1_T2_T3_mmT4_T5_P12ihipStream_tbEUlRKyE_EEST_SX_SY_mSZ_S12_bEUlT_E_NS1_11comp_targetILNS1_3genE10ELNS1_11target_archE1200ELNS1_3gpuE4ELNS1_3repE0EEENS1_30default_config_static_selectorELNS0_4arch9wavefront6targetE0EEEvSW_,@function
_ZN7rocprim17ROCPRIM_400000_NS6detail17trampoline_kernelINS0_14default_configENS1_27lower_bound_config_selectorIylEEZNS1_14transform_implILb0ES3_S5_N6thrust23THRUST_200600_302600_NS6detail15normal_iteratorINS8_7pointerIyNS8_11hip_rocprim5par_tENS8_11use_defaultESE_EEEENSA_INSB_IlSD_SE_SE_EEEEZNS1_13binary_searchIS3_S5_PySG_SI_NS1_21lower_bound_search_opENS9_16wrapped_functionINS8_6system6detail7generic6detail18binary_search_lessEbEEEE10hipError_tPvRmT1_T2_T3_mmT4_T5_P12ihipStream_tbEUlRKyE_EEST_SX_SY_mSZ_S12_bEUlT_E_NS1_11comp_targetILNS1_3genE10ELNS1_11target_archE1200ELNS1_3gpuE4ELNS1_3repE0EEENS1_30default_config_static_selectorELNS0_4arch9wavefront6targetE0EEEvSW_: ; @_ZN7rocprim17ROCPRIM_400000_NS6detail17trampoline_kernelINS0_14default_configENS1_27lower_bound_config_selectorIylEEZNS1_14transform_implILb0ES3_S5_N6thrust23THRUST_200600_302600_NS6detail15normal_iteratorINS8_7pointerIyNS8_11hip_rocprim5par_tENS8_11use_defaultESE_EEEENSA_INSB_IlSD_SE_SE_EEEEZNS1_13binary_searchIS3_S5_PySG_SI_NS1_21lower_bound_search_opENS9_16wrapped_functionINS8_6system6detail7generic6detail18binary_search_lessEbEEEE10hipError_tPvRmT1_T2_T3_mmT4_T5_P12ihipStream_tbEUlRKyE_EEST_SX_SY_mSZ_S12_bEUlT_E_NS1_11comp_targetILNS1_3genE10ELNS1_11target_archE1200ELNS1_3gpuE4ELNS1_3repE0EEENS1_30default_config_static_selectorELNS0_4arch9wavefront6targetE0EEEvSW_
; %bb.0:
	.section	.rodata,"a",@progbits
	.p2align	6, 0x0
	.amdhsa_kernel _ZN7rocprim17ROCPRIM_400000_NS6detail17trampoline_kernelINS0_14default_configENS1_27lower_bound_config_selectorIylEEZNS1_14transform_implILb0ES3_S5_N6thrust23THRUST_200600_302600_NS6detail15normal_iteratorINS8_7pointerIyNS8_11hip_rocprim5par_tENS8_11use_defaultESE_EEEENSA_INSB_IlSD_SE_SE_EEEEZNS1_13binary_searchIS3_S5_PySG_SI_NS1_21lower_bound_search_opENS9_16wrapped_functionINS8_6system6detail7generic6detail18binary_search_lessEbEEEE10hipError_tPvRmT1_T2_T3_mmT4_T5_P12ihipStream_tbEUlRKyE_EEST_SX_SY_mSZ_S12_bEUlT_E_NS1_11comp_targetILNS1_3genE10ELNS1_11target_archE1200ELNS1_3gpuE4ELNS1_3repE0EEENS1_30default_config_static_selectorELNS0_4arch9wavefront6targetE0EEEvSW_
		.amdhsa_group_segment_fixed_size 0
		.amdhsa_private_segment_fixed_size 0
		.amdhsa_kernarg_size 56
		.amdhsa_user_sgpr_count 6
		.amdhsa_user_sgpr_private_segment_buffer 1
		.amdhsa_user_sgpr_dispatch_ptr 0
		.amdhsa_user_sgpr_queue_ptr 0
		.amdhsa_user_sgpr_kernarg_segment_ptr 1
		.amdhsa_user_sgpr_dispatch_id 0
		.amdhsa_user_sgpr_flat_scratch_init 0
		.amdhsa_user_sgpr_private_segment_size 0
		.amdhsa_wavefront_size32 1
		.amdhsa_uses_dynamic_stack 0
		.amdhsa_system_sgpr_private_segment_wavefront_offset 0
		.amdhsa_system_sgpr_workgroup_id_x 1
		.amdhsa_system_sgpr_workgroup_id_y 0
		.amdhsa_system_sgpr_workgroup_id_z 0
		.amdhsa_system_sgpr_workgroup_info 0
		.amdhsa_system_vgpr_workitem_id 0
		.amdhsa_next_free_vgpr 1
		.amdhsa_next_free_sgpr 1
		.amdhsa_reserve_vcc 0
		.amdhsa_reserve_flat_scratch 0
		.amdhsa_float_round_mode_32 0
		.amdhsa_float_round_mode_16_64 0
		.amdhsa_float_denorm_mode_32 3
		.amdhsa_float_denorm_mode_16_64 3
		.amdhsa_dx10_clamp 1
		.amdhsa_ieee_mode 1
		.amdhsa_fp16_overflow 0
		.amdhsa_workgroup_processor_mode 1
		.amdhsa_memory_ordered 1
		.amdhsa_forward_progress 1
		.amdhsa_shared_vgpr_count 0
		.amdhsa_exception_fp_ieee_invalid_op 0
		.amdhsa_exception_fp_denorm_src 0
		.amdhsa_exception_fp_ieee_div_zero 0
		.amdhsa_exception_fp_ieee_overflow 0
		.amdhsa_exception_fp_ieee_underflow 0
		.amdhsa_exception_fp_ieee_inexact 0
		.amdhsa_exception_int_div_zero 0
	.end_amdhsa_kernel
	.section	.text._ZN7rocprim17ROCPRIM_400000_NS6detail17trampoline_kernelINS0_14default_configENS1_27lower_bound_config_selectorIylEEZNS1_14transform_implILb0ES3_S5_N6thrust23THRUST_200600_302600_NS6detail15normal_iteratorINS8_7pointerIyNS8_11hip_rocprim5par_tENS8_11use_defaultESE_EEEENSA_INSB_IlSD_SE_SE_EEEEZNS1_13binary_searchIS3_S5_PySG_SI_NS1_21lower_bound_search_opENS9_16wrapped_functionINS8_6system6detail7generic6detail18binary_search_lessEbEEEE10hipError_tPvRmT1_T2_T3_mmT4_T5_P12ihipStream_tbEUlRKyE_EEST_SX_SY_mSZ_S12_bEUlT_E_NS1_11comp_targetILNS1_3genE10ELNS1_11target_archE1200ELNS1_3gpuE4ELNS1_3repE0EEENS1_30default_config_static_selectorELNS0_4arch9wavefront6targetE0EEEvSW_,"axG",@progbits,_ZN7rocprim17ROCPRIM_400000_NS6detail17trampoline_kernelINS0_14default_configENS1_27lower_bound_config_selectorIylEEZNS1_14transform_implILb0ES3_S5_N6thrust23THRUST_200600_302600_NS6detail15normal_iteratorINS8_7pointerIyNS8_11hip_rocprim5par_tENS8_11use_defaultESE_EEEENSA_INSB_IlSD_SE_SE_EEEEZNS1_13binary_searchIS3_S5_PySG_SI_NS1_21lower_bound_search_opENS9_16wrapped_functionINS8_6system6detail7generic6detail18binary_search_lessEbEEEE10hipError_tPvRmT1_T2_T3_mmT4_T5_P12ihipStream_tbEUlRKyE_EEST_SX_SY_mSZ_S12_bEUlT_E_NS1_11comp_targetILNS1_3genE10ELNS1_11target_archE1200ELNS1_3gpuE4ELNS1_3repE0EEENS1_30default_config_static_selectorELNS0_4arch9wavefront6targetE0EEEvSW_,comdat
.Lfunc_end59:
	.size	_ZN7rocprim17ROCPRIM_400000_NS6detail17trampoline_kernelINS0_14default_configENS1_27lower_bound_config_selectorIylEEZNS1_14transform_implILb0ES3_S5_N6thrust23THRUST_200600_302600_NS6detail15normal_iteratorINS8_7pointerIyNS8_11hip_rocprim5par_tENS8_11use_defaultESE_EEEENSA_INSB_IlSD_SE_SE_EEEEZNS1_13binary_searchIS3_S5_PySG_SI_NS1_21lower_bound_search_opENS9_16wrapped_functionINS8_6system6detail7generic6detail18binary_search_lessEbEEEE10hipError_tPvRmT1_T2_T3_mmT4_T5_P12ihipStream_tbEUlRKyE_EEST_SX_SY_mSZ_S12_bEUlT_E_NS1_11comp_targetILNS1_3genE10ELNS1_11target_archE1200ELNS1_3gpuE4ELNS1_3repE0EEENS1_30default_config_static_selectorELNS0_4arch9wavefront6targetE0EEEvSW_, .Lfunc_end59-_ZN7rocprim17ROCPRIM_400000_NS6detail17trampoline_kernelINS0_14default_configENS1_27lower_bound_config_selectorIylEEZNS1_14transform_implILb0ES3_S5_N6thrust23THRUST_200600_302600_NS6detail15normal_iteratorINS8_7pointerIyNS8_11hip_rocprim5par_tENS8_11use_defaultESE_EEEENSA_INSB_IlSD_SE_SE_EEEEZNS1_13binary_searchIS3_S5_PySG_SI_NS1_21lower_bound_search_opENS9_16wrapped_functionINS8_6system6detail7generic6detail18binary_search_lessEbEEEE10hipError_tPvRmT1_T2_T3_mmT4_T5_P12ihipStream_tbEUlRKyE_EEST_SX_SY_mSZ_S12_bEUlT_E_NS1_11comp_targetILNS1_3genE10ELNS1_11target_archE1200ELNS1_3gpuE4ELNS1_3repE0EEENS1_30default_config_static_selectorELNS0_4arch9wavefront6targetE0EEEvSW_
                                        ; -- End function
	.set _ZN7rocprim17ROCPRIM_400000_NS6detail17trampoline_kernelINS0_14default_configENS1_27lower_bound_config_selectorIylEEZNS1_14transform_implILb0ES3_S5_N6thrust23THRUST_200600_302600_NS6detail15normal_iteratorINS8_7pointerIyNS8_11hip_rocprim5par_tENS8_11use_defaultESE_EEEENSA_INSB_IlSD_SE_SE_EEEEZNS1_13binary_searchIS3_S5_PySG_SI_NS1_21lower_bound_search_opENS9_16wrapped_functionINS8_6system6detail7generic6detail18binary_search_lessEbEEEE10hipError_tPvRmT1_T2_T3_mmT4_T5_P12ihipStream_tbEUlRKyE_EEST_SX_SY_mSZ_S12_bEUlT_E_NS1_11comp_targetILNS1_3genE10ELNS1_11target_archE1200ELNS1_3gpuE4ELNS1_3repE0EEENS1_30default_config_static_selectorELNS0_4arch9wavefront6targetE0EEEvSW_.num_vgpr, 0
	.set _ZN7rocprim17ROCPRIM_400000_NS6detail17trampoline_kernelINS0_14default_configENS1_27lower_bound_config_selectorIylEEZNS1_14transform_implILb0ES3_S5_N6thrust23THRUST_200600_302600_NS6detail15normal_iteratorINS8_7pointerIyNS8_11hip_rocprim5par_tENS8_11use_defaultESE_EEEENSA_INSB_IlSD_SE_SE_EEEEZNS1_13binary_searchIS3_S5_PySG_SI_NS1_21lower_bound_search_opENS9_16wrapped_functionINS8_6system6detail7generic6detail18binary_search_lessEbEEEE10hipError_tPvRmT1_T2_T3_mmT4_T5_P12ihipStream_tbEUlRKyE_EEST_SX_SY_mSZ_S12_bEUlT_E_NS1_11comp_targetILNS1_3genE10ELNS1_11target_archE1200ELNS1_3gpuE4ELNS1_3repE0EEENS1_30default_config_static_selectorELNS0_4arch9wavefront6targetE0EEEvSW_.num_agpr, 0
	.set _ZN7rocprim17ROCPRIM_400000_NS6detail17trampoline_kernelINS0_14default_configENS1_27lower_bound_config_selectorIylEEZNS1_14transform_implILb0ES3_S5_N6thrust23THRUST_200600_302600_NS6detail15normal_iteratorINS8_7pointerIyNS8_11hip_rocprim5par_tENS8_11use_defaultESE_EEEENSA_INSB_IlSD_SE_SE_EEEEZNS1_13binary_searchIS3_S5_PySG_SI_NS1_21lower_bound_search_opENS9_16wrapped_functionINS8_6system6detail7generic6detail18binary_search_lessEbEEEE10hipError_tPvRmT1_T2_T3_mmT4_T5_P12ihipStream_tbEUlRKyE_EEST_SX_SY_mSZ_S12_bEUlT_E_NS1_11comp_targetILNS1_3genE10ELNS1_11target_archE1200ELNS1_3gpuE4ELNS1_3repE0EEENS1_30default_config_static_selectorELNS0_4arch9wavefront6targetE0EEEvSW_.numbered_sgpr, 0
	.set _ZN7rocprim17ROCPRIM_400000_NS6detail17trampoline_kernelINS0_14default_configENS1_27lower_bound_config_selectorIylEEZNS1_14transform_implILb0ES3_S5_N6thrust23THRUST_200600_302600_NS6detail15normal_iteratorINS8_7pointerIyNS8_11hip_rocprim5par_tENS8_11use_defaultESE_EEEENSA_INSB_IlSD_SE_SE_EEEEZNS1_13binary_searchIS3_S5_PySG_SI_NS1_21lower_bound_search_opENS9_16wrapped_functionINS8_6system6detail7generic6detail18binary_search_lessEbEEEE10hipError_tPvRmT1_T2_T3_mmT4_T5_P12ihipStream_tbEUlRKyE_EEST_SX_SY_mSZ_S12_bEUlT_E_NS1_11comp_targetILNS1_3genE10ELNS1_11target_archE1200ELNS1_3gpuE4ELNS1_3repE0EEENS1_30default_config_static_selectorELNS0_4arch9wavefront6targetE0EEEvSW_.num_named_barrier, 0
	.set _ZN7rocprim17ROCPRIM_400000_NS6detail17trampoline_kernelINS0_14default_configENS1_27lower_bound_config_selectorIylEEZNS1_14transform_implILb0ES3_S5_N6thrust23THRUST_200600_302600_NS6detail15normal_iteratorINS8_7pointerIyNS8_11hip_rocprim5par_tENS8_11use_defaultESE_EEEENSA_INSB_IlSD_SE_SE_EEEEZNS1_13binary_searchIS3_S5_PySG_SI_NS1_21lower_bound_search_opENS9_16wrapped_functionINS8_6system6detail7generic6detail18binary_search_lessEbEEEE10hipError_tPvRmT1_T2_T3_mmT4_T5_P12ihipStream_tbEUlRKyE_EEST_SX_SY_mSZ_S12_bEUlT_E_NS1_11comp_targetILNS1_3genE10ELNS1_11target_archE1200ELNS1_3gpuE4ELNS1_3repE0EEENS1_30default_config_static_selectorELNS0_4arch9wavefront6targetE0EEEvSW_.private_seg_size, 0
	.set _ZN7rocprim17ROCPRIM_400000_NS6detail17trampoline_kernelINS0_14default_configENS1_27lower_bound_config_selectorIylEEZNS1_14transform_implILb0ES3_S5_N6thrust23THRUST_200600_302600_NS6detail15normal_iteratorINS8_7pointerIyNS8_11hip_rocprim5par_tENS8_11use_defaultESE_EEEENSA_INSB_IlSD_SE_SE_EEEEZNS1_13binary_searchIS3_S5_PySG_SI_NS1_21lower_bound_search_opENS9_16wrapped_functionINS8_6system6detail7generic6detail18binary_search_lessEbEEEE10hipError_tPvRmT1_T2_T3_mmT4_T5_P12ihipStream_tbEUlRKyE_EEST_SX_SY_mSZ_S12_bEUlT_E_NS1_11comp_targetILNS1_3genE10ELNS1_11target_archE1200ELNS1_3gpuE4ELNS1_3repE0EEENS1_30default_config_static_selectorELNS0_4arch9wavefront6targetE0EEEvSW_.uses_vcc, 0
	.set _ZN7rocprim17ROCPRIM_400000_NS6detail17trampoline_kernelINS0_14default_configENS1_27lower_bound_config_selectorIylEEZNS1_14transform_implILb0ES3_S5_N6thrust23THRUST_200600_302600_NS6detail15normal_iteratorINS8_7pointerIyNS8_11hip_rocprim5par_tENS8_11use_defaultESE_EEEENSA_INSB_IlSD_SE_SE_EEEEZNS1_13binary_searchIS3_S5_PySG_SI_NS1_21lower_bound_search_opENS9_16wrapped_functionINS8_6system6detail7generic6detail18binary_search_lessEbEEEE10hipError_tPvRmT1_T2_T3_mmT4_T5_P12ihipStream_tbEUlRKyE_EEST_SX_SY_mSZ_S12_bEUlT_E_NS1_11comp_targetILNS1_3genE10ELNS1_11target_archE1200ELNS1_3gpuE4ELNS1_3repE0EEENS1_30default_config_static_selectorELNS0_4arch9wavefront6targetE0EEEvSW_.uses_flat_scratch, 0
	.set _ZN7rocprim17ROCPRIM_400000_NS6detail17trampoline_kernelINS0_14default_configENS1_27lower_bound_config_selectorIylEEZNS1_14transform_implILb0ES3_S5_N6thrust23THRUST_200600_302600_NS6detail15normal_iteratorINS8_7pointerIyNS8_11hip_rocprim5par_tENS8_11use_defaultESE_EEEENSA_INSB_IlSD_SE_SE_EEEEZNS1_13binary_searchIS3_S5_PySG_SI_NS1_21lower_bound_search_opENS9_16wrapped_functionINS8_6system6detail7generic6detail18binary_search_lessEbEEEE10hipError_tPvRmT1_T2_T3_mmT4_T5_P12ihipStream_tbEUlRKyE_EEST_SX_SY_mSZ_S12_bEUlT_E_NS1_11comp_targetILNS1_3genE10ELNS1_11target_archE1200ELNS1_3gpuE4ELNS1_3repE0EEENS1_30default_config_static_selectorELNS0_4arch9wavefront6targetE0EEEvSW_.has_dyn_sized_stack, 0
	.set _ZN7rocprim17ROCPRIM_400000_NS6detail17trampoline_kernelINS0_14default_configENS1_27lower_bound_config_selectorIylEEZNS1_14transform_implILb0ES3_S5_N6thrust23THRUST_200600_302600_NS6detail15normal_iteratorINS8_7pointerIyNS8_11hip_rocprim5par_tENS8_11use_defaultESE_EEEENSA_INSB_IlSD_SE_SE_EEEEZNS1_13binary_searchIS3_S5_PySG_SI_NS1_21lower_bound_search_opENS9_16wrapped_functionINS8_6system6detail7generic6detail18binary_search_lessEbEEEE10hipError_tPvRmT1_T2_T3_mmT4_T5_P12ihipStream_tbEUlRKyE_EEST_SX_SY_mSZ_S12_bEUlT_E_NS1_11comp_targetILNS1_3genE10ELNS1_11target_archE1200ELNS1_3gpuE4ELNS1_3repE0EEENS1_30default_config_static_selectorELNS0_4arch9wavefront6targetE0EEEvSW_.has_recursion, 0
	.set _ZN7rocprim17ROCPRIM_400000_NS6detail17trampoline_kernelINS0_14default_configENS1_27lower_bound_config_selectorIylEEZNS1_14transform_implILb0ES3_S5_N6thrust23THRUST_200600_302600_NS6detail15normal_iteratorINS8_7pointerIyNS8_11hip_rocprim5par_tENS8_11use_defaultESE_EEEENSA_INSB_IlSD_SE_SE_EEEEZNS1_13binary_searchIS3_S5_PySG_SI_NS1_21lower_bound_search_opENS9_16wrapped_functionINS8_6system6detail7generic6detail18binary_search_lessEbEEEE10hipError_tPvRmT1_T2_T3_mmT4_T5_P12ihipStream_tbEUlRKyE_EEST_SX_SY_mSZ_S12_bEUlT_E_NS1_11comp_targetILNS1_3genE10ELNS1_11target_archE1200ELNS1_3gpuE4ELNS1_3repE0EEENS1_30default_config_static_selectorELNS0_4arch9wavefront6targetE0EEEvSW_.has_indirect_call, 0
	.section	.AMDGPU.csdata,"",@progbits
; Kernel info:
; codeLenInByte = 0
; TotalNumSgprs: 0
; NumVgprs: 0
; ScratchSize: 0
; MemoryBound: 0
; FloatMode: 240
; IeeeMode: 1
; LDSByteSize: 0 bytes/workgroup (compile time only)
; SGPRBlocks: 0
; VGPRBlocks: 0
; NumSGPRsForWavesPerEU: 1
; NumVGPRsForWavesPerEU: 1
; Occupancy: 16
; WaveLimiterHint : 0
; COMPUTE_PGM_RSRC2:SCRATCH_EN: 0
; COMPUTE_PGM_RSRC2:USER_SGPR: 6
; COMPUTE_PGM_RSRC2:TRAP_HANDLER: 0
; COMPUTE_PGM_RSRC2:TGID_X_EN: 1
; COMPUTE_PGM_RSRC2:TGID_Y_EN: 0
; COMPUTE_PGM_RSRC2:TGID_Z_EN: 0
; COMPUTE_PGM_RSRC2:TIDIG_COMP_CNT: 0
	.section	.text._ZN7rocprim17ROCPRIM_400000_NS6detail17trampoline_kernelINS0_14default_configENS1_27lower_bound_config_selectorIylEEZNS1_14transform_implILb0ES3_S5_N6thrust23THRUST_200600_302600_NS6detail15normal_iteratorINS8_7pointerIyNS8_11hip_rocprim5par_tENS8_11use_defaultESE_EEEENSA_INSB_IlSD_SE_SE_EEEEZNS1_13binary_searchIS3_S5_PySG_SI_NS1_21lower_bound_search_opENS9_16wrapped_functionINS8_6system6detail7generic6detail18binary_search_lessEbEEEE10hipError_tPvRmT1_T2_T3_mmT4_T5_P12ihipStream_tbEUlRKyE_EEST_SX_SY_mSZ_S12_bEUlT_E_NS1_11comp_targetILNS1_3genE9ELNS1_11target_archE1100ELNS1_3gpuE3ELNS1_3repE0EEENS1_30default_config_static_selectorELNS0_4arch9wavefront6targetE0EEEvSW_,"axG",@progbits,_ZN7rocprim17ROCPRIM_400000_NS6detail17trampoline_kernelINS0_14default_configENS1_27lower_bound_config_selectorIylEEZNS1_14transform_implILb0ES3_S5_N6thrust23THRUST_200600_302600_NS6detail15normal_iteratorINS8_7pointerIyNS8_11hip_rocprim5par_tENS8_11use_defaultESE_EEEENSA_INSB_IlSD_SE_SE_EEEEZNS1_13binary_searchIS3_S5_PySG_SI_NS1_21lower_bound_search_opENS9_16wrapped_functionINS8_6system6detail7generic6detail18binary_search_lessEbEEEE10hipError_tPvRmT1_T2_T3_mmT4_T5_P12ihipStream_tbEUlRKyE_EEST_SX_SY_mSZ_S12_bEUlT_E_NS1_11comp_targetILNS1_3genE9ELNS1_11target_archE1100ELNS1_3gpuE3ELNS1_3repE0EEENS1_30default_config_static_selectorELNS0_4arch9wavefront6targetE0EEEvSW_,comdat
	.protected	_ZN7rocprim17ROCPRIM_400000_NS6detail17trampoline_kernelINS0_14default_configENS1_27lower_bound_config_selectorIylEEZNS1_14transform_implILb0ES3_S5_N6thrust23THRUST_200600_302600_NS6detail15normal_iteratorINS8_7pointerIyNS8_11hip_rocprim5par_tENS8_11use_defaultESE_EEEENSA_INSB_IlSD_SE_SE_EEEEZNS1_13binary_searchIS3_S5_PySG_SI_NS1_21lower_bound_search_opENS9_16wrapped_functionINS8_6system6detail7generic6detail18binary_search_lessEbEEEE10hipError_tPvRmT1_T2_T3_mmT4_T5_P12ihipStream_tbEUlRKyE_EEST_SX_SY_mSZ_S12_bEUlT_E_NS1_11comp_targetILNS1_3genE9ELNS1_11target_archE1100ELNS1_3gpuE3ELNS1_3repE0EEENS1_30default_config_static_selectorELNS0_4arch9wavefront6targetE0EEEvSW_ ; -- Begin function _ZN7rocprim17ROCPRIM_400000_NS6detail17trampoline_kernelINS0_14default_configENS1_27lower_bound_config_selectorIylEEZNS1_14transform_implILb0ES3_S5_N6thrust23THRUST_200600_302600_NS6detail15normal_iteratorINS8_7pointerIyNS8_11hip_rocprim5par_tENS8_11use_defaultESE_EEEENSA_INSB_IlSD_SE_SE_EEEEZNS1_13binary_searchIS3_S5_PySG_SI_NS1_21lower_bound_search_opENS9_16wrapped_functionINS8_6system6detail7generic6detail18binary_search_lessEbEEEE10hipError_tPvRmT1_T2_T3_mmT4_T5_P12ihipStream_tbEUlRKyE_EEST_SX_SY_mSZ_S12_bEUlT_E_NS1_11comp_targetILNS1_3genE9ELNS1_11target_archE1100ELNS1_3gpuE3ELNS1_3repE0EEENS1_30default_config_static_selectorELNS0_4arch9wavefront6targetE0EEEvSW_
	.globl	_ZN7rocprim17ROCPRIM_400000_NS6detail17trampoline_kernelINS0_14default_configENS1_27lower_bound_config_selectorIylEEZNS1_14transform_implILb0ES3_S5_N6thrust23THRUST_200600_302600_NS6detail15normal_iteratorINS8_7pointerIyNS8_11hip_rocprim5par_tENS8_11use_defaultESE_EEEENSA_INSB_IlSD_SE_SE_EEEEZNS1_13binary_searchIS3_S5_PySG_SI_NS1_21lower_bound_search_opENS9_16wrapped_functionINS8_6system6detail7generic6detail18binary_search_lessEbEEEE10hipError_tPvRmT1_T2_T3_mmT4_T5_P12ihipStream_tbEUlRKyE_EEST_SX_SY_mSZ_S12_bEUlT_E_NS1_11comp_targetILNS1_3genE9ELNS1_11target_archE1100ELNS1_3gpuE3ELNS1_3repE0EEENS1_30default_config_static_selectorELNS0_4arch9wavefront6targetE0EEEvSW_
	.p2align	8
	.type	_ZN7rocprim17ROCPRIM_400000_NS6detail17trampoline_kernelINS0_14default_configENS1_27lower_bound_config_selectorIylEEZNS1_14transform_implILb0ES3_S5_N6thrust23THRUST_200600_302600_NS6detail15normal_iteratorINS8_7pointerIyNS8_11hip_rocprim5par_tENS8_11use_defaultESE_EEEENSA_INSB_IlSD_SE_SE_EEEEZNS1_13binary_searchIS3_S5_PySG_SI_NS1_21lower_bound_search_opENS9_16wrapped_functionINS8_6system6detail7generic6detail18binary_search_lessEbEEEE10hipError_tPvRmT1_T2_T3_mmT4_T5_P12ihipStream_tbEUlRKyE_EEST_SX_SY_mSZ_S12_bEUlT_E_NS1_11comp_targetILNS1_3genE9ELNS1_11target_archE1100ELNS1_3gpuE3ELNS1_3repE0EEENS1_30default_config_static_selectorELNS0_4arch9wavefront6targetE0EEEvSW_,@function
_ZN7rocprim17ROCPRIM_400000_NS6detail17trampoline_kernelINS0_14default_configENS1_27lower_bound_config_selectorIylEEZNS1_14transform_implILb0ES3_S5_N6thrust23THRUST_200600_302600_NS6detail15normal_iteratorINS8_7pointerIyNS8_11hip_rocprim5par_tENS8_11use_defaultESE_EEEENSA_INSB_IlSD_SE_SE_EEEEZNS1_13binary_searchIS3_S5_PySG_SI_NS1_21lower_bound_search_opENS9_16wrapped_functionINS8_6system6detail7generic6detail18binary_search_lessEbEEEE10hipError_tPvRmT1_T2_T3_mmT4_T5_P12ihipStream_tbEUlRKyE_EEST_SX_SY_mSZ_S12_bEUlT_E_NS1_11comp_targetILNS1_3genE9ELNS1_11target_archE1100ELNS1_3gpuE3ELNS1_3repE0EEENS1_30default_config_static_selectorELNS0_4arch9wavefront6targetE0EEEvSW_: ; @_ZN7rocprim17ROCPRIM_400000_NS6detail17trampoline_kernelINS0_14default_configENS1_27lower_bound_config_selectorIylEEZNS1_14transform_implILb0ES3_S5_N6thrust23THRUST_200600_302600_NS6detail15normal_iteratorINS8_7pointerIyNS8_11hip_rocprim5par_tENS8_11use_defaultESE_EEEENSA_INSB_IlSD_SE_SE_EEEEZNS1_13binary_searchIS3_S5_PySG_SI_NS1_21lower_bound_search_opENS9_16wrapped_functionINS8_6system6detail7generic6detail18binary_search_lessEbEEEE10hipError_tPvRmT1_T2_T3_mmT4_T5_P12ihipStream_tbEUlRKyE_EEST_SX_SY_mSZ_S12_bEUlT_E_NS1_11comp_targetILNS1_3genE9ELNS1_11target_archE1100ELNS1_3gpuE3ELNS1_3repE0EEENS1_30default_config_static_selectorELNS0_4arch9wavefront6targetE0EEEvSW_
; %bb.0:
	.section	.rodata,"a",@progbits
	.p2align	6, 0x0
	.amdhsa_kernel _ZN7rocprim17ROCPRIM_400000_NS6detail17trampoline_kernelINS0_14default_configENS1_27lower_bound_config_selectorIylEEZNS1_14transform_implILb0ES3_S5_N6thrust23THRUST_200600_302600_NS6detail15normal_iteratorINS8_7pointerIyNS8_11hip_rocprim5par_tENS8_11use_defaultESE_EEEENSA_INSB_IlSD_SE_SE_EEEEZNS1_13binary_searchIS3_S5_PySG_SI_NS1_21lower_bound_search_opENS9_16wrapped_functionINS8_6system6detail7generic6detail18binary_search_lessEbEEEE10hipError_tPvRmT1_T2_T3_mmT4_T5_P12ihipStream_tbEUlRKyE_EEST_SX_SY_mSZ_S12_bEUlT_E_NS1_11comp_targetILNS1_3genE9ELNS1_11target_archE1100ELNS1_3gpuE3ELNS1_3repE0EEENS1_30default_config_static_selectorELNS0_4arch9wavefront6targetE0EEEvSW_
		.amdhsa_group_segment_fixed_size 0
		.amdhsa_private_segment_fixed_size 0
		.amdhsa_kernarg_size 56
		.amdhsa_user_sgpr_count 6
		.amdhsa_user_sgpr_private_segment_buffer 1
		.amdhsa_user_sgpr_dispatch_ptr 0
		.amdhsa_user_sgpr_queue_ptr 0
		.amdhsa_user_sgpr_kernarg_segment_ptr 1
		.amdhsa_user_sgpr_dispatch_id 0
		.amdhsa_user_sgpr_flat_scratch_init 0
		.amdhsa_user_sgpr_private_segment_size 0
		.amdhsa_wavefront_size32 1
		.amdhsa_uses_dynamic_stack 0
		.amdhsa_system_sgpr_private_segment_wavefront_offset 0
		.amdhsa_system_sgpr_workgroup_id_x 1
		.amdhsa_system_sgpr_workgroup_id_y 0
		.amdhsa_system_sgpr_workgroup_id_z 0
		.amdhsa_system_sgpr_workgroup_info 0
		.amdhsa_system_vgpr_workitem_id 0
		.amdhsa_next_free_vgpr 1
		.amdhsa_next_free_sgpr 1
		.amdhsa_reserve_vcc 0
		.amdhsa_reserve_flat_scratch 0
		.amdhsa_float_round_mode_32 0
		.amdhsa_float_round_mode_16_64 0
		.amdhsa_float_denorm_mode_32 3
		.amdhsa_float_denorm_mode_16_64 3
		.amdhsa_dx10_clamp 1
		.amdhsa_ieee_mode 1
		.amdhsa_fp16_overflow 0
		.amdhsa_workgroup_processor_mode 1
		.amdhsa_memory_ordered 1
		.amdhsa_forward_progress 1
		.amdhsa_shared_vgpr_count 0
		.amdhsa_exception_fp_ieee_invalid_op 0
		.amdhsa_exception_fp_denorm_src 0
		.amdhsa_exception_fp_ieee_div_zero 0
		.amdhsa_exception_fp_ieee_overflow 0
		.amdhsa_exception_fp_ieee_underflow 0
		.amdhsa_exception_fp_ieee_inexact 0
		.amdhsa_exception_int_div_zero 0
	.end_amdhsa_kernel
	.section	.text._ZN7rocprim17ROCPRIM_400000_NS6detail17trampoline_kernelINS0_14default_configENS1_27lower_bound_config_selectorIylEEZNS1_14transform_implILb0ES3_S5_N6thrust23THRUST_200600_302600_NS6detail15normal_iteratorINS8_7pointerIyNS8_11hip_rocprim5par_tENS8_11use_defaultESE_EEEENSA_INSB_IlSD_SE_SE_EEEEZNS1_13binary_searchIS3_S5_PySG_SI_NS1_21lower_bound_search_opENS9_16wrapped_functionINS8_6system6detail7generic6detail18binary_search_lessEbEEEE10hipError_tPvRmT1_T2_T3_mmT4_T5_P12ihipStream_tbEUlRKyE_EEST_SX_SY_mSZ_S12_bEUlT_E_NS1_11comp_targetILNS1_3genE9ELNS1_11target_archE1100ELNS1_3gpuE3ELNS1_3repE0EEENS1_30default_config_static_selectorELNS0_4arch9wavefront6targetE0EEEvSW_,"axG",@progbits,_ZN7rocprim17ROCPRIM_400000_NS6detail17trampoline_kernelINS0_14default_configENS1_27lower_bound_config_selectorIylEEZNS1_14transform_implILb0ES3_S5_N6thrust23THRUST_200600_302600_NS6detail15normal_iteratorINS8_7pointerIyNS8_11hip_rocprim5par_tENS8_11use_defaultESE_EEEENSA_INSB_IlSD_SE_SE_EEEEZNS1_13binary_searchIS3_S5_PySG_SI_NS1_21lower_bound_search_opENS9_16wrapped_functionINS8_6system6detail7generic6detail18binary_search_lessEbEEEE10hipError_tPvRmT1_T2_T3_mmT4_T5_P12ihipStream_tbEUlRKyE_EEST_SX_SY_mSZ_S12_bEUlT_E_NS1_11comp_targetILNS1_3genE9ELNS1_11target_archE1100ELNS1_3gpuE3ELNS1_3repE0EEENS1_30default_config_static_selectorELNS0_4arch9wavefront6targetE0EEEvSW_,comdat
.Lfunc_end60:
	.size	_ZN7rocprim17ROCPRIM_400000_NS6detail17trampoline_kernelINS0_14default_configENS1_27lower_bound_config_selectorIylEEZNS1_14transform_implILb0ES3_S5_N6thrust23THRUST_200600_302600_NS6detail15normal_iteratorINS8_7pointerIyNS8_11hip_rocprim5par_tENS8_11use_defaultESE_EEEENSA_INSB_IlSD_SE_SE_EEEEZNS1_13binary_searchIS3_S5_PySG_SI_NS1_21lower_bound_search_opENS9_16wrapped_functionINS8_6system6detail7generic6detail18binary_search_lessEbEEEE10hipError_tPvRmT1_T2_T3_mmT4_T5_P12ihipStream_tbEUlRKyE_EEST_SX_SY_mSZ_S12_bEUlT_E_NS1_11comp_targetILNS1_3genE9ELNS1_11target_archE1100ELNS1_3gpuE3ELNS1_3repE0EEENS1_30default_config_static_selectorELNS0_4arch9wavefront6targetE0EEEvSW_, .Lfunc_end60-_ZN7rocprim17ROCPRIM_400000_NS6detail17trampoline_kernelINS0_14default_configENS1_27lower_bound_config_selectorIylEEZNS1_14transform_implILb0ES3_S5_N6thrust23THRUST_200600_302600_NS6detail15normal_iteratorINS8_7pointerIyNS8_11hip_rocprim5par_tENS8_11use_defaultESE_EEEENSA_INSB_IlSD_SE_SE_EEEEZNS1_13binary_searchIS3_S5_PySG_SI_NS1_21lower_bound_search_opENS9_16wrapped_functionINS8_6system6detail7generic6detail18binary_search_lessEbEEEE10hipError_tPvRmT1_T2_T3_mmT4_T5_P12ihipStream_tbEUlRKyE_EEST_SX_SY_mSZ_S12_bEUlT_E_NS1_11comp_targetILNS1_3genE9ELNS1_11target_archE1100ELNS1_3gpuE3ELNS1_3repE0EEENS1_30default_config_static_selectorELNS0_4arch9wavefront6targetE0EEEvSW_
                                        ; -- End function
	.set _ZN7rocprim17ROCPRIM_400000_NS6detail17trampoline_kernelINS0_14default_configENS1_27lower_bound_config_selectorIylEEZNS1_14transform_implILb0ES3_S5_N6thrust23THRUST_200600_302600_NS6detail15normal_iteratorINS8_7pointerIyNS8_11hip_rocprim5par_tENS8_11use_defaultESE_EEEENSA_INSB_IlSD_SE_SE_EEEEZNS1_13binary_searchIS3_S5_PySG_SI_NS1_21lower_bound_search_opENS9_16wrapped_functionINS8_6system6detail7generic6detail18binary_search_lessEbEEEE10hipError_tPvRmT1_T2_T3_mmT4_T5_P12ihipStream_tbEUlRKyE_EEST_SX_SY_mSZ_S12_bEUlT_E_NS1_11comp_targetILNS1_3genE9ELNS1_11target_archE1100ELNS1_3gpuE3ELNS1_3repE0EEENS1_30default_config_static_selectorELNS0_4arch9wavefront6targetE0EEEvSW_.num_vgpr, 0
	.set _ZN7rocprim17ROCPRIM_400000_NS6detail17trampoline_kernelINS0_14default_configENS1_27lower_bound_config_selectorIylEEZNS1_14transform_implILb0ES3_S5_N6thrust23THRUST_200600_302600_NS6detail15normal_iteratorINS8_7pointerIyNS8_11hip_rocprim5par_tENS8_11use_defaultESE_EEEENSA_INSB_IlSD_SE_SE_EEEEZNS1_13binary_searchIS3_S5_PySG_SI_NS1_21lower_bound_search_opENS9_16wrapped_functionINS8_6system6detail7generic6detail18binary_search_lessEbEEEE10hipError_tPvRmT1_T2_T3_mmT4_T5_P12ihipStream_tbEUlRKyE_EEST_SX_SY_mSZ_S12_bEUlT_E_NS1_11comp_targetILNS1_3genE9ELNS1_11target_archE1100ELNS1_3gpuE3ELNS1_3repE0EEENS1_30default_config_static_selectorELNS0_4arch9wavefront6targetE0EEEvSW_.num_agpr, 0
	.set _ZN7rocprim17ROCPRIM_400000_NS6detail17trampoline_kernelINS0_14default_configENS1_27lower_bound_config_selectorIylEEZNS1_14transform_implILb0ES3_S5_N6thrust23THRUST_200600_302600_NS6detail15normal_iteratorINS8_7pointerIyNS8_11hip_rocprim5par_tENS8_11use_defaultESE_EEEENSA_INSB_IlSD_SE_SE_EEEEZNS1_13binary_searchIS3_S5_PySG_SI_NS1_21lower_bound_search_opENS9_16wrapped_functionINS8_6system6detail7generic6detail18binary_search_lessEbEEEE10hipError_tPvRmT1_T2_T3_mmT4_T5_P12ihipStream_tbEUlRKyE_EEST_SX_SY_mSZ_S12_bEUlT_E_NS1_11comp_targetILNS1_3genE9ELNS1_11target_archE1100ELNS1_3gpuE3ELNS1_3repE0EEENS1_30default_config_static_selectorELNS0_4arch9wavefront6targetE0EEEvSW_.numbered_sgpr, 0
	.set _ZN7rocprim17ROCPRIM_400000_NS6detail17trampoline_kernelINS0_14default_configENS1_27lower_bound_config_selectorIylEEZNS1_14transform_implILb0ES3_S5_N6thrust23THRUST_200600_302600_NS6detail15normal_iteratorINS8_7pointerIyNS8_11hip_rocprim5par_tENS8_11use_defaultESE_EEEENSA_INSB_IlSD_SE_SE_EEEEZNS1_13binary_searchIS3_S5_PySG_SI_NS1_21lower_bound_search_opENS9_16wrapped_functionINS8_6system6detail7generic6detail18binary_search_lessEbEEEE10hipError_tPvRmT1_T2_T3_mmT4_T5_P12ihipStream_tbEUlRKyE_EEST_SX_SY_mSZ_S12_bEUlT_E_NS1_11comp_targetILNS1_3genE9ELNS1_11target_archE1100ELNS1_3gpuE3ELNS1_3repE0EEENS1_30default_config_static_selectorELNS0_4arch9wavefront6targetE0EEEvSW_.num_named_barrier, 0
	.set _ZN7rocprim17ROCPRIM_400000_NS6detail17trampoline_kernelINS0_14default_configENS1_27lower_bound_config_selectorIylEEZNS1_14transform_implILb0ES3_S5_N6thrust23THRUST_200600_302600_NS6detail15normal_iteratorINS8_7pointerIyNS8_11hip_rocprim5par_tENS8_11use_defaultESE_EEEENSA_INSB_IlSD_SE_SE_EEEEZNS1_13binary_searchIS3_S5_PySG_SI_NS1_21lower_bound_search_opENS9_16wrapped_functionINS8_6system6detail7generic6detail18binary_search_lessEbEEEE10hipError_tPvRmT1_T2_T3_mmT4_T5_P12ihipStream_tbEUlRKyE_EEST_SX_SY_mSZ_S12_bEUlT_E_NS1_11comp_targetILNS1_3genE9ELNS1_11target_archE1100ELNS1_3gpuE3ELNS1_3repE0EEENS1_30default_config_static_selectorELNS0_4arch9wavefront6targetE0EEEvSW_.private_seg_size, 0
	.set _ZN7rocprim17ROCPRIM_400000_NS6detail17trampoline_kernelINS0_14default_configENS1_27lower_bound_config_selectorIylEEZNS1_14transform_implILb0ES3_S5_N6thrust23THRUST_200600_302600_NS6detail15normal_iteratorINS8_7pointerIyNS8_11hip_rocprim5par_tENS8_11use_defaultESE_EEEENSA_INSB_IlSD_SE_SE_EEEEZNS1_13binary_searchIS3_S5_PySG_SI_NS1_21lower_bound_search_opENS9_16wrapped_functionINS8_6system6detail7generic6detail18binary_search_lessEbEEEE10hipError_tPvRmT1_T2_T3_mmT4_T5_P12ihipStream_tbEUlRKyE_EEST_SX_SY_mSZ_S12_bEUlT_E_NS1_11comp_targetILNS1_3genE9ELNS1_11target_archE1100ELNS1_3gpuE3ELNS1_3repE0EEENS1_30default_config_static_selectorELNS0_4arch9wavefront6targetE0EEEvSW_.uses_vcc, 0
	.set _ZN7rocprim17ROCPRIM_400000_NS6detail17trampoline_kernelINS0_14default_configENS1_27lower_bound_config_selectorIylEEZNS1_14transform_implILb0ES3_S5_N6thrust23THRUST_200600_302600_NS6detail15normal_iteratorINS8_7pointerIyNS8_11hip_rocprim5par_tENS8_11use_defaultESE_EEEENSA_INSB_IlSD_SE_SE_EEEEZNS1_13binary_searchIS3_S5_PySG_SI_NS1_21lower_bound_search_opENS9_16wrapped_functionINS8_6system6detail7generic6detail18binary_search_lessEbEEEE10hipError_tPvRmT1_T2_T3_mmT4_T5_P12ihipStream_tbEUlRKyE_EEST_SX_SY_mSZ_S12_bEUlT_E_NS1_11comp_targetILNS1_3genE9ELNS1_11target_archE1100ELNS1_3gpuE3ELNS1_3repE0EEENS1_30default_config_static_selectorELNS0_4arch9wavefront6targetE0EEEvSW_.uses_flat_scratch, 0
	.set _ZN7rocprim17ROCPRIM_400000_NS6detail17trampoline_kernelINS0_14default_configENS1_27lower_bound_config_selectorIylEEZNS1_14transform_implILb0ES3_S5_N6thrust23THRUST_200600_302600_NS6detail15normal_iteratorINS8_7pointerIyNS8_11hip_rocprim5par_tENS8_11use_defaultESE_EEEENSA_INSB_IlSD_SE_SE_EEEEZNS1_13binary_searchIS3_S5_PySG_SI_NS1_21lower_bound_search_opENS9_16wrapped_functionINS8_6system6detail7generic6detail18binary_search_lessEbEEEE10hipError_tPvRmT1_T2_T3_mmT4_T5_P12ihipStream_tbEUlRKyE_EEST_SX_SY_mSZ_S12_bEUlT_E_NS1_11comp_targetILNS1_3genE9ELNS1_11target_archE1100ELNS1_3gpuE3ELNS1_3repE0EEENS1_30default_config_static_selectorELNS0_4arch9wavefront6targetE0EEEvSW_.has_dyn_sized_stack, 0
	.set _ZN7rocprim17ROCPRIM_400000_NS6detail17trampoline_kernelINS0_14default_configENS1_27lower_bound_config_selectorIylEEZNS1_14transform_implILb0ES3_S5_N6thrust23THRUST_200600_302600_NS6detail15normal_iteratorINS8_7pointerIyNS8_11hip_rocprim5par_tENS8_11use_defaultESE_EEEENSA_INSB_IlSD_SE_SE_EEEEZNS1_13binary_searchIS3_S5_PySG_SI_NS1_21lower_bound_search_opENS9_16wrapped_functionINS8_6system6detail7generic6detail18binary_search_lessEbEEEE10hipError_tPvRmT1_T2_T3_mmT4_T5_P12ihipStream_tbEUlRKyE_EEST_SX_SY_mSZ_S12_bEUlT_E_NS1_11comp_targetILNS1_3genE9ELNS1_11target_archE1100ELNS1_3gpuE3ELNS1_3repE0EEENS1_30default_config_static_selectorELNS0_4arch9wavefront6targetE0EEEvSW_.has_recursion, 0
	.set _ZN7rocprim17ROCPRIM_400000_NS6detail17trampoline_kernelINS0_14default_configENS1_27lower_bound_config_selectorIylEEZNS1_14transform_implILb0ES3_S5_N6thrust23THRUST_200600_302600_NS6detail15normal_iteratorINS8_7pointerIyNS8_11hip_rocprim5par_tENS8_11use_defaultESE_EEEENSA_INSB_IlSD_SE_SE_EEEEZNS1_13binary_searchIS3_S5_PySG_SI_NS1_21lower_bound_search_opENS9_16wrapped_functionINS8_6system6detail7generic6detail18binary_search_lessEbEEEE10hipError_tPvRmT1_T2_T3_mmT4_T5_P12ihipStream_tbEUlRKyE_EEST_SX_SY_mSZ_S12_bEUlT_E_NS1_11comp_targetILNS1_3genE9ELNS1_11target_archE1100ELNS1_3gpuE3ELNS1_3repE0EEENS1_30default_config_static_selectorELNS0_4arch9wavefront6targetE0EEEvSW_.has_indirect_call, 0
	.section	.AMDGPU.csdata,"",@progbits
; Kernel info:
; codeLenInByte = 0
; TotalNumSgprs: 0
; NumVgprs: 0
; ScratchSize: 0
; MemoryBound: 0
; FloatMode: 240
; IeeeMode: 1
; LDSByteSize: 0 bytes/workgroup (compile time only)
; SGPRBlocks: 0
; VGPRBlocks: 0
; NumSGPRsForWavesPerEU: 1
; NumVGPRsForWavesPerEU: 1
; Occupancy: 16
; WaveLimiterHint : 0
; COMPUTE_PGM_RSRC2:SCRATCH_EN: 0
; COMPUTE_PGM_RSRC2:USER_SGPR: 6
; COMPUTE_PGM_RSRC2:TRAP_HANDLER: 0
; COMPUTE_PGM_RSRC2:TGID_X_EN: 1
; COMPUTE_PGM_RSRC2:TGID_Y_EN: 0
; COMPUTE_PGM_RSRC2:TGID_Z_EN: 0
; COMPUTE_PGM_RSRC2:TIDIG_COMP_CNT: 0
	.section	.text._ZN7rocprim17ROCPRIM_400000_NS6detail17trampoline_kernelINS0_14default_configENS1_27lower_bound_config_selectorIylEEZNS1_14transform_implILb0ES3_S5_N6thrust23THRUST_200600_302600_NS6detail15normal_iteratorINS8_7pointerIyNS8_11hip_rocprim5par_tENS8_11use_defaultESE_EEEENSA_INSB_IlSD_SE_SE_EEEEZNS1_13binary_searchIS3_S5_PySG_SI_NS1_21lower_bound_search_opENS9_16wrapped_functionINS8_6system6detail7generic6detail18binary_search_lessEbEEEE10hipError_tPvRmT1_T2_T3_mmT4_T5_P12ihipStream_tbEUlRKyE_EEST_SX_SY_mSZ_S12_bEUlT_E_NS1_11comp_targetILNS1_3genE8ELNS1_11target_archE1030ELNS1_3gpuE2ELNS1_3repE0EEENS1_30default_config_static_selectorELNS0_4arch9wavefront6targetE0EEEvSW_,"axG",@progbits,_ZN7rocprim17ROCPRIM_400000_NS6detail17trampoline_kernelINS0_14default_configENS1_27lower_bound_config_selectorIylEEZNS1_14transform_implILb0ES3_S5_N6thrust23THRUST_200600_302600_NS6detail15normal_iteratorINS8_7pointerIyNS8_11hip_rocprim5par_tENS8_11use_defaultESE_EEEENSA_INSB_IlSD_SE_SE_EEEEZNS1_13binary_searchIS3_S5_PySG_SI_NS1_21lower_bound_search_opENS9_16wrapped_functionINS8_6system6detail7generic6detail18binary_search_lessEbEEEE10hipError_tPvRmT1_T2_T3_mmT4_T5_P12ihipStream_tbEUlRKyE_EEST_SX_SY_mSZ_S12_bEUlT_E_NS1_11comp_targetILNS1_3genE8ELNS1_11target_archE1030ELNS1_3gpuE2ELNS1_3repE0EEENS1_30default_config_static_selectorELNS0_4arch9wavefront6targetE0EEEvSW_,comdat
	.protected	_ZN7rocprim17ROCPRIM_400000_NS6detail17trampoline_kernelINS0_14default_configENS1_27lower_bound_config_selectorIylEEZNS1_14transform_implILb0ES3_S5_N6thrust23THRUST_200600_302600_NS6detail15normal_iteratorINS8_7pointerIyNS8_11hip_rocprim5par_tENS8_11use_defaultESE_EEEENSA_INSB_IlSD_SE_SE_EEEEZNS1_13binary_searchIS3_S5_PySG_SI_NS1_21lower_bound_search_opENS9_16wrapped_functionINS8_6system6detail7generic6detail18binary_search_lessEbEEEE10hipError_tPvRmT1_T2_T3_mmT4_T5_P12ihipStream_tbEUlRKyE_EEST_SX_SY_mSZ_S12_bEUlT_E_NS1_11comp_targetILNS1_3genE8ELNS1_11target_archE1030ELNS1_3gpuE2ELNS1_3repE0EEENS1_30default_config_static_selectorELNS0_4arch9wavefront6targetE0EEEvSW_ ; -- Begin function _ZN7rocprim17ROCPRIM_400000_NS6detail17trampoline_kernelINS0_14default_configENS1_27lower_bound_config_selectorIylEEZNS1_14transform_implILb0ES3_S5_N6thrust23THRUST_200600_302600_NS6detail15normal_iteratorINS8_7pointerIyNS8_11hip_rocprim5par_tENS8_11use_defaultESE_EEEENSA_INSB_IlSD_SE_SE_EEEEZNS1_13binary_searchIS3_S5_PySG_SI_NS1_21lower_bound_search_opENS9_16wrapped_functionINS8_6system6detail7generic6detail18binary_search_lessEbEEEE10hipError_tPvRmT1_T2_T3_mmT4_T5_P12ihipStream_tbEUlRKyE_EEST_SX_SY_mSZ_S12_bEUlT_E_NS1_11comp_targetILNS1_3genE8ELNS1_11target_archE1030ELNS1_3gpuE2ELNS1_3repE0EEENS1_30default_config_static_selectorELNS0_4arch9wavefront6targetE0EEEvSW_
	.globl	_ZN7rocprim17ROCPRIM_400000_NS6detail17trampoline_kernelINS0_14default_configENS1_27lower_bound_config_selectorIylEEZNS1_14transform_implILb0ES3_S5_N6thrust23THRUST_200600_302600_NS6detail15normal_iteratorINS8_7pointerIyNS8_11hip_rocprim5par_tENS8_11use_defaultESE_EEEENSA_INSB_IlSD_SE_SE_EEEEZNS1_13binary_searchIS3_S5_PySG_SI_NS1_21lower_bound_search_opENS9_16wrapped_functionINS8_6system6detail7generic6detail18binary_search_lessEbEEEE10hipError_tPvRmT1_T2_T3_mmT4_T5_P12ihipStream_tbEUlRKyE_EEST_SX_SY_mSZ_S12_bEUlT_E_NS1_11comp_targetILNS1_3genE8ELNS1_11target_archE1030ELNS1_3gpuE2ELNS1_3repE0EEENS1_30default_config_static_selectorELNS0_4arch9wavefront6targetE0EEEvSW_
	.p2align	8
	.type	_ZN7rocprim17ROCPRIM_400000_NS6detail17trampoline_kernelINS0_14default_configENS1_27lower_bound_config_selectorIylEEZNS1_14transform_implILb0ES3_S5_N6thrust23THRUST_200600_302600_NS6detail15normal_iteratorINS8_7pointerIyNS8_11hip_rocprim5par_tENS8_11use_defaultESE_EEEENSA_INSB_IlSD_SE_SE_EEEEZNS1_13binary_searchIS3_S5_PySG_SI_NS1_21lower_bound_search_opENS9_16wrapped_functionINS8_6system6detail7generic6detail18binary_search_lessEbEEEE10hipError_tPvRmT1_T2_T3_mmT4_T5_P12ihipStream_tbEUlRKyE_EEST_SX_SY_mSZ_S12_bEUlT_E_NS1_11comp_targetILNS1_3genE8ELNS1_11target_archE1030ELNS1_3gpuE2ELNS1_3repE0EEENS1_30default_config_static_selectorELNS0_4arch9wavefront6targetE0EEEvSW_,@function
_ZN7rocprim17ROCPRIM_400000_NS6detail17trampoline_kernelINS0_14default_configENS1_27lower_bound_config_selectorIylEEZNS1_14transform_implILb0ES3_S5_N6thrust23THRUST_200600_302600_NS6detail15normal_iteratorINS8_7pointerIyNS8_11hip_rocprim5par_tENS8_11use_defaultESE_EEEENSA_INSB_IlSD_SE_SE_EEEEZNS1_13binary_searchIS3_S5_PySG_SI_NS1_21lower_bound_search_opENS9_16wrapped_functionINS8_6system6detail7generic6detail18binary_search_lessEbEEEE10hipError_tPvRmT1_T2_T3_mmT4_T5_P12ihipStream_tbEUlRKyE_EEST_SX_SY_mSZ_S12_bEUlT_E_NS1_11comp_targetILNS1_3genE8ELNS1_11target_archE1030ELNS1_3gpuE2ELNS1_3repE0EEENS1_30default_config_static_selectorELNS0_4arch9wavefront6targetE0EEEvSW_: ; @_ZN7rocprim17ROCPRIM_400000_NS6detail17trampoline_kernelINS0_14default_configENS1_27lower_bound_config_selectorIylEEZNS1_14transform_implILb0ES3_S5_N6thrust23THRUST_200600_302600_NS6detail15normal_iteratorINS8_7pointerIyNS8_11hip_rocprim5par_tENS8_11use_defaultESE_EEEENSA_INSB_IlSD_SE_SE_EEEEZNS1_13binary_searchIS3_S5_PySG_SI_NS1_21lower_bound_search_opENS9_16wrapped_functionINS8_6system6detail7generic6detail18binary_search_lessEbEEEE10hipError_tPvRmT1_T2_T3_mmT4_T5_P12ihipStream_tbEUlRKyE_EEST_SX_SY_mSZ_S12_bEUlT_E_NS1_11comp_targetILNS1_3genE8ELNS1_11target_archE1030ELNS1_3gpuE2ELNS1_3repE0EEENS1_30default_config_static_selectorELNS0_4arch9wavefront6targetE0EEEvSW_
; %bb.0:
	s_clause 0x3
	s_load_dwordx4 s[16:19], s[4:5], 0x0
	s_load_dwordx4 s[0:3], s[4:5], 0x18
	s_load_dword s15, s[4:5], 0x38
	s_load_dwordx2 s[10:11], s[4:5], 0x28
	s_waitcnt lgkmcnt(0)
	s_lshl_b64 s[8:9], s[18:19], 3
	s_add_u32 s13, s16, s8
	s_addc_u32 s14, s17, s9
	s_add_u32 s7, s0, s8
	s_addc_u32 s12, s1, s9
	s_add_i32 s15, s15, -1
	s_lshl_b32 s8, s6, 8
	s_mov_b32 s9, 0
	s_cmp_lg_u32 s6, s15
	s_mov_b32 s0, -1
	s_cbranch_scc0 .LBB61_7
; %bb.1:
	s_cmp_eq_u64 s[10:11], 0
	s_cbranch_scc1 .LBB61_5
; %bb.2:
	v_lshlrev_b32_e32 v1, 3, v0
	s_lshl_b64 s[0:1], s[8:9], 3
	v_mov_b32_e32 v5, s10
	s_add_u32 s0, s13, s0
	s_addc_u32 s1, s14, s1
	v_add_co_u32 v1, s0, s0, v1
	v_add_co_ci_u32_e64 v2, null, s1, 0, s0
	v_mov_b32_e32 v6, s11
	s_mov_b32 s1, 0
	flat_load_dwordx2 v[3:4], v[1:2]
	v_mov_b32_e32 v1, 0
	v_mov_b32_e32 v2, 0
	s_inst_prefetch 0x1
	.p2align	6
.LBB61_3:                               ; =>This Inner Loop Header: Depth=1
	v_sub_co_u32 v7, vcc_lo, v5, v1
	v_sub_co_ci_u32_e64 v8, null, v6, v2, vcc_lo
	v_lshrrev_b64 v[9:10], 1, v[7:8]
	v_lshrrev_b64 v[7:8], 6, v[7:8]
	v_add_co_u32 v9, vcc_lo, v9, v1
	v_add_co_ci_u32_e64 v10, null, v10, v2, vcc_lo
	v_add_co_u32 v7, vcc_lo, v9, v7
	v_add_co_ci_u32_e64 v8, null, v10, v8, vcc_lo
	v_lshlrev_b64 v[9:10], 3, v[7:8]
	v_add_co_u32 v9, vcc_lo, s2, v9
	v_add_co_ci_u32_e64 v10, null, s3, v10, vcc_lo
	v_add_co_u32 v11, vcc_lo, v7, 1
	global_load_dwordx2 v[9:10], v[9:10], off
	s_waitcnt vmcnt(0) lgkmcnt(0)
	v_cmp_lt_u64_e64 s0, v[9:10], v[3:4]
	v_add_co_ci_u32_e64 v9, null, 0, v8, vcc_lo
	v_cndmask_b32_e64 v6, v8, v6, s0
	v_cndmask_b32_e64 v5, v7, v5, s0
	;; [unrolled: 1-line block ×4, first 2 shown]
	v_cmp_ge_u64_e32 vcc_lo, v[1:2], v[5:6]
	s_or_b32 s1, vcc_lo, s1
	s_andn2_b32 exec_lo, exec_lo, s1
	s_cbranch_execnz .LBB61_3
; %bb.4:
	s_inst_prefetch 0x2
	s_or_b32 exec_lo, exec_lo, s1
	s_branch .LBB61_6
.LBB61_5:
	v_mov_b32_e32 v1, 0
	v_mov_b32_e32 v2, 0
.LBB61_6:
	v_lshlrev_b32_e32 v3, 3, v0
	s_lshl_b64 s[0:1], s[8:9], 3
	s_add_u32 s0, s7, s0
	s_addc_u32 s1, s12, s1
	v_add_co_u32 v3, s0, s0, v3
	v_add_co_ci_u32_e64 v4, null, s1, 0, s0
	s_mov_b32 s0, 0
	flat_store_dwordx2 v[3:4], v[1:2]
.LBB61_7:
	s_and_b32 vcc_lo, exec_lo, s0
	s_cbranch_vccz .LBB61_16
; %bb.8:
	s_load_dword s0, s[4:5], 0x10
                                        ; implicit-def: $vgpr3_vgpr4
	s_waitcnt lgkmcnt(0)
	s_sub_i32 s1, s0, s8
	v_cmp_le_u32_e64 s0, s1, v0
	v_cmp_gt_u32_e32 vcc_lo, s1, v0
	s_and_saveexec_b32 s1, vcc_lo
	s_cbranch_execz .LBB61_10
; %bb.9:
	v_lshlrev_b32_e32 v1, 3, v0
	s_lshl_b64 s[4:5], s[8:9], 3
	s_add_u32 s4, s13, s4
	s_addc_u32 s5, s14, s5
	v_add_co_u32 v1, s4, s4, v1
	v_add_co_ci_u32_e64 v2, null, s5, 0, s4
	flat_load_dwordx2 v[3:4], v[1:2]
.LBB61_10:
	s_or_b32 exec_lo, exec_lo, s1
	s_cmp_lg_u64 s[10:11], 0
	v_mov_b32_e32 v1, 0
	v_mov_b32_e32 v2, 0
	s_cselect_b32 s1, -1, 0
	s_xor_b32 s0, s0, -1
	s_and_b32 s0, s0, s1
	s_and_saveexec_b32 s4, s0
	s_cbranch_execz .LBB61_14
; %bb.11:
	v_mov_b32_e32 v1, 0
	v_mov_b32_e32 v5, s10
	;; [unrolled: 1-line block ×4, first 2 shown]
	s_mov_b32 s5, 0
	s_inst_prefetch 0x1
	.p2align	6
.LBB61_12:                              ; =>This Inner Loop Header: Depth=1
	v_sub_co_u32 v7, s0, v5, v1
	v_sub_co_ci_u32_e64 v8, null, v6, v2, s0
	v_lshrrev_b64 v[9:10], 1, v[7:8]
	v_lshrrev_b64 v[7:8], 6, v[7:8]
	v_add_co_u32 v9, s0, v9, v1
	v_add_co_ci_u32_e64 v10, null, v10, v2, s0
	v_add_co_u32 v7, s0, v9, v7
	v_add_co_ci_u32_e64 v8, null, v10, v8, s0
	v_lshlrev_b64 v[9:10], 3, v[7:8]
	v_add_co_u32 v9, s0, s2, v9
	v_add_co_ci_u32_e64 v10, null, s3, v10, s0
	v_add_co_u32 v11, s0, v7, 1
	global_load_dwordx2 v[9:10], v[9:10], off
	s_waitcnt vmcnt(0) lgkmcnt(0)
	v_cmp_lt_u64_e64 s1, v[9:10], v[3:4]
	v_add_co_ci_u32_e64 v9, null, 0, v8, s0
	v_cndmask_b32_e64 v6, v8, v6, s1
	v_cndmask_b32_e64 v5, v7, v5, s1
	;; [unrolled: 1-line block ×4, first 2 shown]
	v_cmp_ge_u64_e64 s0, v[1:2], v[5:6]
	s_or_b32 s5, s0, s5
	s_andn2_b32 exec_lo, exec_lo, s5
	s_cbranch_execnz .LBB61_12
; %bb.13:
	s_inst_prefetch 0x2
	s_or_b32 exec_lo, exec_lo, s5
.LBB61_14:
	s_or_b32 exec_lo, exec_lo, s4
	s_and_saveexec_b32 s0, vcc_lo
	s_cbranch_execz .LBB61_16
; %bb.15:
	v_lshlrev_b32_e32 v0, 3, v0
	s_lshl_b64 s[0:1], s[8:9], 3
	s_add_u32 s0, s7, s0
	s_addc_u32 s1, s12, s1
	s_waitcnt vmcnt(0) lgkmcnt(0)
	v_add_co_u32 v3, s0, s0, v0
	v_add_co_ci_u32_e64 v4, null, s1, 0, s0
	flat_store_dwordx2 v[3:4], v[1:2]
.LBB61_16:
	s_endpgm
	.section	.rodata,"a",@progbits
	.p2align	6, 0x0
	.amdhsa_kernel _ZN7rocprim17ROCPRIM_400000_NS6detail17trampoline_kernelINS0_14default_configENS1_27lower_bound_config_selectorIylEEZNS1_14transform_implILb0ES3_S5_N6thrust23THRUST_200600_302600_NS6detail15normal_iteratorINS8_7pointerIyNS8_11hip_rocprim5par_tENS8_11use_defaultESE_EEEENSA_INSB_IlSD_SE_SE_EEEEZNS1_13binary_searchIS3_S5_PySG_SI_NS1_21lower_bound_search_opENS9_16wrapped_functionINS8_6system6detail7generic6detail18binary_search_lessEbEEEE10hipError_tPvRmT1_T2_T3_mmT4_T5_P12ihipStream_tbEUlRKyE_EEST_SX_SY_mSZ_S12_bEUlT_E_NS1_11comp_targetILNS1_3genE8ELNS1_11target_archE1030ELNS1_3gpuE2ELNS1_3repE0EEENS1_30default_config_static_selectorELNS0_4arch9wavefront6targetE0EEEvSW_
		.amdhsa_group_segment_fixed_size 0
		.amdhsa_private_segment_fixed_size 0
		.amdhsa_kernarg_size 312
		.amdhsa_user_sgpr_count 6
		.amdhsa_user_sgpr_private_segment_buffer 1
		.amdhsa_user_sgpr_dispatch_ptr 0
		.amdhsa_user_sgpr_queue_ptr 0
		.amdhsa_user_sgpr_kernarg_segment_ptr 1
		.amdhsa_user_sgpr_dispatch_id 0
		.amdhsa_user_sgpr_flat_scratch_init 0
		.amdhsa_user_sgpr_private_segment_size 0
		.amdhsa_wavefront_size32 1
		.amdhsa_uses_dynamic_stack 0
		.amdhsa_system_sgpr_private_segment_wavefront_offset 0
		.amdhsa_system_sgpr_workgroup_id_x 1
		.amdhsa_system_sgpr_workgroup_id_y 0
		.amdhsa_system_sgpr_workgroup_id_z 0
		.amdhsa_system_sgpr_workgroup_info 0
		.amdhsa_system_vgpr_workitem_id 0
		.amdhsa_next_free_vgpr 12
		.amdhsa_next_free_sgpr 20
		.amdhsa_reserve_vcc 1
		.amdhsa_reserve_flat_scratch 0
		.amdhsa_float_round_mode_32 0
		.amdhsa_float_round_mode_16_64 0
		.amdhsa_float_denorm_mode_32 3
		.amdhsa_float_denorm_mode_16_64 3
		.amdhsa_dx10_clamp 1
		.amdhsa_ieee_mode 1
		.amdhsa_fp16_overflow 0
		.amdhsa_workgroup_processor_mode 1
		.amdhsa_memory_ordered 1
		.amdhsa_forward_progress 1
		.amdhsa_shared_vgpr_count 0
		.amdhsa_exception_fp_ieee_invalid_op 0
		.amdhsa_exception_fp_denorm_src 0
		.amdhsa_exception_fp_ieee_div_zero 0
		.amdhsa_exception_fp_ieee_overflow 0
		.amdhsa_exception_fp_ieee_underflow 0
		.amdhsa_exception_fp_ieee_inexact 0
		.amdhsa_exception_int_div_zero 0
	.end_amdhsa_kernel
	.section	.text._ZN7rocprim17ROCPRIM_400000_NS6detail17trampoline_kernelINS0_14default_configENS1_27lower_bound_config_selectorIylEEZNS1_14transform_implILb0ES3_S5_N6thrust23THRUST_200600_302600_NS6detail15normal_iteratorINS8_7pointerIyNS8_11hip_rocprim5par_tENS8_11use_defaultESE_EEEENSA_INSB_IlSD_SE_SE_EEEEZNS1_13binary_searchIS3_S5_PySG_SI_NS1_21lower_bound_search_opENS9_16wrapped_functionINS8_6system6detail7generic6detail18binary_search_lessEbEEEE10hipError_tPvRmT1_T2_T3_mmT4_T5_P12ihipStream_tbEUlRKyE_EEST_SX_SY_mSZ_S12_bEUlT_E_NS1_11comp_targetILNS1_3genE8ELNS1_11target_archE1030ELNS1_3gpuE2ELNS1_3repE0EEENS1_30default_config_static_selectorELNS0_4arch9wavefront6targetE0EEEvSW_,"axG",@progbits,_ZN7rocprim17ROCPRIM_400000_NS6detail17trampoline_kernelINS0_14default_configENS1_27lower_bound_config_selectorIylEEZNS1_14transform_implILb0ES3_S5_N6thrust23THRUST_200600_302600_NS6detail15normal_iteratorINS8_7pointerIyNS8_11hip_rocprim5par_tENS8_11use_defaultESE_EEEENSA_INSB_IlSD_SE_SE_EEEEZNS1_13binary_searchIS3_S5_PySG_SI_NS1_21lower_bound_search_opENS9_16wrapped_functionINS8_6system6detail7generic6detail18binary_search_lessEbEEEE10hipError_tPvRmT1_T2_T3_mmT4_T5_P12ihipStream_tbEUlRKyE_EEST_SX_SY_mSZ_S12_bEUlT_E_NS1_11comp_targetILNS1_3genE8ELNS1_11target_archE1030ELNS1_3gpuE2ELNS1_3repE0EEENS1_30default_config_static_selectorELNS0_4arch9wavefront6targetE0EEEvSW_,comdat
.Lfunc_end61:
	.size	_ZN7rocprim17ROCPRIM_400000_NS6detail17trampoline_kernelINS0_14default_configENS1_27lower_bound_config_selectorIylEEZNS1_14transform_implILb0ES3_S5_N6thrust23THRUST_200600_302600_NS6detail15normal_iteratorINS8_7pointerIyNS8_11hip_rocprim5par_tENS8_11use_defaultESE_EEEENSA_INSB_IlSD_SE_SE_EEEEZNS1_13binary_searchIS3_S5_PySG_SI_NS1_21lower_bound_search_opENS9_16wrapped_functionINS8_6system6detail7generic6detail18binary_search_lessEbEEEE10hipError_tPvRmT1_T2_T3_mmT4_T5_P12ihipStream_tbEUlRKyE_EEST_SX_SY_mSZ_S12_bEUlT_E_NS1_11comp_targetILNS1_3genE8ELNS1_11target_archE1030ELNS1_3gpuE2ELNS1_3repE0EEENS1_30default_config_static_selectorELNS0_4arch9wavefront6targetE0EEEvSW_, .Lfunc_end61-_ZN7rocprim17ROCPRIM_400000_NS6detail17trampoline_kernelINS0_14default_configENS1_27lower_bound_config_selectorIylEEZNS1_14transform_implILb0ES3_S5_N6thrust23THRUST_200600_302600_NS6detail15normal_iteratorINS8_7pointerIyNS8_11hip_rocprim5par_tENS8_11use_defaultESE_EEEENSA_INSB_IlSD_SE_SE_EEEEZNS1_13binary_searchIS3_S5_PySG_SI_NS1_21lower_bound_search_opENS9_16wrapped_functionINS8_6system6detail7generic6detail18binary_search_lessEbEEEE10hipError_tPvRmT1_T2_T3_mmT4_T5_P12ihipStream_tbEUlRKyE_EEST_SX_SY_mSZ_S12_bEUlT_E_NS1_11comp_targetILNS1_3genE8ELNS1_11target_archE1030ELNS1_3gpuE2ELNS1_3repE0EEENS1_30default_config_static_selectorELNS0_4arch9wavefront6targetE0EEEvSW_
                                        ; -- End function
	.set _ZN7rocprim17ROCPRIM_400000_NS6detail17trampoline_kernelINS0_14default_configENS1_27lower_bound_config_selectorIylEEZNS1_14transform_implILb0ES3_S5_N6thrust23THRUST_200600_302600_NS6detail15normal_iteratorINS8_7pointerIyNS8_11hip_rocprim5par_tENS8_11use_defaultESE_EEEENSA_INSB_IlSD_SE_SE_EEEEZNS1_13binary_searchIS3_S5_PySG_SI_NS1_21lower_bound_search_opENS9_16wrapped_functionINS8_6system6detail7generic6detail18binary_search_lessEbEEEE10hipError_tPvRmT1_T2_T3_mmT4_T5_P12ihipStream_tbEUlRKyE_EEST_SX_SY_mSZ_S12_bEUlT_E_NS1_11comp_targetILNS1_3genE8ELNS1_11target_archE1030ELNS1_3gpuE2ELNS1_3repE0EEENS1_30default_config_static_selectorELNS0_4arch9wavefront6targetE0EEEvSW_.num_vgpr, 12
	.set _ZN7rocprim17ROCPRIM_400000_NS6detail17trampoline_kernelINS0_14default_configENS1_27lower_bound_config_selectorIylEEZNS1_14transform_implILb0ES3_S5_N6thrust23THRUST_200600_302600_NS6detail15normal_iteratorINS8_7pointerIyNS8_11hip_rocprim5par_tENS8_11use_defaultESE_EEEENSA_INSB_IlSD_SE_SE_EEEEZNS1_13binary_searchIS3_S5_PySG_SI_NS1_21lower_bound_search_opENS9_16wrapped_functionINS8_6system6detail7generic6detail18binary_search_lessEbEEEE10hipError_tPvRmT1_T2_T3_mmT4_T5_P12ihipStream_tbEUlRKyE_EEST_SX_SY_mSZ_S12_bEUlT_E_NS1_11comp_targetILNS1_3genE8ELNS1_11target_archE1030ELNS1_3gpuE2ELNS1_3repE0EEENS1_30default_config_static_selectorELNS0_4arch9wavefront6targetE0EEEvSW_.num_agpr, 0
	.set _ZN7rocprim17ROCPRIM_400000_NS6detail17trampoline_kernelINS0_14default_configENS1_27lower_bound_config_selectorIylEEZNS1_14transform_implILb0ES3_S5_N6thrust23THRUST_200600_302600_NS6detail15normal_iteratorINS8_7pointerIyNS8_11hip_rocprim5par_tENS8_11use_defaultESE_EEEENSA_INSB_IlSD_SE_SE_EEEEZNS1_13binary_searchIS3_S5_PySG_SI_NS1_21lower_bound_search_opENS9_16wrapped_functionINS8_6system6detail7generic6detail18binary_search_lessEbEEEE10hipError_tPvRmT1_T2_T3_mmT4_T5_P12ihipStream_tbEUlRKyE_EEST_SX_SY_mSZ_S12_bEUlT_E_NS1_11comp_targetILNS1_3genE8ELNS1_11target_archE1030ELNS1_3gpuE2ELNS1_3repE0EEENS1_30default_config_static_selectorELNS0_4arch9wavefront6targetE0EEEvSW_.numbered_sgpr, 20
	.set _ZN7rocprim17ROCPRIM_400000_NS6detail17trampoline_kernelINS0_14default_configENS1_27lower_bound_config_selectorIylEEZNS1_14transform_implILb0ES3_S5_N6thrust23THRUST_200600_302600_NS6detail15normal_iteratorINS8_7pointerIyNS8_11hip_rocprim5par_tENS8_11use_defaultESE_EEEENSA_INSB_IlSD_SE_SE_EEEEZNS1_13binary_searchIS3_S5_PySG_SI_NS1_21lower_bound_search_opENS9_16wrapped_functionINS8_6system6detail7generic6detail18binary_search_lessEbEEEE10hipError_tPvRmT1_T2_T3_mmT4_T5_P12ihipStream_tbEUlRKyE_EEST_SX_SY_mSZ_S12_bEUlT_E_NS1_11comp_targetILNS1_3genE8ELNS1_11target_archE1030ELNS1_3gpuE2ELNS1_3repE0EEENS1_30default_config_static_selectorELNS0_4arch9wavefront6targetE0EEEvSW_.num_named_barrier, 0
	.set _ZN7rocprim17ROCPRIM_400000_NS6detail17trampoline_kernelINS0_14default_configENS1_27lower_bound_config_selectorIylEEZNS1_14transform_implILb0ES3_S5_N6thrust23THRUST_200600_302600_NS6detail15normal_iteratorINS8_7pointerIyNS8_11hip_rocprim5par_tENS8_11use_defaultESE_EEEENSA_INSB_IlSD_SE_SE_EEEEZNS1_13binary_searchIS3_S5_PySG_SI_NS1_21lower_bound_search_opENS9_16wrapped_functionINS8_6system6detail7generic6detail18binary_search_lessEbEEEE10hipError_tPvRmT1_T2_T3_mmT4_T5_P12ihipStream_tbEUlRKyE_EEST_SX_SY_mSZ_S12_bEUlT_E_NS1_11comp_targetILNS1_3genE8ELNS1_11target_archE1030ELNS1_3gpuE2ELNS1_3repE0EEENS1_30default_config_static_selectorELNS0_4arch9wavefront6targetE0EEEvSW_.private_seg_size, 0
	.set _ZN7rocprim17ROCPRIM_400000_NS6detail17trampoline_kernelINS0_14default_configENS1_27lower_bound_config_selectorIylEEZNS1_14transform_implILb0ES3_S5_N6thrust23THRUST_200600_302600_NS6detail15normal_iteratorINS8_7pointerIyNS8_11hip_rocprim5par_tENS8_11use_defaultESE_EEEENSA_INSB_IlSD_SE_SE_EEEEZNS1_13binary_searchIS3_S5_PySG_SI_NS1_21lower_bound_search_opENS9_16wrapped_functionINS8_6system6detail7generic6detail18binary_search_lessEbEEEE10hipError_tPvRmT1_T2_T3_mmT4_T5_P12ihipStream_tbEUlRKyE_EEST_SX_SY_mSZ_S12_bEUlT_E_NS1_11comp_targetILNS1_3genE8ELNS1_11target_archE1030ELNS1_3gpuE2ELNS1_3repE0EEENS1_30default_config_static_selectorELNS0_4arch9wavefront6targetE0EEEvSW_.uses_vcc, 1
	.set _ZN7rocprim17ROCPRIM_400000_NS6detail17trampoline_kernelINS0_14default_configENS1_27lower_bound_config_selectorIylEEZNS1_14transform_implILb0ES3_S5_N6thrust23THRUST_200600_302600_NS6detail15normal_iteratorINS8_7pointerIyNS8_11hip_rocprim5par_tENS8_11use_defaultESE_EEEENSA_INSB_IlSD_SE_SE_EEEEZNS1_13binary_searchIS3_S5_PySG_SI_NS1_21lower_bound_search_opENS9_16wrapped_functionINS8_6system6detail7generic6detail18binary_search_lessEbEEEE10hipError_tPvRmT1_T2_T3_mmT4_T5_P12ihipStream_tbEUlRKyE_EEST_SX_SY_mSZ_S12_bEUlT_E_NS1_11comp_targetILNS1_3genE8ELNS1_11target_archE1030ELNS1_3gpuE2ELNS1_3repE0EEENS1_30default_config_static_selectorELNS0_4arch9wavefront6targetE0EEEvSW_.uses_flat_scratch, 0
	.set _ZN7rocprim17ROCPRIM_400000_NS6detail17trampoline_kernelINS0_14default_configENS1_27lower_bound_config_selectorIylEEZNS1_14transform_implILb0ES3_S5_N6thrust23THRUST_200600_302600_NS6detail15normal_iteratorINS8_7pointerIyNS8_11hip_rocprim5par_tENS8_11use_defaultESE_EEEENSA_INSB_IlSD_SE_SE_EEEEZNS1_13binary_searchIS3_S5_PySG_SI_NS1_21lower_bound_search_opENS9_16wrapped_functionINS8_6system6detail7generic6detail18binary_search_lessEbEEEE10hipError_tPvRmT1_T2_T3_mmT4_T5_P12ihipStream_tbEUlRKyE_EEST_SX_SY_mSZ_S12_bEUlT_E_NS1_11comp_targetILNS1_3genE8ELNS1_11target_archE1030ELNS1_3gpuE2ELNS1_3repE0EEENS1_30default_config_static_selectorELNS0_4arch9wavefront6targetE0EEEvSW_.has_dyn_sized_stack, 0
	.set _ZN7rocprim17ROCPRIM_400000_NS6detail17trampoline_kernelINS0_14default_configENS1_27lower_bound_config_selectorIylEEZNS1_14transform_implILb0ES3_S5_N6thrust23THRUST_200600_302600_NS6detail15normal_iteratorINS8_7pointerIyNS8_11hip_rocprim5par_tENS8_11use_defaultESE_EEEENSA_INSB_IlSD_SE_SE_EEEEZNS1_13binary_searchIS3_S5_PySG_SI_NS1_21lower_bound_search_opENS9_16wrapped_functionINS8_6system6detail7generic6detail18binary_search_lessEbEEEE10hipError_tPvRmT1_T2_T3_mmT4_T5_P12ihipStream_tbEUlRKyE_EEST_SX_SY_mSZ_S12_bEUlT_E_NS1_11comp_targetILNS1_3genE8ELNS1_11target_archE1030ELNS1_3gpuE2ELNS1_3repE0EEENS1_30default_config_static_selectorELNS0_4arch9wavefront6targetE0EEEvSW_.has_recursion, 0
	.set _ZN7rocprim17ROCPRIM_400000_NS6detail17trampoline_kernelINS0_14default_configENS1_27lower_bound_config_selectorIylEEZNS1_14transform_implILb0ES3_S5_N6thrust23THRUST_200600_302600_NS6detail15normal_iteratorINS8_7pointerIyNS8_11hip_rocprim5par_tENS8_11use_defaultESE_EEEENSA_INSB_IlSD_SE_SE_EEEEZNS1_13binary_searchIS3_S5_PySG_SI_NS1_21lower_bound_search_opENS9_16wrapped_functionINS8_6system6detail7generic6detail18binary_search_lessEbEEEE10hipError_tPvRmT1_T2_T3_mmT4_T5_P12ihipStream_tbEUlRKyE_EEST_SX_SY_mSZ_S12_bEUlT_E_NS1_11comp_targetILNS1_3genE8ELNS1_11target_archE1030ELNS1_3gpuE2ELNS1_3repE0EEENS1_30default_config_static_selectorELNS0_4arch9wavefront6targetE0EEEvSW_.has_indirect_call, 0
	.section	.AMDGPU.csdata,"",@progbits
; Kernel info:
; codeLenInByte = 820
; TotalNumSgprs: 22
; NumVgprs: 12
; ScratchSize: 0
; MemoryBound: 0
; FloatMode: 240
; IeeeMode: 1
; LDSByteSize: 0 bytes/workgroup (compile time only)
; SGPRBlocks: 0
; VGPRBlocks: 1
; NumSGPRsForWavesPerEU: 22
; NumVGPRsForWavesPerEU: 12
; Occupancy: 16
; WaveLimiterHint : 0
; COMPUTE_PGM_RSRC2:SCRATCH_EN: 0
; COMPUTE_PGM_RSRC2:USER_SGPR: 6
; COMPUTE_PGM_RSRC2:TRAP_HANDLER: 0
; COMPUTE_PGM_RSRC2:TGID_X_EN: 1
; COMPUTE_PGM_RSRC2:TGID_Y_EN: 0
; COMPUTE_PGM_RSRC2:TGID_Z_EN: 0
; COMPUTE_PGM_RSRC2:TIDIG_COMP_CNT: 0
	.section	.text._ZN6thrust23THRUST_200600_302600_NS11hip_rocprim14__parallel_for6kernelILj256ENS1_20__uninitialized_fill7functorINS0_10device_ptrIjEEjEEmLj1EEEvT0_T1_SA_,"axG",@progbits,_ZN6thrust23THRUST_200600_302600_NS11hip_rocprim14__parallel_for6kernelILj256ENS1_20__uninitialized_fill7functorINS0_10device_ptrIjEEjEEmLj1EEEvT0_T1_SA_,comdat
	.protected	_ZN6thrust23THRUST_200600_302600_NS11hip_rocprim14__parallel_for6kernelILj256ENS1_20__uninitialized_fill7functorINS0_10device_ptrIjEEjEEmLj1EEEvT0_T1_SA_ ; -- Begin function _ZN6thrust23THRUST_200600_302600_NS11hip_rocprim14__parallel_for6kernelILj256ENS1_20__uninitialized_fill7functorINS0_10device_ptrIjEEjEEmLj1EEEvT0_T1_SA_
	.globl	_ZN6thrust23THRUST_200600_302600_NS11hip_rocprim14__parallel_for6kernelILj256ENS1_20__uninitialized_fill7functorINS0_10device_ptrIjEEjEEmLj1EEEvT0_T1_SA_
	.p2align	8
	.type	_ZN6thrust23THRUST_200600_302600_NS11hip_rocprim14__parallel_for6kernelILj256ENS1_20__uninitialized_fill7functorINS0_10device_ptrIjEEjEEmLj1EEEvT0_T1_SA_,@function
_ZN6thrust23THRUST_200600_302600_NS11hip_rocprim14__parallel_for6kernelILj256ENS1_20__uninitialized_fill7functorINS0_10device_ptrIjEEjEEmLj1EEEvT0_T1_SA_: ; @_ZN6thrust23THRUST_200600_302600_NS11hip_rocprim14__parallel_for6kernelILj256ENS1_20__uninitialized_fill7functorINS0_10device_ptrIjEEjEEmLj1EEEvT0_T1_SA_
; %bb.0:
	s_clause 0x2
	s_load_dwordx4 s[8:11], s[4:5], 0x10
	s_load_dwordx2 s[0:1], s[4:5], 0x0
	s_load_dword s7, s[4:5], 0x8
	s_lshl_b32 s2, s6, 8
	s_waitcnt lgkmcnt(0)
	s_add_u32 s2, s10, s2
	s_addc_u32 s3, s11, 0
	s_sub_u32 s4, s8, s2
	s_subb_u32 s5, s9, s3
	v_cmp_lt_u64_e64 s5, 0xff, s[4:5]
	s_and_b32 vcc_lo, exec_lo, s5
	s_mov_b32 s5, -1
	s_cbranch_vccz .LBB62_3
; %bb.1:
	s_andn2_b32 vcc_lo, exec_lo, s5
	s_cbranch_vccz .LBB62_6
.LBB62_2:
	s_endpgm
.LBB62_3:
	v_cmp_gt_u32_e32 vcc_lo, s4, v0
	s_and_saveexec_b32 s4, vcc_lo
	s_cbranch_execz .LBB62_5
; %bb.4:
	v_lshlrev_b32_e32 v1, 2, v0
	s_lshl_b64 s[8:9], s[2:3], 2
	v_mov_b32_e32 v3, s7
	s_add_u32 s5, s0, s8
	s_addc_u32 s6, s1, s9
	v_add_co_u32 v1, s5, s5, v1
	v_add_co_ci_u32_e64 v2, null, s6, 0, s5
	flat_store_dword v[1:2], v3
.LBB62_5:
	s_or_b32 exec_lo, exec_lo, s4
	s_cbranch_execnz .LBB62_2
.LBB62_6:
	v_lshlrev_b32_e32 v0, 2, v0
	s_lshl_b64 s[2:3], s[2:3], 2
	v_mov_b32_e32 v2, s7
	s_add_u32 s0, s0, s2
	s_addc_u32 s1, s1, s3
	v_add_co_u32 v0, s0, s0, v0
	v_add_co_ci_u32_e64 v1, null, s1, 0, s0
	flat_store_dword v[0:1], v2
	s_endpgm
	.section	.rodata,"a",@progbits
	.p2align	6, 0x0
	.amdhsa_kernel _ZN6thrust23THRUST_200600_302600_NS11hip_rocprim14__parallel_for6kernelILj256ENS1_20__uninitialized_fill7functorINS0_10device_ptrIjEEjEEmLj1EEEvT0_T1_SA_
		.amdhsa_group_segment_fixed_size 0
		.amdhsa_private_segment_fixed_size 0
		.amdhsa_kernarg_size 32
		.amdhsa_user_sgpr_count 6
		.amdhsa_user_sgpr_private_segment_buffer 1
		.amdhsa_user_sgpr_dispatch_ptr 0
		.amdhsa_user_sgpr_queue_ptr 0
		.amdhsa_user_sgpr_kernarg_segment_ptr 1
		.amdhsa_user_sgpr_dispatch_id 0
		.amdhsa_user_sgpr_flat_scratch_init 0
		.amdhsa_user_sgpr_private_segment_size 0
		.amdhsa_wavefront_size32 1
		.amdhsa_uses_dynamic_stack 0
		.amdhsa_system_sgpr_private_segment_wavefront_offset 0
		.amdhsa_system_sgpr_workgroup_id_x 1
		.amdhsa_system_sgpr_workgroup_id_y 0
		.amdhsa_system_sgpr_workgroup_id_z 0
		.amdhsa_system_sgpr_workgroup_info 0
		.amdhsa_system_vgpr_workitem_id 0
		.amdhsa_next_free_vgpr 4
		.amdhsa_next_free_sgpr 12
		.amdhsa_reserve_vcc 1
		.amdhsa_reserve_flat_scratch 0
		.amdhsa_float_round_mode_32 0
		.amdhsa_float_round_mode_16_64 0
		.amdhsa_float_denorm_mode_32 3
		.amdhsa_float_denorm_mode_16_64 3
		.amdhsa_dx10_clamp 1
		.amdhsa_ieee_mode 1
		.amdhsa_fp16_overflow 0
		.amdhsa_workgroup_processor_mode 1
		.amdhsa_memory_ordered 1
		.amdhsa_forward_progress 1
		.amdhsa_shared_vgpr_count 0
		.amdhsa_exception_fp_ieee_invalid_op 0
		.amdhsa_exception_fp_denorm_src 0
		.amdhsa_exception_fp_ieee_div_zero 0
		.amdhsa_exception_fp_ieee_overflow 0
		.amdhsa_exception_fp_ieee_underflow 0
		.amdhsa_exception_fp_ieee_inexact 0
		.amdhsa_exception_int_div_zero 0
	.end_amdhsa_kernel
	.section	.text._ZN6thrust23THRUST_200600_302600_NS11hip_rocprim14__parallel_for6kernelILj256ENS1_20__uninitialized_fill7functorINS0_10device_ptrIjEEjEEmLj1EEEvT0_T1_SA_,"axG",@progbits,_ZN6thrust23THRUST_200600_302600_NS11hip_rocprim14__parallel_for6kernelILj256ENS1_20__uninitialized_fill7functorINS0_10device_ptrIjEEjEEmLj1EEEvT0_T1_SA_,comdat
.Lfunc_end62:
	.size	_ZN6thrust23THRUST_200600_302600_NS11hip_rocprim14__parallel_for6kernelILj256ENS1_20__uninitialized_fill7functorINS0_10device_ptrIjEEjEEmLj1EEEvT0_T1_SA_, .Lfunc_end62-_ZN6thrust23THRUST_200600_302600_NS11hip_rocprim14__parallel_for6kernelILj256ENS1_20__uninitialized_fill7functorINS0_10device_ptrIjEEjEEmLj1EEEvT0_T1_SA_
                                        ; -- End function
	.set _ZN6thrust23THRUST_200600_302600_NS11hip_rocprim14__parallel_for6kernelILj256ENS1_20__uninitialized_fill7functorINS0_10device_ptrIjEEjEEmLj1EEEvT0_T1_SA_.num_vgpr, 4
	.set _ZN6thrust23THRUST_200600_302600_NS11hip_rocprim14__parallel_for6kernelILj256ENS1_20__uninitialized_fill7functorINS0_10device_ptrIjEEjEEmLj1EEEvT0_T1_SA_.num_agpr, 0
	.set _ZN6thrust23THRUST_200600_302600_NS11hip_rocprim14__parallel_for6kernelILj256ENS1_20__uninitialized_fill7functorINS0_10device_ptrIjEEjEEmLj1EEEvT0_T1_SA_.numbered_sgpr, 12
	.set _ZN6thrust23THRUST_200600_302600_NS11hip_rocprim14__parallel_for6kernelILj256ENS1_20__uninitialized_fill7functorINS0_10device_ptrIjEEjEEmLj1EEEvT0_T1_SA_.num_named_barrier, 0
	.set _ZN6thrust23THRUST_200600_302600_NS11hip_rocprim14__parallel_for6kernelILj256ENS1_20__uninitialized_fill7functorINS0_10device_ptrIjEEjEEmLj1EEEvT0_T1_SA_.private_seg_size, 0
	.set _ZN6thrust23THRUST_200600_302600_NS11hip_rocprim14__parallel_for6kernelILj256ENS1_20__uninitialized_fill7functorINS0_10device_ptrIjEEjEEmLj1EEEvT0_T1_SA_.uses_vcc, 1
	.set _ZN6thrust23THRUST_200600_302600_NS11hip_rocprim14__parallel_for6kernelILj256ENS1_20__uninitialized_fill7functorINS0_10device_ptrIjEEjEEmLj1EEEvT0_T1_SA_.uses_flat_scratch, 0
	.set _ZN6thrust23THRUST_200600_302600_NS11hip_rocprim14__parallel_for6kernelILj256ENS1_20__uninitialized_fill7functorINS0_10device_ptrIjEEjEEmLj1EEEvT0_T1_SA_.has_dyn_sized_stack, 0
	.set _ZN6thrust23THRUST_200600_302600_NS11hip_rocprim14__parallel_for6kernelILj256ENS1_20__uninitialized_fill7functorINS0_10device_ptrIjEEjEEmLj1EEEvT0_T1_SA_.has_recursion, 0
	.set _ZN6thrust23THRUST_200600_302600_NS11hip_rocprim14__parallel_for6kernelILj256ENS1_20__uninitialized_fill7functorINS0_10device_ptrIjEEjEEmLj1EEEvT0_T1_SA_.has_indirect_call, 0
	.section	.AMDGPU.csdata,"",@progbits
; Kernel info:
; codeLenInByte = 200
; TotalNumSgprs: 14
; NumVgprs: 4
; ScratchSize: 0
; MemoryBound: 0
; FloatMode: 240
; IeeeMode: 1
; LDSByteSize: 0 bytes/workgroup (compile time only)
; SGPRBlocks: 0
; VGPRBlocks: 0
; NumSGPRsForWavesPerEU: 14
; NumVGPRsForWavesPerEU: 4
; Occupancy: 16
; WaveLimiterHint : 0
; COMPUTE_PGM_RSRC2:SCRATCH_EN: 0
; COMPUTE_PGM_RSRC2:USER_SGPR: 6
; COMPUTE_PGM_RSRC2:TRAP_HANDLER: 0
; COMPUTE_PGM_RSRC2:TGID_X_EN: 1
; COMPUTE_PGM_RSRC2:TGID_Y_EN: 0
; COMPUTE_PGM_RSRC2:TGID_Z_EN: 0
; COMPUTE_PGM_RSRC2:TIDIG_COMP_CNT: 0
	.section	.text._Z18lower_bound_kernelIjEvmPT_Pl,"axG",@progbits,_Z18lower_bound_kernelIjEvmPT_Pl,comdat
	.protected	_Z18lower_bound_kernelIjEvmPT_Pl ; -- Begin function _Z18lower_bound_kernelIjEvmPT_Pl
	.globl	_Z18lower_bound_kernelIjEvmPT_Pl
	.p2align	8
	.type	_Z18lower_bound_kernelIjEvmPT_Pl,@function
_Z18lower_bound_kernelIjEvmPT_Pl:       ; @_Z18lower_bound_kernelIjEvmPT_Pl
; %bb.0:
	s_clause 0x1
	s_load_dwordx4 s[0:3], s[4:5], 0x0
	s_load_dwordx2 s[4:5], s[4:5], 0x10
	v_mov_b32_e32 v0, 0
	v_mov_b32_e32 v1, v0
	s_waitcnt lgkmcnt(0)
	s_lshl_b64 s[0:1], s[0:1], 2
	global_store_dwordx2 v0, v[0:1], s[4:5]
	s_add_u32 s0, s2, s0
	s_addc_u32 s1, s3, s1
	s_sub_u32 s0, s0, s2
	s_subb_u32 s1, s1, s3
	s_ashr_i64 s[6:7], s[0:1], 2
	s_mov_b32 s1, -1
	v_cmp_lt_i64_e64 s0, s[6:7], 1
	s_and_b32 s0, exec_lo, s0
	s_mov_b32 vcc_lo, s0
	s_cbranch_vccz .LBB63_2
; %bb.1:
	v_mov_b32_e32 v1, v0
	v_mov_b32_e32 v2, v0
	;; [unrolled: 1-line block ×3, first 2 shown]
	s_mov_b32 s1, 0
	global_store_dwordx4 v0, v[0:3], s[4:5] offset:8
.LBB63_2:
	s_andn2_b32 vcc_lo, exec_lo, s1
	s_mov_b64 s[8:9], 0
	s_cbranch_vccnz .LBB63_9
; %bb.3:
	s_mov_b64 s[10:11], s[6:7]
	.p2align	6
.LBB63_4:                               ; =>This Inner Loop Header: Depth=1
	s_sub_u32 s12, s10, s8
	s_subb_u32 s13, s11, s9
	s_lshr_b64 s[12:13], s[12:13], 1
	s_add_u32 s12, s12, s8
	s_addc_u32 s13, s13, s9
	s_lshl_b64 s[14:15], s[12:13], 2
	s_add_u32 s14, s2, s14
	s_addc_u32 s15, s3, s15
	s_load_dword s1, s[14:15], 0x0
	s_add_u32 s14, s12, 1
	s_addc_u32 s15, s13, 0
	s_waitcnt lgkmcnt(0)
	s_cmp_eq_u32 s1, 0
	s_cselect_b32 s9, s15, s9
	s_cselect_b32 s8, s14, s8
	;; [unrolled: 1-line block ×4, first 2 shown]
	v_cmp_lt_i64_e64 s1, s[8:9], s[10:11]
	s_and_b32 vcc_lo, exec_lo, s1
	s_cbranch_vccnz .LBB63_4
; %bb.5:
	s_lshl_b64 s[8:9], s[8:9], 2
	v_mov_b32_e32 v2, 0
	s_add_u32 s1, s2, s8
	s_addc_u32 s9, s3, s9
	s_sub_u32 s8, s1, s2
	s_subb_u32 s9, s9, s3
	s_mov_b64 s[10:11], s[6:7]
	s_ashr_i64 s[8:9], s[8:9], 2
	v_mov_b32_e32 v0, s8
	v_mov_b32_e32 v1, s9
	s_mov_b64 s[8:9], 0
	global_store_dwordx2 v2, v[0:1], s[4:5] offset:8
	.p2align	6
.LBB63_6:                               ; =>This Inner Loop Header: Depth=1
	s_sub_u32 s12, s10, s8
	s_subb_u32 s13, s11, s9
	s_lshr_b64 s[12:13], s[12:13], 1
	s_add_u32 s12, s12, s8
	s_addc_u32 s13, s13, s9
	s_lshl_b64 s[14:15], s[12:13], 2
	s_add_u32 s14, s2, s14
	s_addc_u32 s15, s3, s15
	s_load_dword s1, s[14:15], 0x0
	s_add_u32 s14, s12, 1
	s_addc_u32 s15, s13, 0
	s_waitcnt lgkmcnt(0)
	s_cmp_lt_u32 s1, 2
	s_cselect_b32 s9, s15, s9
	s_cselect_b32 s8, s14, s8
	;; [unrolled: 1-line block ×4, first 2 shown]
	v_cmp_lt_i64_e64 s1, s[8:9], s[10:11]
	s_and_b32 vcc_lo, exec_lo, s1
	s_cbranch_vccnz .LBB63_6
; %bb.7:
	s_lshl_b64 s[8:9], s[8:9], 2
	v_mov_b32_e32 v2, 0
	s_add_u32 s1, s2, s8
	s_addc_u32 s9, s3, s9
	s_sub_u32 s8, s1, s2
	s_subb_u32 s9, s9, s3
	s_mov_b64 s[10:11], s[6:7]
	s_ashr_i64 s[8:9], s[8:9], 2
	v_mov_b32_e32 v0, s8
	v_mov_b32_e32 v1, s9
	s_mov_b64 s[8:9], 0
	global_store_dwordx2 v2, v[0:1], s[4:5] offset:16
	.p2align	6
.LBB63_8:                               ; =>This Inner Loop Header: Depth=1
	s_sub_u32 s12, s10, s8
	s_subb_u32 s13, s11, s9
	s_lshr_b64 s[12:13], s[12:13], 1
	s_add_u32 s12, s12, s8
	s_addc_u32 s13, s13, s9
	s_lshl_b64 s[14:15], s[12:13], 2
	s_add_u32 s14, s2, s14
	s_addc_u32 s15, s3, s15
	s_load_dword s1, s[14:15], 0x0
	s_add_u32 s14, s12, 1
	s_addc_u32 s15, s13, 0
	s_waitcnt lgkmcnt(0)
	s_cmp_lt_u32 s1, 3
	s_cselect_b32 s9, s15, s9
	s_cselect_b32 s8, s14, s8
	;; [unrolled: 1-line block ×4, first 2 shown]
	v_cmp_ge_i64_e64 s1, s[8:9], s[10:11]
	s_and_b32 vcc_lo, exec_lo, s1
	s_cbranch_vccz .LBB63_8
.LBB63_9:
	s_lshl_b64 s[8:9], s[8:9], 2
	v_mov_b32_e32 v0, 0
	s_add_u32 s1, s2, s8
	s_addc_u32 s9, s3, s9
	s_sub_u32 s8, s1, s2
	s_subb_u32 s9, s9, s3
	s_mov_b32 s1, -1
	s_ashr_i64 s[8:9], s[8:9], 2
	s_mov_b32 vcc_lo, s0
	v_mov_b32_e32 v1, s8
	v_mov_b32_e32 v2, s9
	global_store_dwordx2 v0, v[1:2], s[4:5] offset:24
	s_cbranch_vccz .LBB63_11
; %bb.10:
	v_mov_b32_e32 v1, v0
	s_mov_b32 s1, 0
	global_store_dwordx2 v0, v[0:1], s[4:5] offset:32
.LBB63_11:
	s_andn2_b32 vcc_lo, exec_lo, s1
	s_mov_b64 s[8:9], 0
	s_cbranch_vccnz .LBB63_16
; %bb.12:
	s_mov_b64 s[10:11], s[6:7]
	.p2align	6
.LBB63_13:                              ; =>This Inner Loop Header: Depth=1
	s_sub_u32 s12, s10, s8
	s_subb_u32 s13, s11, s9
	s_lshr_b64 s[12:13], s[12:13], 1
	s_add_u32 s12, s12, s8
	s_addc_u32 s13, s13, s9
	s_lshl_b64 s[14:15], s[12:13], 2
	s_add_u32 s14, s2, s14
	s_addc_u32 s15, s3, s15
	s_load_dword s1, s[14:15], 0x0
	s_add_u32 s14, s12, 1
	s_addc_u32 s15, s13, 0
	s_waitcnt lgkmcnt(0)
	s_cmp_lt_u32 s1, 4
	s_cselect_b32 s9, s15, s9
	s_cselect_b32 s8, s14, s8
	;; [unrolled: 1-line block ×4, first 2 shown]
	v_cmp_lt_i64_e64 s1, s[8:9], s[10:11]
	s_and_b32 vcc_lo, exec_lo, s1
	s_cbranch_vccnz .LBB63_13
; %bb.14:
	s_lshl_b64 s[8:9], s[8:9], 2
	v_mov_b32_e32 v2, 0
	s_add_u32 s1, s2, s8
	s_addc_u32 s9, s3, s9
	s_sub_u32 s8, s1, s2
	s_subb_u32 s9, s9, s3
	s_mov_b64 s[10:11], s[6:7]
	s_ashr_i64 s[8:9], s[8:9], 2
	v_mov_b32_e32 v0, s8
	v_mov_b32_e32 v1, s9
	s_mov_b64 s[8:9], 0
	global_store_dwordx2 v2, v[0:1], s[4:5] offset:32
	.p2align	6
.LBB63_15:                              ; =>This Inner Loop Header: Depth=1
	s_sub_u32 s12, s10, s8
	s_subb_u32 s13, s11, s9
	s_lshr_b64 s[12:13], s[12:13], 1
	s_add_u32 s12, s12, s8
	s_addc_u32 s13, s13, s9
	s_lshl_b64 s[14:15], s[12:13], 2
	s_add_u32 s14, s2, s14
	s_addc_u32 s15, s3, s15
	s_load_dword s1, s[14:15], 0x0
	s_add_u32 s14, s12, 1
	s_addc_u32 s15, s13, 0
	s_waitcnt lgkmcnt(0)
	s_cmp_lt_u32 s1, 5
	s_cselect_b32 s9, s15, s9
	s_cselect_b32 s8, s14, s8
	;; [unrolled: 1-line block ×4, first 2 shown]
	v_cmp_ge_i64_e64 s1, s[8:9], s[10:11]
	s_and_b32 vcc_lo, exec_lo, s1
	s_cbranch_vccz .LBB63_15
.LBB63_16:
	s_lshl_b64 s[8:9], s[8:9], 2
	v_mov_b32_e32 v0, 0
	s_add_u32 s1, s2, s8
	s_addc_u32 s9, s3, s9
	s_sub_u32 s8, s1, s2
	s_subb_u32 s9, s9, s3
	s_mov_b32 s1, -1
	s_ashr_i64 s[8:9], s[8:9], 2
	s_mov_b32 vcc_lo, s0
	v_mov_b32_e32 v1, s8
	v_mov_b32_e32 v2, s9
	global_store_dwordx2 v0, v[1:2], s[4:5] offset:40
	s_cbranch_vccz .LBB63_18
; %bb.17:
	v_mov_b32_e32 v1, v0
	s_mov_b32 s1, 0
	global_store_dwordx2 v0, v[0:1], s[4:5] offset:48
.LBB63_18:
	s_andn2_b32 vcc_lo, exec_lo, s1
	s_mov_b64 s[8:9], 0
	s_cbranch_vccnz .LBB63_23
; %bb.19:
	s_mov_b64 s[10:11], s[6:7]
	.p2align	6
.LBB63_20:                              ; =>This Inner Loop Header: Depth=1
	s_sub_u32 s12, s10, s8
	s_subb_u32 s13, s11, s9
	s_lshr_b64 s[12:13], s[12:13], 1
	s_add_u32 s12, s12, s8
	s_addc_u32 s13, s13, s9
	s_lshl_b64 s[14:15], s[12:13], 2
	s_add_u32 s14, s2, s14
	s_addc_u32 s15, s3, s15
	s_load_dword s1, s[14:15], 0x0
	s_add_u32 s14, s12, 1
	s_addc_u32 s15, s13, 0
	s_waitcnt lgkmcnt(0)
	s_cmp_lt_u32 s1, 6
	s_cselect_b32 s9, s15, s9
	s_cselect_b32 s8, s14, s8
	;; [unrolled: 1-line block ×4, first 2 shown]
	v_cmp_lt_i64_e64 s1, s[8:9], s[10:11]
	s_and_b32 vcc_lo, exec_lo, s1
	s_cbranch_vccnz .LBB63_20
; %bb.21:
	s_lshl_b64 s[8:9], s[8:9], 2
	v_mov_b32_e32 v2, 0
	s_add_u32 s1, s2, s8
	s_addc_u32 s9, s3, s9
	s_sub_u32 s8, s1, s2
	s_subb_u32 s9, s9, s3
	s_mov_b64 s[10:11], s[6:7]
	s_ashr_i64 s[8:9], s[8:9], 2
	v_mov_b32_e32 v0, s8
	v_mov_b32_e32 v1, s9
	s_mov_b64 s[8:9], 0
	global_store_dwordx2 v2, v[0:1], s[4:5] offset:48
	.p2align	6
.LBB63_22:                              ; =>This Inner Loop Header: Depth=1
	s_sub_u32 s12, s10, s8
	s_subb_u32 s13, s11, s9
	s_lshr_b64 s[12:13], s[12:13], 1
	s_add_u32 s12, s12, s8
	s_addc_u32 s13, s13, s9
	s_lshl_b64 s[14:15], s[12:13], 2
	s_add_u32 s14, s2, s14
	s_addc_u32 s15, s3, s15
	s_load_dword s1, s[14:15], 0x0
	s_add_u32 s14, s12, 1
	s_addc_u32 s15, s13, 0
	s_waitcnt lgkmcnt(0)
	s_cmp_lt_u32 s1, 7
	s_cselect_b32 s9, s15, s9
	s_cselect_b32 s8, s14, s8
	;; [unrolled: 1-line block ×4, first 2 shown]
	v_cmp_ge_i64_e64 s1, s[8:9], s[10:11]
	s_and_b32 vcc_lo, exec_lo, s1
	s_cbranch_vccz .LBB63_22
.LBB63_23:
	s_lshl_b64 s[8:9], s[8:9], 2
	v_mov_b32_e32 v0, 0
	s_add_u32 s1, s2, s8
	s_addc_u32 s9, s3, s9
	s_sub_u32 s8, s1, s2
	s_subb_u32 s9, s9, s3
	s_mov_b32 s1, -1
	s_ashr_i64 s[8:9], s[8:9], 2
	s_mov_b32 vcc_lo, s0
	v_mov_b32_e32 v1, s8
	v_mov_b32_e32 v2, s9
	global_store_dwordx2 v0, v[1:2], s[4:5] offset:56
	s_cbranch_vccz .LBB63_25
; %bb.24:
	v_mov_b32_e32 v1, v0
	s_mov_b32 s1, 0
	global_store_dwordx2 v0, v[0:1], s[4:5] offset:64
.LBB63_25:
	s_andn2_b32 vcc_lo, exec_lo, s1
	s_mov_b64 s[0:1], 0
	s_cbranch_vccnz .LBB63_30
; %bb.26:
	s_mov_b64 s[8:9], s[6:7]
	.p2align	6
.LBB63_27:                              ; =>This Inner Loop Header: Depth=1
	s_sub_u32 s10, s8, s0
	s_subb_u32 s11, s9, s1
	s_lshr_b64 s[10:11], s[10:11], 1
	s_add_u32 s10, s10, s0
	s_addc_u32 s11, s11, s1
	s_lshl_b64 s[12:13], s[10:11], 2
	s_add_u32 s12, s2, s12
	s_addc_u32 s13, s3, s13
	s_load_dword s12, s[12:13], 0x0
	s_add_u32 s13, s10, 1
	s_addc_u32 s14, s11, 0
	s_waitcnt lgkmcnt(0)
	s_cmp_lt_u32 s12, 8
	s_cselect_b32 s1, s14, s1
	s_cselect_b32 s0, s13, s0
	;; [unrolled: 1-line block ×4, first 2 shown]
	v_cmp_lt_i64_e64 s10, s[0:1], s[8:9]
	s_and_b32 vcc_lo, exec_lo, s10
	s_cbranch_vccnz .LBB63_27
; %bb.28:
	s_lshl_b64 s[0:1], s[0:1], 2
	v_mov_b32_e32 v2, 0
	s_add_u32 s0, s2, s0
	s_addc_u32 s1, s3, s1
	s_sub_u32 s0, s0, s2
	s_subb_u32 s1, s1, s3
	s_ashr_i64 s[0:1], s[0:1], 2
	v_mov_b32_e32 v0, s0
	v_mov_b32_e32 v1, s1
	s_mov_b64 s[0:1], 0
	global_store_dwordx2 v2, v[0:1], s[4:5] offset:64
	.p2align	6
.LBB63_29:                              ; =>This Inner Loop Header: Depth=1
	s_sub_u32 s8, s6, s0
	s_subb_u32 s9, s7, s1
	s_lshr_b64 s[8:9], s[8:9], 1
	s_add_u32 s8, s8, s0
	s_addc_u32 s9, s9, s1
	s_lshl_b64 s[10:11], s[8:9], 2
	s_add_u32 s10, s2, s10
	s_addc_u32 s11, s3, s11
	s_load_dword s10, s[10:11], 0x0
	s_add_u32 s11, s8, 1
	s_addc_u32 s12, s9, 0
	s_waitcnt lgkmcnt(0)
	s_cmp_lt_u32 s10, 9
	s_cselect_b32 s1, s12, s1
	s_cselect_b32 s0, s11, s0
	;; [unrolled: 1-line block ×4, first 2 shown]
	v_cmp_ge_i64_e64 s8, s[0:1], s[6:7]
	s_and_b32 vcc_lo, exec_lo, s8
	s_cbranch_vccz .LBB63_29
.LBB63_30:
	s_lshl_b64 s[0:1], s[0:1], 2
	v_mov_b32_e32 v2, 0
	s_add_u32 s0, s2, s0
	s_addc_u32 s1, s3, s1
	s_sub_u32 s0, s0, s2
	s_subb_u32 s1, s1, s3
	s_ashr_i64 s[0:1], s[0:1], 2
	v_mov_b32_e32 v0, s0
	v_mov_b32_e32 v1, s1
	global_store_dwordx2 v2, v[0:1], s[4:5] offset:72
	s_endpgm
	.section	.rodata,"a",@progbits
	.p2align	6, 0x0
	.amdhsa_kernel _Z18lower_bound_kernelIjEvmPT_Pl
		.amdhsa_group_segment_fixed_size 0
		.amdhsa_private_segment_fixed_size 0
		.amdhsa_kernarg_size 24
		.amdhsa_user_sgpr_count 6
		.amdhsa_user_sgpr_private_segment_buffer 1
		.amdhsa_user_sgpr_dispatch_ptr 0
		.amdhsa_user_sgpr_queue_ptr 0
		.amdhsa_user_sgpr_kernarg_segment_ptr 1
		.amdhsa_user_sgpr_dispatch_id 0
		.amdhsa_user_sgpr_flat_scratch_init 0
		.amdhsa_user_sgpr_private_segment_size 0
		.amdhsa_wavefront_size32 1
		.amdhsa_uses_dynamic_stack 0
		.amdhsa_system_sgpr_private_segment_wavefront_offset 0
		.amdhsa_system_sgpr_workgroup_id_x 1
		.amdhsa_system_sgpr_workgroup_id_y 0
		.amdhsa_system_sgpr_workgroup_id_z 0
		.amdhsa_system_sgpr_workgroup_info 0
		.amdhsa_system_vgpr_workitem_id 0
		.amdhsa_next_free_vgpr 4
		.amdhsa_next_free_sgpr 16
		.amdhsa_reserve_vcc 1
		.amdhsa_reserve_flat_scratch 0
		.amdhsa_float_round_mode_32 0
		.amdhsa_float_round_mode_16_64 0
		.amdhsa_float_denorm_mode_32 3
		.amdhsa_float_denorm_mode_16_64 3
		.amdhsa_dx10_clamp 1
		.amdhsa_ieee_mode 1
		.amdhsa_fp16_overflow 0
		.amdhsa_workgroup_processor_mode 1
		.amdhsa_memory_ordered 1
		.amdhsa_forward_progress 1
		.amdhsa_shared_vgpr_count 0
		.amdhsa_exception_fp_ieee_invalid_op 0
		.amdhsa_exception_fp_denorm_src 0
		.amdhsa_exception_fp_ieee_div_zero 0
		.amdhsa_exception_fp_ieee_overflow 0
		.amdhsa_exception_fp_ieee_underflow 0
		.amdhsa_exception_fp_ieee_inexact 0
		.amdhsa_exception_int_div_zero 0
	.end_amdhsa_kernel
	.section	.text._Z18lower_bound_kernelIjEvmPT_Pl,"axG",@progbits,_Z18lower_bound_kernelIjEvmPT_Pl,comdat
.Lfunc_end63:
	.size	_Z18lower_bound_kernelIjEvmPT_Pl, .Lfunc_end63-_Z18lower_bound_kernelIjEvmPT_Pl
                                        ; -- End function
	.set _Z18lower_bound_kernelIjEvmPT_Pl.num_vgpr, 4
	.set _Z18lower_bound_kernelIjEvmPT_Pl.num_agpr, 0
	.set _Z18lower_bound_kernelIjEvmPT_Pl.numbered_sgpr, 16
	.set _Z18lower_bound_kernelIjEvmPT_Pl.num_named_barrier, 0
	.set _Z18lower_bound_kernelIjEvmPT_Pl.private_seg_size, 0
	.set _Z18lower_bound_kernelIjEvmPT_Pl.uses_vcc, 1
	.set _Z18lower_bound_kernelIjEvmPT_Pl.uses_flat_scratch, 0
	.set _Z18lower_bound_kernelIjEvmPT_Pl.has_dyn_sized_stack, 0
	.set _Z18lower_bound_kernelIjEvmPT_Pl.has_recursion, 0
	.set _Z18lower_bound_kernelIjEvmPT_Pl.has_indirect_call, 0
	.section	.AMDGPU.csdata,"",@progbits
; Kernel info:
; codeLenInByte = 1800
; TotalNumSgprs: 18
; NumVgprs: 4
; ScratchSize: 0
; MemoryBound: 0
; FloatMode: 240
; IeeeMode: 1
; LDSByteSize: 0 bytes/workgroup (compile time only)
; SGPRBlocks: 0
; VGPRBlocks: 0
; NumSGPRsForWavesPerEU: 18
; NumVGPRsForWavesPerEU: 4
; Occupancy: 16
; WaveLimiterHint : 0
; COMPUTE_PGM_RSRC2:SCRATCH_EN: 0
; COMPUTE_PGM_RSRC2:USER_SGPR: 6
; COMPUTE_PGM_RSRC2:TRAP_HANDLER: 0
; COMPUTE_PGM_RSRC2:TGID_X_EN: 1
; COMPUTE_PGM_RSRC2:TGID_Y_EN: 0
; COMPUTE_PGM_RSRC2:TGID_Z_EN: 0
; COMPUTE_PGM_RSRC2:TIDIG_COMP_CNT: 0
	.section	.text._ZN7rocprim17ROCPRIM_400000_NS6detail17trampoline_kernelINS0_14default_configENS1_27lower_bound_config_selectorIjlEEZNS1_14transform_implILb0ES3_S5_N6thrust23THRUST_200600_302600_NS6detail15normal_iteratorINS8_7pointerIjNS8_11hip_rocprim5par_tENS8_11use_defaultESE_EEEENSA_INSB_IlSD_SE_SE_EEEEZNS1_13binary_searchIS3_S5_PjSG_SI_NS1_21lower_bound_search_opENS9_16wrapped_functionI11custom_lessbEEEE10hipError_tPvRmT1_T2_T3_mmT4_T5_P12ihipStream_tbEUlRKjE_EESP_ST_SU_mSV_SY_bEUlT_E_NS1_11comp_targetILNS1_3genE0ELNS1_11target_archE4294967295ELNS1_3gpuE0ELNS1_3repE0EEENS1_30default_config_static_selectorELNS0_4arch9wavefront6targetE0EEEvSS_,"axG",@progbits,_ZN7rocprim17ROCPRIM_400000_NS6detail17trampoline_kernelINS0_14default_configENS1_27lower_bound_config_selectorIjlEEZNS1_14transform_implILb0ES3_S5_N6thrust23THRUST_200600_302600_NS6detail15normal_iteratorINS8_7pointerIjNS8_11hip_rocprim5par_tENS8_11use_defaultESE_EEEENSA_INSB_IlSD_SE_SE_EEEEZNS1_13binary_searchIS3_S5_PjSG_SI_NS1_21lower_bound_search_opENS9_16wrapped_functionI11custom_lessbEEEE10hipError_tPvRmT1_T2_T3_mmT4_T5_P12ihipStream_tbEUlRKjE_EESP_ST_SU_mSV_SY_bEUlT_E_NS1_11comp_targetILNS1_3genE0ELNS1_11target_archE4294967295ELNS1_3gpuE0ELNS1_3repE0EEENS1_30default_config_static_selectorELNS0_4arch9wavefront6targetE0EEEvSS_,comdat
	.protected	_ZN7rocprim17ROCPRIM_400000_NS6detail17trampoline_kernelINS0_14default_configENS1_27lower_bound_config_selectorIjlEEZNS1_14transform_implILb0ES3_S5_N6thrust23THRUST_200600_302600_NS6detail15normal_iteratorINS8_7pointerIjNS8_11hip_rocprim5par_tENS8_11use_defaultESE_EEEENSA_INSB_IlSD_SE_SE_EEEEZNS1_13binary_searchIS3_S5_PjSG_SI_NS1_21lower_bound_search_opENS9_16wrapped_functionI11custom_lessbEEEE10hipError_tPvRmT1_T2_T3_mmT4_T5_P12ihipStream_tbEUlRKjE_EESP_ST_SU_mSV_SY_bEUlT_E_NS1_11comp_targetILNS1_3genE0ELNS1_11target_archE4294967295ELNS1_3gpuE0ELNS1_3repE0EEENS1_30default_config_static_selectorELNS0_4arch9wavefront6targetE0EEEvSS_ ; -- Begin function _ZN7rocprim17ROCPRIM_400000_NS6detail17trampoline_kernelINS0_14default_configENS1_27lower_bound_config_selectorIjlEEZNS1_14transform_implILb0ES3_S5_N6thrust23THRUST_200600_302600_NS6detail15normal_iteratorINS8_7pointerIjNS8_11hip_rocprim5par_tENS8_11use_defaultESE_EEEENSA_INSB_IlSD_SE_SE_EEEEZNS1_13binary_searchIS3_S5_PjSG_SI_NS1_21lower_bound_search_opENS9_16wrapped_functionI11custom_lessbEEEE10hipError_tPvRmT1_T2_T3_mmT4_T5_P12ihipStream_tbEUlRKjE_EESP_ST_SU_mSV_SY_bEUlT_E_NS1_11comp_targetILNS1_3genE0ELNS1_11target_archE4294967295ELNS1_3gpuE0ELNS1_3repE0EEENS1_30default_config_static_selectorELNS0_4arch9wavefront6targetE0EEEvSS_
	.globl	_ZN7rocprim17ROCPRIM_400000_NS6detail17trampoline_kernelINS0_14default_configENS1_27lower_bound_config_selectorIjlEEZNS1_14transform_implILb0ES3_S5_N6thrust23THRUST_200600_302600_NS6detail15normal_iteratorINS8_7pointerIjNS8_11hip_rocprim5par_tENS8_11use_defaultESE_EEEENSA_INSB_IlSD_SE_SE_EEEEZNS1_13binary_searchIS3_S5_PjSG_SI_NS1_21lower_bound_search_opENS9_16wrapped_functionI11custom_lessbEEEE10hipError_tPvRmT1_T2_T3_mmT4_T5_P12ihipStream_tbEUlRKjE_EESP_ST_SU_mSV_SY_bEUlT_E_NS1_11comp_targetILNS1_3genE0ELNS1_11target_archE4294967295ELNS1_3gpuE0ELNS1_3repE0EEENS1_30default_config_static_selectorELNS0_4arch9wavefront6targetE0EEEvSS_
	.p2align	8
	.type	_ZN7rocprim17ROCPRIM_400000_NS6detail17trampoline_kernelINS0_14default_configENS1_27lower_bound_config_selectorIjlEEZNS1_14transform_implILb0ES3_S5_N6thrust23THRUST_200600_302600_NS6detail15normal_iteratorINS8_7pointerIjNS8_11hip_rocprim5par_tENS8_11use_defaultESE_EEEENSA_INSB_IlSD_SE_SE_EEEEZNS1_13binary_searchIS3_S5_PjSG_SI_NS1_21lower_bound_search_opENS9_16wrapped_functionI11custom_lessbEEEE10hipError_tPvRmT1_T2_T3_mmT4_T5_P12ihipStream_tbEUlRKjE_EESP_ST_SU_mSV_SY_bEUlT_E_NS1_11comp_targetILNS1_3genE0ELNS1_11target_archE4294967295ELNS1_3gpuE0ELNS1_3repE0EEENS1_30default_config_static_selectorELNS0_4arch9wavefront6targetE0EEEvSS_,@function
_ZN7rocprim17ROCPRIM_400000_NS6detail17trampoline_kernelINS0_14default_configENS1_27lower_bound_config_selectorIjlEEZNS1_14transform_implILb0ES3_S5_N6thrust23THRUST_200600_302600_NS6detail15normal_iteratorINS8_7pointerIjNS8_11hip_rocprim5par_tENS8_11use_defaultESE_EEEENSA_INSB_IlSD_SE_SE_EEEEZNS1_13binary_searchIS3_S5_PjSG_SI_NS1_21lower_bound_search_opENS9_16wrapped_functionI11custom_lessbEEEE10hipError_tPvRmT1_T2_T3_mmT4_T5_P12ihipStream_tbEUlRKjE_EESP_ST_SU_mSV_SY_bEUlT_E_NS1_11comp_targetILNS1_3genE0ELNS1_11target_archE4294967295ELNS1_3gpuE0ELNS1_3repE0EEENS1_30default_config_static_selectorELNS0_4arch9wavefront6targetE0EEEvSS_: ; @_ZN7rocprim17ROCPRIM_400000_NS6detail17trampoline_kernelINS0_14default_configENS1_27lower_bound_config_selectorIjlEEZNS1_14transform_implILb0ES3_S5_N6thrust23THRUST_200600_302600_NS6detail15normal_iteratorINS8_7pointerIjNS8_11hip_rocprim5par_tENS8_11use_defaultESE_EEEENSA_INSB_IlSD_SE_SE_EEEEZNS1_13binary_searchIS3_S5_PjSG_SI_NS1_21lower_bound_search_opENS9_16wrapped_functionI11custom_lessbEEEE10hipError_tPvRmT1_T2_T3_mmT4_T5_P12ihipStream_tbEUlRKjE_EESP_ST_SU_mSV_SY_bEUlT_E_NS1_11comp_targetILNS1_3genE0ELNS1_11target_archE4294967295ELNS1_3gpuE0ELNS1_3repE0EEENS1_30default_config_static_selectorELNS0_4arch9wavefront6targetE0EEEvSS_
; %bb.0:
	.section	.rodata,"a",@progbits
	.p2align	6, 0x0
	.amdhsa_kernel _ZN7rocprim17ROCPRIM_400000_NS6detail17trampoline_kernelINS0_14default_configENS1_27lower_bound_config_selectorIjlEEZNS1_14transform_implILb0ES3_S5_N6thrust23THRUST_200600_302600_NS6detail15normal_iteratorINS8_7pointerIjNS8_11hip_rocprim5par_tENS8_11use_defaultESE_EEEENSA_INSB_IlSD_SE_SE_EEEEZNS1_13binary_searchIS3_S5_PjSG_SI_NS1_21lower_bound_search_opENS9_16wrapped_functionI11custom_lessbEEEE10hipError_tPvRmT1_T2_T3_mmT4_T5_P12ihipStream_tbEUlRKjE_EESP_ST_SU_mSV_SY_bEUlT_E_NS1_11comp_targetILNS1_3genE0ELNS1_11target_archE4294967295ELNS1_3gpuE0ELNS1_3repE0EEENS1_30default_config_static_selectorELNS0_4arch9wavefront6targetE0EEEvSS_
		.amdhsa_group_segment_fixed_size 0
		.amdhsa_private_segment_fixed_size 0
		.amdhsa_kernarg_size 56
		.amdhsa_user_sgpr_count 6
		.amdhsa_user_sgpr_private_segment_buffer 1
		.amdhsa_user_sgpr_dispatch_ptr 0
		.amdhsa_user_sgpr_queue_ptr 0
		.amdhsa_user_sgpr_kernarg_segment_ptr 1
		.amdhsa_user_sgpr_dispatch_id 0
		.amdhsa_user_sgpr_flat_scratch_init 0
		.amdhsa_user_sgpr_private_segment_size 0
		.amdhsa_wavefront_size32 1
		.amdhsa_uses_dynamic_stack 0
		.amdhsa_system_sgpr_private_segment_wavefront_offset 0
		.amdhsa_system_sgpr_workgroup_id_x 1
		.amdhsa_system_sgpr_workgroup_id_y 0
		.amdhsa_system_sgpr_workgroup_id_z 0
		.amdhsa_system_sgpr_workgroup_info 0
		.amdhsa_system_vgpr_workitem_id 0
		.amdhsa_next_free_vgpr 1
		.amdhsa_next_free_sgpr 1
		.amdhsa_reserve_vcc 0
		.amdhsa_reserve_flat_scratch 0
		.amdhsa_float_round_mode_32 0
		.amdhsa_float_round_mode_16_64 0
		.amdhsa_float_denorm_mode_32 3
		.amdhsa_float_denorm_mode_16_64 3
		.amdhsa_dx10_clamp 1
		.amdhsa_ieee_mode 1
		.amdhsa_fp16_overflow 0
		.amdhsa_workgroup_processor_mode 1
		.amdhsa_memory_ordered 1
		.amdhsa_forward_progress 1
		.amdhsa_shared_vgpr_count 0
		.amdhsa_exception_fp_ieee_invalid_op 0
		.amdhsa_exception_fp_denorm_src 0
		.amdhsa_exception_fp_ieee_div_zero 0
		.amdhsa_exception_fp_ieee_overflow 0
		.amdhsa_exception_fp_ieee_underflow 0
		.amdhsa_exception_fp_ieee_inexact 0
		.amdhsa_exception_int_div_zero 0
	.end_amdhsa_kernel
	.section	.text._ZN7rocprim17ROCPRIM_400000_NS6detail17trampoline_kernelINS0_14default_configENS1_27lower_bound_config_selectorIjlEEZNS1_14transform_implILb0ES3_S5_N6thrust23THRUST_200600_302600_NS6detail15normal_iteratorINS8_7pointerIjNS8_11hip_rocprim5par_tENS8_11use_defaultESE_EEEENSA_INSB_IlSD_SE_SE_EEEEZNS1_13binary_searchIS3_S5_PjSG_SI_NS1_21lower_bound_search_opENS9_16wrapped_functionI11custom_lessbEEEE10hipError_tPvRmT1_T2_T3_mmT4_T5_P12ihipStream_tbEUlRKjE_EESP_ST_SU_mSV_SY_bEUlT_E_NS1_11comp_targetILNS1_3genE0ELNS1_11target_archE4294967295ELNS1_3gpuE0ELNS1_3repE0EEENS1_30default_config_static_selectorELNS0_4arch9wavefront6targetE0EEEvSS_,"axG",@progbits,_ZN7rocprim17ROCPRIM_400000_NS6detail17trampoline_kernelINS0_14default_configENS1_27lower_bound_config_selectorIjlEEZNS1_14transform_implILb0ES3_S5_N6thrust23THRUST_200600_302600_NS6detail15normal_iteratorINS8_7pointerIjNS8_11hip_rocprim5par_tENS8_11use_defaultESE_EEEENSA_INSB_IlSD_SE_SE_EEEEZNS1_13binary_searchIS3_S5_PjSG_SI_NS1_21lower_bound_search_opENS9_16wrapped_functionI11custom_lessbEEEE10hipError_tPvRmT1_T2_T3_mmT4_T5_P12ihipStream_tbEUlRKjE_EESP_ST_SU_mSV_SY_bEUlT_E_NS1_11comp_targetILNS1_3genE0ELNS1_11target_archE4294967295ELNS1_3gpuE0ELNS1_3repE0EEENS1_30default_config_static_selectorELNS0_4arch9wavefront6targetE0EEEvSS_,comdat
.Lfunc_end64:
	.size	_ZN7rocprim17ROCPRIM_400000_NS6detail17trampoline_kernelINS0_14default_configENS1_27lower_bound_config_selectorIjlEEZNS1_14transform_implILb0ES3_S5_N6thrust23THRUST_200600_302600_NS6detail15normal_iteratorINS8_7pointerIjNS8_11hip_rocprim5par_tENS8_11use_defaultESE_EEEENSA_INSB_IlSD_SE_SE_EEEEZNS1_13binary_searchIS3_S5_PjSG_SI_NS1_21lower_bound_search_opENS9_16wrapped_functionI11custom_lessbEEEE10hipError_tPvRmT1_T2_T3_mmT4_T5_P12ihipStream_tbEUlRKjE_EESP_ST_SU_mSV_SY_bEUlT_E_NS1_11comp_targetILNS1_3genE0ELNS1_11target_archE4294967295ELNS1_3gpuE0ELNS1_3repE0EEENS1_30default_config_static_selectorELNS0_4arch9wavefront6targetE0EEEvSS_, .Lfunc_end64-_ZN7rocprim17ROCPRIM_400000_NS6detail17trampoline_kernelINS0_14default_configENS1_27lower_bound_config_selectorIjlEEZNS1_14transform_implILb0ES3_S5_N6thrust23THRUST_200600_302600_NS6detail15normal_iteratorINS8_7pointerIjNS8_11hip_rocprim5par_tENS8_11use_defaultESE_EEEENSA_INSB_IlSD_SE_SE_EEEEZNS1_13binary_searchIS3_S5_PjSG_SI_NS1_21lower_bound_search_opENS9_16wrapped_functionI11custom_lessbEEEE10hipError_tPvRmT1_T2_T3_mmT4_T5_P12ihipStream_tbEUlRKjE_EESP_ST_SU_mSV_SY_bEUlT_E_NS1_11comp_targetILNS1_3genE0ELNS1_11target_archE4294967295ELNS1_3gpuE0ELNS1_3repE0EEENS1_30default_config_static_selectorELNS0_4arch9wavefront6targetE0EEEvSS_
                                        ; -- End function
	.set _ZN7rocprim17ROCPRIM_400000_NS6detail17trampoline_kernelINS0_14default_configENS1_27lower_bound_config_selectorIjlEEZNS1_14transform_implILb0ES3_S5_N6thrust23THRUST_200600_302600_NS6detail15normal_iteratorINS8_7pointerIjNS8_11hip_rocprim5par_tENS8_11use_defaultESE_EEEENSA_INSB_IlSD_SE_SE_EEEEZNS1_13binary_searchIS3_S5_PjSG_SI_NS1_21lower_bound_search_opENS9_16wrapped_functionI11custom_lessbEEEE10hipError_tPvRmT1_T2_T3_mmT4_T5_P12ihipStream_tbEUlRKjE_EESP_ST_SU_mSV_SY_bEUlT_E_NS1_11comp_targetILNS1_3genE0ELNS1_11target_archE4294967295ELNS1_3gpuE0ELNS1_3repE0EEENS1_30default_config_static_selectorELNS0_4arch9wavefront6targetE0EEEvSS_.num_vgpr, 0
	.set _ZN7rocprim17ROCPRIM_400000_NS6detail17trampoline_kernelINS0_14default_configENS1_27lower_bound_config_selectorIjlEEZNS1_14transform_implILb0ES3_S5_N6thrust23THRUST_200600_302600_NS6detail15normal_iteratorINS8_7pointerIjNS8_11hip_rocprim5par_tENS8_11use_defaultESE_EEEENSA_INSB_IlSD_SE_SE_EEEEZNS1_13binary_searchIS3_S5_PjSG_SI_NS1_21lower_bound_search_opENS9_16wrapped_functionI11custom_lessbEEEE10hipError_tPvRmT1_T2_T3_mmT4_T5_P12ihipStream_tbEUlRKjE_EESP_ST_SU_mSV_SY_bEUlT_E_NS1_11comp_targetILNS1_3genE0ELNS1_11target_archE4294967295ELNS1_3gpuE0ELNS1_3repE0EEENS1_30default_config_static_selectorELNS0_4arch9wavefront6targetE0EEEvSS_.num_agpr, 0
	.set _ZN7rocprim17ROCPRIM_400000_NS6detail17trampoline_kernelINS0_14default_configENS1_27lower_bound_config_selectorIjlEEZNS1_14transform_implILb0ES3_S5_N6thrust23THRUST_200600_302600_NS6detail15normal_iteratorINS8_7pointerIjNS8_11hip_rocprim5par_tENS8_11use_defaultESE_EEEENSA_INSB_IlSD_SE_SE_EEEEZNS1_13binary_searchIS3_S5_PjSG_SI_NS1_21lower_bound_search_opENS9_16wrapped_functionI11custom_lessbEEEE10hipError_tPvRmT1_T2_T3_mmT4_T5_P12ihipStream_tbEUlRKjE_EESP_ST_SU_mSV_SY_bEUlT_E_NS1_11comp_targetILNS1_3genE0ELNS1_11target_archE4294967295ELNS1_3gpuE0ELNS1_3repE0EEENS1_30default_config_static_selectorELNS0_4arch9wavefront6targetE0EEEvSS_.numbered_sgpr, 0
	.set _ZN7rocprim17ROCPRIM_400000_NS6detail17trampoline_kernelINS0_14default_configENS1_27lower_bound_config_selectorIjlEEZNS1_14transform_implILb0ES3_S5_N6thrust23THRUST_200600_302600_NS6detail15normal_iteratorINS8_7pointerIjNS8_11hip_rocprim5par_tENS8_11use_defaultESE_EEEENSA_INSB_IlSD_SE_SE_EEEEZNS1_13binary_searchIS3_S5_PjSG_SI_NS1_21lower_bound_search_opENS9_16wrapped_functionI11custom_lessbEEEE10hipError_tPvRmT1_T2_T3_mmT4_T5_P12ihipStream_tbEUlRKjE_EESP_ST_SU_mSV_SY_bEUlT_E_NS1_11comp_targetILNS1_3genE0ELNS1_11target_archE4294967295ELNS1_3gpuE0ELNS1_3repE0EEENS1_30default_config_static_selectorELNS0_4arch9wavefront6targetE0EEEvSS_.num_named_barrier, 0
	.set _ZN7rocprim17ROCPRIM_400000_NS6detail17trampoline_kernelINS0_14default_configENS1_27lower_bound_config_selectorIjlEEZNS1_14transform_implILb0ES3_S5_N6thrust23THRUST_200600_302600_NS6detail15normal_iteratorINS8_7pointerIjNS8_11hip_rocprim5par_tENS8_11use_defaultESE_EEEENSA_INSB_IlSD_SE_SE_EEEEZNS1_13binary_searchIS3_S5_PjSG_SI_NS1_21lower_bound_search_opENS9_16wrapped_functionI11custom_lessbEEEE10hipError_tPvRmT1_T2_T3_mmT4_T5_P12ihipStream_tbEUlRKjE_EESP_ST_SU_mSV_SY_bEUlT_E_NS1_11comp_targetILNS1_3genE0ELNS1_11target_archE4294967295ELNS1_3gpuE0ELNS1_3repE0EEENS1_30default_config_static_selectorELNS0_4arch9wavefront6targetE0EEEvSS_.private_seg_size, 0
	.set _ZN7rocprim17ROCPRIM_400000_NS6detail17trampoline_kernelINS0_14default_configENS1_27lower_bound_config_selectorIjlEEZNS1_14transform_implILb0ES3_S5_N6thrust23THRUST_200600_302600_NS6detail15normal_iteratorINS8_7pointerIjNS8_11hip_rocprim5par_tENS8_11use_defaultESE_EEEENSA_INSB_IlSD_SE_SE_EEEEZNS1_13binary_searchIS3_S5_PjSG_SI_NS1_21lower_bound_search_opENS9_16wrapped_functionI11custom_lessbEEEE10hipError_tPvRmT1_T2_T3_mmT4_T5_P12ihipStream_tbEUlRKjE_EESP_ST_SU_mSV_SY_bEUlT_E_NS1_11comp_targetILNS1_3genE0ELNS1_11target_archE4294967295ELNS1_3gpuE0ELNS1_3repE0EEENS1_30default_config_static_selectorELNS0_4arch9wavefront6targetE0EEEvSS_.uses_vcc, 0
	.set _ZN7rocprim17ROCPRIM_400000_NS6detail17trampoline_kernelINS0_14default_configENS1_27lower_bound_config_selectorIjlEEZNS1_14transform_implILb0ES3_S5_N6thrust23THRUST_200600_302600_NS6detail15normal_iteratorINS8_7pointerIjNS8_11hip_rocprim5par_tENS8_11use_defaultESE_EEEENSA_INSB_IlSD_SE_SE_EEEEZNS1_13binary_searchIS3_S5_PjSG_SI_NS1_21lower_bound_search_opENS9_16wrapped_functionI11custom_lessbEEEE10hipError_tPvRmT1_T2_T3_mmT4_T5_P12ihipStream_tbEUlRKjE_EESP_ST_SU_mSV_SY_bEUlT_E_NS1_11comp_targetILNS1_3genE0ELNS1_11target_archE4294967295ELNS1_3gpuE0ELNS1_3repE0EEENS1_30default_config_static_selectorELNS0_4arch9wavefront6targetE0EEEvSS_.uses_flat_scratch, 0
	.set _ZN7rocprim17ROCPRIM_400000_NS6detail17trampoline_kernelINS0_14default_configENS1_27lower_bound_config_selectorIjlEEZNS1_14transform_implILb0ES3_S5_N6thrust23THRUST_200600_302600_NS6detail15normal_iteratorINS8_7pointerIjNS8_11hip_rocprim5par_tENS8_11use_defaultESE_EEEENSA_INSB_IlSD_SE_SE_EEEEZNS1_13binary_searchIS3_S5_PjSG_SI_NS1_21lower_bound_search_opENS9_16wrapped_functionI11custom_lessbEEEE10hipError_tPvRmT1_T2_T3_mmT4_T5_P12ihipStream_tbEUlRKjE_EESP_ST_SU_mSV_SY_bEUlT_E_NS1_11comp_targetILNS1_3genE0ELNS1_11target_archE4294967295ELNS1_3gpuE0ELNS1_3repE0EEENS1_30default_config_static_selectorELNS0_4arch9wavefront6targetE0EEEvSS_.has_dyn_sized_stack, 0
	.set _ZN7rocprim17ROCPRIM_400000_NS6detail17trampoline_kernelINS0_14default_configENS1_27lower_bound_config_selectorIjlEEZNS1_14transform_implILb0ES3_S5_N6thrust23THRUST_200600_302600_NS6detail15normal_iteratorINS8_7pointerIjNS8_11hip_rocprim5par_tENS8_11use_defaultESE_EEEENSA_INSB_IlSD_SE_SE_EEEEZNS1_13binary_searchIS3_S5_PjSG_SI_NS1_21lower_bound_search_opENS9_16wrapped_functionI11custom_lessbEEEE10hipError_tPvRmT1_T2_T3_mmT4_T5_P12ihipStream_tbEUlRKjE_EESP_ST_SU_mSV_SY_bEUlT_E_NS1_11comp_targetILNS1_3genE0ELNS1_11target_archE4294967295ELNS1_3gpuE0ELNS1_3repE0EEENS1_30default_config_static_selectorELNS0_4arch9wavefront6targetE0EEEvSS_.has_recursion, 0
	.set _ZN7rocprim17ROCPRIM_400000_NS6detail17trampoline_kernelINS0_14default_configENS1_27lower_bound_config_selectorIjlEEZNS1_14transform_implILb0ES3_S5_N6thrust23THRUST_200600_302600_NS6detail15normal_iteratorINS8_7pointerIjNS8_11hip_rocprim5par_tENS8_11use_defaultESE_EEEENSA_INSB_IlSD_SE_SE_EEEEZNS1_13binary_searchIS3_S5_PjSG_SI_NS1_21lower_bound_search_opENS9_16wrapped_functionI11custom_lessbEEEE10hipError_tPvRmT1_T2_T3_mmT4_T5_P12ihipStream_tbEUlRKjE_EESP_ST_SU_mSV_SY_bEUlT_E_NS1_11comp_targetILNS1_3genE0ELNS1_11target_archE4294967295ELNS1_3gpuE0ELNS1_3repE0EEENS1_30default_config_static_selectorELNS0_4arch9wavefront6targetE0EEEvSS_.has_indirect_call, 0
	.section	.AMDGPU.csdata,"",@progbits
; Kernel info:
; codeLenInByte = 0
; TotalNumSgprs: 0
; NumVgprs: 0
; ScratchSize: 0
; MemoryBound: 0
; FloatMode: 240
; IeeeMode: 1
; LDSByteSize: 0 bytes/workgroup (compile time only)
; SGPRBlocks: 0
; VGPRBlocks: 0
; NumSGPRsForWavesPerEU: 1
; NumVGPRsForWavesPerEU: 1
; Occupancy: 16
; WaveLimiterHint : 0
; COMPUTE_PGM_RSRC2:SCRATCH_EN: 0
; COMPUTE_PGM_RSRC2:USER_SGPR: 6
; COMPUTE_PGM_RSRC2:TRAP_HANDLER: 0
; COMPUTE_PGM_RSRC2:TGID_X_EN: 1
; COMPUTE_PGM_RSRC2:TGID_Y_EN: 0
; COMPUTE_PGM_RSRC2:TGID_Z_EN: 0
; COMPUTE_PGM_RSRC2:TIDIG_COMP_CNT: 0
	.section	.text._ZN7rocprim17ROCPRIM_400000_NS6detail17trampoline_kernelINS0_14default_configENS1_27lower_bound_config_selectorIjlEEZNS1_14transform_implILb0ES3_S5_N6thrust23THRUST_200600_302600_NS6detail15normal_iteratorINS8_7pointerIjNS8_11hip_rocprim5par_tENS8_11use_defaultESE_EEEENSA_INSB_IlSD_SE_SE_EEEEZNS1_13binary_searchIS3_S5_PjSG_SI_NS1_21lower_bound_search_opENS9_16wrapped_functionI11custom_lessbEEEE10hipError_tPvRmT1_T2_T3_mmT4_T5_P12ihipStream_tbEUlRKjE_EESP_ST_SU_mSV_SY_bEUlT_E_NS1_11comp_targetILNS1_3genE5ELNS1_11target_archE942ELNS1_3gpuE9ELNS1_3repE0EEENS1_30default_config_static_selectorELNS0_4arch9wavefront6targetE0EEEvSS_,"axG",@progbits,_ZN7rocprim17ROCPRIM_400000_NS6detail17trampoline_kernelINS0_14default_configENS1_27lower_bound_config_selectorIjlEEZNS1_14transform_implILb0ES3_S5_N6thrust23THRUST_200600_302600_NS6detail15normal_iteratorINS8_7pointerIjNS8_11hip_rocprim5par_tENS8_11use_defaultESE_EEEENSA_INSB_IlSD_SE_SE_EEEEZNS1_13binary_searchIS3_S5_PjSG_SI_NS1_21lower_bound_search_opENS9_16wrapped_functionI11custom_lessbEEEE10hipError_tPvRmT1_T2_T3_mmT4_T5_P12ihipStream_tbEUlRKjE_EESP_ST_SU_mSV_SY_bEUlT_E_NS1_11comp_targetILNS1_3genE5ELNS1_11target_archE942ELNS1_3gpuE9ELNS1_3repE0EEENS1_30default_config_static_selectorELNS0_4arch9wavefront6targetE0EEEvSS_,comdat
	.protected	_ZN7rocprim17ROCPRIM_400000_NS6detail17trampoline_kernelINS0_14default_configENS1_27lower_bound_config_selectorIjlEEZNS1_14transform_implILb0ES3_S5_N6thrust23THRUST_200600_302600_NS6detail15normal_iteratorINS8_7pointerIjNS8_11hip_rocprim5par_tENS8_11use_defaultESE_EEEENSA_INSB_IlSD_SE_SE_EEEEZNS1_13binary_searchIS3_S5_PjSG_SI_NS1_21lower_bound_search_opENS9_16wrapped_functionI11custom_lessbEEEE10hipError_tPvRmT1_T2_T3_mmT4_T5_P12ihipStream_tbEUlRKjE_EESP_ST_SU_mSV_SY_bEUlT_E_NS1_11comp_targetILNS1_3genE5ELNS1_11target_archE942ELNS1_3gpuE9ELNS1_3repE0EEENS1_30default_config_static_selectorELNS0_4arch9wavefront6targetE0EEEvSS_ ; -- Begin function _ZN7rocprim17ROCPRIM_400000_NS6detail17trampoline_kernelINS0_14default_configENS1_27lower_bound_config_selectorIjlEEZNS1_14transform_implILb0ES3_S5_N6thrust23THRUST_200600_302600_NS6detail15normal_iteratorINS8_7pointerIjNS8_11hip_rocprim5par_tENS8_11use_defaultESE_EEEENSA_INSB_IlSD_SE_SE_EEEEZNS1_13binary_searchIS3_S5_PjSG_SI_NS1_21lower_bound_search_opENS9_16wrapped_functionI11custom_lessbEEEE10hipError_tPvRmT1_T2_T3_mmT4_T5_P12ihipStream_tbEUlRKjE_EESP_ST_SU_mSV_SY_bEUlT_E_NS1_11comp_targetILNS1_3genE5ELNS1_11target_archE942ELNS1_3gpuE9ELNS1_3repE0EEENS1_30default_config_static_selectorELNS0_4arch9wavefront6targetE0EEEvSS_
	.globl	_ZN7rocprim17ROCPRIM_400000_NS6detail17trampoline_kernelINS0_14default_configENS1_27lower_bound_config_selectorIjlEEZNS1_14transform_implILb0ES3_S5_N6thrust23THRUST_200600_302600_NS6detail15normal_iteratorINS8_7pointerIjNS8_11hip_rocprim5par_tENS8_11use_defaultESE_EEEENSA_INSB_IlSD_SE_SE_EEEEZNS1_13binary_searchIS3_S5_PjSG_SI_NS1_21lower_bound_search_opENS9_16wrapped_functionI11custom_lessbEEEE10hipError_tPvRmT1_T2_T3_mmT4_T5_P12ihipStream_tbEUlRKjE_EESP_ST_SU_mSV_SY_bEUlT_E_NS1_11comp_targetILNS1_3genE5ELNS1_11target_archE942ELNS1_3gpuE9ELNS1_3repE0EEENS1_30default_config_static_selectorELNS0_4arch9wavefront6targetE0EEEvSS_
	.p2align	8
	.type	_ZN7rocprim17ROCPRIM_400000_NS6detail17trampoline_kernelINS0_14default_configENS1_27lower_bound_config_selectorIjlEEZNS1_14transform_implILb0ES3_S5_N6thrust23THRUST_200600_302600_NS6detail15normal_iteratorINS8_7pointerIjNS8_11hip_rocprim5par_tENS8_11use_defaultESE_EEEENSA_INSB_IlSD_SE_SE_EEEEZNS1_13binary_searchIS3_S5_PjSG_SI_NS1_21lower_bound_search_opENS9_16wrapped_functionI11custom_lessbEEEE10hipError_tPvRmT1_T2_T3_mmT4_T5_P12ihipStream_tbEUlRKjE_EESP_ST_SU_mSV_SY_bEUlT_E_NS1_11comp_targetILNS1_3genE5ELNS1_11target_archE942ELNS1_3gpuE9ELNS1_3repE0EEENS1_30default_config_static_selectorELNS0_4arch9wavefront6targetE0EEEvSS_,@function
_ZN7rocprim17ROCPRIM_400000_NS6detail17trampoline_kernelINS0_14default_configENS1_27lower_bound_config_selectorIjlEEZNS1_14transform_implILb0ES3_S5_N6thrust23THRUST_200600_302600_NS6detail15normal_iteratorINS8_7pointerIjNS8_11hip_rocprim5par_tENS8_11use_defaultESE_EEEENSA_INSB_IlSD_SE_SE_EEEEZNS1_13binary_searchIS3_S5_PjSG_SI_NS1_21lower_bound_search_opENS9_16wrapped_functionI11custom_lessbEEEE10hipError_tPvRmT1_T2_T3_mmT4_T5_P12ihipStream_tbEUlRKjE_EESP_ST_SU_mSV_SY_bEUlT_E_NS1_11comp_targetILNS1_3genE5ELNS1_11target_archE942ELNS1_3gpuE9ELNS1_3repE0EEENS1_30default_config_static_selectorELNS0_4arch9wavefront6targetE0EEEvSS_: ; @_ZN7rocprim17ROCPRIM_400000_NS6detail17trampoline_kernelINS0_14default_configENS1_27lower_bound_config_selectorIjlEEZNS1_14transform_implILb0ES3_S5_N6thrust23THRUST_200600_302600_NS6detail15normal_iteratorINS8_7pointerIjNS8_11hip_rocprim5par_tENS8_11use_defaultESE_EEEENSA_INSB_IlSD_SE_SE_EEEEZNS1_13binary_searchIS3_S5_PjSG_SI_NS1_21lower_bound_search_opENS9_16wrapped_functionI11custom_lessbEEEE10hipError_tPvRmT1_T2_T3_mmT4_T5_P12ihipStream_tbEUlRKjE_EESP_ST_SU_mSV_SY_bEUlT_E_NS1_11comp_targetILNS1_3genE5ELNS1_11target_archE942ELNS1_3gpuE9ELNS1_3repE0EEENS1_30default_config_static_selectorELNS0_4arch9wavefront6targetE0EEEvSS_
; %bb.0:
	.section	.rodata,"a",@progbits
	.p2align	6, 0x0
	.amdhsa_kernel _ZN7rocprim17ROCPRIM_400000_NS6detail17trampoline_kernelINS0_14default_configENS1_27lower_bound_config_selectorIjlEEZNS1_14transform_implILb0ES3_S5_N6thrust23THRUST_200600_302600_NS6detail15normal_iteratorINS8_7pointerIjNS8_11hip_rocprim5par_tENS8_11use_defaultESE_EEEENSA_INSB_IlSD_SE_SE_EEEEZNS1_13binary_searchIS3_S5_PjSG_SI_NS1_21lower_bound_search_opENS9_16wrapped_functionI11custom_lessbEEEE10hipError_tPvRmT1_T2_T3_mmT4_T5_P12ihipStream_tbEUlRKjE_EESP_ST_SU_mSV_SY_bEUlT_E_NS1_11comp_targetILNS1_3genE5ELNS1_11target_archE942ELNS1_3gpuE9ELNS1_3repE0EEENS1_30default_config_static_selectorELNS0_4arch9wavefront6targetE0EEEvSS_
		.amdhsa_group_segment_fixed_size 0
		.amdhsa_private_segment_fixed_size 0
		.amdhsa_kernarg_size 56
		.amdhsa_user_sgpr_count 6
		.amdhsa_user_sgpr_private_segment_buffer 1
		.amdhsa_user_sgpr_dispatch_ptr 0
		.amdhsa_user_sgpr_queue_ptr 0
		.amdhsa_user_sgpr_kernarg_segment_ptr 1
		.amdhsa_user_sgpr_dispatch_id 0
		.amdhsa_user_sgpr_flat_scratch_init 0
		.amdhsa_user_sgpr_private_segment_size 0
		.amdhsa_wavefront_size32 1
		.amdhsa_uses_dynamic_stack 0
		.amdhsa_system_sgpr_private_segment_wavefront_offset 0
		.amdhsa_system_sgpr_workgroup_id_x 1
		.amdhsa_system_sgpr_workgroup_id_y 0
		.amdhsa_system_sgpr_workgroup_id_z 0
		.amdhsa_system_sgpr_workgroup_info 0
		.amdhsa_system_vgpr_workitem_id 0
		.amdhsa_next_free_vgpr 1
		.amdhsa_next_free_sgpr 1
		.amdhsa_reserve_vcc 0
		.amdhsa_reserve_flat_scratch 0
		.amdhsa_float_round_mode_32 0
		.amdhsa_float_round_mode_16_64 0
		.amdhsa_float_denorm_mode_32 3
		.amdhsa_float_denorm_mode_16_64 3
		.amdhsa_dx10_clamp 1
		.amdhsa_ieee_mode 1
		.amdhsa_fp16_overflow 0
		.amdhsa_workgroup_processor_mode 1
		.amdhsa_memory_ordered 1
		.amdhsa_forward_progress 1
		.amdhsa_shared_vgpr_count 0
		.amdhsa_exception_fp_ieee_invalid_op 0
		.amdhsa_exception_fp_denorm_src 0
		.amdhsa_exception_fp_ieee_div_zero 0
		.amdhsa_exception_fp_ieee_overflow 0
		.amdhsa_exception_fp_ieee_underflow 0
		.amdhsa_exception_fp_ieee_inexact 0
		.amdhsa_exception_int_div_zero 0
	.end_amdhsa_kernel
	.section	.text._ZN7rocprim17ROCPRIM_400000_NS6detail17trampoline_kernelINS0_14default_configENS1_27lower_bound_config_selectorIjlEEZNS1_14transform_implILb0ES3_S5_N6thrust23THRUST_200600_302600_NS6detail15normal_iteratorINS8_7pointerIjNS8_11hip_rocprim5par_tENS8_11use_defaultESE_EEEENSA_INSB_IlSD_SE_SE_EEEEZNS1_13binary_searchIS3_S5_PjSG_SI_NS1_21lower_bound_search_opENS9_16wrapped_functionI11custom_lessbEEEE10hipError_tPvRmT1_T2_T3_mmT4_T5_P12ihipStream_tbEUlRKjE_EESP_ST_SU_mSV_SY_bEUlT_E_NS1_11comp_targetILNS1_3genE5ELNS1_11target_archE942ELNS1_3gpuE9ELNS1_3repE0EEENS1_30default_config_static_selectorELNS0_4arch9wavefront6targetE0EEEvSS_,"axG",@progbits,_ZN7rocprim17ROCPRIM_400000_NS6detail17trampoline_kernelINS0_14default_configENS1_27lower_bound_config_selectorIjlEEZNS1_14transform_implILb0ES3_S5_N6thrust23THRUST_200600_302600_NS6detail15normal_iteratorINS8_7pointerIjNS8_11hip_rocprim5par_tENS8_11use_defaultESE_EEEENSA_INSB_IlSD_SE_SE_EEEEZNS1_13binary_searchIS3_S5_PjSG_SI_NS1_21lower_bound_search_opENS9_16wrapped_functionI11custom_lessbEEEE10hipError_tPvRmT1_T2_T3_mmT4_T5_P12ihipStream_tbEUlRKjE_EESP_ST_SU_mSV_SY_bEUlT_E_NS1_11comp_targetILNS1_3genE5ELNS1_11target_archE942ELNS1_3gpuE9ELNS1_3repE0EEENS1_30default_config_static_selectorELNS0_4arch9wavefront6targetE0EEEvSS_,comdat
.Lfunc_end65:
	.size	_ZN7rocprim17ROCPRIM_400000_NS6detail17trampoline_kernelINS0_14default_configENS1_27lower_bound_config_selectorIjlEEZNS1_14transform_implILb0ES3_S5_N6thrust23THRUST_200600_302600_NS6detail15normal_iteratorINS8_7pointerIjNS8_11hip_rocprim5par_tENS8_11use_defaultESE_EEEENSA_INSB_IlSD_SE_SE_EEEEZNS1_13binary_searchIS3_S5_PjSG_SI_NS1_21lower_bound_search_opENS9_16wrapped_functionI11custom_lessbEEEE10hipError_tPvRmT1_T2_T3_mmT4_T5_P12ihipStream_tbEUlRKjE_EESP_ST_SU_mSV_SY_bEUlT_E_NS1_11comp_targetILNS1_3genE5ELNS1_11target_archE942ELNS1_3gpuE9ELNS1_3repE0EEENS1_30default_config_static_selectorELNS0_4arch9wavefront6targetE0EEEvSS_, .Lfunc_end65-_ZN7rocprim17ROCPRIM_400000_NS6detail17trampoline_kernelINS0_14default_configENS1_27lower_bound_config_selectorIjlEEZNS1_14transform_implILb0ES3_S5_N6thrust23THRUST_200600_302600_NS6detail15normal_iteratorINS8_7pointerIjNS8_11hip_rocprim5par_tENS8_11use_defaultESE_EEEENSA_INSB_IlSD_SE_SE_EEEEZNS1_13binary_searchIS3_S5_PjSG_SI_NS1_21lower_bound_search_opENS9_16wrapped_functionI11custom_lessbEEEE10hipError_tPvRmT1_T2_T3_mmT4_T5_P12ihipStream_tbEUlRKjE_EESP_ST_SU_mSV_SY_bEUlT_E_NS1_11comp_targetILNS1_3genE5ELNS1_11target_archE942ELNS1_3gpuE9ELNS1_3repE0EEENS1_30default_config_static_selectorELNS0_4arch9wavefront6targetE0EEEvSS_
                                        ; -- End function
	.set _ZN7rocprim17ROCPRIM_400000_NS6detail17trampoline_kernelINS0_14default_configENS1_27lower_bound_config_selectorIjlEEZNS1_14transform_implILb0ES3_S5_N6thrust23THRUST_200600_302600_NS6detail15normal_iteratorINS8_7pointerIjNS8_11hip_rocprim5par_tENS8_11use_defaultESE_EEEENSA_INSB_IlSD_SE_SE_EEEEZNS1_13binary_searchIS3_S5_PjSG_SI_NS1_21lower_bound_search_opENS9_16wrapped_functionI11custom_lessbEEEE10hipError_tPvRmT1_T2_T3_mmT4_T5_P12ihipStream_tbEUlRKjE_EESP_ST_SU_mSV_SY_bEUlT_E_NS1_11comp_targetILNS1_3genE5ELNS1_11target_archE942ELNS1_3gpuE9ELNS1_3repE0EEENS1_30default_config_static_selectorELNS0_4arch9wavefront6targetE0EEEvSS_.num_vgpr, 0
	.set _ZN7rocprim17ROCPRIM_400000_NS6detail17trampoline_kernelINS0_14default_configENS1_27lower_bound_config_selectorIjlEEZNS1_14transform_implILb0ES3_S5_N6thrust23THRUST_200600_302600_NS6detail15normal_iteratorINS8_7pointerIjNS8_11hip_rocprim5par_tENS8_11use_defaultESE_EEEENSA_INSB_IlSD_SE_SE_EEEEZNS1_13binary_searchIS3_S5_PjSG_SI_NS1_21lower_bound_search_opENS9_16wrapped_functionI11custom_lessbEEEE10hipError_tPvRmT1_T2_T3_mmT4_T5_P12ihipStream_tbEUlRKjE_EESP_ST_SU_mSV_SY_bEUlT_E_NS1_11comp_targetILNS1_3genE5ELNS1_11target_archE942ELNS1_3gpuE9ELNS1_3repE0EEENS1_30default_config_static_selectorELNS0_4arch9wavefront6targetE0EEEvSS_.num_agpr, 0
	.set _ZN7rocprim17ROCPRIM_400000_NS6detail17trampoline_kernelINS0_14default_configENS1_27lower_bound_config_selectorIjlEEZNS1_14transform_implILb0ES3_S5_N6thrust23THRUST_200600_302600_NS6detail15normal_iteratorINS8_7pointerIjNS8_11hip_rocprim5par_tENS8_11use_defaultESE_EEEENSA_INSB_IlSD_SE_SE_EEEEZNS1_13binary_searchIS3_S5_PjSG_SI_NS1_21lower_bound_search_opENS9_16wrapped_functionI11custom_lessbEEEE10hipError_tPvRmT1_T2_T3_mmT4_T5_P12ihipStream_tbEUlRKjE_EESP_ST_SU_mSV_SY_bEUlT_E_NS1_11comp_targetILNS1_3genE5ELNS1_11target_archE942ELNS1_3gpuE9ELNS1_3repE0EEENS1_30default_config_static_selectorELNS0_4arch9wavefront6targetE0EEEvSS_.numbered_sgpr, 0
	.set _ZN7rocprim17ROCPRIM_400000_NS6detail17trampoline_kernelINS0_14default_configENS1_27lower_bound_config_selectorIjlEEZNS1_14transform_implILb0ES3_S5_N6thrust23THRUST_200600_302600_NS6detail15normal_iteratorINS8_7pointerIjNS8_11hip_rocprim5par_tENS8_11use_defaultESE_EEEENSA_INSB_IlSD_SE_SE_EEEEZNS1_13binary_searchIS3_S5_PjSG_SI_NS1_21lower_bound_search_opENS9_16wrapped_functionI11custom_lessbEEEE10hipError_tPvRmT1_T2_T3_mmT4_T5_P12ihipStream_tbEUlRKjE_EESP_ST_SU_mSV_SY_bEUlT_E_NS1_11comp_targetILNS1_3genE5ELNS1_11target_archE942ELNS1_3gpuE9ELNS1_3repE0EEENS1_30default_config_static_selectorELNS0_4arch9wavefront6targetE0EEEvSS_.num_named_barrier, 0
	.set _ZN7rocprim17ROCPRIM_400000_NS6detail17trampoline_kernelINS0_14default_configENS1_27lower_bound_config_selectorIjlEEZNS1_14transform_implILb0ES3_S5_N6thrust23THRUST_200600_302600_NS6detail15normal_iteratorINS8_7pointerIjNS8_11hip_rocprim5par_tENS8_11use_defaultESE_EEEENSA_INSB_IlSD_SE_SE_EEEEZNS1_13binary_searchIS3_S5_PjSG_SI_NS1_21lower_bound_search_opENS9_16wrapped_functionI11custom_lessbEEEE10hipError_tPvRmT1_T2_T3_mmT4_T5_P12ihipStream_tbEUlRKjE_EESP_ST_SU_mSV_SY_bEUlT_E_NS1_11comp_targetILNS1_3genE5ELNS1_11target_archE942ELNS1_3gpuE9ELNS1_3repE0EEENS1_30default_config_static_selectorELNS0_4arch9wavefront6targetE0EEEvSS_.private_seg_size, 0
	.set _ZN7rocprim17ROCPRIM_400000_NS6detail17trampoline_kernelINS0_14default_configENS1_27lower_bound_config_selectorIjlEEZNS1_14transform_implILb0ES3_S5_N6thrust23THRUST_200600_302600_NS6detail15normal_iteratorINS8_7pointerIjNS8_11hip_rocprim5par_tENS8_11use_defaultESE_EEEENSA_INSB_IlSD_SE_SE_EEEEZNS1_13binary_searchIS3_S5_PjSG_SI_NS1_21lower_bound_search_opENS9_16wrapped_functionI11custom_lessbEEEE10hipError_tPvRmT1_T2_T3_mmT4_T5_P12ihipStream_tbEUlRKjE_EESP_ST_SU_mSV_SY_bEUlT_E_NS1_11comp_targetILNS1_3genE5ELNS1_11target_archE942ELNS1_3gpuE9ELNS1_3repE0EEENS1_30default_config_static_selectorELNS0_4arch9wavefront6targetE0EEEvSS_.uses_vcc, 0
	.set _ZN7rocprim17ROCPRIM_400000_NS6detail17trampoline_kernelINS0_14default_configENS1_27lower_bound_config_selectorIjlEEZNS1_14transform_implILb0ES3_S5_N6thrust23THRUST_200600_302600_NS6detail15normal_iteratorINS8_7pointerIjNS8_11hip_rocprim5par_tENS8_11use_defaultESE_EEEENSA_INSB_IlSD_SE_SE_EEEEZNS1_13binary_searchIS3_S5_PjSG_SI_NS1_21lower_bound_search_opENS9_16wrapped_functionI11custom_lessbEEEE10hipError_tPvRmT1_T2_T3_mmT4_T5_P12ihipStream_tbEUlRKjE_EESP_ST_SU_mSV_SY_bEUlT_E_NS1_11comp_targetILNS1_3genE5ELNS1_11target_archE942ELNS1_3gpuE9ELNS1_3repE0EEENS1_30default_config_static_selectorELNS0_4arch9wavefront6targetE0EEEvSS_.uses_flat_scratch, 0
	.set _ZN7rocprim17ROCPRIM_400000_NS6detail17trampoline_kernelINS0_14default_configENS1_27lower_bound_config_selectorIjlEEZNS1_14transform_implILb0ES3_S5_N6thrust23THRUST_200600_302600_NS6detail15normal_iteratorINS8_7pointerIjNS8_11hip_rocprim5par_tENS8_11use_defaultESE_EEEENSA_INSB_IlSD_SE_SE_EEEEZNS1_13binary_searchIS3_S5_PjSG_SI_NS1_21lower_bound_search_opENS9_16wrapped_functionI11custom_lessbEEEE10hipError_tPvRmT1_T2_T3_mmT4_T5_P12ihipStream_tbEUlRKjE_EESP_ST_SU_mSV_SY_bEUlT_E_NS1_11comp_targetILNS1_3genE5ELNS1_11target_archE942ELNS1_3gpuE9ELNS1_3repE0EEENS1_30default_config_static_selectorELNS0_4arch9wavefront6targetE0EEEvSS_.has_dyn_sized_stack, 0
	.set _ZN7rocprim17ROCPRIM_400000_NS6detail17trampoline_kernelINS0_14default_configENS1_27lower_bound_config_selectorIjlEEZNS1_14transform_implILb0ES3_S5_N6thrust23THRUST_200600_302600_NS6detail15normal_iteratorINS8_7pointerIjNS8_11hip_rocprim5par_tENS8_11use_defaultESE_EEEENSA_INSB_IlSD_SE_SE_EEEEZNS1_13binary_searchIS3_S5_PjSG_SI_NS1_21lower_bound_search_opENS9_16wrapped_functionI11custom_lessbEEEE10hipError_tPvRmT1_T2_T3_mmT4_T5_P12ihipStream_tbEUlRKjE_EESP_ST_SU_mSV_SY_bEUlT_E_NS1_11comp_targetILNS1_3genE5ELNS1_11target_archE942ELNS1_3gpuE9ELNS1_3repE0EEENS1_30default_config_static_selectorELNS0_4arch9wavefront6targetE0EEEvSS_.has_recursion, 0
	.set _ZN7rocprim17ROCPRIM_400000_NS6detail17trampoline_kernelINS0_14default_configENS1_27lower_bound_config_selectorIjlEEZNS1_14transform_implILb0ES3_S5_N6thrust23THRUST_200600_302600_NS6detail15normal_iteratorINS8_7pointerIjNS8_11hip_rocprim5par_tENS8_11use_defaultESE_EEEENSA_INSB_IlSD_SE_SE_EEEEZNS1_13binary_searchIS3_S5_PjSG_SI_NS1_21lower_bound_search_opENS9_16wrapped_functionI11custom_lessbEEEE10hipError_tPvRmT1_T2_T3_mmT4_T5_P12ihipStream_tbEUlRKjE_EESP_ST_SU_mSV_SY_bEUlT_E_NS1_11comp_targetILNS1_3genE5ELNS1_11target_archE942ELNS1_3gpuE9ELNS1_3repE0EEENS1_30default_config_static_selectorELNS0_4arch9wavefront6targetE0EEEvSS_.has_indirect_call, 0
	.section	.AMDGPU.csdata,"",@progbits
; Kernel info:
; codeLenInByte = 0
; TotalNumSgprs: 0
; NumVgprs: 0
; ScratchSize: 0
; MemoryBound: 0
; FloatMode: 240
; IeeeMode: 1
; LDSByteSize: 0 bytes/workgroup (compile time only)
; SGPRBlocks: 0
; VGPRBlocks: 0
; NumSGPRsForWavesPerEU: 1
; NumVGPRsForWavesPerEU: 1
; Occupancy: 16
; WaveLimiterHint : 0
; COMPUTE_PGM_RSRC2:SCRATCH_EN: 0
; COMPUTE_PGM_RSRC2:USER_SGPR: 6
; COMPUTE_PGM_RSRC2:TRAP_HANDLER: 0
; COMPUTE_PGM_RSRC2:TGID_X_EN: 1
; COMPUTE_PGM_RSRC2:TGID_Y_EN: 0
; COMPUTE_PGM_RSRC2:TGID_Z_EN: 0
; COMPUTE_PGM_RSRC2:TIDIG_COMP_CNT: 0
	.section	.text._ZN7rocprim17ROCPRIM_400000_NS6detail17trampoline_kernelINS0_14default_configENS1_27lower_bound_config_selectorIjlEEZNS1_14transform_implILb0ES3_S5_N6thrust23THRUST_200600_302600_NS6detail15normal_iteratorINS8_7pointerIjNS8_11hip_rocprim5par_tENS8_11use_defaultESE_EEEENSA_INSB_IlSD_SE_SE_EEEEZNS1_13binary_searchIS3_S5_PjSG_SI_NS1_21lower_bound_search_opENS9_16wrapped_functionI11custom_lessbEEEE10hipError_tPvRmT1_T2_T3_mmT4_T5_P12ihipStream_tbEUlRKjE_EESP_ST_SU_mSV_SY_bEUlT_E_NS1_11comp_targetILNS1_3genE4ELNS1_11target_archE910ELNS1_3gpuE8ELNS1_3repE0EEENS1_30default_config_static_selectorELNS0_4arch9wavefront6targetE0EEEvSS_,"axG",@progbits,_ZN7rocprim17ROCPRIM_400000_NS6detail17trampoline_kernelINS0_14default_configENS1_27lower_bound_config_selectorIjlEEZNS1_14transform_implILb0ES3_S5_N6thrust23THRUST_200600_302600_NS6detail15normal_iteratorINS8_7pointerIjNS8_11hip_rocprim5par_tENS8_11use_defaultESE_EEEENSA_INSB_IlSD_SE_SE_EEEEZNS1_13binary_searchIS3_S5_PjSG_SI_NS1_21lower_bound_search_opENS9_16wrapped_functionI11custom_lessbEEEE10hipError_tPvRmT1_T2_T3_mmT4_T5_P12ihipStream_tbEUlRKjE_EESP_ST_SU_mSV_SY_bEUlT_E_NS1_11comp_targetILNS1_3genE4ELNS1_11target_archE910ELNS1_3gpuE8ELNS1_3repE0EEENS1_30default_config_static_selectorELNS0_4arch9wavefront6targetE0EEEvSS_,comdat
	.protected	_ZN7rocprim17ROCPRIM_400000_NS6detail17trampoline_kernelINS0_14default_configENS1_27lower_bound_config_selectorIjlEEZNS1_14transform_implILb0ES3_S5_N6thrust23THRUST_200600_302600_NS6detail15normal_iteratorINS8_7pointerIjNS8_11hip_rocprim5par_tENS8_11use_defaultESE_EEEENSA_INSB_IlSD_SE_SE_EEEEZNS1_13binary_searchIS3_S5_PjSG_SI_NS1_21lower_bound_search_opENS9_16wrapped_functionI11custom_lessbEEEE10hipError_tPvRmT1_T2_T3_mmT4_T5_P12ihipStream_tbEUlRKjE_EESP_ST_SU_mSV_SY_bEUlT_E_NS1_11comp_targetILNS1_3genE4ELNS1_11target_archE910ELNS1_3gpuE8ELNS1_3repE0EEENS1_30default_config_static_selectorELNS0_4arch9wavefront6targetE0EEEvSS_ ; -- Begin function _ZN7rocprim17ROCPRIM_400000_NS6detail17trampoline_kernelINS0_14default_configENS1_27lower_bound_config_selectorIjlEEZNS1_14transform_implILb0ES3_S5_N6thrust23THRUST_200600_302600_NS6detail15normal_iteratorINS8_7pointerIjNS8_11hip_rocprim5par_tENS8_11use_defaultESE_EEEENSA_INSB_IlSD_SE_SE_EEEEZNS1_13binary_searchIS3_S5_PjSG_SI_NS1_21lower_bound_search_opENS9_16wrapped_functionI11custom_lessbEEEE10hipError_tPvRmT1_T2_T3_mmT4_T5_P12ihipStream_tbEUlRKjE_EESP_ST_SU_mSV_SY_bEUlT_E_NS1_11comp_targetILNS1_3genE4ELNS1_11target_archE910ELNS1_3gpuE8ELNS1_3repE0EEENS1_30default_config_static_selectorELNS0_4arch9wavefront6targetE0EEEvSS_
	.globl	_ZN7rocprim17ROCPRIM_400000_NS6detail17trampoline_kernelINS0_14default_configENS1_27lower_bound_config_selectorIjlEEZNS1_14transform_implILb0ES3_S5_N6thrust23THRUST_200600_302600_NS6detail15normal_iteratorINS8_7pointerIjNS8_11hip_rocprim5par_tENS8_11use_defaultESE_EEEENSA_INSB_IlSD_SE_SE_EEEEZNS1_13binary_searchIS3_S5_PjSG_SI_NS1_21lower_bound_search_opENS9_16wrapped_functionI11custom_lessbEEEE10hipError_tPvRmT1_T2_T3_mmT4_T5_P12ihipStream_tbEUlRKjE_EESP_ST_SU_mSV_SY_bEUlT_E_NS1_11comp_targetILNS1_3genE4ELNS1_11target_archE910ELNS1_3gpuE8ELNS1_3repE0EEENS1_30default_config_static_selectorELNS0_4arch9wavefront6targetE0EEEvSS_
	.p2align	8
	.type	_ZN7rocprim17ROCPRIM_400000_NS6detail17trampoline_kernelINS0_14default_configENS1_27lower_bound_config_selectorIjlEEZNS1_14transform_implILb0ES3_S5_N6thrust23THRUST_200600_302600_NS6detail15normal_iteratorINS8_7pointerIjNS8_11hip_rocprim5par_tENS8_11use_defaultESE_EEEENSA_INSB_IlSD_SE_SE_EEEEZNS1_13binary_searchIS3_S5_PjSG_SI_NS1_21lower_bound_search_opENS9_16wrapped_functionI11custom_lessbEEEE10hipError_tPvRmT1_T2_T3_mmT4_T5_P12ihipStream_tbEUlRKjE_EESP_ST_SU_mSV_SY_bEUlT_E_NS1_11comp_targetILNS1_3genE4ELNS1_11target_archE910ELNS1_3gpuE8ELNS1_3repE0EEENS1_30default_config_static_selectorELNS0_4arch9wavefront6targetE0EEEvSS_,@function
_ZN7rocprim17ROCPRIM_400000_NS6detail17trampoline_kernelINS0_14default_configENS1_27lower_bound_config_selectorIjlEEZNS1_14transform_implILb0ES3_S5_N6thrust23THRUST_200600_302600_NS6detail15normal_iteratorINS8_7pointerIjNS8_11hip_rocprim5par_tENS8_11use_defaultESE_EEEENSA_INSB_IlSD_SE_SE_EEEEZNS1_13binary_searchIS3_S5_PjSG_SI_NS1_21lower_bound_search_opENS9_16wrapped_functionI11custom_lessbEEEE10hipError_tPvRmT1_T2_T3_mmT4_T5_P12ihipStream_tbEUlRKjE_EESP_ST_SU_mSV_SY_bEUlT_E_NS1_11comp_targetILNS1_3genE4ELNS1_11target_archE910ELNS1_3gpuE8ELNS1_3repE0EEENS1_30default_config_static_selectorELNS0_4arch9wavefront6targetE0EEEvSS_: ; @_ZN7rocprim17ROCPRIM_400000_NS6detail17trampoline_kernelINS0_14default_configENS1_27lower_bound_config_selectorIjlEEZNS1_14transform_implILb0ES3_S5_N6thrust23THRUST_200600_302600_NS6detail15normal_iteratorINS8_7pointerIjNS8_11hip_rocprim5par_tENS8_11use_defaultESE_EEEENSA_INSB_IlSD_SE_SE_EEEEZNS1_13binary_searchIS3_S5_PjSG_SI_NS1_21lower_bound_search_opENS9_16wrapped_functionI11custom_lessbEEEE10hipError_tPvRmT1_T2_T3_mmT4_T5_P12ihipStream_tbEUlRKjE_EESP_ST_SU_mSV_SY_bEUlT_E_NS1_11comp_targetILNS1_3genE4ELNS1_11target_archE910ELNS1_3gpuE8ELNS1_3repE0EEENS1_30default_config_static_selectorELNS0_4arch9wavefront6targetE0EEEvSS_
; %bb.0:
	.section	.rodata,"a",@progbits
	.p2align	6, 0x0
	.amdhsa_kernel _ZN7rocprim17ROCPRIM_400000_NS6detail17trampoline_kernelINS0_14default_configENS1_27lower_bound_config_selectorIjlEEZNS1_14transform_implILb0ES3_S5_N6thrust23THRUST_200600_302600_NS6detail15normal_iteratorINS8_7pointerIjNS8_11hip_rocprim5par_tENS8_11use_defaultESE_EEEENSA_INSB_IlSD_SE_SE_EEEEZNS1_13binary_searchIS3_S5_PjSG_SI_NS1_21lower_bound_search_opENS9_16wrapped_functionI11custom_lessbEEEE10hipError_tPvRmT1_T2_T3_mmT4_T5_P12ihipStream_tbEUlRKjE_EESP_ST_SU_mSV_SY_bEUlT_E_NS1_11comp_targetILNS1_3genE4ELNS1_11target_archE910ELNS1_3gpuE8ELNS1_3repE0EEENS1_30default_config_static_selectorELNS0_4arch9wavefront6targetE0EEEvSS_
		.amdhsa_group_segment_fixed_size 0
		.amdhsa_private_segment_fixed_size 0
		.amdhsa_kernarg_size 56
		.amdhsa_user_sgpr_count 6
		.amdhsa_user_sgpr_private_segment_buffer 1
		.amdhsa_user_sgpr_dispatch_ptr 0
		.amdhsa_user_sgpr_queue_ptr 0
		.amdhsa_user_sgpr_kernarg_segment_ptr 1
		.amdhsa_user_sgpr_dispatch_id 0
		.amdhsa_user_sgpr_flat_scratch_init 0
		.amdhsa_user_sgpr_private_segment_size 0
		.amdhsa_wavefront_size32 1
		.amdhsa_uses_dynamic_stack 0
		.amdhsa_system_sgpr_private_segment_wavefront_offset 0
		.amdhsa_system_sgpr_workgroup_id_x 1
		.amdhsa_system_sgpr_workgroup_id_y 0
		.amdhsa_system_sgpr_workgroup_id_z 0
		.amdhsa_system_sgpr_workgroup_info 0
		.amdhsa_system_vgpr_workitem_id 0
		.amdhsa_next_free_vgpr 1
		.amdhsa_next_free_sgpr 1
		.amdhsa_reserve_vcc 0
		.amdhsa_reserve_flat_scratch 0
		.amdhsa_float_round_mode_32 0
		.amdhsa_float_round_mode_16_64 0
		.amdhsa_float_denorm_mode_32 3
		.amdhsa_float_denorm_mode_16_64 3
		.amdhsa_dx10_clamp 1
		.amdhsa_ieee_mode 1
		.amdhsa_fp16_overflow 0
		.amdhsa_workgroup_processor_mode 1
		.amdhsa_memory_ordered 1
		.amdhsa_forward_progress 1
		.amdhsa_shared_vgpr_count 0
		.amdhsa_exception_fp_ieee_invalid_op 0
		.amdhsa_exception_fp_denorm_src 0
		.amdhsa_exception_fp_ieee_div_zero 0
		.amdhsa_exception_fp_ieee_overflow 0
		.amdhsa_exception_fp_ieee_underflow 0
		.amdhsa_exception_fp_ieee_inexact 0
		.amdhsa_exception_int_div_zero 0
	.end_amdhsa_kernel
	.section	.text._ZN7rocprim17ROCPRIM_400000_NS6detail17trampoline_kernelINS0_14default_configENS1_27lower_bound_config_selectorIjlEEZNS1_14transform_implILb0ES3_S5_N6thrust23THRUST_200600_302600_NS6detail15normal_iteratorINS8_7pointerIjNS8_11hip_rocprim5par_tENS8_11use_defaultESE_EEEENSA_INSB_IlSD_SE_SE_EEEEZNS1_13binary_searchIS3_S5_PjSG_SI_NS1_21lower_bound_search_opENS9_16wrapped_functionI11custom_lessbEEEE10hipError_tPvRmT1_T2_T3_mmT4_T5_P12ihipStream_tbEUlRKjE_EESP_ST_SU_mSV_SY_bEUlT_E_NS1_11comp_targetILNS1_3genE4ELNS1_11target_archE910ELNS1_3gpuE8ELNS1_3repE0EEENS1_30default_config_static_selectorELNS0_4arch9wavefront6targetE0EEEvSS_,"axG",@progbits,_ZN7rocprim17ROCPRIM_400000_NS6detail17trampoline_kernelINS0_14default_configENS1_27lower_bound_config_selectorIjlEEZNS1_14transform_implILb0ES3_S5_N6thrust23THRUST_200600_302600_NS6detail15normal_iteratorINS8_7pointerIjNS8_11hip_rocprim5par_tENS8_11use_defaultESE_EEEENSA_INSB_IlSD_SE_SE_EEEEZNS1_13binary_searchIS3_S5_PjSG_SI_NS1_21lower_bound_search_opENS9_16wrapped_functionI11custom_lessbEEEE10hipError_tPvRmT1_T2_T3_mmT4_T5_P12ihipStream_tbEUlRKjE_EESP_ST_SU_mSV_SY_bEUlT_E_NS1_11comp_targetILNS1_3genE4ELNS1_11target_archE910ELNS1_3gpuE8ELNS1_3repE0EEENS1_30default_config_static_selectorELNS0_4arch9wavefront6targetE0EEEvSS_,comdat
.Lfunc_end66:
	.size	_ZN7rocprim17ROCPRIM_400000_NS6detail17trampoline_kernelINS0_14default_configENS1_27lower_bound_config_selectorIjlEEZNS1_14transform_implILb0ES3_S5_N6thrust23THRUST_200600_302600_NS6detail15normal_iteratorINS8_7pointerIjNS8_11hip_rocprim5par_tENS8_11use_defaultESE_EEEENSA_INSB_IlSD_SE_SE_EEEEZNS1_13binary_searchIS3_S5_PjSG_SI_NS1_21lower_bound_search_opENS9_16wrapped_functionI11custom_lessbEEEE10hipError_tPvRmT1_T2_T3_mmT4_T5_P12ihipStream_tbEUlRKjE_EESP_ST_SU_mSV_SY_bEUlT_E_NS1_11comp_targetILNS1_3genE4ELNS1_11target_archE910ELNS1_3gpuE8ELNS1_3repE0EEENS1_30default_config_static_selectorELNS0_4arch9wavefront6targetE0EEEvSS_, .Lfunc_end66-_ZN7rocprim17ROCPRIM_400000_NS6detail17trampoline_kernelINS0_14default_configENS1_27lower_bound_config_selectorIjlEEZNS1_14transform_implILb0ES3_S5_N6thrust23THRUST_200600_302600_NS6detail15normal_iteratorINS8_7pointerIjNS8_11hip_rocprim5par_tENS8_11use_defaultESE_EEEENSA_INSB_IlSD_SE_SE_EEEEZNS1_13binary_searchIS3_S5_PjSG_SI_NS1_21lower_bound_search_opENS9_16wrapped_functionI11custom_lessbEEEE10hipError_tPvRmT1_T2_T3_mmT4_T5_P12ihipStream_tbEUlRKjE_EESP_ST_SU_mSV_SY_bEUlT_E_NS1_11comp_targetILNS1_3genE4ELNS1_11target_archE910ELNS1_3gpuE8ELNS1_3repE0EEENS1_30default_config_static_selectorELNS0_4arch9wavefront6targetE0EEEvSS_
                                        ; -- End function
	.set _ZN7rocprim17ROCPRIM_400000_NS6detail17trampoline_kernelINS0_14default_configENS1_27lower_bound_config_selectorIjlEEZNS1_14transform_implILb0ES3_S5_N6thrust23THRUST_200600_302600_NS6detail15normal_iteratorINS8_7pointerIjNS8_11hip_rocprim5par_tENS8_11use_defaultESE_EEEENSA_INSB_IlSD_SE_SE_EEEEZNS1_13binary_searchIS3_S5_PjSG_SI_NS1_21lower_bound_search_opENS9_16wrapped_functionI11custom_lessbEEEE10hipError_tPvRmT1_T2_T3_mmT4_T5_P12ihipStream_tbEUlRKjE_EESP_ST_SU_mSV_SY_bEUlT_E_NS1_11comp_targetILNS1_3genE4ELNS1_11target_archE910ELNS1_3gpuE8ELNS1_3repE0EEENS1_30default_config_static_selectorELNS0_4arch9wavefront6targetE0EEEvSS_.num_vgpr, 0
	.set _ZN7rocprim17ROCPRIM_400000_NS6detail17trampoline_kernelINS0_14default_configENS1_27lower_bound_config_selectorIjlEEZNS1_14transform_implILb0ES3_S5_N6thrust23THRUST_200600_302600_NS6detail15normal_iteratorINS8_7pointerIjNS8_11hip_rocprim5par_tENS8_11use_defaultESE_EEEENSA_INSB_IlSD_SE_SE_EEEEZNS1_13binary_searchIS3_S5_PjSG_SI_NS1_21lower_bound_search_opENS9_16wrapped_functionI11custom_lessbEEEE10hipError_tPvRmT1_T2_T3_mmT4_T5_P12ihipStream_tbEUlRKjE_EESP_ST_SU_mSV_SY_bEUlT_E_NS1_11comp_targetILNS1_3genE4ELNS1_11target_archE910ELNS1_3gpuE8ELNS1_3repE0EEENS1_30default_config_static_selectorELNS0_4arch9wavefront6targetE0EEEvSS_.num_agpr, 0
	.set _ZN7rocprim17ROCPRIM_400000_NS6detail17trampoline_kernelINS0_14default_configENS1_27lower_bound_config_selectorIjlEEZNS1_14transform_implILb0ES3_S5_N6thrust23THRUST_200600_302600_NS6detail15normal_iteratorINS8_7pointerIjNS8_11hip_rocprim5par_tENS8_11use_defaultESE_EEEENSA_INSB_IlSD_SE_SE_EEEEZNS1_13binary_searchIS3_S5_PjSG_SI_NS1_21lower_bound_search_opENS9_16wrapped_functionI11custom_lessbEEEE10hipError_tPvRmT1_T2_T3_mmT4_T5_P12ihipStream_tbEUlRKjE_EESP_ST_SU_mSV_SY_bEUlT_E_NS1_11comp_targetILNS1_3genE4ELNS1_11target_archE910ELNS1_3gpuE8ELNS1_3repE0EEENS1_30default_config_static_selectorELNS0_4arch9wavefront6targetE0EEEvSS_.numbered_sgpr, 0
	.set _ZN7rocprim17ROCPRIM_400000_NS6detail17trampoline_kernelINS0_14default_configENS1_27lower_bound_config_selectorIjlEEZNS1_14transform_implILb0ES3_S5_N6thrust23THRUST_200600_302600_NS6detail15normal_iteratorINS8_7pointerIjNS8_11hip_rocprim5par_tENS8_11use_defaultESE_EEEENSA_INSB_IlSD_SE_SE_EEEEZNS1_13binary_searchIS3_S5_PjSG_SI_NS1_21lower_bound_search_opENS9_16wrapped_functionI11custom_lessbEEEE10hipError_tPvRmT1_T2_T3_mmT4_T5_P12ihipStream_tbEUlRKjE_EESP_ST_SU_mSV_SY_bEUlT_E_NS1_11comp_targetILNS1_3genE4ELNS1_11target_archE910ELNS1_3gpuE8ELNS1_3repE0EEENS1_30default_config_static_selectorELNS0_4arch9wavefront6targetE0EEEvSS_.num_named_barrier, 0
	.set _ZN7rocprim17ROCPRIM_400000_NS6detail17trampoline_kernelINS0_14default_configENS1_27lower_bound_config_selectorIjlEEZNS1_14transform_implILb0ES3_S5_N6thrust23THRUST_200600_302600_NS6detail15normal_iteratorINS8_7pointerIjNS8_11hip_rocprim5par_tENS8_11use_defaultESE_EEEENSA_INSB_IlSD_SE_SE_EEEEZNS1_13binary_searchIS3_S5_PjSG_SI_NS1_21lower_bound_search_opENS9_16wrapped_functionI11custom_lessbEEEE10hipError_tPvRmT1_T2_T3_mmT4_T5_P12ihipStream_tbEUlRKjE_EESP_ST_SU_mSV_SY_bEUlT_E_NS1_11comp_targetILNS1_3genE4ELNS1_11target_archE910ELNS1_3gpuE8ELNS1_3repE0EEENS1_30default_config_static_selectorELNS0_4arch9wavefront6targetE0EEEvSS_.private_seg_size, 0
	.set _ZN7rocprim17ROCPRIM_400000_NS6detail17trampoline_kernelINS0_14default_configENS1_27lower_bound_config_selectorIjlEEZNS1_14transform_implILb0ES3_S5_N6thrust23THRUST_200600_302600_NS6detail15normal_iteratorINS8_7pointerIjNS8_11hip_rocprim5par_tENS8_11use_defaultESE_EEEENSA_INSB_IlSD_SE_SE_EEEEZNS1_13binary_searchIS3_S5_PjSG_SI_NS1_21lower_bound_search_opENS9_16wrapped_functionI11custom_lessbEEEE10hipError_tPvRmT1_T2_T3_mmT4_T5_P12ihipStream_tbEUlRKjE_EESP_ST_SU_mSV_SY_bEUlT_E_NS1_11comp_targetILNS1_3genE4ELNS1_11target_archE910ELNS1_3gpuE8ELNS1_3repE0EEENS1_30default_config_static_selectorELNS0_4arch9wavefront6targetE0EEEvSS_.uses_vcc, 0
	.set _ZN7rocprim17ROCPRIM_400000_NS6detail17trampoline_kernelINS0_14default_configENS1_27lower_bound_config_selectorIjlEEZNS1_14transform_implILb0ES3_S5_N6thrust23THRUST_200600_302600_NS6detail15normal_iteratorINS8_7pointerIjNS8_11hip_rocprim5par_tENS8_11use_defaultESE_EEEENSA_INSB_IlSD_SE_SE_EEEEZNS1_13binary_searchIS3_S5_PjSG_SI_NS1_21lower_bound_search_opENS9_16wrapped_functionI11custom_lessbEEEE10hipError_tPvRmT1_T2_T3_mmT4_T5_P12ihipStream_tbEUlRKjE_EESP_ST_SU_mSV_SY_bEUlT_E_NS1_11comp_targetILNS1_3genE4ELNS1_11target_archE910ELNS1_3gpuE8ELNS1_3repE0EEENS1_30default_config_static_selectorELNS0_4arch9wavefront6targetE0EEEvSS_.uses_flat_scratch, 0
	.set _ZN7rocprim17ROCPRIM_400000_NS6detail17trampoline_kernelINS0_14default_configENS1_27lower_bound_config_selectorIjlEEZNS1_14transform_implILb0ES3_S5_N6thrust23THRUST_200600_302600_NS6detail15normal_iteratorINS8_7pointerIjNS8_11hip_rocprim5par_tENS8_11use_defaultESE_EEEENSA_INSB_IlSD_SE_SE_EEEEZNS1_13binary_searchIS3_S5_PjSG_SI_NS1_21lower_bound_search_opENS9_16wrapped_functionI11custom_lessbEEEE10hipError_tPvRmT1_T2_T3_mmT4_T5_P12ihipStream_tbEUlRKjE_EESP_ST_SU_mSV_SY_bEUlT_E_NS1_11comp_targetILNS1_3genE4ELNS1_11target_archE910ELNS1_3gpuE8ELNS1_3repE0EEENS1_30default_config_static_selectorELNS0_4arch9wavefront6targetE0EEEvSS_.has_dyn_sized_stack, 0
	.set _ZN7rocprim17ROCPRIM_400000_NS6detail17trampoline_kernelINS0_14default_configENS1_27lower_bound_config_selectorIjlEEZNS1_14transform_implILb0ES3_S5_N6thrust23THRUST_200600_302600_NS6detail15normal_iteratorINS8_7pointerIjNS8_11hip_rocprim5par_tENS8_11use_defaultESE_EEEENSA_INSB_IlSD_SE_SE_EEEEZNS1_13binary_searchIS3_S5_PjSG_SI_NS1_21lower_bound_search_opENS9_16wrapped_functionI11custom_lessbEEEE10hipError_tPvRmT1_T2_T3_mmT4_T5_P12ihipStream_tbEUlRKjE_EESP_ST_SU_mSV_SY_bEUlT_E_NS1_11comp_targetILNS1_3genE4ELNS1_11target_archE910ELNS1_3gpuE8ELNS1_3repE0EEENS1_30default_config_static_selectorELNS0_4arch9wavefront6targetE0EEEvSS_.has_recursion, 0
	.set _ZN7rocprim17ROCPRIM_400000_NS6detail17trampoline_kernelINS0_14default_configENS1_27lower_bound_config_selectorIjlEEZNS1_14transform_implILb0ES3_S5_N6thrust23THRUST_200600_302600_NS6detail15normal_iteratorINS8_7pointerIjNS8_11hip_rocprim5par_tENS8_11use_defaultESE_EEEENSA_INSB_IlSD_SE_SE_EEEEZNS1_13binary_searchIS3_S5_PjSG_SI_NS1_21lower_bound_search_opENS9_16wrapped_functionI11custom_lessbEEEE10hipError_tPvRmT1_T2_T3_mmT4_T5_P12ihipStream_tbEUlRKjE_EESP_ST_SU_mSV_SY_bEUlT_E_NS1_11comp_targetILNS1_3genE4ELNS1_11target_archE910ELNS1_3gpuE8ELNS1_3repE0EEENS1_30default_config_static_selectorELNS0_4arch9wavefront6targetE0EEEvSS_.has_indirect_call, 0
	.section	.AMDGPU.csdata,"",@progbits
; Kernel info:
; codeLenInByte = 0
; TotalNumSgprs: 0
; NumVgprs: 0
; ScratchSize: 0
; MemoryBound: 0
; FloatMode: 240
; IeeeMode: 1
; LDSByteSize: 0 bytes/workgroup (compile time only)
; SGPRBlocks: 0
; VGPRBlocks: 0
; NumSGPRsForWavesPerEU: 1
; NumVGPRsForWavesPerEU: 1
; Occupancy: 16
; WaveLimiterHint : 0
; COMPUTE_PGM_RSRC2:SCRATCH_EN: 0
; COMPUTE_PGM_RSRC2:USER_SGPR: 6
; COMPUTE_PGM_RSRC2:TRAP_HANDLER: 0
; COMPUTE_PGM_RSRC2:TGID_X_EN: 1
; COMPUTE_PGM_RSRC2:TGID_Y_EN: 0
; COMPUTE_PGM_RSRC2:TGID_Z_EN: 0
; COMPUTE_PGM_RSRC2:TIDIG_COMP_CNT: 0
	.section	.text._ZN7rocprim17ROCPRIM_400000_NS6detail17trampoline_kernelINS0_14default_configENS1_27lower_bound_config_selectorIjlEEZNS1_14transform_implILb0ES3_S5_N6thrust23THRUST_200600_302600_NS6detail15normal_iteratorINS8_7pointerIjNS8_11hip_rocprim5par_tENS8_11use_defaultESE_EEEENSA_INSB_IlSD_SE_SE_EEEEZNS1_13binary_searchIS3_S5_PjSG_SI_NS1_21lower_bound_search_opENS9_16wrapped_functionI11custom_lessbEEEE10hipError_tPvRmT1_T2_T3_mmT4_T5_P12ihipStream_tbEUlRKjE_EESP_ST_SU_mSV_SY_bEUlT_E_NS1_11comp_targetILNS1_3genE3ELNS1_11target_archE908ELNS1_3gpuE7ELNS1_3repE0EEENS1_30default_config_static_selectorELNS0_4arch9wavefront6targetE0EEEvSS_,"axG",@progbits,_ZN7rocprim17ROCPRIM_400000_NS6detail17trampoline_kernelINS0_14default_configENS1_27lower_bound_config_selectorIjlEEZNS1_14transform_implILb0ES3_S5_N6thrust23THRUST_200600_302600_NS6detail15normal_iteratorINS8_7pointerIjNS8_11hip_rocprim5par_tENS8_11use_defaultESE_EEEENSA_INSB_IlSD_SE_SE_EEEEZNS1_13binary_searchIS3_S5_PjSG_SI_NS1_21lower_bound_search_opENS9_16wrapped_functionI11custom_lessbEEEE10hipError_tPvRmT1_T2_T3_mmT4_T5_P12ihipStream_tbEUlRKjE_EESP_ST_SU_mSV_SY_bEUlT_E_NS1_11comp_targetILNS1_3genE3ELNS1_11target_archE908ELNS1_3gpuE7ELNS1_3repE0EEENS1_30default_config_static_selectorELNS0_4arch9wavefront6targetE0EEEvSS_,comdat
	.protected	_ZN7rocprim17ROCPRIM_400000_NS6detail17trampoline_kernelINS0_14default_configENS1_27lower_bound_config_selectorIjlEEZNS1_14transform_implILb0ES3_S5_N6thrust23THRUST_200600_302600_NS6detail15normal_iteratorINS8_7pointerIjNS8_11hip_rocprim5par_tENS8_11use_defaultESE_EEEENSA_INSB_IlSD_SE_SE_EEEEZNS1_13binary_searchIS3_S5_PjSG_SI_NS1_21lower_bound_search_opENS9_16wrapped_functionI11custom_lessbEEEE10hipError_tPvRmT1_T2_T3_mmT4_T5_P12ihipStream_tbEUlRKjE_EESP_ST_SU_mSV_SY_bEUlT_E_NS1_11comp_targetILNS1_3genE3ELNS1_11target_archE908ELNS1_3gpuE7ELNS1_3repE0EEENS1_30default_config_static_selectorELNS0_4arch9wavefront6targetE0EEEvSS_ ; -- Begin function _ZN7rocprim17ROCPRIM_400000_NS6detail17trampoline_kernelINS0_14default_configENS1_27lower_bound_config_selectorIjlEEZNS1_14transform_implILb0ES3_S5_N6thrust23THRUST_200600_302600_NS6detail15normal_iteratorINS8_7pointerIjNS8_11hip_rocprim5par_tENS8_11use_defaultESE_EEEENSA_INSB_IlSD_SE_SE_EEEEZNS1_13binary_searchIS3_S5_PjSG_SI_NS1_21lower_bound_search_opENS9_16wrapped_functionI11custom_lessbEEEE10hipError_tPvRmT1_T2_T3_mmT4_T5_P12ihipStream_tbEUlRKjE_EESP_ST_SU_mSV_SY_bEUlT_E_NS1_11comp_targetILNS1_3genE3ELNS1_11target_archE908ELNS1_3gpuE7ELNS1_3repE0EEENS1_30default_config_static_selectorELNS0_4arch9wavefront6targetE0EEEvSS_
	.globl	_ZN7rocprim17ROCPRIM_400000_NS6detail17trampoline_kernelINS0_14default_configENS1_27lower_bound_config_selectorIjlEEZNS1_14transform_implILb0ES3_S5_N6thrust23THRUST_200600_302600_NS6detail15normal_iteratorINS8_7pointerIjNS8_11hip_rocprim5par_tENS8_11use_defaultESE_EEEENSA_INSB_IlSD_SE_SE_EEEEZNS1_13binary_searchIS3_S5_PjSG_SI_NS1_21lower_bound_search_opENS9_16wrapped_functionI11custom_lessbEEEE10hipError_tPvRmT1_T2_T3_mmT4_T5_P12ihipStream_tbEUlRKjE_EESP_ST_SU_mSV_SY_bEUlT_E_NS1_11comp_targetILNS1_3genE3ELNS1_11target_archE908ELNS1_3gpuE7ELNS1_3repE0EEENS1_30default_config_static_selectorELNS0_4arch9wavefront6targetE0EEEvSS_
	.p2align	8
	.type	_ZN7rocprim17ROCPRIM_400000_NS6detail17trampoline_kernelINS0_14default_configENS1_27lower_bound_config_selectorIjlEEZNS1_14transform_implILb0ES3_S5_N6thrust23THRUST_200600_302600_NS6detail15normal_iteratorINS8_7pointerIjNS8_11hip_rocprim5par_tENS8_11use_defaultESE_EEEENSA_INSB_IlSD_SE_SE_EEEEZNS1_13binary_searchIS3_S5_PjSG_SI_NS1_21lower_bound_search_opENS9_16wrapped_functionI11custom_lessbEEEE10hipError_tPvRmT1_T2_T3_mmT4_T5_P12ihipStream_tbEUlRKjE_EESP_ST_SU_mSV_SY_bEUlT_E_NS1_11comp_targetILNS1_3genE3ELNS1_11target_archE908ELNS1_3gpuE7ELNS1_3repE0EEENS1_30default_config_static_selectorELNS0_4arch9wavefront6targetE0EEEvSS_,@function
_ZN7rocprim17ROCPRIM_400000_NS6detail17trampoline_kernelINS0_14default_configENS1_27lower_bound_config_selectorIjlEEZNS1_14transform_implILb0ES3_S5_N6thrust23THRUST_200600_302600_NS6detail15normal_iteratorINS8_7pointerIjNS8_11hip_rocprim5par_tENS8_11use_defaultESE_EEEENSA_INSB_IlSD_SE_SE_EEEEZNS1_13binary_searchIS3_S5_PjSG_SI_NS1_21lower_bound_search_opENS9_16wrapped_functionI11custom_lessbEEEE10hipError_tPvRmT1_T2_T3_mmT4_T5_P12ihipStream_tbEUlRKjE_EESP_ST_SU_mSV_SY_bEUlT_E_NS1_11comp_targetILNS1_3genE3ELNS1_11target_archE908ELNS1_3gpuE7ELNS1_3repE0EEENS1_30default_config_static_selectorELNS0_4arch9wavefront6targetE0EEEvSS_: ; @_ZN7rocprim17ROCPRIM_400000_NS6detail17trampoline_kernelINS0_14default_configENS1_27lower_bound_config_selectorIjlEEZNS1_14transform_implILb0ES3_S5_N6thrust23THRUST_200600_302600_NS6detail15normal_iteratorINS8_7pointerIjNS8_11hip_rocprim5par_tENS8_11use_defaultESE_EEEENSA_INSB_IlSD_SE_SE_EEEEZNS1_13binary_searchIS3_S5_PjSG_SI_NS1_21lower_bound_search_opENS9_16wrapped_functionI11custom_lessbEEEE10hipError_tPvRmT1_T2_T3_mmT4_T5_P12ihipStream_tbEUlRKjE_EESP_ST_SU_mSV_SY_bEUlT_E_NS1_11comp_targetILNS1_3genE3ELNS1_11target_archE908ELNS1_3gpuE7ELNS1_3repE0EEENS1_30default_config_static_selectorELNS0_4arch9wavefront6targetE0EEEvSS_
; %bb.0:
	.section	.rodata,"a",@progbits
	.p2align	6, 0x0
	.amdhsa_kernel _ZN7rocprim17ROCPRIM_400000_NS6detail17trampoline_kernelINS0_14default_configENS1_27lower_bound_config_selectorIjlEEZNS1_14transform_implILb0ES3_S5_N6thrust23THRUST_200600_302600_NS6detail15normal_iteratorINS8_7pointerIjNS8_11hip_rocprim5par_tENS8_11use_defaultESE_EEEENSA_INSB_IlSD_SE_SE_EEEEZNS1_13binary_searchIS3_S5_PjSG_SI_NS1_21lower_bound_search_opENS9_16wrapped_functionI11custom_lessbEEEE10hipError_tPvRmT1_T2_T3_mmT4_T5_P12ihipStream_tbEUlRKjE_EESP_ST_SU_mSV_SY_bEUlT_E_NS1_11comp_targetILNS1_3genE3ELNS1_11target_archE908ELNS1_3gpuE7ELNS1_3repE0EEENS1_30default_config_static_selectorELNS0_4arch9wavefront6targetE0EEEvSS_
		.amdhsa_group_segment_fixed_size 0
		.amdhsa_private_segment_fixed_size 0
		.amdhsa_kernarg_size 56
		.amdhsa_user_sgpr_count 6
		.amdhsa_user_sgpr_private_segment_buffer 1
		.amdhsa_user_sgpr_dispatch_ptr 0
		.amdhsa_user_sgpr_queue_ptr 0
		.amdhsa_user_sgpr_kernarg_segment_ptr 1
		.amdhsa_user_sgpr_dispatch_id 0
		.amdhsa_user_sgpr_flat_scratch_init 0
		.amdhsa_user_sgpr_private_segment_size 0
		.amdhsa_wavefront_size32 1
		.amdhsa_uses_dynamic_stack 0
		.amdhsa_system_sgpr_private_segment_wavefront_offset 0
		.amdhsa_system_sgpr_workgroup_id_x 1
		.amdhsa_system_sgpr_workgroup_id_y 0
		.amdhsa_system_sgpr_workgroup_id_z 0
		.amdhsa_system_sgpr_workgroup_info 0
		.amdhsa_system_vgpr_workitem_id 0
		.amdhsa_next_free_vgpr 1
		.amdhsa_next_free_sgpr 1
		.amdhsa_reserve_vcc 0
		.amdhsa_reserve_flat_scratch 0
		.amdhsa_float_round_mode_32 0
		.amdhsa_float_round_mode_16_64 0
		.amdhsa_float_denorm_mode_32 3
		.amdhsa_float_denorm_mode_16_64 3
		.amdhsa_dx10_clamp 1
		.amdhsa_ieee_mode 1
		.amdhsa_fp16_overflow 0
		.amdhsa_workgroup_processor_mode 1
		.amdhsa_memory_ordered 1
		.amdhsa_forward_progress 1
		.amdhsa_shared_vgpr_count 0
		.amdhsa_exception_fp_ieee_invalid_op 0
		.amdhsa_exception_fp_denorm_src 0
		.amdhsa_exception_fp_ieee_div_zero 0
		.amdhsa_exception_fp_ieee_overflow 0
		.amdhsa_exception_fp_ieee_underflow 0
		.amdhsa_exception_fp_ieee_inexact 0
		.amdhsa_exception_int_div_zero 0
	.end_amdhsa_kernel
	.section	.text._ZN7rocprim17ROCPRIM_400000_NS6detail17trampoline_kernelINS0_14default_configENS1_27lower_bound_config_selectorIjlEEZNS1_14transform_implILb0ES3_S5_N6thrust23THRUST_200600_302600_NS6detail15normal_iteratorINS8_7pointerIjNS8_11hip_rocprim5par_tENS8_11use_defaultESE_EEEENSA_INSB_IlSD_SE_SE_EEEEZNS1_13binary_searchIS3_S5_PjSG_SI_NS1_21lower_bound_search_opENS9_16wrapped_functionI11custom_lessbEEEE10hipError_tPvRmT1_T2_T3_mmT4_T5_P12ihipStream_tbEUlRKjE_EESP_ST_SU_mSV_SY_bEUlT_E_NS1_11comp_targetILNS1_3genE3ELNS1_11target_archE908ELNS1_3gpuE7ELNS1_3repE0EEENS1_30default_config_static_selectorELNS0_4arch9wavefront6targetE0EEEvSS_,"axG",@progbits,_ZN7rocprim17ROCPRIM_400000_NS6detail17trampoline_kernelINS0_14default_configENS1_27lower_bound_config_selectorIjlEEZNS1_14transform_implILb0ES3_S5_N6thrust23THRUST_200600_302600_NS6detail15normal_iteratorINS8_7pointerIjNS8_11hip_rocprim5par_tENS8_11use_defaultESE_EEEENSA_INSB_IlSD_SE_SE_EEEEZNS1_13binary_searchIS3_S5_PjSG_SI_NS1_21lower_bound_search_opENS9_16wrapped_functionI11custom_lessbEEEE10hipError_tPvRmT1_T2_T3_mmT4_T5_P12ihipStream_tbEUlRKjE_EESP_ST_SU_mSV_SY_bEUlT_E_NS1_11comp_targetILNS1_3genE3ELNS1_11target_archE908ELNS1_3gpuE7ELNS1_3repE0EEENS1_30default_config_static_selectorELNS0_4arch9wavefront6targetE0EEEvSS_,comdat
.Lfunc_end67:
	.size	_ZN7rocprim17ROCPRIM_400000_NS6detail17trampoline_kernelINS0_14default_configENS1_27lower_bound_config_selectorIjlEEZNS1_14transform_implILb0ES3_S5_N6thrust23THRUST_200600_302600_NS6detail15normal_iteratorINS8_7pointerIjNS8_11hip_rocprim5par_tENS8_11use_defaultESE_EEEENSA_INSB_IlSD_SE_SE_EEEEZNS1_13binary_searchIS3_S5_PjSG_SI_NS1_21lower_bound_search_opENS9_16wrapped_functionI11custom_lessbEEEE10hipError_tPvRmT1_T2_T3_mmT4_T5_P12ihipStream_tbEUlRKjE_EESP_ST_SU_mSV_SY_bEUlT_E_NS1_11comp_targetILNS1_3genE3ELNS1_11target_archE908ELNS1_3gpuE7ELNS1_3repE0EEENS1_30default_config_static_selectorELNS0_4arch9wavefront6targetE0EEEvSS_, .Lfunc_end67-_ZN7rocprim17ROCPRIM_400000_NS6detail17trampoline_kernelINS0_14default_configENS1_27lower_bound_config_selectorIjlEEZNS1_14transform_implILb0ES3_S5_N6thrust23THRUST_200600_302600_NS6detail15normal_iteratorINS8_7pointerIjNS8_11hip_rocprim5par_tENS8_11use_defaultESE_EEEENSA_INSB_IlSD_SE_SE_EEEEZNS1_13binary_searchIS3_S5_PjSG_SI_NS1_21lower_bound_search_opENS9_16wrapped_functionI11custom_lessbEEEE10hipError_tPvRmT1_T2_T3_mmT4_T5_P12ihipStream_tbEUlRKjE_EESP_ST_SU_mSV_SY_bEUlT_E_NS1_11comp_targetILNS1_3genE3ELNS1_11target_archE908ELNS1_3gpuE7ELNS1_3repE0EEENS1_30default_config_static_selectorELNS0_4arch9wavefront6targetE0EEEvSS_
                                        ; -- End function
	.set _ZN7rocprim17ROCPRIM_400000_NS6detail17trampoline_kernelINS0_14default_configENS1_27lower_bound_config_selectorIjlEEZNS1_14transform_implILb0ES3_S5_N6thrust23THRUST_200600_302600_NS6detail15normal_iteratorINS8_7pointerIjNS8_11hip_rocprim5par_tENS8_11use_defaultESE_EEEENSA_INSB_IlSD_SE_SE_EEEEZNS1_13binary_searchIS3_S5_PjSG_SI_NS1_21lower_bound_search_opENS9_16wrapped_functionI11custom_lessbEEEE10hipError_tPvRmT1_T2_T3_mmT4_T5_P12ihipStream_tbEUlRKjE_EESP_ST_SU_mSV_SY_bEUlT_E_NS1_11comp_targetILNS1_3genE3ELNS1_11target_archE908ELNS1_3gpuE7ELNS1_3repE0EEENS1_30default_config_static_selectorELNS0_4arch9wavefront6targetE0EEEvSS_.num_vgpr, 0
	.set _ZN7rocprim17ROCPRIM_400000_NS6detail17trampoline_kernelINS0_14default_configENS1_27lower_bound_config_selectorIjlEEZNS1_14transform_implILb0ES3_S5_N6thrust23THRUST_200600_302600_NS6detail15normal_iteratorINS8_7pointerIjNS8_11hip_rocprim5par_tENS8_11use_defaultESE_EEEENSA_INSB_IlSD_SE_SE_EEEEZNS1_13binary_searchIS3_S5_PjSG_SI_NS1_21lower_bound_search_opENS9_16wrapped_functionI11custom_lessbEEEE10hipError_tPvRmT1_T2_T3_mmT4_T5_P12ihipStream_tbEUlRKjE_EESP_ST_SU_mSV_SY_bEUlT_E_NS1_11comp_targetILNS1_3genE3ELNS1_11target_archE908ELNS1_3gpuE7ELNS1_3repE0EEENS1_30default_config_static_selectorELNS0_4arch9wavefront6targetE0EEEvSS_.num_agpr, 0
	.set _ZN7rocprim17ROCPRIM_400000_NS6detail17trampoline_kernelINS0_14default_configENS1_27lower_bound_config_selectorIjlEEZNS1_14transform_implILb0ES3_S5_N6thrust23THRUST_200600_302600_NS6detail15normal_iteratorINS8_7pointerIjNS8_11hip_rocprim5par_tENS8_11use_defaultESE_EEEENSA_INSB_IlSD_SE_SE_EEEEZNS1_13binary_searchIS3_S5_PjSG_SI_NS1_21lower_bound_search_opENS9_16wrapped_functionI11custom_lessbEEEE10hipError_tPvRmT1_T2_T3_mmT4_T5_P12ihipStream_tbEUlRKjE_EESP_ST_SU_mSV_SY_bEUlT_E_NS1_11comp_targetILNS1_3genE3ELNS1_11target_archE908ELNS1_3gpuE7ELNS1_3repE0EEENS1_30default_config_static_selectorELNS0_4arch9wavefront6targetE0EEEvSS_.numbered_sgpr, 0
	.set _ZN7rocprim17ROCPRIM_400000_NS6detail17trampoline_kernelINS0_14default_configENS1_27lower_bound_config_selectorIjlEEZNS1_14transform_implILb0ES3_S5_N6thrust23THRUST_200600_302600_NS6detail15normal_iteratorINS8_7pointerIjNS8_11hip_rocprim5par_tENS8_11use_defaultESE_EEEENSA_INSB_IlSD_SE_SE_EEEEZNS1_13binary_searchIS3_S5_PjSG_SI_NS1_21lower_bound_search_opENS9_16wrapped_functionI11custom_lessbEEEE10hipError_tPvRmT1_T2_T3_mmT4_T5_P12ihipStream_tbEUlRKjE_EESP_ST_SU_mSV_SY_bEUlT_E_NS1_11comp_targetILNS1_3genE3ELNS1_11target_archE908ELNS1_3gpuE7ELNS1_3repE0EEENS1_30default_config_static_selectorELNS0_4arch9wavefront6targetE0EEEvSS_.num_named_barrier, 0
	.set _ZN7rocprim17ROCPRIM_400000_NS6detail17trampoline_kernelINS0_14default_configENS1_27lower_bound_config_selectorIjlEEZNS1_14transform_implILb0ES3_S5_N6thrust23THRUST_200600_302600_NS6detail15normal_iteratorINS8_7pointerIjNS8_11hip_rocprim5par_tENS8_11use_defaultESE_EEEENSA_INSB_IlSD_SE_SE_EEEEZNS1_13binary_searchIS3_S5_PjSG_SI_NS1_21lower_bound_search_opENS9_16wrapped_functionI11custom_lessbEEEE10hipError_tPvRmT1_T2_T3_mmT4_T5_P12ihipStream_tbEUlRKjE_EESP_ST_SU_mSV_SY_bEUlT_E_NS1_11comp_targetILNS1_3genE3ELNS1_11target_archE908ELNS1_3gpuE7ELNS1_3repE0EEENS1_30default_config_static_selectorELNS0_4arch9wavefront6targetE0EEEvSS_.private_seg_size, 0
	.set _ZN7rocprim17ROCPRIM_400000_NS6detail17trampoline_kernelINS0_14default_configENS1_27lower_bound_config_selectorIjlEEZNS1_14transform_implILb0ES3_S5_N6thrust23THRUST_200600_302600_NS6detail15normal_iteratorINS8_7pointerIjNS8_11hip_rocprim5par_tENS8_11use_defaultESE_EEEENSA_INSB_IlSD_SE_SE_EEEEZNS1_13binary_searchIS3_S5_PjSG_SI_NS1_21lower_bound_search_opENS9_16wrapped_functionI11custom_lessbEEEE10hipError_tPvRmT1_T2_T3_mmT4_T5_P12ihipStream_tbEUlRKjE_EESP_ST_SU_mSV_SY_bEUlT_E_NS1_11comp_targetILNS1_3genE3ELNS1_11target_archE908ELNS1_3gpuE7ELNS1_3repE0EEENS1_30default_config_static_selectorELNS0_4arch9wavefront6targetE0EEEvSS_.uses_vcc, 0
	.set _ZN7rocprim17ROCPRIM_400000_NS6detail17trampoline_kernelINS0_14default_configENS1_27lower_bound_config_selectorIjlEEZNS1_14transform_implILb0ES3_S5_N6thrust23THRUST_200600_302600_NS6detail15normal_iteratorINS8_7pointerIjNS8_11hip_rocprim5par_tENS8_11use_defaultESE_EEEENSA_INSB_IlSD_SE_SE_EEEEZNS1_13binary_searchIS3_S5_PjSG_SI_NS1_21lower_bound_search_opENS9_16wrapped_functionI11custom_lessbEEEE10hipError_tPvRmT1_T2_T3_mmT4_T5_P12ihipStream_tbEUlRKjE_EESP_ST_SU_mSV_SY_bEUlT_E_NS1_11comp_targetILNS1_3genE3ELNS1_11target_archE908ELNS1_3gpuE7ELNS1_3repE0EEENS1_30default_config_static_selectorELNS0_4arch9wavefront6targetE0EEEvSS_.uses_flat_scratch, 0
	.set _ZN7rocprim17ROCPRIM_400000_NS6detail17trampoline_kernelINS0_14default_configENS1_27lower_bound_config_selectorIjlEEZNS1_14transform_implILb0ES3_S5_N6thrust23THRUST_200600_302600_NS6detail15normal_iteratorINS8_7pointerIjNS8_11hip_rocprim5par_tENS8_11use_defaultESE_EEEENSA_INSB_IlSD_SE_SE_EEEEZNS1_13binary_searchIS3_S5_PjSG_SI_NS1_21lower_bound_search_opENS9_16wrapped_functionI11custom_lessbEEEE10hipError_tPvRmT1_T2_T3_mmT4_T5_P12ihipStream_tbEUlRKjE_EESP_ST_SU_mSV_SY_bEUlT_E_NS1_11comp_targetILNS1_3genE3ELNS1_11target_archE908ELNS1_3gpuE7ELNS1_3repE0EEENS1_30default_config_static_selectorELNS0_4arch9wavefront6targetE0EEEvSS_.has_dyn_sized_stack, 0
	.set _ZN7rocprim17ROCPRIM_400000_NS6detail17trampoline_kernelINS0_14default_configENS1_27lower_bound_config_selectorIjlEEZNS1_14transform_implILb0ES3_S5_N6thrust23THRUST_200600_302600_NS6detail15normal_iteratorINS8_7pointerIjNS8_11hip_rocprim5par_tENS8_11use_defaultESE_EEEENSA_INSB_IlSD_SE_SE_EEEEZNS1_13binary_searchIS3_S5_PjSG_SI_NS1_21lower_bound_search_opENS9_16wrapped_functionI11custom_lessbEEEE10hipError_tPvRmT1_T2_T3_mmT4_T5_P12ihipStream_tbEUlRKjE_EESP_ST_SU_mSV_SY_bEUlT_E_NS1_11comp_targetILNS1_3genE3ELNS1_11target_archE908ELNS1_3gpuE7ELNS1_3repE0EEENS1_30default_config_static_selectorELNS0_4arch9wavefront6targetE0EEEvSS_.has_recursion, 0
	.set _ZN7rocprim17ROCPRIM_400000_NS6detail17trampoline_kernelINS0_14default_configENS1_27lower_bound_config_selectorIjlEEZNS1_14transform_implILb0ES3_S5_N6thrust23THRUST_200600_302600_NS6detail15normal_iteratorINS8_7pointerIjNS8_11hip_rocprim5par_tENS8_11use_defaultESE_EEEENSA_INSB_IlSD_SE_SE_EEEEZNS1_13binary_searchIS3_S5_PjSG_SI_NS1_21lower_bound_search_opENS9_16wrapped_functionI11custom_lessbEEEE10hipError_tPvRmT1_T2_T3_mmT4_T5_P12ihipStream_tbEUlRKjE_EESP_ST_SU_mSV_SY_bEUlT_E_NS1_11comp_targetILNS1_3genE3ELNS1_11target_archE908ELNS1_3gpuE7ELNS1_3repE0EEENS1_30default_config_static_selectorELNS0_4arch9wavefront6targetE0EEEvSS_.has_indirect_call, 0
	.section	.AMDGPU.csdata,"",@progbits
; Kernel info:
; codeLenInByte = 0
; TotalNumSgprs: 0
; NumVgprs: 0
; ScratchSize: 0
; MemoryBound: 0
; FloatMode: 240
; IeeeMode: 1
; LDSByteSize: 0 bytes/workgroup (compile time only)
; SGPRBlocks: 0
; VGPRBlocks: 0
; NumSGPRsForWavesPerEU: 1
; NumVGPRsForWavesPerEU: 1
; Occupancy: 16
; WaveLimiterHint : 0
; COMPUTE_PGM_RSRC2:SCRATCH_EN: 0
; COMPUTE_PGM_RSRC2:USER_SGPR: 6
; COMPUTE_PGM_RSRC2:TRAP_HANDLER: 0
; COMPUTE_PGM_RSRC2:TGID_X_EN: 1
; COMPUTE_PGM_RSRC2:TGID_Y_EN: 0
; COMPUTE_PGM_RSRC2:TGID_Z_EN: 0
; COMPUTE_PGM_RSRC2:TIDIG_COMP_CNT: 0
	.section	.text._ZN7rocprim17ROCPRIM_400000_NS6detail17trampoline_kernelINS0_14default_configENS1_27lower_bound_config_selectorIjlEEZNS1_14transform_implILb0ES3_S5_N6thrust23THRUST_200600_302600_NS6detail15normal_iteratorINS8_7pointerIjNS8_11hip_rocprim5par_tENS8_11use_defaultESE_EEEENSA_INSB_IlSD_SE_SE_EEEEZNS1_13binary_searchIS3_S5_PjSG_SI_NS1_21lower_bound_search_opENS9_16wrapped_functionI11custom_lessbEEEE10hipError_tPvRmT1_T2_T3_mmT4_T5_P12ihipStream_tbEUlRKjE_EESP_ST_SU_mSV_SY_bEUlT_E_NS1_11comp_targetILNS1_3genE2ELNS1_11target_archE906ELNS1_3gpuE6ELNS1_3repE0EEENS1_30default_config_static_selectorELNS0_4arch9wavefront6targetE0EEEvSS_,"axG",@progbits,_ZN7rocprim17ROCPRIM_400000_NS6detail17trampoline_kernelINS0_14default_configENS1_27lower_bound_config_selectorIjlEEZNS1_14transform_implILb0ES3_S5_N6thrust23THRUST_200600_302600_NS6detail15normal_iteratorINS8_7pointerIjNS8_11hip_rocprim5par_tENS8_11use_defaultESE_EEEENSA_INSB_IlSD_SE_SE_EEEEZNS1_13binary_searchIS3_S5_PjSG_SI_NS1_21lower_bound_search_opENS9_16wrapped_functionI11custom_lessbEEEE10hipError_tPvRmT1_T2_T3_mmT4_T5_P12ihipStream_tbEUlRKjE_EESP_ST_SU_mSV_SY_bEUlT_E_NS1_11comp_targetILNS1_3genE2ELNS1_11target_archE906ELNS1_3gpuE6ELNS1_3repE0EEENS1_30default_config_static_selectorELNS0_4arch9wavefront6targetE0EEEvSS_,comdat
	.protected	_ZN7rocprim17ROCPRIM_400000_NS6detail17trampoline_kernelINS0_14default_configENS1_27lower_bound_config_selectorIjlEEZNS1_14transform_implILb0ES3_S5_N6thrust23THRUST_200600_302600_NS6detail15normal_iteratorINS8_7pointerIjNS8_11hip_rocprim5par_tENS8_11use_defaultESE_EEEENSA_INSB_IlSD_SE_SE_EEEEZNS1_13binary_searchIS3_S5_PjSG_SI_NS1_21lower_bound_search_opENS9_16wrapped_functionI11custom_lessbEEEE10hipError_tPvRmT1_T2_T3_mmT4_T5_P12ihipStream_tbEUlRKjE_EESP_ST_SU_mSV_SY_bEUlT_E_NS1_11comp_targetILNS1_3genE2ELNS1_11target_archE906ELNS1_3gpuE6ELNS1_3repE0EEENS1_30default_config_static_selectorELNS0_4arch9wavefront6targetE0EEEvSS_ ; -- Begin function _ZN7rocprim17ROCPRIM_400000_NS6detail17trampoline_kernelINS0_14default_configENS1_27lower_bound_config_selectorIjlEEZNS1_14transform_implILb0ES3_S5_N6thrust23THRUST_200600_302600_NS6detail15normal_iteratorINS8_7pointerIjNS8_11hip_rocprim5par_tENS8_11use_defaultESE_EEEENSA_INSB_IlSD_SE_SE_EEEEZNS1_13binary_searchIS3_S5_PjSG_SI_NS1_21lower_bound_search_opENS9_16wrapped_functionI11custom_lessbEEEE10hipError_tPvRmT1_T2_T3_mmT4_T5_P12ihipStream_tbEUlRKjE_EESP_ST_SU_mSV_SY_bEUlT_E_NS1_11comp_targetILNS1_3genE2ELNS1_11target_archE906ELNS1_3gpuE6ELNS1_3repE0EEENS1_30default_config_static_selectorELNS0_4arch9wavefront6targetE0EEEvSS_
	.globl	_ZN7rocprim17ROCPRIM_400000_NS6detail17trampoline_kernelINS0_14default_configENS1_27lower_bound_config_selectorIjlEEZNS1_14transform_implILb0ES3_S5_N6thrust23THRUST_200600_302600_NS6detail15normal_iteratorINS8_7pointerIjNS8_11hip_rocprim5par_tENS8_11use_defaultESE_EEEENSA_INSB_IlSD_SE_SE_EEEEZNS1_13binary_searchIS3_S5_PjSG_SI_NS1_21lower_bound_search_opENS9_16wrapped_functionI11custom_lessbEEEE10hipError_tPvRmT1_T2_T3_mmT4_T5_P12ihipStream_tbEUlRKjE_EESP_ST_SU_mSV_SY_bEUlT_E_NS1_11comp_targetILNS1_3genE2ELNS1_11target_archE906ELNS1_3gpuE6ELNS1_3repE0EEENS1_30default_config_static_selectorELNS0_4arch9wavefront6targetE0EEEvSS_
	.p2align	8
	.type	_ZN7rocprim17ROCPRIM_400000_NS6detail17trampoline_kernelINS0_14default_configENS1_27lower_bound_config_selectorIjlEEZNS1_14transform_implILb0ES3_S5_N6thrust23THRUST_200600_302600_NS6detail15normal_iteratorINS8_7pointerIjNS8_11hip_rocprim5par_tENS8_11use_defaultESE_EEEENSA_INSB_IlSD_SE_SE_EEEEZNS1_13binary_searchIS3_S5_PjSG_SI_NS1_21lower_bound_search_opENS9_16wrapped_functionI11custom_lessbEEEE10hipError_tPvRmT1_T2_T3_mmT4_T5_P12ihipStream_tbEUlRKjE_EESP_ST_SU_mSV_SY_bEUlT_E_NS1_11comp_targetILNS1_3genE2ELNS1_11target_archE906ELNS1_3gpuE6ELNS1_3repE0EEENS1_30default_config_static_selectorELNS0_4arch9wavefront6targetE0EEEvSS_,@function
_ZN7rocprim17ROCPRIM_400000_NS6detail17trampoline_kernelINS0_14default_configENS1_27lower_bound_config_selectorIjlEEZNS1_14transform_implILb0ES3_S5_N6thrust23THRUST_200600_302600_NS6detail15normal_iteratorINS8_7pointerIjNS8_11hip_rocprim5par_tENS8_11use_defaultESE_EEEENSA_INSB_IlSD_SE_SE_EEEEZNS1_13binary_searchIS3_S5_PjSG_SI_NS1_21lower_bound_search_opENS9_16wrapped_functionI11custom_lessbEEEE10hipError_tPvRmT1_T2_T3_mmT4_T5_P12ihipStream_tbEUlRKjE_EESP_ST_SU_mSV_SY_bEUlT_E_NS1_11comp_targetILNS1_3genE2ELNS1_11target_archE906ELNS1_3gpuE6ELNS1_3repE0EEENS1_30default_config_static_selectorELNS0_4arch9wavefront6targetE0EEEvSS_: ; @_ZN7rocprim17ROCPRIM_400000_NS6detail17trampoline_kernelINS0_14default_configENS1_27lower_bound_config_selectorIjlEEZNS1_14transform_implILb0ES3_S5_N6thrust23THRUST_200600_302600_NS6detail15normal_iteratorINS8_7pointerIjNS8_11hip_rocprim5par_tENS8_11use_defaultESE_EEEENSA_INSB_IlSD_SE_SE_EEEEZNS1_13binary_searchIS3_S5_PjSG_SI_NS1_21lower_bound_search_opENS9_16wrapped_functionI11custom_lessbEEEE10hipError_tPvRmT1_T2_T3_mmT4_T5_P12ihipStream_tbEUlRKjE_EESP_ST_SU_mSV_SY_bEUlT_E_NS1_11comp_targetILNS1_3genE2ELNS1_11target_archE906ELNS1_3gpuE6ELNS1_3repE0EEENS1_30default_config_static_selectorELNS0_4arch9wavefront6targetE0EEEvSS_
; %bb.0:
	.section	.rodata,"a",@progbits
	.p2align	6, 0x0
	.amdhsa_kernel _ZN7rocprim17ROCPRIM_400000_NS6detail17trampoline_kernelINS0_14default_configENS1_27lower_bound_config_selectorIjlEEZNS1_14transform_implILb0ES3_S5_N6thrust23THRUST_200600_302600_NS6detail15normal_iteratorINS8_7pointerIjNS8_11hip_rocprim5par_tENS8_11use_defaultESE_EEEENSA_INSB_IlSD_SE_SE_EEEEZNS1_13binary_searchIS3_S5_PjSG_SI_NS1_21lower_bound_search_opENS9_16wrapped_functionI11custom_lessbEEEE10hipError_tPvRmT1_T2_T3_mmT4_T5_P12ihipStream_tbEUlRKjE_EESP_ST_SU_mSV_SY_bEUlT_E_NS1_11comp_targetILNS1_3genE2ELNS1_11target_archE906ELNS1_3gpuE6ELNS1_3repE0EEENS1_30default_config_static_selectorELNS0_4arch9wavefront6targetE0EEEvSS_
		.amdhsa_group_segment_fixed_size 0
		.amdhsa_private_segment_fixed_size 0
		.amdhsa_kernarg_size 56
		.amdhsa_user_sgpr_count 6
		.amdhsa_user_sgpr_private_segment_buffer 1
		.amdhsa_user_sgpr_dispatch_ptr 0
		.amdhsa_user_sgpr_queue_ptr 0
		.amdhsa_user_sgpr_kernarg_segment_ptr 1
		.amdhsa_user_sgpr_dispatch_id 0
		.amdhsa_user_sgpr_flat_scratch_init 0
		.amdhsa_user_sgpr_private_segment_size 0
		.amdhsa_wavefront_size32 1
		.amdhsa_uses_dynamic_stack 0
		.amdhsa_system_sgpr_private_segment_wavefront_offset 0
		.amdhsa_system_sgpr_workgroup_id_x 1
		.amdhsa_system_sgpr_workgroup_id_y 0
		.amdhsa_system_sgpr_workgroup_id_z 0
		.amdhsa_system_sgpr_workgroup_info 0
		.amdhsa_system_vgpr_workitem_id 0
		.amdhsa_next_free_vgpr 1
		.amdhsa_next_free_sgpr 1
		.amdhsa_reserve_vcc 0
		.amdhsa_reserve_flat_scratch 0
		.amdhsa_float_round_mode_32 0
		.amdhsa_float_round_mode_16_64 0
		.amdhsa_float_denorm_mode_32 3
		.amdhsa_float_denorm_mode_16_64 3
		.amdhsa_dx10_clamp 1
		.amdhsa_ieee_mode 1
		.amdhsa_fp16_overflow 0
		.amdhsa_workgroup_processor_mode 1
		.amdhsa_memory_ordered 1
		.amdhsa_forward_progress 1
		.amdhsa_shared_vgpr_count 0
		.amdhsa_exception_fp_ieee_invalid_op 0
		.amdhsa_exception_fp_denorm_src 0
		.amdhsa_exception_fp_ieee_div_zero 0
		.amdhsa_exception_fp_ieee_overflow 0
		.amdhsa_exception_fp_ieee_underflow 0
		.amdhsa_exception_fp_ieee_inexact 0
		.amdhsa_exception_int_div_zero 0
	.end_amdhsa_kernel
	.section	.text._ZN7rocprim17ROCPRIM_400000_NS6detail17trampoline_kernelINS0_14default_configENS1_27lower_bound_config_selectorIjlEEZNS1_14transform_implILb0ES3_S5_N6thrust23THRUST_200600_302600_NS6detail15normal_iteratorINS8_7pointerIjNS8_11hip_rocprim5par_tENS8_11use_defaultESE_EEEENSA_INSB_IlSD_SE_SE_EEEEZNS1_13binary_searchIS3_S5_PjSG_SI_NS1_21lower_bound_search_opENS9_16wrapped_functionI11custom_lessbEEEE10hipError_tPvRmT1_T2_T3_mmT4_T5_P12ihipStream_tbEUlRKjE_EESP_ST_SU_mSV_SY_bEUlT_E_NS1_11comp_targetILNS1_3genE2ELNS1_11target_archE906ELNS1_3gpuE6ELNS1_3repE0EEENS1_30default_config_static_selectorELNS0_4arch9wavefront6targetE0EEEvSS_,"axG",@progbits,_ZN7rocprim17ROCPRIM_400000_NS6detail17trampoline_kernelINS0_14default_configENS1_27lower_bound_config_selectorIjlEEZNS1_14transform_implILb0ES3_S5_N6thrust23THRUST_200600_302600_NS6detail15normal_iteratorINS8_7pointerIjNS8_11hip_rocprim5par_tENS8_11use_defaultESE_EEEENSA_INSB_IlSD_SE_SE_EEEEZNS1_13binary_searchIS3_S5_PjSG_SI_NS1_21lower_bound_search_opENS9_16wrapped_functionI11custom_lessbEEEE10hipError_tPvRmT1_T2_T3_mmT4_T5_P12ihipStream_tbEUlRKjE_EESP_ST_SU_mSV_SY_bEUlT_E_NS1_11comp_targetILNS1_3genE2ELNS1_11target_archE906ELNS1_3gpuE6ELNS1_3repE0EEENS1_30default_config_static_selectorELNS0_4arch9wavefront6targetE0EEEvSS_,comdat
.Lfunc_end68:
	.size	_ZN7rocprim17ROCPRIM_400000_NS6detail17trampoline_kernelINS0_14default_configENS1_27lower_bound_config_selectorIjlEEZNS1_14transform_implILb0ES3_S5_N6thrust23THRUST_200600_302600_NS6detail15normal_iteratorINS8_7pointerIjNS8_11hip_rocprim5par_tENS8_11use_defaultESE_EEEENSA_INSB_IlSD_SE_SE_EEEEZNS1_13binary_searchIS3_S5_PjSG_SI_NS1_21lower_bound_search_opENS9_16wrapped_functionI11custom_lessbEEEE10hipError_tPvRmT1_T2_T3_mmT4_T5_P12ihipStream_tbEUlRKjE_EESP_ST_SU_mSV_SY_bEUlT_E_NS1_11comp_targetILNS1_3genE2ELNS1_11target_archE906ELNS1_3gpuE6ELNS1_3repE0EEENS1_30default_config_static_selectorELNS0_4arch9wavefront6targetE0EEEvSS_, .Lfunc_end68-_ZN7rocprim17ROCPRIM_400000_NS6detail17trampoline_kernelINS0_14default_configENS1_27lower_bound_config_selectorIjlEEZNS1_14transform_implILb0ES3_S5_N6thrust23THRUST_200600_302600_NS6detail15normal_iteratorINS8_7pointerIjNS8_11hip_rocprim5par_tENS8_11use_defaultESE_EEEENSA_INSB_IlSD_SE_SE_EEEEZNS1_13binary_searchIS3_S5_PjSG_SI_NS1_21lower_bound_search_opENS9_16wrapped_functionI11custom_lessbEEEE10hipError_tPvRmT1_T2_T3_mmT4_T5_P12ihipStream_tbEUlRKjE_EESP_ST_SU_mSV_SY_bEUlT_E_NS1_11comp_targetILNS1_3genE2ELNS1_11target_archE906ELNS1_3gpuE6ELNS1_3repE0EEENS1_30default_config_static_selectorELNS0_4arch9wavefront6targetE0EEEvSS_
                                        ; -- End function
	.set _ZN7rocprim17ROCPRIM_400000_NS6detail17trampoline_kernelINS0_14default_configENS1_27lower_bound_config_selectorIjlEEZNS1_14transform_implILb0ES3_S5_N6thrust23THRUST_200600_302600_NS6detail15normal_iteratorINS8_7pointerIjNS8_11hip_rocprim5par_tENS8_11use_defaultESE_EEEENSA_INSB_IlSD_SE_SE_EEEEZNS1_13binary_searchIS3_S5_PjSG_SI_NS1_21lower_bound_search_opENS9_16wrapped_functionI11custom_lessbEEEE10hipError_tPvRmT1_T2_T3_mmT4_T5_P12ihipStream_tbEUlRKjE_EESP_ST_SU_mSV_SY_bEUlT_E_NS1_11comp_targetILNS1_3genE2ELNS1_11target_archE906ELNS1_3gpuE6ELNS1_3repE0EEENS1_30default_config_static_selectorELNS0_4arch9wavefront6targetE0EEEvSS_.num_vgpr, 0
	.set _ZN7rocprim17ROCPRIM_400000_NS6detail17trampoline_kernelINS0_14default_configENS1_27lower_bound_config_selectorIjlEEZNS1_14transform_implILb0ES3_S5_N6thrust23THRUST_200600_302600_NS6detail15normal_iteratorINS8_7pointerIjNS8_11hip_rocprim5par_tENS8_11use_defaultESE_EEEENSA_INSB_IlSD_SE_SE_EEEEZNS1_13binary_searchIS3_S5_PjSG_SI_NS1_21lower_bound_search_opENS9_16wrapped_functionI11custom_lessbEEEE10hipError_tPvRmT1_T2_T3_mmT4_T5_P12ihipStream_tbEUlRKjE_EESP_ST_SU_mSV_SY_bEUlT_E_NS1_11comp_targetILNS1_3genE2ELNS1_11target_archE906ELNS1_3gpuE6ELNS1_3repE0EEENS1_30default_config_static_selectorELNS0_4arch9wavefront6targetE0EEEvSS_.num_agpr, 0
	.set _ZN7rocprim17ROCPRIM_400000_NS6detail17trampoline_kernelINS0_14default_configENS1_27lower_bound_config_selectorIjlEEZNS1_14transform_implILb0ES3_S5_N6thrust23THRUST_200600_302600_NS6detail15normal_iteratorINS8_7pointerIjNS8_11hip_rocprim5par_tENS8_11use_defaultESE_EEEENSA_INSB_IlSD_SE_SE_EEEEZNS1_13binary_searchIS3_S5_PjSG_SI_NS1_21lower_bound_search_opENS9_16wrapped_functionI11custom_lessbEEEE10hipError_tPvRmT1_T2_T3_mmT4_T5_P12ihipStream_tbEUlRKjE_EESP_ST_SU_mSV_SY_bEUlT_E_NS1_11comp_targetILNS1_3genE2ELNS1_11target_archE906ELNS1_3gpuE6ELNS1_3repE0EEENS1_30default_config_static_selectorELNS0_4arch9wavefront6targetE0EEEvSS_.numbered_sgpr, 0
	.set _ZN7rocprim17ROCPRIM_400000_NS6detail17trampoline_kernelINS0_14default_configENS1_27lower_bound_config_selectorIjlEEZNS1_14transform_implILb0ES3_S5_N6thrust23THRUST_200600_302600_NS6detail15normal_iteratorINS8_7pointerIjNS8_11hip_rocprim5par_tENS8_11use_defaultESE_EEEENSA_INSB_IlSD_SE_SE_EEEEZNS1_13binary_searchIS3_S5_PjSG_SI_NS1_21lower_bound_search_opENS9_16wrapped_functionI11custom_lessbEEEE10hipError_tPvRmT1_T2_T3_mmT4_T5_P12ihipStream_tbEUlRKjE_EESP_ST_SU_mSV_SY_bEUlT_E_NS1_11comp_targetILNS1_3genE2ELNS1_11target_archE906ELNS1_3gpuE6ELNS1_3repE0EEENS1_30default_config_static_selectorELNS0_4arch9wavefront6targetE0EEEvSS_.num_named_barrier, 0
	.set _ZN7rocprim17ROCPRIM_400000_NS6detail17trampoline_kernelINS0_14default_configENS1_27lower_bound_config_selectorIjlEEZNS1_14transform_implILb0ES3_S5_N6thrust23THRUST_200600_302600_NS6detail15normal_iteratorINS8_7pointerIjNS8_11hip_rocprim5par_tENS8_11use_defaultESE_EEEENSA_INSB_IlSD_SE_SE_EEEEZNS1_13binary_searchIS3_S5_PjSG_SI_NS1_21lower_bound_search_opENS9_16wrapped_functionI11custom_lessbEEEE10hipError_tPvRmT1_T2_T3_mmT4_T5_P12ihipStream_tbEUlRKjE_EESP_ST_SU_mSV_SY_bEUlT_E_NS1_11comp_targetILNS1_3genE2ELNS1_11target_archE906ELNS1_3gpuE6ELNS1_3repE0EEENS1_30default_config_static_selectorELNS0_4arch9wavefront6targetE0EEEvSS_.private_seg_size, 0
	.set _ZN7rocprim17ROCPRIM_400000_NS6detail17trampoline_kernelINS0_14default_configENS1_27lower_bound_config_selectorIjlEEZNS1_14transform_implILb0ES3_S5_N6thrust23THRUST_200600_302600_NS6detail15normal_iteratorINS8_7pointerIjNS8_11hip_rocprim5par_tENS8_11use_defaultESE_EEEENSA_INSB_IlSD_SE_SE_EEEEZNS1_13binary_searchIS3_S5_PjSG_SI_NS1_21lower_bound_search_opENS9_16wrapped_functionI11custom_lessbEEEE10hipError_tPvRmT1_T2_T3_mmT4_T5_P12ihipStream_tbEUlRKjE_EESP_ST_SU_mSV_SY_bEUlT_E_NS1_11comp_targetILNS1_3genE2ELNS1_11target_archE906ELNS1_3gpuE6ELNS1_3repE0EEENS1_30default_config_static_selectorELNS0_4arch9wavefront6targetE0EEEvSS_.uses_vcc, 0
	.set _ZN7rocprim17ROCPRIM_400000_NS6detail17trampoline_kernelINS0_14default_configENS1_27lower_bound_config_selectorIjlEEZNS1_14transform_implILb0ES3_S5_N6thrust23THRUST_200600_302600_NS6detail15normal_iteratorINS8_7pointerIjNS8_11hip_rocprim5par_tENS8_11use_defaultESE_EEEENSA_INSB_IlSD_SE_SE_EEEEZNS1_13binary_searchIS3_S5_PjSG_SI_NS1_21lower_bound_search_opENS9_16wrapped_functionI11custom_lessbEEEE10hipError_tPvRmT1_T2_T3_mmT4_T5_P12ihipStream_tbEUlRKjE_EESP_ST_SU_mSV_SY_bEUlT_E_NS1_11comp_targetILNS1_3genE2ELNS1_11target_archE906ELNS1_3gpuE6ELNS1_3repE0EEENS1_30default_config_static_selectorELNS0_4arch9wavefront6targetE0EEEvSS_.uses_flat_scratch, 0
	.set _ZN7rocprim17ROCPRIM_400000_NS6detail17trampoline_kernelINS0_14default_configENS1_27lower_bound_config_selectorIjlEEZNS1_14transform_implILb0ES3_S5_N6thrust23THRUST_200600_302600_NS6detail15normal_iteratorINS8_7pointerIjNS8_11hip_rocprim5par_tENS8_11use_defaultESE_EEEENSA_INSB_IlSD_SE_SE_EEEEZNS1_13binary_searchIS3_S5_PjSG_SI_NS1_21lower_bound_search_opENS9_16wrapped_functionI11custom_lessbEEEE10hipError_tPvRmT1_T2_T3_mmT4_T5_P12ihipStream_tbEUlRKjE_EESP_ST_SU_mSV_SY_bEUlT_E_NS1_11comp_targetILNS1_3genE2ELNS1_11target_archE906ELNS1_3gpuE6ELNS1_3repE0EEENS1_30default_config_static_selectorELNS0_4arch9wavefront6targetE0EEEvSS_.has_dyn_sized_stack, 0
	.set _ZN7rocprim17ROCPRIM_400000_NS6detail17trampoline_kernelINS0_14default_configENS1_27lower_bound_config_selectorIjlEEZNS1_14transform_implILb0ES3_S5_N6thrust23THRUST_200600_302600_NS6detail15normal_iteratorINS8_7pointerIjNS8_11hip_rocprim5par_tENS8_11use_defaultESE_EEEENSA_INSB_IlSD_SE_SE_EEEEZNS1_13binary_searchIS3_S5_PjSG_SI_NS1_21lower_bound_search_opENS9_16wrapped_functionI11custom_lessbEEEE10hipError_tPvRmT1_T2_T3_mmT4_T5_P12ihipStream_tbEUlRKjE_EESP_ST_SU_mSV_SY_bEUlT_E_NS1_11comp_targetILNS1_3genE2ELNS1_11target_archE906ELNS1_3gpuE6ELNS1_3repE0EEENS1_30default_config_static_selectorELNS0_4arch9wavefront6targetE0EEEvSS_.has_recursion, 0
	.set _ZN7rocprim17ROCPRIM_400000_NS6detail17trampoline_kernelINS0_14default_configENS1_27lower_bound_config_selectorIjlEEZNS1_14transform_implILb0ES3_S5_N6thrust23THRUST_200600_302600_NS6detail15normal_iteratorINS8_7pointerIjNS8_11hip_rocprim5par_tENS8_11use_defaultESE_EEEENSA_INSB_IlSD_SE_SE_EEEEZNS1_13binary_searchIS3_S5_PjSG_SI_NS1_21lower_bound_search_opENS9_16wrapped_functionI11custom_lessbEEEE10hipError_tPvRmT1_T2_T3_mmT4_T5_P12ihipStream_tbEUlRKjE_EESP_ST_SU_mSV_SY_bEUlT_E_NS1_11comp_targetILNS1_3genE2ELNS1_11target_archE906ELNS1_3gpuE6ELNS1_3repE0EEENS1_30default_config_static_selectorELNS0_4arch9wavefront6targetE0EEEvSS_.has_indirect_call, 0
	.section	.AMDGPU.csdata,"",@progbits
; Kernel info:
; codeLenInByte = 0
; TotalNumSgprs: 0
; NumVgprs: 0
; ScratchSize: 0
; MemoryBound: 0
; FloatMode: 240
; IeeeMode: 1
; LDSByteSize: 0 bytes/workgroup (compile time only)
; SGPRBlocks: 0
; VGPRBlocks: 0
; NumSGPRsForWavesPerEU: 1
; NumVGPRsForWavesPerEU: 1
; Occupancy: 16
; WaveLimiterHint : 0
; COMPUTE_PGM_RSRC2:SCRATCH_EN: 0
; COMPUTE_PGM_RSRC2:USER_SGPR: 6
; COMPUTE_PGM_RSRC2:TRAP_HANDLER: 0
; COMPUTE_PGM_RSRC2:TGID_X_EN: 1
; COMPUTE_PGM_RSRC2:TGID_Y_EN: 0
; COMPUTE_PGM_RSRC2:TGID_Z_EN: 0
; COMPUTE_PGM_RSRC2:TIDIG_COMP_CNT: 0
	.section	.text._ZN7rocprim17ROCPRIM_400000_NS6detail17trampoline_kernelINS0_14default_configENS1_27lower_bound_config_selectorIjlEEZNS1_14transform_implILb0ES3_S5_N6thrust23THRUST_200600_302600_NS6detail15normal_iteratorINS8_7pointerIjNS8_11hip_rocprim5par_tENS8_11use_defaultESE_EEEENSA_INSB_IlSD_SE_SE_EEEEZNS1_13binary_searchIS3_S5_PjSG_SI_NS1_21lower_bound_search_opENS9_16wrapped_functionI11custom_lessbEEEE10hipError_tPvRmT1_T2_T3_mmT4_T5_P12ihipStream_tbEUlRKjE_EESP_ST_SU_mSV_SY_bEUlT_E_NS1_11comp_targetILNS1_3genE10ELNS1_11target_archE1201ELNS1_3gpuE5ELNS1_3repE0EEENS1_30default_config_static_selectorELNS0_4arch9wavefront6targetE0EEEvSS_,"axG",@progbits,_ZN7rocprim17ROCPRIM_400000_NS6detail17trampoline_kernelINS0_14default_configENS1_27lower_bound_config_selectorIjlEEZNS1_14transform_implILb0ES3_S5_N6thrust23THRUST_200600_302600_NS6detail15normal_iteratorINS8_7pointerIjNS8_11hip_rocprim5par_tENS8_11use_defaultESE_EEEENSA_INSB_IlSD_SE_SE_EEEEZNS1_13binary_searchIS3_S5_PjSG_SI_NS1_21lower_bound_search_opENS9_16wrapped_functionI11custom_lessbEEEE10hipError_tPvRmT1_T2_T3_mmT4_T5_P12ihipStream_tbEUlRKjE_EESP_ST_SU_mSV_SY_bEUlT_E_NS1_11comp_targetILNS1_3genE10ELNS1_11target_archE1201ELNS1_3gpuE5ELNS1_3repE0EEENS1_30default_config_static_selectorELNS0_4arch9wavefront6targetE0EEEvSS_,comdat
	.protected	_ZN7rocprim17ROCPRIM_400000_NS6detail17trampoline_kernelINS0_14default_configENS1_27lower_bound_config_selectorIjlEEZNS1_14transform_implILb0ES3_S5_N6thrust23THRUST_200600_302600_NS6detail15normal_iteratorINS8_7pointerIjNS8_11hip_rocprim5par_tENS8_11use_defaultESE_EEEENSA_INSB_IlSD_SE_SE_EEEEZNS1_13binary_searchIS3_S5_PjSG_SI_NS1_21lower_bound_search_opENS9_16wrapped_functionI11custom_lessbEEEE10hipError_tPvRmT1_T2_T3_mmT4_T5_P12ihipStream_tbEUlRKjE_EESP_ST_SU_mSV_SY_bEUlT_E_NS1_11comp_targetILNS1_3genE10ELNS1_11target_archE1201ELNS1_3gpuE5ELNS1_3repE0EEENS1_30default_config_static_selectorELNS0_4arch9wavefront6targetE0EEEvSS_ ; -- Begin function _ZN7rocprim17ROCPRIM_400000_NS6detail17trampoline_kernelINS0_14default_configENS1_27lower_bound_config_selectorIjlEEZNS1_14transform_implILb0ES3_S5_N6thrust23THRUST_200600_302600_NS6detail15normal_iteratorINS8_7pointerIjNS8_11hip_rocprim5par_tENS8_11use_defaultESE_EEEENSA_INSB_IlSD_SE_SE_EEEEZNS1_13binary_searchIS3_S5_PjSG_SI_NS1_21lower_bound_search_opENS9_16wrapped_functionI11custom_lessbEEEE10hipError_tPvRmT1_T2_T3_mmT4_T5_P12ihipStream_tbEUlRKjE_EESP_ST_SU_mSV_SY_bEUlT_E_NS1_11comp_targetILNS1_3genE10ELNS1_11target_archE1201ELNS1_3gpuE5ELNS1_3repE0EEENS1_30default_config_static_selectorELNS0_4arch9wavefront6targetE0EEEvSS_
	.globl	_ZN7rocprim17ROCPRIM_400000_NS6detail17trampoline_kernelINS0_14default_configENS1_27lower_bound_config_selectorIjlEEZNS1_14transform_implILb0ES3_S5_N6thrust23THRUST_200600_302600_NS6detail15normal_iteratorINS8_7pointerIjNS8_11hip_rocprim5par_tENS8_11use_defaultESE_EEEENSA_INSB_IlSD_SE_SE_EEEEZNS1_13binary_searchIS3_S5_PjSG_SI_NS1_21lower_bound_search_opENS9_16wrapped_functionI11custom_lessbEEEE10hipError_tPvRmT1_T2_T3_mmT4_T5_P12ihipStream_tbEUlRKjE_EESP_ST_SU_mSV_SY_bEUlT_E_NS1_11comp_targetILNS1_3genE10ELNS1_11target_archE1201ELNS1_3gpuE5ELNS1_3repE0EEENS1_30default_config_static_selectorELNS0_4arch9wavefront6targetE0EEEvSS_
	.p2align	8
	.type	_ZN7rocprim17ROCPRIM_400000_NS6detail17trampoline_kernelINS0_14default_configENS1_27lower_bound_config_selectorIjlEEZNS1_14transform_implILb0ES3_S5_N6thrust23THRUST_200600_302600_NS6detail15normal_iteratorINS8_7pointerIjNS8_11hip_rocprim5par_tENS8_11use_defaultESE_EEEENSA_INSB_IlSD_SE_SE_EEEEZNS1_13binary_searchIS3_S5_PjSG_SI_NS1_21lower_bound_search_opENS9_16wrapped_functionI11custom_lessbEEEE10hipError_tPvRmT1_T2_T3_mmT4_T5_P12ihipStream_tbEUlRKjE_EESP_ST_SU_mSV_SY_bEUlT_E_NS1_11comp_targetILNS1_3genE10ELNS1_11target_archE1201ELNS1_3gpuE5ELNS1_3repE0EEENS1_30default_config_static_selectorELNS0_4arch9wavefront6targetE0EEEvSS_,@function
_ZN7rocprim17ROCPRIM_400000_NS6detail17trampoline_kernelINS0_14default_configENS1_27lower_bound_config_selectorIjlEEZNS1_14transform_implILb0ES3_S5_N6thrust23THRUST_200600_302600_NS6detail15normal_iteratorINS8_7pointerIjNS8_11hip_rocprim5par_tENS8_11use_defaultESE_EEEENSA_INSB_IlSD_SE_SE_EEEEZNS1_13binary_searchIS3_S5_PjSG_SI_NS1_21lower_bound_search_opENS9_16wrapped_functionI11custom_lessbEEEE10hipError_tPvRmT1_T2_T3_mmT4_T5_P12ihipStream_tbEUlRKjE_EESP_ST_SU_mSV_SY_bEUlT_E_NS1_11comp_targetILNS1_3genE10ELNS1_11target_archE1201ELNS1_3gpuE5ELNS1_3repE0EEENS1_30default_config_static_selectorELNS0_4arch9wavefront6targetE0EEEvSS_: ; @_ZN7rocprim17ROCPRIM_400000_NS6detail17trampoline_kernelINS0_14default_configENS1_27lower_bound_config_selectorIjlEEZNS1_14transform_implILb0ES3_S5_N6thrust23THRUST_200600_302600_NS6detail15normal_iteratorINS8_7pointerIjNS8_11hip_rocprim5par_tENS8_11use_defaultESE_EEEENSA_INSB_IlSD_SE_SE_EEEEZNS1_13binary_searchIS3_S5_PjSG_SI_NS1_21lower_bound_search_opENS9_16wrapped_functionI11custom_lessbEEEE10hipError_tPvRmT1_T2_T3_mmT4_T5_P12ihipStream_tbEUlRKjE_EESP_ST_SU_mSV_SY_bEUlT_E_NS1_11comp_targetILNS1_3genE10ELNS1_11target_archE1201ELNS1_3gpuE5ELNS1_3repE0EEENS1_30default_config_static_selectorELNS0_4arch9wavefront6targetE0EEEvSS_
; %bb.0:
	.section	.rodata,"a",@progbits
	.p2align	6, 0x0
	.amdhsa_kernel _ZN7rocprim17ROCPRIM_400000_NS6detail17trampoline_kernelINS0_14default_configENS1_27lower_bound_config_selectorIjlEEZNS1_14transform_implILb0ES3_S5_N6thrust23THRUST_200600_302600_NS6detail15normal_iteratorINS8_7pointerIjNS8_11hip_rocprim5par_tENS8_11use_defaultESE_EEEENSA_INSB_IlSD_SE_SE_EEEEZNS1_13binary_searchIS3_S5_PjSG_SI_NS1_21lower_bound_search_opENS9_16wrapped_functionI11custom_lessbEEEE10hipError_tPvRmT1_T2_T3_mmT4_T5_P12ihipStream_tbEUlRKjE_EESP_ST_SU_mSV_SY_bEUlT_E_NS1_11comp_targetILNS1_3genE10ELNS1_11target_archE1201ELNS1_3gpuE5ELNS1_3repE0EEENS1_30default_config_static_selectorELNS0_4arch9wavefront6targetE0EEEvSS_
		.amdhsa_group_segment_fixed_size 0
		.amdhsa_private_segment_fixed_size 0
		.amdhsa_kernarg_size 56
		.amdhsa_user_sgpr_count 6
		.amdhsa_user_sgpr_private_segment_buffer 1
		.amdhsa_user_sgpr_dispatch_ptr 0
		.amdhsa_user_sgpr_queue_ptr 0
		.amdhsa_user_sgpr_kernarg_segment_ptr 1
		.amdhsa_user_sgpr_dispatch_id 0
		.amdhsa_user_sgpr_flat_scratch_init 0
		.amdhsa_user_sgpr_private_segment_size 0
		.amdhsa_wavefront_size32 1
		.amdhsa_uses_dynamic_stack 0
		.amdhsa_system_sgpr_private_segment_wavefront_offset 0
		.amdhsa_system_sgpr_workgroup_id_x 1
		.amdhsa_system_sgpr_workgroup_id_y 0
		.amdhsa_system_sgpr_workgroup_id_z 0
		.amdhsa_system_sgpr_workgroup_info 0
		.amdhsa_system_vgpr_workitem_id 0
		.amdhsa_next_free_vgpr 1
		.amdhsa_next_free_sgpr 1
		.amdhsa_reserve_vcc 0
		.amdhsa_reserve_flat_scratch 0
		.amdhsa_float_round_mode_32 0
		.amdhsa_float_round_mode_16_64 0
		.amdhsa_float_denorm_mode_32 3
		.amdhsa_float_denorm_mode_16_64 3
		.amdhsa_dx10_clamp 1
		.amdhsa_ieee_mode 1
		.amdhsa_fp16_overflow 0
		.amdhsa_workgroup_processor_mode 1
		.amdhsa_memory_ordered 1
		.amdhsa_forward_progress 1
		.amdhsa_shared_vgpr_count 0
		.amdhsa_exception_fp_ieee_invalid_op 0
		.amdhsa_exception_fp_denorm_src 0
		.amdhsa_exception_fp_ieee_div_zero 0
		.amdhsa_exception_fp_ieee_overflow 0
		.amdhsa_exception_fp_ieee_underflow 0
		.amdhsa_exception_fp_ieee_inexact 0
		.amdhsa_exception_int_div_zero 0
	.end_amdhsa_kernel
	.section	.text._ZN7rocprim17ROCPRIM_400000_NS6detail17trampoline_kernelINS0_14default_configENS1_27lower_bound_config_selectorIjlEEZNS1_14transform_implILb0ES3_S5_N6thrust23THRUST_200600_302600_NS6detail15normal_iteratorINS8_7pointerIjNS8_11hip_rocprim5par_tENS8_11use_defaultESE_EEEENSA_INSB_IlSD_SE_SE_EEEEZNS1_13binary_searchIS3_S5_PjSG_SI_NS1_21lower_bound_search_opENS9_16wrapped_functionI11custom_lessbEEEE10hipError_tPvRmT1_T2_T3_mmT4_T5_P12ihipStream_tbEUlRKjE_EESP_ST_SU_mSV_SY_bEUlT_E_NS1_11comp_targetILNS1_3genE10ELNS1_11target_archE1201ELNS1_3gpuE5ELNS1_3repE0EEENS1_30default_config_static_selectorELNS0_4arch9wavefront6targetE0EEEvSS_,"axG",@progbits,_ZN7rocprim17ROCPRIM_400000_NS6detail17trampoline_kernelINS0_14default_configENS1_27lower_bound_config_selectorIjlEEZNS1_14transform_implILb0ES3_S5_N6thrust23THRUST_200600_302600_NS6detail15normal_iteratorINS8_7pointerIjNS8_11hip_rocprim5par_tENS8_11use_defaultESE_EEEENSA_INSB_IlSD_SE_SE_EEEEZNS1_13binary_searchIS3_S5_PjSG_SI_NS1_21lower_bound_search_opENS9_16wrapped_functionI11custom_lessbEEEE10hipError_tPvRmT1_T2_T3_mmT4_T5_P12ihipStream_tbEUlRKjE_EESP_ST_SU_mSV_SY_bEUlT_E_NS1_11comp_targetILNS1_3genE10ELNS1_11target_archE1201ELNS1_3gpuE5ELNS1_3repE0EEENS1_30default_config_static_selectorELNS0_4arch9wavefront6targetE0EEEvSS_,comdat
.Lfunc_end69:
	.size	_ZN7rocprim17ROCPRIM_400000_NS6detail17trampoline_kernelINS0_14default_configENS1_27lower_bound_config_selectorIjlEEZNS1_14transform_implILb0ES3_S5_N6thrust23THRUST_200600_302600_NS6detail15normal_iteratorINS8_7pointerIjNS8_11hip_rocprim5par_tENS8_11use_defaultESE_EEEENSA_INSB_IlSD_SE_SE_EEEEZNS1_13binary_searchIS3_S5_PjSG_SI_NS1_21lower_bound_search_opENS9_16wrapped_functionI11custom_lessbEEEE10hipError_tPvRmT1_T2_T3_mmT4_T5_P12ihipStream_tbEUlRKjE_EESP_ST_SU_mSV_SY_bEUlT_E_NS1_11comp_targetILNS1_3genE10ELNS1_11target_archE1201ELNS1_3gpuE5ELNS1_3repE0EEENS1_30default_config_static_selectorELNS0_4arch9wavefront6targetE0EEEvSS_, .Lfunc_end69-_ZN7rocprim17ROCPRIM_400000_NS6detail17trampoline_kernelINS0_14default_configENS1_27lower_bound_config_selectorIjlEEZNS1_14transform_implILb0ES3_S5_N6thrust23THRUST_200600_302600_NS6detail15normal_iteratorINS8_7pointerIjNS8_11hip_rocprim5par_tENS8_11use_defaultESE_EEEENSA_INSB_IlSD_SE_SE_EEEEZNS1_13binary_searchIS3_S5_PjSG_SI_NS1_21lower_bound_search_opENS9_16wrapped_functionI11custom_lessbEEEE10hipError_tPvRmT1_T2_T3_mmT4_T5_P12ihipStream_tbEUlRKjE_EESP_ST_SU_mSV_SY_bEUlT_E_NS1_11comp_targetILNS1_3genE10ELNS1_11target_archE1201ELNS1_3gpuE5ELNS1_3repE0EEENS1_30default_config_static_selectorELNS0_4arch9wavefront6targetE0EEEvSS_
                                        ; -- End function
	.set _ZN7rocprim17ROCPRIM_400000_NS6detail17trampoline_kernelINS0_14default_configENS1_27lower_bound_config_selectorIjlEEZNS1_14transform_implILb0ES3_S5_N6thrust23THRUST_200600_302600_NS6detail15normal_iteratorINS8_7pointerIjNS8_11hip_rocprim5par_tENS8_11use_defaultESE_EEEENSA_INSB_IlSD_SE_SE_EEEEZNS1_13binary_searchIS3_S5_PjSG_SI_NS1_21lower_bound_search_opENS9_16wrapped_functionI11custom_lessbEEEE10hipError_tPvRmT1_T2_T3_mmT4_T5_P12ihipStream_tbEUlRKjE_EESP_ST_SU_mSV_SY_bEUlT_E_NS1_11comp_targetILNS1_3genE10ELNS1_11target_archE1201ELNS1_3gpuE5ELNS1_3repE0EEENS1_30default_config_static_selectorELNS0_4arch9wavefront6targetE0EEEvSS_.num_vgpr, 0
	.set _ZN7rocprim17ROCPRIM_400000_NS6detail17trampoline_kernelINS0_14default_configENS1_27lower_bound_config_selectorIjlEEZNS1_14transform_implILb0ES3_S5_N6thrust23THRUST_200600_302600_NS6detail15normal_iteratorINS8_7pointerIjNS8_11hip_rocprim5par_tENS8_11use_defaultESE_EEEENSA_INSB_IlSD_SE_SE_EEEEZNS1_13binary_searchIS3_S5_PjSG_SI_NS1_21lower_bound_search_opENS9_16wrapped_functionI11custom_lessbEEEE10hipError_tPvRmT1_T2_T3_mmT4_T5_P12ihipStream_tbEUlRKjE_EESP_ST_SU_mSV_SY_bEUlT_E_NS1_11comp_targetILNS1_3genE10ELNS1_11target_archE1201ELNS1_3gpuE5ELNS1_3repE0EEENS1_30default_config_static_selectorELNS0_4arch9wavefront6targetE0EEEvSS_.num_agpr, 0
	.set _ZN7rocprim17ROCPRIM_400000_NS6detail17trampoline_kernelINS0_14default_configENS1_27lower_bound_config_selectorIjlEEZNS1_14transform_implILb0ES3_S5_N6thrust23THRUST_200600_302600_NS6detail15normal_iteratorINS8_7pointerIjNS8_11hip_rocprim5par_tENS8_11use_defaultESE_EEEENSA_INSB_IlSD_SE_SE_EEEEZNS1_13binary_searchIS3_S5_PjSG_SI_NS1_21lower_bound_search_opENS9_16wrapped_functionI11custom_lessbEEEE10hipError_tPvRmT1_T2_T3_mmT4_T5_P12ihipStream_tbEUlRKjE_EESP_ST_SU_mSV_SY_bEUlT_E_NS1_11comp_targetILNS1_3genE10ELNS1_11target_archE1201ELNS1_3gpuE5ELNS1_3repE0EEENS1_30default_config_static_selectorELNS0_4arch9wavefront6targetE0EEEvSS_.numbered_sgpr, 0
	.set _ZN7rocprim17ROCPRIM_400000_NS6detail17trampoline_kernelINS0_14default_configENS1_27lower_bound_config_selectorIjlEEZNS1_14transform_implILb0ES3_S5_N6thrust23THRUST_200600_302600_NS6detail15normal_iteratorINS8_7pointerIjNS8_11hip_rocprim5par_tENS8_11use_defaultESE_EEEENSA_INSB_IlSD_SE_SE_EEEEZNS1_13binary_searchIS3_S5_PjSG_SI_NS1_21lower_bound_search_opENS9_16wrapped_functionI11custom_lessbEEEE10hipError_tPvRmT1_T2_T3_mmT4_T5_P12ihipStream_tbEUlRKjE_EESP_ST_SU_mSV_SY_bEUlT_E_NS1_11comp_targetILNS1_3genE10ELNS1_11target_archE1201ELNS1_3gpuE5ELNS1_3repE0EEENS1_30default_config_static_selectorELNS0_4arch9wavefront6targetE0EEEvSS_.num_named_barrier, 0
	.set _ZN7rocprim17ROCPRIM_400000_NS6detail17trampoline_kernelINS0_14default_configENS1_27lower_bound_config_selectorIjlEEZNS1_14transform_implILb0ES3_S5_N6thrust23THRUST_200600_302600_NS6detail15normal_iteratorINS8_7pointerIjNS8_11hip_rocprim5par_tENS8_11use_defaultESE_EEEENSA_INSB_IlSD_SE_SE_EEEEZNS1_13binary_searchIS3_S5_PjSG_SI_NS1_21lower_bound_search_opENS9_16wrapped_functionI11custom_lessbEEEE10hipError_tPvRmT1_T2_T3_mmT4_T5_P12ihipStream_tbEUlRKjE_EESP_ST_SU_mSV_SY_bEUlT_E_NS1_11comp_targetILNS1_3genE10ELNS1_11target_archE1201ELNS1_3gpuE5ELNS1_3repE0EEENS1_30default_config_static_selectorELNS0_4arch9wavefront6targetE0EEEvSS_.private_seg_size, 0
	.set _ZN7rocprim17ROCPRIM_400000_NS6detail17trampoline_kernelINS0_14default_configENS1_27lower_bound_config_selectorIjlEEZNS1_14transform_implILb0ES3_S5_N6thrust23THRUST_200600_302600_NS6detail15normal_iteratorINS8_7pointerIjNS8_11hip_rocprim5par_tENS8_11use_defaultESE_EEEENSA_INSB_IlSD_SE_SE_EEEEZNS1_13binary_searchIS3_S5_PjSG_SI_NS1_21lower_bound_search_opENS9_16wrapped_functionI11custom_lessbEEEE10hipError_tPvRmT1_T2_T3_mmT4_T5_P12ihipStream_tbEUlRKjE_EESP_ST_SU_mSV_SY_bEUlT_E_NS1_11comp_targetILNS1_3genE10ELNS1_11target_archE1201ELNS1_3gpuE5ELNS1_3repE0EEENS1_30default_config_static_selectorELNS0_4arch9wavefront6targetE0EEEvSS_.uses_vcc, 0
	.set _ZN7rocprim17ROCPRIM_400000_NS6detail17trampoline_kernelINS0_14default_configENS1_27lower_bound_config_selectorIjlEEZNS1_14transform_implILb0ES3_S5_N6thrust23THRUST_200600_302600_NS6detail15normal_iteratorINS8_7pointerIjNS8_11hip_rocprim5par_tENS8_11use_defaultESE_EEEENSA_INSB_IlSD_SE_SE_EEEEZNS1_13binary_searchIS3_S5_PjSG_SI_NS1_21lower_bound_search_opENS9_16wrapped_functionI11custom_lessbEEEE10hipError_tPvRmT1_T2_T3_mmT4_T5_P12ihipStream_tbEUlRKjE_EESP_ST_SU_mSV_SY_bEUlT_E_NS1_11comp_targetILNS1_3genE10ELNS1_11target_archE1201ELNS1_3gpuE5ELNS1_3repE0EEENS1_30default_config_static_selectorELNS0_4arch9wavefront6targetE0EEEvSS_.uses_flat_scratch, 0
	.set _ZN7rocprim17ROCPRIM_400000_NS6detail17trampoline_kernelINS0_14default_configENS1_27lower_bound_config_selectorIjlEEZNS1_14transform_implILb0ES3_S5_N6thrust23THRUST_200600_302600_NS6detail15normal_iteratorINS8_7pointerIjNS8_11hip_rocprim5par_tENS8_11use_defaultESE_EEEENSA_INSB_IlSD_SE_SE_EEEEZNS1_13binary_searchIS3_S5_PjSG_SI_NS1_21lower_bound_search_opENS9_16wrapped_functionI11custom_lessbEEEE10hipError_tPvRmT1_T2_T3_mmT4_T5_P12ihipStream_tbEUlRKjE_EESP_ST_SU_mSV_SY_bEUlT_E_NS1_11comp_targetILNS1_3genE10ELNS1_11target_archE1201ELNS1_3gpuE5ELNS1_3repE0EEENS1_30default_config_static_selectorELNS0_4arch9wavefront6targetE0EEEvSS_.has_dyn_sized_stack, 0
	.set _ZN7rocprim17ROCPRIM_400000_NS6detail17trampoline_kernelINS0_14default_configENS1_27lower_bound_config_selectorIjlEEZNS1_14transform_implILb0ES3_S5_N6thrust23THRUST_200600_302600_NS6detail15normal_iteratorINS8_7pointerIjNS8_11hip_rocprim5par_tENS8_11use_defaultESE_EEEENSA_INSB_IlSD_SE_SE_EEEEZNS1_13binary_searchIS3_S5_PjSG_SI_NS1_21lower_bound_search_opENS9_16wrapped_functionI11custom_lessbEEEE10hipError_tPvRmT1_T2_T3_mmT4_T5_P12ihipStream_tbEUlRKjE_EESP_ST_SU_mSV_SY_bEUlT_E_NS1_11comp_targetILNS1_3genE10ELNS1_11target_archE1201ELNS1_3gpuE5ELNS1_3repE0EEENS1_30default_config_static_selectorELNS0_4arch9wavefront6targetE0EEEvSS_.has_recursion, 0
	.set _ZN7rocprim17ROCPRIM_400000_NS6detail17trampoline_kernelINS0_14default_configENS1_27lower_bound_config_selectorIjlEEZNS1_14transform_implILb0ES3_S5_N6thrust23THRUST_200600_302600_NS6detail15normal_iteratorINS8_7pointerIjNS8_11hip_rocprim5par_tENS8_11use_defaultESE_EEEENSA_INSB_IlSD_SE_SE_EEEEZNS1_13binary_searchIS3_S5_PjSG_SI_NS1_21lower_bound_search_opENS9_16wrapped_functionI11custom_lessbEEEE10hipError_tPvRmT1_T2_T3_mmT4_T5_P12ihipStream_tbEUlRKjE_EESP_ST_SU_mSV_SY_bEUlT_E_NS1_11comp_targetILNS1_3genE10ELNS1_11target_archE1201ELNS1_3gpuE5ELNS1_3repE0EEENS1_30default_config_static_selectorELNS0_4arch9wavefront6targetE0EEEvSS_.has_indirect_call, 0
	.section	.AMDGPU.csdata,"",@progbits
; Kernel info:
; codeLenInByte = 0
; TotalNumSgprs: 0
; NumVgprs: 0
; ScratchSize: 0
; MemoryBound: 0
; FloatMode: 240
; IeeeMode: 1
; LDSByteSize: 0 bytes/workgroup (compile time only)
; SGPRBlocks: 0
; VGPRBlocks: 0
; NumSGPRsForWavesPerEU: 1
; NumVGPRsForWavesPerEU: 1
; Occupancy: 16
; WaveLimiterHint : 0
; COMPUTE_PGM_RSRC2:SCRATCH_EN: 0
; COMPUTE_PGM_RSRC2:USER_SGPR: 6
; COMPUTE_PGM_RSRC2:TRAP_HANDLER: 0
; COMPUTE_PGM_RSRC2:TGID_X_EN: 1
; COMPUTE_PGM_RSRC2:TGID_Y_EN: 0
; COMPUTE_PGM_RSRC2:TGID_Z_EN: 0
; COMPUTE_PGM_RSRC2:TIDIG_COMP_CNT: 0
	.section	.text._ZN7rocprim17ROCPRIM_400000_NS6detail17trampoline_kernelINS0_14default_configENS1_27lower_bound_config_selectorIjlEEZNS1_14transform_implILb0ES3_S5_N6thrust23THRUST_200600_302600_NS6detail15normal_iteratorINS8_7pointerIjNS8_11hip_rocprim5par_tENS8_11use_defaultESE_EEEENSA_INSB_IlSD_SE_SE_EEEEZNS1_13binary_searchIS3_S5_PjSG_SI_NS1_21lower_bound_search_opENS9_16wrapped_functionI11custom_lessbEEEE10hipError_tPvRmT1_T2_T3_mmT4_T5_P12ihipStream_tbEUlRKjE_EESP_ST_SU_mSV_SY_bEUlT_E_NS1_11comp_targetILNS1_3genE10ELNS1_11target_archE1200ELNS1_3gpuE4ELNS1_3repE0EEENS1_30default_config_static_selectorELNS0_4arch9wavefront6targetE0EEEvSS_,"axG",@progbits,_ZN7rocprim17ROCPRIM_400000_NS6detail17trampoline_kernelINS0_14default_configENS1_27lower_bound_config_selectorIjlEEZNS1_14transform_implILb0ES3_S5_N6thrust23THRUST_200600_302600_NS6detail15normal_iteratorINS8_7pointerIjNS8_11hip_rocprim5par_tENS8_11use_defaultESE_EEEENSA_INSB_IlSD_SE_SE_EEEEZNS1_13binary_searchIS3_S5_PjSG_SI_NS1_21lower_bound_search_opENS9_16wrapped_functionI11custom_lessbEEEE10hipError_tPvRmT1_T2_T3_mmT4_T5_P12ihipStream_tbEUlRKjE_EESP_ST_SU_mSV_SY_bEUlT_E_NS1_11comp_targetILNS1_3genE10ELNS1_11target_archE1200ELNS1_3gpuE4ELNS1_3repE0EEENS1_30default_config_static_selectorELNS0_4arch9wavefront6targetE0EEEvSS_,comdat
	.protected	_ZN7rocprim17ROCPRIM_400000_NS6detail17trampoline_kernelINS0_14default_configENS1_27lower_bound_config_selectorIjlEEZNS1_14transform_implILb0ES3_S5_N6thrust23THRUST_200600_302600_NS6detail15normal_iteratorINS8_7pointerIjNS8_11hip_rocprim5par_tENS8_11use_defaultESE_EEEENSA_INSB_IlSD_SE_SE_EEEEZNS1_13binary_searchIS3_S5_PjSG_SI_NS1_21lower_bound_search_opENS9_16wrapped_functionI11custom_lessbEEEE10hipError_tPvRmT1_T2_T3_mmT4_T5_P12ihipStream_tbEUlRKjE_EESP_ST_SU_mSV_SY_bEUlT_E_NS1_11comp_targetILNS1_3genE10ELNS1_11target_archE1200ELNS1_3gpuE4ELNS1_3repE0EEENS1_30default_config_static_selectorELNS0_4arch9wavefront6targetE0EEEvSS_ ; -- Begin function _ZN7rocprim17ROCPRIM_400000_NS6detail17trampoline_kernelINS0_14default_configENS1_27lower_bound_config_selectorIjlEEZNS1_14transform_implILb0ES3_S5_N6thrust23THRUST_200600_302600_NS6detail15normal_iteratorINS8_7pointerIjNS8_11hip_rocprim5par_tENS8_11use_defaultESE_EEEENSA_INSB_IlSD_SE_SE_EEEEZNS1_13binary_searchIS3_S5_PjSG_SI_NS1_21lower_bound_search_opENS9_16wrapped_functionI11custom_lessbEEEE10hipError_tPvRmT1_T2_T3_mmT4_T5_P12ihipStream_tbEUlRKjE_EESP_ST_SU_mSV_SY_bEUlT_E_NS1_11comp_targetILNS1_3genE10ELNS1_11target_archE1200ELNS1_3gpuE4ELNS1_3repE0EEENS1_30default_config_static_selectorELNS0_4arch9wavefront6targetE0EEEvSS_
	.globl	_ZN7rocprim17ROCPRIM_400000_NS6detail17trampoline_kernelINS0_14default_configENS1_27lower_bound_config_selectorIjlEEZNS1_14transform_implILb0ES3_S5_N6thrust23THRUST_200600_302600_NS6detail15normal_iteratorINS8_7pointerIjNS8_11hip_rocprim5par_tENS8_11use_defaultESE_EEEENSA_INSB_IlSD_SE_SE_EEEEZNS1_13binary_searchIS3_S5_PjSG_SI_NS1_21lower_bound_search_opENS9_16wrapped_functionI11custom_lessbEEEE10hipError_tPvRmT1_T2_T3_mmT4_T5_P12ihipStream_tbEUlRKjE_EESP_ST_SU_mSV_SY_bEUlT_E_NS1_11comp_targetILNS1_3genE10ELNS1_11target_archE1200ELNS1_3gpuE4ELNS1_3repE0EEENS1_30default_config_static_selectorELNS0_4arch9wavefront6targetE0EEEvSS_
	.p2align	8
	.type	_ZN7rocprim17ROCPRIM_400000_NS6detail17trampoline_kernelINS0_14default_configENS1_27lower_bound_config_selectorIjlEEZNS1_14transform_implILb0ES3_S5_N6thrust23THRUST_200600_302600_NS6detail15normal_iteratorINS8_7pointerIjNS8_11hip_rocprim5par_tENS8_11use_defaultESE_EEEENSA_INSB_IlSD_SE_SE_EEEEZNS1_13binary_searchIS3_S5_PjSG_SI_NS1_21lower_bound_search_opENS9_16wrapped_functionI11custom_lessbEEEE10hipError_tPvRmT1_T2_T3_mmT4_T5_P12ihipStream_tbEUlRKjE_EESP_ST_SU_mSV_SY_bEUlT_E_NS1_11comp_targetILNS1_3genE10ELNS1_11target_archE1200ELNS1_3gpuE4ELNS1_3repE0EEENS1_30default_config_static_selectorELNS0_4arch9wavefront6targetE0EEEvSS_,@function
_ZN7rocprim17ROCPRIM_400000_NS6detail17trampoline_kernelINS0_14default_configENS1_27lower_bound_config_selectorIjlEEZNS1_14transform_implILb0ES3_S5_N6thrust23THRUST_200600_302600_NS6detail15normal_iteratorINS8_7pointerIjNS8_11hip_rocprim5par_tENS8_11use_defaultESE_EEEENSA_INSB_IlSD_SE_SE_EEEEZNS1_13binary_searchIS3_S5_PjSG_SI_NS1_21lower_bound_search_opENS9_16wrapped_functionI11custom_lessbEEEE10hipError_tPvRmT1_T2_T3_mmT4_T5_P12ihipStream_tbEUlRKjE_EESP_ST_SU_mSV_SY_bEUlT_E_NS1_11comp_targetILNS1_3genE10ELNS1_11target_archE1200ELNS1_3gpuE4ELNS1_3repE0EEENS1_30default_config_static_selectorELNS0_4arch9wavefront6targetE0EEEvSS_: ; @_ZN7rocprim17ROCPRIM_400000_NS6detail17trampoline_kernelINS0_14default_configENS1_27lower_bound_config_selectorIjlEEZNS1_14transform_implILb0ES3_S5_N6thrust23THRUST_200600_302600_NS6detail15normal_iteratorINS8_7pointerIjNS8_11hip_rocprim5par_tENS8_11use_defaultESE_EEEENSA_INSB_IlSD_SE_SE_EEEEZNS1_13binary_searchIS3_S5_PjSG_SI_NS1_21lower_bound_search_opENS9_16wrapped_functionI11custom_lessbEEEE10hipError_tPvRmT1_T2_T3_mmT4_T5_P12ihipStream_tbEUlRKjE_EESP_ST_SU_mSV_SY_bEUlT_E_NS1_11comp_targetILNS1_3genE10ELNS1_11target_archE1200ELNS1_3gpuE4ELNS1_3repE0EEENS1_30default_config_static_selectorELNS0_4arch9wavefront6targetE0EEEvSS_
; %bb.0:
	.section	.rodata,"a",@progbits
	.p2align	6, 0x0
	.amdhsa_kernel _ZN7rocprim17ROCPRIM_400000_NS6detail17trampoline_kernelINS0_14default_configENS1_27lower_bound_config_selectorIjlEEZNS1_14transform_implILb0ES3_S5_N6thrust23THRUST_200600_302600_NS6detail15normal_iteratorINS8_7pointerIjNS8_11hip_rocprim5par_tENS8_11use_defaultESE_EEEENSA_INSB_IlSD_SE_SE_EEEEZNS1_13binary_searchIS3_S5_PjSG_SI_NS1_21lower_bound_search_opENS9_16wrapped_functionI11custom_lessbEEEE10hipError_tPvRmT1_T2_T3_mmT4_T5_P12ihipStream_tbEUlRKjE_EESP_ST_SU_mSV_SY_bEUlT_E_NS1_11comp_targetILNS1_3genE10ELNS1_11target_archE1200ELNS1_3gpuE4ELNS1_3repE0EEENS1_30default_config_static_selectorELNS0_4arch9wavefront6targetE0EEEvSS_
		.amdhsa_group_segment_fixed_size 0
		.amdhsa_private_segment_fixed_size 0
		.amdhsa_kernarg_size 56
		.amdhsa_user_sgpr_count 6
		.amdhsa_user_sgpr_private_segment_buffer 1
		.amdhsa_user_sgpr_dispatch_ptr 0
		.amdhsa_user_sgpr_queue_ptr 0
		.amdhsa_user_sgpr_kernarg_segment_ptr 1
		.amdhsa_user_sgpr_dispatch_id 0
		.amdhsa_user_sgpr_flat_scratch_init 0
		.amdhsa_user_sgpr_private_segment_size 0
		.amdhsa_wavefront_size32 1
		.amdhsa_uses_dynamic_stack 0
		.amdhsa_system_sgpr_private_segment_wavefront_offset 0
		.amdhsa_system_sgpr_workgroup_id_x 1
		.amdhsa_system_sgpr_workgroup_id_y 0
		.amdhsa_system_sgpr_workgroup_id_z 0
		.amdhsa_system_sgpr_workgroup_info 0
		.amdhsa_system_vgpr_workitem_id 0
		.amdhsa_next_free_vgpr 1
		.amdhsa_next_free_sgpr 1
		.amdhsa_reserve_vcc 0
		.amdhsa_reserve_flat_scratch 0
		.amdhsa_float_round_mode_32 0
		.amdhsa_float_round_mode_16_64 0
		.amdhsa_float_denorm_mode_32 3
		.amdhsa_float_denorm_mode_16_64 3
		.amdhsa_dx10_clamp 1
		.amdhsa_ieee_mode 1
		.amdhsa_fp16_overflow 0
		.amdhsa_workgroup_processor_mode 1
		.amdhsa_memory_ordered 1
		.amdhsa_forward_progress 1
		.amdhsa_shared_vgpr_count 0
		.amdhsa_exception_fp_ieee_invalid_op 0
		.amdhsa_exception_fp_denorm_src 0
		.amdhsa_exception_fp_ieee_div_zero 0
		.amdhsa_exception_fp_ieee_overflow 0
		.amdhsa_exception_fp_ieee_underflow 0
		.amdhsa_exception_fp_ieee_inexact 0
		.amdhsa_exception_int_div_zero 0
	.end_amdhsa_kernel
	.section	.text._ZN7rocprim17ROCPRIM_400000_NS6detail17trampoline_kernelINS0_14default_configENS1_27lower_bound_config_selectorIjlEEZNS1_14transform_implILb0ES3_S5_N6thrust23THRUST_200600_302600_NS6detail15normal_iteratorINS8_7pointerIjNS8_11hip_rocprim5par_tENS8_11use_defaultESE_EEEENSA_INSB_IlSD_SE_SE_EEEEZNS1_13binary_searchIS3_S5_PjSG_SI_NS1_21lower_bound_search_opENS9_16wrapped_functionI11custom_lessbEEEE10hipError_tPvRmT1_T2_T3_mmT4_T5_P12ihipStream_tbEUlRKjE_EESP_ST_SU_mSV_SY_bEUlT_E_NS1_11comp_targetILNS1_3genE10ELNS1_11target_archE1200ELNS1_3gpuE4ELNS1_3repE0EEENS1_30default_config_static_selectorELNS0_4arch9wavefront6targetE0EEEvSS_,"axG",@progbits,_ZN7rocprim17ROCPRIM_400000_NS6detail17trampoline_kernelINS0_14default_configENS1_27lower_bound_config_selectorIjlEEZNS1_14transform_implILb0ES3_S5_N6thrust23THRUST_200600_302600_NS6detail15normal_iteratorINS8_7pointerIjNS8_11hip_rocprim5par_tENS8_11use_defaultESE_EEEENSA_INSB_IlSD_SE_SE_EEEEZNS1_13binary_searchIS3_S5_PjSG_SI_NS1_21lower_bound_search_opENS9_16wrapped_functionI11custom_lessbEEEE10hipError_tPvRmT1_T2_T3_mmT4_T5_P12ihipStream_tbEUlRKjE_EESP_ST_SU_mSV_SY_bEUlT_E_NS1_11comp_targetILNS1_3genE10ELNS1_11target_archE1200ELNS1_3gpuE4ELNS1_3repE0EEENS1_30default_config_static_selectorELNS0_4arch9wavefront6targetE0EEEvSS_,comdat
.Lfunc_end70:
	.size	_ZN7rocprim17ROCPRIM_400000_NS6detail17trampoline_kernelINS0_14default_configENS1_27lower_bound_config_selectorIjlEEZNS1_14transform_implILb0ES3_S5_N6thrust23THRUST_200600_302600_NS6detail15normal_iteratorINS8_7pointerIjNS8_11hip_rocprim5par_tENS8_11use_defaultESE_EEEENSA_INSB_IlSD_SE_SE_EEEEZNS1_13binary_searchIS3_S5_PjSG_SI_NS1_21lower_bound_search_opENS9_16wrapped_functionI11custom_lessbEEEE10hipError_tPvRmT1_T2_T3_mmT4_T5_P12ihipStream_tbEUlRKjE_EESP_ST_SU_mSV_SY_bEUlT_E_NS1_11comp_targetILNS1_3genE10ELNS1_11target_archE1200ELNS1_3gpuE4ELNS1_3repE0EEENS1_30default_config_static_selectorELNS0_4arch9wavefront6targetE0EEEvSS_, .Lfunc_end70-_ZN7rocprim17ROCPRIM_400000_NS6detail17trampoline_kernelINS0_14default_configENS1_27lower_bound_config_selectorIjlEEZNS1_14transform_implILb0ES3_S5_N6thrust23THRUST_200600_302600_NS6detail15normal_iteratorINS8_7pointerIjNS8_11hip_rocprim5par_tENS8_11use_defaultESE_EEEENSA_INSB_IlSD_SE_SE_EEEEZNS1_13binary_searchIS3_S5_PjSG_SI_NS1_21lower_bound_search_opENS9_16wrapped_functionI11custom_lessbEEEE10hipError_tPvRmT1_T2_T3_mmT4_T5_P12ihipStream_tbEUlRKjE_EESP_ST_SU_mSV_SY_bEUlT_E_NS1_11comp_targetILNS1_3genE10ELNS1_11target_archE1200ELNS1_3gpuE4ELNS1_3repE0EEENS1_30default_config_static_selectorELNS0_4arch9wavefront6targetE0EEEvSS_
                                        ; -- End function
	.set _ZN7rocprim17ROCPRIM_400000_NS6detail17trampoline_kernelINS0_14default_configENS1_27lower_bound_config_selectorIjlEEZNS1_14transform_implILb0ES3_S5_N6thrust23THRUST_200600_302600_NS6detail15normal_iteratorINS8_7pointerIjNS8_11hip_rocprim5par_tENS8_11use_defaultESE_EEEENSA_INSB_IlSD_SE_SE_EEEEZNS1_13binary_searchIS3_S5_PjSG_SI_NS1_21lower_bound_search_opENS9_16wrapped_functionI11custom_lessbEEEE10hipError_tPvRmT1_T2_T3_mmT4_T5_P12ihipStream_tbEUlRKjE_EESP_ST_SU_mSV_SY_bEUlT_E_NS1_11comp_targetILNS1_3genE10ELNS1_11target_archE1200ELNS1_3gpuE4ELNS1_3repE0EEENS1_30default_config_static_selectorELNS0_4arch9wavefront6targetE0EEEvSS_.num_vgpr, 0
	.set _ZN7rocprim17ROCPRIM_400000_NS6detail17trampoline_kernelINS0_14default_configENS1_27lower_bound_config_selectorIjlEEZNS1_14transform_implILb0ES3_S5_N6thrust23THRUST_200600_302600_NS6detail15normal_iteratorINS8_7pointerIjNS8_11hip_rocprim5par_tENS8_11use_defaultESE_EEEENSA_INSB_IlSD_SE_SE_EEEEZNS1_13binary_searchIS3_S5_PjSG_SI_NS1_21lower_bound_search_opENS9_16wrapped_functionI11custom_lessbEEEE10hipError_tPvRmT1_T2_T3_mmT4_T5_P12ihipStream_tbEUlRKjE_EESP_ST_SU_mSV_SY_bEUlT_E_NS1_11comp_targetILNS1_3genE10ELNS1_11target_archE1200ELNS1_3gpuE4ELNS1_3repE0EEENS1_30default_config_static_selectorELNS0_4arch9wavefront6targetE0EEEvSS_.num_agpr, 0
	.set _ZN7rocprim17ROCPRIM_400000_NS6detail17trampoline_kernelINS0_14default_configENS1_27lower_bound_config_selectorIjlEEZNS1_14transform_implILb0ES3_S5_N6thrust23THRUST_200600_302600_NS6detail15normal_iteratorINS8_7pointerIjNS8_11hip_rocprim5par_tENS8_11use_defaultESE_EEEENSA_INSB_IlSD_SE_SE_EEEEZNS1_13binary_searchIS3_S5_PjSG_SI_NS1_21lower_bound_search_opENS9_16wrapped_functionI11custom_lessbEEEE10hipError_tPvRmT1_T2_T3_mmT4_T5_P12ihipStream_tbEUlRKjE_EESP_ST_SU_mSV_SY_bEUlT_E_NS1_11comp_targetILNS1_3genE10ELNS1_11target_archE1200ELNS1_3gpuE4ELNS1_3repE0EEENS1_30default_config_static_selectorELNS0_4arch9wavefront6targetE0EEEvSS_.numbered_sgpr, 0
	.set _ZN7rocprim17ROCPRIM_400000_NS6detail17trampoline_kernelINS0_14default_configENS1_27lower_bound_config_selectorIjlEEZNS1_14transform_implILb0ES3_S5_N6thrust23THRUST_200600_302600_NS6detail15normal_iteratorINS8_7pointerIjNS8_11hip_rocprim5par_tENS8_11use_defaultESE_EEEENSA_INSB_IlSD_SE_SE_EEEEZNS1_13binary_searchIS3_S5_PjSG_SI_NS1_21lower_bound_search_opENS9_16wrapped_functionI11custom_lessbEEEE10hipError_tPvRmT1_T2_T3_mmT4_T5_P12ihipStream_tbEUlRKjE_EESP_ST_SU_mSV_SY_bEUlT_E_NS1_11comp_targetILNS1_3genE10ELNS1_11target_archE1200ELNS1_3gpuE4ELNS1_3repE0EEENS1_30default_config_static_selectorELNS0_4arch9wavefront6targetE0EEEvSS_.num_named_barrier, 0
	.set _ZN7rocprim17ROCPRIM_400000_NS6detail17trampoline_kernelINS0_14default_configENS1_27lower_bound_config_selectorIjlEEZNS1_14transform_implILb0ES3_S5_N6thrust23THRUST_200600_302600_NS6detail15normal_iteratorINS8_7pointerIjNS8_11hip_rocprim5par_tENS8_11use_defaultESE_EEEENSA_INSB_IlSD_SE_SE_EEEEZNS1_13binary_searchIS3_S5_PjSG_SI_NS1_21lower_bound_search_opENS9_16wrapped_functionI11custom_lessbEEEE10hipError_tPvRmT1_T2_T3_mmT4_T5_P12ihipStream_tbEUlRKjE_EESP_ST_SU_mSV_SY_bEUlT_E_NS1_11comp_targetILNS1_3genE10ELNS1_11target_archE1200ELNS1_3gpuE4ELNS1_3repE0EEENS1_30default_config_static_selectorELNS0_4arch9wavefront6targetE0EEEvSS_.private_seg_size, 0
	.set _ZN7rocprim17ROCPRIM_400000_NS6detail17trampoline_kernelINS0_14default_configENS1_27lower_bound_config_selectorIjlEEZNS1_14transform_implILb0ES3_S5_N6thrust23THRUST_200600_302600_NS6detail15normal_iteratorINS8_7pointerIjNS8_11hip_rocprim5par_tENS8_11use_defaultESE_EEEENSA_INSB_IlSD_SE_SE_EEEEZNS1_13binary_searchIS3_S5_PjSG_SI_NS1_21lower_bound_search_opENS9_16wrapped_functionI11custom_lessbEEEE10hipError_tPvRmT1_T2_T3_mmT4_T5_P12ihipStream_tbEUlRKjE_EESP_ST_SU_mSV_SY_bEUlT_E_NS1_11comp_targetILNS1_3genE10ELNS1_11target_archE1200ELNS1_3gpuE4ELNS1_3repE0EEENS1_30default_config_static_selectorELNS0_4arch9wavefront6targetE0EEEvSS_.uses_vcc, 0
	.set _ZN7rocprim17ROCPRIM_400000_NS6detail17trampoline_kernelINS0_14default_configENS1_27lower_bound_config_selectorIjlEEZNS1_14transform_implILb0ES3_S5_N6thrust23THRUST_200600_302600_NS6detail15normal_iteratorINS8_7pointerIjNS8_11hip_rocprim5par_tENS8_11use_defaultESE_EEEENSA_INSB_IlSD_SE_SE_EEEEZNS1_13binary_searchIS3_S5_PjSG_SI_NS1_21lower_bound_search_opENS9_16wrapped_functionI11custom_lessbEEEE10hipError_tPvRmT1_T2_T3_mmT4_T5_P12ihipStream_tbEUlRKjE_EESP_ST_SU_mSV_SY_bEUlT_E_NS1_11comp_targetILNS1_3genE10ELNS1_11target_archE1200ELNS1_3gpuE4ELNS1_3repE0EEENS1_30default_config_static_selectorELNS0_4arch9wavefront6targetE0EEEvSS_.uses_flat_scratch, 0
	.set _ZN7rocprim17ROCPRIM_400000_NS6detail17trampoline_kernelINS0_14default_configENS1_27lower_bound_config_selectorIjlEEZNS1_14transform_implILb0ES3_S5_N6thrust23THRUST_200600_302600_NS6detail15normal_iteratorINS8_7pointerIjNS8_11hip_rocprim5par_tENS8_11use_defaultESE_EEEENSA_INSB_IlSD_SE_SE_EEEEZNS1_13binary_searchIS3_S5_PjSG_SI_NS1_21lower_bound_search_opENS9_16wrapped_functionI11custom_lessbEEEE10hipError_tPvRmT1_T2_T3_mmT4_T5_P12ihipStream_tbEUlRKjE_EESP_ST_SU_mSV_SY_bEUlT_E_NS1_11comp_targetILNS1_3genE10ELNS1_11target_archE1200ELNS1_3gpuE4ELNS1_3repE0EEENS1_30default_config_static_selectorELNS0_4arch9wavefront6targetE0EEEvSS_.has_dyn_sized_stack, 0
	.set _ZN7rocprim17ROCPRIM_400000_NS6detail17trampoline_kernelINS0_14default_configENS1_27lower_bound_config_selectorIjlEEZNS1_14transform_implILb0ES3_S5_N6thrust23THRUST_200600_302600_NS6detail15normal_iteratorINS8_7pointerIjNS8_11hip_rocprim5par_tENS8_11use_defaultESE_EEEENSA_INSB_IlSD_SE_SE_EEEEZNS1_13binary_searchIS3_S5_PjSG_SI_NS1_21lower_bound_search_opENS9_16wrapped_functionI11custom_lessbEEEE10hipError_tPvRmT1_T2_T3_mmT4_T5_P12ihipStream_tbEUlRKjE_EESP_ST_SU_mSV_SY_bEUlT_E_NS1_11comp_targetILNS1_3genE10ELNS1_11target_archE1200ELNS1_3gpuE4ELNS1_3repE0EEENS1_30default_config_static_selectorELNS0_4arch9wavefront6targetE0EEEvSS_.has_recursion, 0
	.set _ZN7rocprim17ROCPRIM_400000_NS6detail17trampoline_kernelINS0_14default_configENS1_27lower_bound_config_selectorIjlEEZNS1_14transform_implILb0ES3_S5_N6thrust23THRUST_200600_302600_NS6detail15normal_iteratorINS8_7pointerIjNS8_11hip_rocprim5par_tENS8_11use_defaultESE_EEEENSA_INSB_IlSD_SE_SE_EEEEZNS1_13binary_searchIS3_S5_PjSG_SI_NS1_21lower_bound_search_opENS9_16wrapped_functionI11custom_lessbEEEE10hipError_tPvRmT1_T2_T3_mmT4_T5_P12ihipStream_tbEUlRKjE_EESP_ST_SU_mSV_SY_bEUlT_E_NS1_11comp_targetILNS1_3genE10ELNS1_11target_archE1200ELNS1_3gpuE4ELNS1_3repE0EEENS1_30default_config_static_selectorELNS0_4arch9wavefront6targetE0EEEvSS_.has_indirect_call, 0
	.section	.AMDGPU.csdata,"",@progbits
; Kernel info:
; codeLenInByte = 0
; TotalNumSgprs: 0
; NumVgprs: 0
; ScratchSize: 0
; MemoryBound: 0
; FloatMode: 240
; IeeeMode: 1
; LDSByteSize: 0 bytes/workgroup (compile time only)
; SGPRBlocks: 0
; VGPRBlocks: 0
; NumSGPRsForWavesPerEU: 1
; NumVGPRsForWavesPerEU: 1
; Occupancy: 16
; WaveLimiterHint : 0
; COMPUTE_PGM_RSRC2:SCRATCH_EN: 0
; COMPUTE_PGM_RSRC2:USER_SGPR: 6
; COMPUTE_PGM_RSRC2:TRAP_HANDLER: 0
; COMPUTE_PGM_RSRC2:TGID_X_EN: 1
; COMPUTE_PGM_RSRC2:TGID_Y_EN: 0
; COMPUTE_PGM_RSRC2:TGID_Z_EN: 0
; COMPUTE_PGM_RSRC2:TIDIG_COMP_CNT: 0
	.section	.text._ZN7rocprim17ROCPRIM_400000_NS6detail17trampoline_kernelINS0_14default_configENS1_27lower_bound_config_selectorIjlEEZNS1_14transform_implILb0ES3_S5_N6thrust23THRUST_200600_302600_NS6detail15normal_iteratorINS8_7pointerIjNS8_11hip_rocprim5par_tENS8_11use_defaultESE_EEEENSA_INSB_IlSD_SE_SE_EEEEZNS1_13binary_searchIS3_S5_PjSG_SI_NS1_21lower_bound_search_opENS9_16wrapped_functionI11custom_lessbEEEE10hipError_tPvRmT1_T2_T3_mmT4_T5_P12ihipStream_tbEUlRKjE_EESP_ST_SU_mSV_SY_bEUlT_E_NS1_11comp_targetILNS1_3genE9ELNS1_11target_archE1100ELNS1_3gpuE3ELNS1_3repE0EEENS1_30default_config_static_selectorELNS0_4arch9wavefront6targetE0EEEvSS_,"axG",@progbits,_ZN7rocprim17ROCPRIM_400000_NS6detail17trampoline_kernelINS0_14default_configENS1_27lower_bound_config_selectorIjlEEZNS1_14transform_implILb0ES3_S5_N6thrust23THRUST_200600_302600_NS6detail15normal_iteratorINS8_7pointerIjNS8_11hip_rocprim5par_tENS8_11use_defaultESE_EEEENSA_INSB_IlSD_SE_SE_EEEEZNS1_13binary_searchIS3_S5_PjSG_SI_NS1_21lower_bound_search_opENS9_16wrapped_functionI11custom_lessbEEEE10hipError_tPvRmT1_T2_T3_mmT4_T5_P12ihipStream_tbEUlRKjE_EESP_ST_SU_mSV_SY_bEUlT_E_NS1_11comp_targetILNS1_3genE9ELNS1_11target_archE1100ELNS1_3gpuE3ELNS1_3repE0EEENS1_30default_config_static_selectorELNS0_4arch9wavefront6targetE0EEEvSS_,comdat
	.protected	_ZN7rocprim17ROCPRIM_400000_NS6detail17trampoline_kernelINS0_14default_configENS1_27lower_bound_config_selectorIjlEEZNS1_14transform_implILb0ES3_S5_N6thrust23THRUST_200600_302600_NS6detail15normal_iteratorINS8_7pointerIjNS8_11hip_rocprim5par_tENS8_11use_defaultESE_EEEENSA_INSB_IlSD_SE_SE_EEEEZNS1_13binary_searchIS3_S5_PjSG_SI_NS1_21lower_bound_search_opENS9_16wrapped_functionI11custom_lessbEEEE10hipError_tPvRmT1_T2_T3_mmT4_T5_P12ihipStream_tbEUlRKjE_EESP_ST_SU_mSV_SY_bEUlT_E_NS1_11comp_targetILNS1_3genE9ELNS1_11target_archE1100ELNS1_3gpuE3ELNS1_3repE0EEENS1_30default_config_static_selectorELNS0_4arch9wavefront6targetE0EEEvSS_ ; -- Begin function _ZN7rocprim17ROCPRIM_400000_NS6detail17trampoline_kernelINS0_14default_configENS1_27lower_bound_config_selectorIjlEEZNS1_14transform_implILb0ES3_S5_N6thrust23THRUST_200600_302600_NS6detail15normal_iteratorINS8_7pointerIjNS8_11hip_rocprim5par_tENS8_11use_defaultESE_EEEENSA_INSB_IlSD_SE_SE_EEEEZNS1_13binary_searchIS3_S5_PjSG_SI_NS1_21lower_bound_search_opENS9_16wrapped_functionI11custom_lessbEEEE10hipError_tPvRmT1_T2_T3_mmT4_T5_P12ihipStream_tbEUlRKjE_EESP_ST_SU_mSV_SY_bEUlT_E_NS1_11comp_targetILNS1_3genE9ELNS1_11target_archE1100ELNS1_3gpuE3ELNS1_3repE0EEENS1_30default_config_static_selectorELNS0_4arch9wavefront6targetE0EEEvSS_
	.globl	_ZN7rocprim17ROCPRIM_400000_NS6detail17trampoline_kernelINS0_14default_configENS1_27lower_bound_config_selectorIjlEEZNS1_14transform_implILb0ES3_S5_N6thrust23THRUST_200600_302600_NS6detail15normal_iteratorINS8_7pointerIjNS8_11hip_rocprim5par_tENS8_11use_defaultESE_EEEENSA_INSB_IlSD_SE_SE_EEEEZNS1_13binary_searchIS3_S5_PjSG_SI_NS1_21lower_bound_search_opENS9_16wrapped_functionI11custom_lessbEEEE10hipError_tPvRmT1_T2_T3_mmT4_T5_P12ihipStream_tbEUlRKjE_EESP_ST_SU_mSV_SY_bEUlT_E_NS1_11comp_targetILNS1_3genE9ELNS1_11target_archE1100ELNS1_3gpuE3ELNS1_3repE0EEENS1_30default_config_static_selectorELNS0_4arch9wavefront6targetE0EEEvSS_
	.p2align	8
	.type	_ZN7rocprim17ROCPRIM_400000_NS6detail17trampoline_kernelINS0_14default_configENS1_27lower_bound_config_selectorIjlEEZNS1_14transform_implILb0ES3_S5_N6thrust23THRUST_200600_302600_NS6detail15normal_iteratorINS8_7pointerIjNS8_11hip_rocprim5par_tENS8_11use_defaultESE_EEEENSA_INSB_IlSD_SE_SE_EEEEZNS1_13binary_searchIS3_S5_PjSG_SI_NS1_21lower_bound_search_opENS9_16wrapped_functionI11custom_lessbEEEE10hipError_tPvRmT1_T2_T3_mmT4_T5_P12ihipStream_tbEUlRKjE_EESP_ST_SU_mSV_SY_bEUlT_E_NS1_11comp_targetILNS1_3genE9ELNS1_11target_archE1100ELNS1_3gpuE3ELNS1_3repE0EEENS1_30default_config_static_selectorELNS0_4arch9wavefront6targetE0EEEvSS_,@function
_ZN7rocprim17ROCPRIM_400000_NS6detail17trampoline_kernelINS0_14default_configENS1_27lower_bound_config_selectorIjlEEZNS1_14transform_implILb0ES3_S5_N6thrust23THRUST_200600_302600_NS6detail15normal_iteratorINS8_7pointerIjNS8_11hip_rocprim5par_tENS8_11use_defaultESE_EEEENSA_INSB_IlSD_SE_SE_EEEEZNS1_13binary_searchIS3_S5_PjSG_SI_NS1_21lower_bound_search_opENS9_16wrapped_functionI11custom_lessbEEEE10hipError_tPvRmT1_T2_T3_mmT4_T5_P12ihipStream_tbEUlRKjE_EESP_ST_SU_mSV_SY_bEUlT_E_NS1_11comp_targetILNS1_3genE9ELNS1_11target_archE1100ELNS1_3gpuE3ELNS1_3repE0EEENS1_30default_config_static_selectorELNS0_4arch9wavefront6targetE0EEEvSS_: ; @_ZN7rocprim17ROCPRIM_400000_NS6detail17trampoline_kernelINS0_14default_configENS1_27lower_bound_config_selectorIjlEEZNS1_14transform_implILb0ES3_S5_N6thrust23THRUST_200600_302600_NS6detail15normal_iteratorINS8_7pointerIjNS8_11hip_rocprim5par_tENS8_11use_defaultESE_EEEENSA_INSB_IlSD_SE_SE_EEEEZNS1_13binary_searchIS3_S5_PjSG_SI_NS1_21lower_bound_search_opENS9_16wrapped_functionI11custom_lessbEEEE10hipError_tPvRmT1_T2_T3_mmT4_T5_P12ihipStream_tbEUlRKjE_EESP_ST_SU_mSV_SY_bEUlT_E_NS1_11comp_targetILNS1_3genE9ELNS1_11target_archE1100ELNS1_3gpuE3ELNS1_3repE0EEENS1_30default_config_static_selectorELNS0_4arch9wavefront6targetE0EEEvSS_
; %bb.0:
	.section	.rodata,"a",@progbits
	.p2align	6, 0x0
	.amdhsa_kernel _ZN7rocprim17ROCPRIM_400000_NS6detail17trampoline_kernelINS0_14default_configENS1_27lower_bound_config_selectorIjlEEZNS1_14transform_implILb0ES3_S5_N6thrust23THRUST_200600_302600_NS6detail15normal_iteratorINS8_7pointerIjNS8_11hip_rocprim5par_tENS8_11use_defaultESE_EEEENSA_INSB_IlSD_SE_SE_EEEEZNS1_13binary_searchIS3_S5_PjSG_SI_NS1_21lower_bound_search_opENS9_16wrapped_functionI11custom_lessbEEEE10hipError_tPvRmT1_T2_T3_mmT4_T5_P12ihipStream_tbEUlRKjE_EESP_ST_SU_mSV_SY_bEUlT_E_NS1_11comp_targetILNS1_3genE9ELNS1_11target_archE1100ELNS1_3gpuE3ELNS1_3repE0EEENS1_30default_config_static_selectorELNS0_4arch9wavefront6targetE0EEEvSS_
		.amdhsa_group_segment_fixed_size 0
		.amdhsa_private_segment_fixed_size 0
		.amdhsa_kernarg_size 56
		.amdhsa_user_sgpr_count 6
		.amdhsa_user_sgpr_private_segment_buffer 1
		.amdhsa_user_sgpr_dispatch_ptr 0
		.amdhsa_user_sgpr_queue_ptr 0
		.amdhsa_user_sgpr_kernarg_segment_ptr 1
		.amdhsa_user_sgpr_dispatch_id 0
		.amdhsa_user_sgpr_flat_scratch_init 0
		.amdhsa_user_sgpr_private_segment_size 0
		.amdhsa_wavefront_size32 1
		.amdhsa_uses_dynamic_stack 0
		.amdhsa_system_sgpr_private_segment_wavefront_offset 0
		.amdhsa_system_sgpr_workgroup_id_x 1
		.amdhsa_system_sgpr_workgroup_id_y 0
		.amdhsa_system_sgpr_workgroup_id_z 0
		.amdhsa_system_sgpr_workgroup_info 0
		.amdhsa_system_vgpr_workitem_id 0
		.amdhsa_next_free_vgpr 1
		.amdhsa_next_free_sgpr 1
		.amdhsa_reserve_vcc 0
		.amdhsa_reserve_flat_scratch 0
		.amdhsa_float_round_mode_32 0
		.amdhsa_float_round_mode_16_64 0
		.amdhsa_float_denorm_mode_32 3
		.amdhsa_float_denorm_mode_16_64 3
		.amdhsa_dx10_clamp 1
		.amdhsa_ieee_mode 1
		.amdhsa_fp16_overflow 0
		.amdhsa_workgroup_processor_mode 1
		.amdhsa_memory_ordered 1
		.amdhsa_forward_progress 1
		.amdhsa_shared_vgpr_count 0
		.amdhsa_exception_fp_ieee_invalid_op 0
		.amdhsa_exception_fp_denorm_src 0
		.amdhsa_exception_fp_ieee_div_zero 0
		.amdhsa_exception_fp_ieee_overflow 0
		.amdhsa_exception_fp_ieee_underflow 0
		.amdhsa_exception_fp_ieee_inexact 0
		.amdhsa_exception_int_div_zero 0
	.end_amdhsa_kernel
	.section	.text._ZN7rocprim17ROCPRIM_400000_NS6detail17trampoline_kernelINS0_14default_configENS1_27lower_bound_config_selectorIjlEEZNS1_14transform_implILb0ES3_S5_N6thrust23THRUST_200600_302600_NS6detail15normal_iteratorINS8_7pointerIjNS8_11hip_rocprim5par_tENS8_11use_defaultESE_EEEENSA_INSB_IlSD_SE_SE_EEEEZNS1_13binary_searchIS3_S5_PjSG_SI_NS1_21lower_bound_search_opENS9_16wrapped_functionI11custom_lessbEEEE10hipError_tPvRmT1_T2_T3_mmT4_T5_P12ihipStream_tbEUlRKjE_EESP_ST_SU_mSV_SY_bEUlT_E_NS1_11comp_targetILNS1_3genE9ELNS1_11target_archE1100ELNS1_3gpuE3ELNS1_3repE0EEENS1_30default_config_static_selectorELNS0_4arch9wavefront6targetE0EEEvSS_,"axG",@progbits,_ZN7rocprim17ROCPRIM_400000_NS6detail17trampoline_kernelINS0_14default_configENS1_27lower_bound_config_selectorIjlEEZNS1_14transform_implILb0ES3_S5_N6thrust23THRUST_200600_302600_NS6detail15normal_iteratorINS8_7pointerIjNS8_11hip_rocprim5par_tENS8_11use_defaultESE_EEEENSA_INSB_IlSD_SE_SE_EEEEZNS1_13binary_searchIS3_S5_PjSG_SI_NS1_21lower_bound_search_opENS9_16wrapped_functionI11custom_lessbEEEE10hipError_tPvRmT1_T2_T3_mmT4_T5_P12ihipStream_tbEUlRKjE_EESP_ST_SU_mSV_SY_bEUlT_E_NS1_11comp_targetILNS1_3genE9ELNS1_11target_archE1100ELNS1_3gpuE3ELNS1_3repE0EEENS1_30default_config_static_selectorELNS0_4arch9wavefront6targetE0EEEvSS_,comdat
.Lfunc_end71:
	.size	_ZN7rocprim17ROCPRIM_400000_NS6detail17trampoline_kernelINS0_14default_configENS1_27lower_bound_config_selectorIjlEEZNS1_14transform_implILb0ES3_S5_N6thrust23THRUST_200600_302600_NS6detail15normal_iteratorINS8_7pointerIjNS8_11hip_rocprim5par_tENS8_11use_defaultESE_EEEENSA_INSB_IlSD_SE_SE_EEEEZNS1_13binary_searchIS3_S5_PjSG_SI_NS1_21lower_bound_search_opENS9_16wrapped_functionI11custom_lessbEEEE10hipError_tPvRmT1_T2_T3_mmT4_T5_P12ihipStream_tbEUlRKjE_EESP_ST_SU_mSV_SY_bEUlT_E_NS1_11comp_targetILNS1_3genE9ELNS1_11target_archE1100ELNS1_3gpuE3ELNS1_3repE0EEENS1_30default_config_static_selectorELNS0_4arch9wavefront6targetE0EEEvSS_, .Lfunc_end71-_ZN7rocprim17ROCPRIM_400000_NS6detail17trampoline_kernelINS0_14default_configENS1_27lower_bound_config_selectorIjlEEZNS1_14transform_implILb0ES3_S5_N6thrust23THRUST_200600_302600_NS6detail15normal_iteratorINS8_7pointerIjNS8_11hip_rocprim5par_tENS8_11use_defaultESE_EEEENSA_INSB_IlSD_SE_SE_EEEEZNS1_13binary_searchIS3_S5_PjSG_SI_NS1_21lower_bound_search_opENS9_16wrapped_functionI11custom_lessbEEEE10hipError_tPvRmT1_T2_T3_mmT4_T5_P12ihipStream_tbEUlRKjE_EESP_ST_SU_mSV_SY_bEUlT_E_NS1_11comp_targetILNS1_3genE9ELNS1_11target_archE1100ELNS1_3gpuE3ELNS1_3repE0EEENS1_30default_config_static_selectorELNS0_4arch9wavefront6targetE0EEEvSS_
                                        ; -- End function
	.set _ZN7rocprim17ROCPRIM_400000_NS6detail17trampoline_kernelINS0_14default_configENS1_27lower_bound_config_selectorIjlEEZNS1_14transform_implILb0ES3_S5_N6thrust23THRUST_200600_302600_NS6detail15normal_iteratorINS8_7pointerIjNS8_11hip_rocprim5par_tENS8_11use_defaultESE_EEEENSA_INSB_IlSD_SE_SE_EEEEZNS1_13binary_searchIS3_S5_PjSG_SI_NS1_21lower_bound_search_opENS9_16wrapped_functionI11custom_lessbEEEE10hipError_tPvRmT1_T2_T3_mmT4_T5_P12ihipStream_tbEUlRKjE_EESP_ST_SU_mSV_SY_bEUlT_E_NS1_11comp_targetILNS1_3genE9ELNS1_11target_archE1100ELNS1_3gpuE3ELNS1_3repE0EEENS1_30default_config_static_selectorELNS0_4arch9wavefront6targetE0EEEvSS_.num_vgpr, 0
	.set _ZN7rocprim17ROCPRIM_400000_NS6detail17trampoline_kernelINS0_14default_configENS1_27lower_bound_config_selectorIjlEEZNS1_14transform_implILb0ES3_S5_N6thrust23THRUST_200600_302600_NS6detail15normal_iteratorINS8_7pointerIjNS8_11hip_rocprim5par_tENS8_11use_defaultESE_EEEENSA_INSB_IlSD_SE_SE_EEEEZNS1_13binary_searchIS3_S5_PjSG_SI_NS1_21lower_bound_search_opENS9_16wrapped_functionI11custom_lessbEEEE10hipError_tPvRmT1_T2_T3_mmT4_T5_P12ihipStream_tbEUlRKjE_EESP_ST_SU_mSV_SY_bEUlT_E_NS1_11comp_targetILNS1_3genE9ELNS1_11target_archE1100ELNS1_3gpuE3ELNS1_3repE0EEENS1_30default_config_static_selectorELNS0_4arch9wavefront6targetE0EEEvSS_.num_agpr, 0
	.set _ZN7rocprim17ROCPRIM_400000_NS6detail17trampoline_kernelINS0_14default_configENS1_27lower_bound_config_selectorIjlEEZNS1_14transform_implILb0ES3_S5_N6thrust23THRUST_200600_302600_NS6detail15normal_iteratorINS8_7pointerIjNS8_11hip_rocprim5par_tENS8_11use_defaultESE_EEEENSA_INSB_IlSD_SE_SE_EEEEZNS1_13binary_searchIS3_S5_PjSG_SI_NS1_21lower_bound_search_opENS9_16wrapped_functionI11custom_lessbEEEE10hipError_tPvRmT1_T2_T3_mmT4_T5_P12ihipStream_tbEUlRKjE_EESP_ST_SU_mSV_SY_bEUlT_E_NS1_11comp_targetILNS1_3genE9ELNS1_11target_archE1100ELNS1_3gpuE3ELNS1_3repE0EEENS1_30default_config_static_selectorELNS0_4arch9wavefront6targetE0EEEvSS_.numbered_sgpr, 0
	.set _ZN7rocprim17ROCPRIM_400000_NS6detail17trampoline_kernelINS0_14default_configENS1_27lower_bound_config_selectorIjlEEZNS1_14transform_implILb0ES3_S5_N6thrust23THRUST_200600_302600_NS6detail15normal_iteratorINS8_7pointerIjNS8_11hip_rocprim5par_tENS8_11use_defaultESE_EEEENSA_INSB_IlSD_SE_SE_EEEEZNS1_13binary_searchIS3_S5_PjSG_SI_NS1_21lower_bound_search_opENS9_16wrapped_functionI11custom_lessbEEEE10hipError_tPvRmT1_T2_T3_mmT4_T5_P12ihipStream_tbEUlRKjE_EESP_ST_SU_mSV_SY_bEUlT_E_NS1_11comp_targetILNS1_3genE9ELNS1_11target_archE1100ELNS1_3gpuE3ELNS1_3repE0EEENS1_30default_config_static_selectorELNS0_4arch9wavefront6targetE0EEEvSS_.num_named_barrier, 0
	.set _ZN7rocprim17ROCPRIM_400000_NS6detail17trampoline_kernelINS0_14default_configENS1_27lower_bound_config_selectorIjlEEZNS1_14transform_implILb0ES3_S5_N6thrust23THRUST_200600_302600_NS6detail15normal_iteratorINS8_7pointerIjNS8_11hip_rocprim5par_tENS8_11use_defaultESE_EEEENSA_INSB_IlSD_SE_SE_EEEEZNS1_13binary_searchIS3_S5_PjSG_SI_NS1_21lower_bound_search_opENS9_16wrapped_functionI11custom_lessbEEEE10hipError_tPvRmT1_T2_T3_mmT4_T5_P12ihipStream_tbEUlRKjE_EESP_ST_SU_mSV_SY_bEUlT_E_NS1_11comp_targetILNS1_3genE9ELNS1_11target_archE1100ELNS1_3gpuE3ELNS1_3repE0EEENS1_30default_config_static_selectorELNS0_4arch9wavefront6targetE0EEEvSS_.private_seg_size, 0
	.set _ZN7rocprim17ROCPRIM_400000_NS6detail17trampoline_kernelINS0_14default_configENS1_27lower_bound_config_selectorIjlEEZNS1_14transform_implILb0ES3_S5_N6thrust23THRUST_200600_302600_NS6detail15normal_iteratorINS8_7pointerIjNS8_11hip_rocprim5par_tENS8_11use_defaultESE_EEEENSA_INSB_IlSD_SE_SE_EEEEZNS1_13binary_searchIS3_S5_PjSG_SI_NS1_21lower_bound_search_opENS9_16wrapped_functionI11custom_lessbEEEE10hipError_tPvRmT1_T2_T3_mmT4_T5_P12ihipStream_tbEUlRKjE_EESP_ST_SU_mSV_SY_bEUlT_E_NS1_11comp_targetILNS1_3genE9ELNS1_11target_archE1100ELNS1_3gpuE3ELNS1_3repE0EEENS1_30default_config_static_selectorELNS0_4arch9wavefront6targetE0EEEvSS_.uses_vcc, 0
	.set _ZN7rocprim17ROCPRIM_400000_NS6detail17trampoline_kernelINS0_14default_configENS1_27lower_bound_config_selectorIjlEEZNS1_14transform_implILb0ES3_S5_N6thrust23THRUST_200600_302600_NS6detail15normal_iteratorINS8_7pointerIjNS8_11hip_rocprim5par_tENS8_11use_defaultESE_EEEENSA_INSB_IlSD_SE_SE_EEEEZNS1_13binary_searchIS3_S5_PjSG_SI_NS1_21lower_bound_search_opENS9_16wrapped_functionI11custom_lessbEEEE10hipError_tPvRmT1_T2_T3_mmT4_T5_P12ihipStream_tbEUlRKjE_EESP_ST_SU_mSV_SY_bEUlT_E_NS1_11comp_targetILNS1_3genE9ELNS1_11target_archE1100ELNS1_3gpuE3ELNS1_3repE0EEENS1_30default_config_static_selectorELNS0_4arch9wavefront6targetE0EEEvSS_.uses_flat_scratch, 0
	.set _ZN7rocprim17ROCPRIM_400000_NS6detail17trampoline_kernelINS0_14default_configENS1_27lower_bound_config_selectorIjlEEZNS1_14transform_implILb0ES3_S5_N6thrust23THRUST_200600_302600_NS6detail15normal_iteratorINS8_7pointerIjNS8_11hip_rocprim5par_tENS8_11use_defaultESE_EEEENSA_INSB_IlSD_SE_SE_EEEEZNS1_13binary_searchIS3_S5_PjSG_SI_NS1_21lower_bound_search_opENS9_16wrapped_functionI11custom_lessbEEEE10hipError_tPvRmT1_T2_T3_mmT4_T5_P12ihipStream_tbEUlRKjE_EESP_ST_SU_mSV_SY_bEUlT_E_NS1_11comp_targetILNS1_3genE9ELNS1_11target_archE1100ELNS1_3gpuE3ELNS1_3repE0EEENS1_30default_config_static_selectorELNS0_4arch9wavefront6targetE0EEEvSS_.has_dyn_sized_stack, 0
	.set _ZN7rocprim17ROCPRIM_400000_NS6detail17trampoline_kernelINS0_14default_configENS1_27lower_bound_config_selectorIjlEEZNS1_14transform_implILb0ES3_S5_N6thrust23THRUST_200600_302600_NS6detail15normal_iteratorINS8_7pointerIjNS8_11hip_rocprim5par_tENS8_11use_defaultESE_EEEENSA_INSB_IlSD_SE_SE_EEEEZNS1_13binary_searchIS3_S5_PjSG_SI_NS1_21lower_bound_search_opENS9_16wrapped_functionI11custom_lessbEEEE10hipError_tPvRmT1_T2_T3_mmT4_T5_P12ihipStream_tbEUlRKjE_EESP_ST_SU_mSV_SY_bEUlT_E_NS1_11comp_targetILNS1_3genE9ELNS1_11target_archE1100ELNS1_3gpuE3ELNS1_3repE0EEENS1_30default_config_static_selectorELNS0_4arch9wavefront6targetE0EEEvSS_.has_recursion, 0
	.set _ZN7rocprim17ROCPRIM_400000_NS6detail17trampoline_kernelINS0_14default_configENS1_27lower_bound_config_selectorIjlEEZNS1_14transform_implILb0ES3_S5_N6thrust23THRUST_200600_302600_NS6detail15normal_iteratorINS8_7pointerIjNS8_11hip_rocprim5par_tENS8_11use_defaultESE_EEEENSA_INSB_IlSD_SE_SE_EEEEZNS1_13binary_searchIS3_S5_PjSG_SI_NS1_21lower_bound_search_opENS9_16wrapped_functionI11custom_lessbEEEE10hipError_tPvRmT1_T2_T3_mmT4_T5_P12ihipStream_tbEUlRKjE_EESP_ST_SU_mSV_SY_bEUlT_E_NS1_11comp_targetILNS1_3genE9ELNS1_11target_archE1100ELNS1_3gpuE3ELNS1_3repE0EEENS1_30default_config_static_selectorELNS0_4arch9wavefront6targetE0EEEvSS_.has_indirect_call, 0
	.section	.AMDGPU.csdata,"",@progbits
; Kernel info:
; codeLenInByte = 0
; TotalNumSgprs: 0
; NumVgprs: 0
; ScratchSize: 0
; MemoryBound: 0
; FloatMode: 240
; IeeeMode: 1
; LDSByteSize: 0 bytes/workgroup (compile time only)
; SGPRBlocks: 0
; VGPRBlocks: 0
; NumSGPRsForWavesPerEU: 1
; NumVGPRsForWavesPerEU: 1
; Occupancy: 16
; WaveLimiterHint : 0
; COMPUTE_PGM_RSRC2:SCRATCH_EN: 0
; COMPUTE_PGM_RSRC2:USER_SGPR: 6
; COMPUTE_PGM_RSRC2:TRAP_HANDLER: 0
; COMPUTE_PGM_RSRC2:TGID_X_EN: 1
; COMPUTE_PGM_RSRC2:TGID_Y_EN: 0
; COMPUTE_PGM_RSRC2:TGID_Z_EN: 0
; COMPUTE_PGM_RSRC2:TIDIG_COMP_CNT: 0
	.section	.text._ZN7rocprim17ROCPRIM_400000_NS6detail17trampoline_kernelINS0_14default_configENS1_27lower_bound_config_selectorIjlEEZNS1_14transform_implILb0ES3_S5_N6thrust23THRUST_200600_302600_NS6detail15normal_iteratorINS8_7pointerIjNS8_11hip_rocprim5par_tENS8_11use_defaultESE_EEEENSA_INSB_IlSD_SE_SE_EEEEZNS1_13binary_searchIS3_S5_PjSG_SI_NS1_21lower_bound_search_opENS9_16wrapped_functionI11custom_lessbEEEE10hipError_tPvRmT1_T2_T3_mmT4_T5_P12ihipStream_tbEUlRKjE_EESP_ST_SU_mSV_SY_bEUlT_E_NS1_11comp_targetILNS1_3genE8ELNS1_11target_archE1030ELNS1_3gpuE2ELNS1_3repE0EEENS1_30default_config_static_selectorELNS0_4arch9wavefront6targetE0EEEvSS_,"axG",@progbits,_ZN7rocprim17ROCPRIM_400000_NS6detail17trampoline_kernelINS0_14default_configENS1_27lower_bound_config_selectorIjlEEZNS1_14transform_implILb0ES3_S5_N6thrust23THRUST_200600_302600_NS6detail15normal_iteratorINS8_7pointerIjNS8_11hip_rocprim5par_tENS8_11use_defaultESE_EEEENSA_INSB_IlSD_SE_SE_EEEEZNS1_13binary_searchIS3_S5_PjSG_SI_NS1_21lower_bound_search_opENS9_16wrapped_functionI11custom_lessbEEEE10hipError_tPvRmT1_T2_T3_mmT4_T5_P12ihipStream_tbEUlRKjE_EESP_ST_SU_mSV_SY_bEUlT_E_NS1_11comp_targetILNS1_3genE8ELNS1_11target_archE1030ELNS1_3gpuE2ELNS1_3repE0EEENS1_30default_config_static_selectorELNS0_4arch9wavefront6targetE0EEEvSS_,comdat
	.protected	_ZN7rocprim17ROCPRIM_400000_NS6detail17trampoline_kernelINS0_14default_configENS1_27lower_bound_config_selectorIjlEEZNS1_14transform_implILb0ES3_S5_N6thrust23THRUST_200600_302600_NS6detail15normal_iteratorINS8_7pointerIjNS8_11hip_rocprim5par_tENS8_11use_defaultESE_EEEENSA_INSB_IlSD_SE_SE_EEEEZNS1_13binary_searchIS3_S5_PjSG_SI_NS1_21lower_bound_search_opENS9_16wrapped_functionI11custom_lessbEEEE10hipError_tPvRmT1_T2_T3_mmT4_T5_P12ihipStream_tbEUlRKjE_EESP_ST_SU_mSV_SY_bEUlT_E_NS1_11comp_targetILNS1_3genE8ELNS1_11target_archE1030ELNS1_3gpuE2ELNS1_3repE0EEENS1_30default_config_static_selectorELNS0_4arch9wavefront6targetE0EEEvSS_ ; -- Begin function _ZN7rocprim17ROCPRIM_400000_NS6detail17trampoline_kernelINS0_14default_configENS1_27lower_bound_config_selectorIjlEEZNS1_14transform_implILb0ES3_S5_N6thrust23THRUST_200600_302600_NS6detail15normal_iteratorINS8_7pointerIjNS8_11hip_rocprim5par_tENS8_11use_defaultESE_EEEENSA_INSB_IlSD_SE_SE_EEEEZNS1_13binary_searchIS3_S5_PjSG_SI_NS1_21lower_bound_search_opENS9_16wrapped_functionI11custom_lessbEEEE10hipError_tPvRmT1_T2_T3_mmT4_T5_P12ihipStream_tbEUlRKjE_EESP_ST_SU_mSV_SY_bEUlT_E_NS1_11comp_targetILNS1_3genE8ELNS1_11target_archE1030ELNS1_3gpuE2ELNS1_3repE0EEENS1_30default_config_static_selectorELNS0_4arch9wavefront6targetE0EEEvSS_
	.globl	_ZN7rocprim17ROCPRIM_400000_NS6detail17trampoline_kernelINS0_14default_configENS1_27lower_bound_config_selectorIjlEEZNS1_14transform_implILb0ES3_S5_N6thrust23THRUST_200600_302600_NS6detail15normal_iteratorINS8_7pointerIjNS8_11hip_rocprim5par_tENS8_11use_defaultESE_EEEENSA_INSB_IlSD_SE_SE_EEEEZNS1_13binary_searchIS3_S5_PjSG_SI_NS1_21lower_bound_search_opENS9_16wrapped_functionI11custom_lessbEEEE10hipError_tPvRmT1_T2_T3_mmT4_T5_P12ihipStream_tbEUlRKjE_EESP_ST_SU_mSV_SY_bEUlT_E_NS1_11comp_targetILNS1_3genE8ELNS1_11target_archE1030ELNS1_3gpuE2ELNS1_3repE0EEENS1_30default_config_static_selectorELNS0_4arch9wavefront6targetE0EEEvSS_
	.p2align	8
	.type	_ZN7rocprim17ROCPRIM_400000_NS6detail17trampoline_kernelINS0_14default_configENS1_27lower_bound_config_selectorIjlEEZNS1_14transform_implILb0ES3_S5_N6thrust23THRUST_200600_302600_NS6detail15normal_iteratorINS8_7pointerIjNS8_11hip_rocprim5par_tENS8_11use_defaultESE_EEEENSA_INSB_IlSD_SE_SE_EEEEZNS1_13binary_searchIS3_S5_PjSG_SI_NS1_21lower_bound_search_opENS9_16wrapped_functionI11custom_lessbEEEE10hipError_tPvRmT1_T2_T3_mmT4_T5_P12ihipStream_tbEUlRKjE_EESP_ST_SU_mSV_SY_bEUlT_E_NS1_11comp_targetILNS1_3genE8ELNS1_11target_archE1030ELNS1_3gpuE2ELNS1_3repE0EEENS1_30default_config_static_selectorELNS0_4arch9wavefront6targetE0EEEvSS_,@function
_ZN7rocprim17ROCPRIM_400000_NS6detail17trampoline_kernelINS0_14default_configENS1_27lower_bound_config_selectorIjlEEZNS1_14transform_implILb0ES3_S5_N6thrust23THRUST_200600_302600_NS6detail15normal_iteratorINS8_7pointerIjNS8_11hip_rocprim5par_tENS8_11use_defaultESE_EEEENSA_INSB_IlSD_SE_SE_EEEEZNS1_13binary_searchIS3_S5_PjSG_SI_NS1_21lower_bound_search_opENS9_16wrapped_functionI11custom_lessbEEEE10hipError_tPvRmT1_T2_T3_mmT4_T5_P12ihipStream_tbEUlRKjE_EESP_ST_SU_mSV_SY_bEUlT_E_NS1_11comp_targetILNS1_3genE8ELNS1_11target_archE1030ELNS1_3gpuE2ELNS1_3repE0EEENS1_30default_config_static_selectorELNS0_4arch9wavefront6targetE0EEEvSS_: ; @_ZN7rocprim17ROCPRIM_400000_NS6detail17trampoline_kernelINS0_14default_configENS1_27lower_bound_config_selectorIjlEEZNS1_14transform_implILb0ES3_S5_N6thrust23THRUST_200600_302600_NS6detail15normal_iteratorINS8_7pointerIjNS8_11hip_rocprim5par_tENS8_11use_defaultESE_EEEENSA_INSB_IlSD_SE_SE_EEEEZNS1_13binary_searchIS3_S5_PjSG_SI_NS1_21lower_bound_search_opENS9_16wrapped_functionI11custom_lessbEEEE10hipError_tPvRmT1_T2_T3_mmT4_T5_P12ihipStream_tbEUlRKjE_EESP_ST_SU_mSV_SY_bEUlT_E_NS1_11comp_targetILNS1_3genE8ELNS1_11target_archE1030ELNS1_3gpuE2ELNS1_3repE0EEENS1_30default_config_static_selectorELNS0_4arch9wavefront6targetE0EEEvSS_
; %bb.0:
	s_clause 0x3
	s_load_dwordx4 s[12:15], s[4:5], 0x0
	s_load_dwordx4 s[0:3], s[4:5], 0x18
	s_load_dword s16, s[4:5], 0x38
	s_load_dwordx2 s[10:11], s[4:5], 0x28
	s_waitcnt lgkmcnt(0)
	s_lshl_b64 s[8:9], s[14:15], 2
	s_add_u32 s12, s12, s8
	s_addc_u32 s13, s13, s9
	s_lshl_b64 s[8:9], s[14:15], 3
	s_add_u32 s7, s0, s8
	s_addc_u32 s1, s1, s9
	s_add_i32 s16, s16, -1
	s_lshl_b32 s8, s6, 8
	s_mov_b32 s9, 0
	s_cmp_lg_u32 s6, s16
	s_mov_b32 s0, -1
	s_cbranch_scc0 .LBB72_7
; %bb.1:
	s_cmp_eq_u64 s[10:11], 0
	s_cbranch_scc1 .LBB72_5
; %bb.2:
	v_lshlrev_b32_e32 v1, 2, v0
	s_lshl_b64 s[14:15], s[8:9], 2
	v_mov_b32_e32 v3, s10
	s_add_u32 s0, s12, s14
	s_addc_u32 s6, s13, s15
	v_add_co_u32 v1, s0, s0, v1
	v_add_co_ci_u32_e64 v2, null, s6, 0, s0
	v_mov_b32_e32 v4, s11
	s_mov_b32 s0, 0
	flat_load_dword v5, v[1:2]
	v_mov_b32_e32 v1, 0
	v_mov_b32_e32 v2, 0
	s_inst_prefetch 0x1
	.p2align	6
.LBB72_3:                               ; =>This Inner Loop Header: Depth=1
	v_sub_co_u32 v6, vcc_lo, v3, v1
	v_sub_co_ci_u32_e64 v7, null, v4, v2, vcc_lo
	v_lshrrev_b64 v[8:9], 1, v[6:7]
	v_lshrrev_b64 v[6:7], 6, v[6:7]
	v_add_co_u32 v8, vcc_lo, v8, v1
	v_add_co_ci_u32_e64 v9, null, v9, v2, vcc_lo
	v_add_co_u32 v6, vcc_lo, v8, v6
	v_add_co_ci_u32_e64 v7, null, v9, v7, vcc_lo
	v_lshlrev_b64 v[8:9], 2, v[6:7]
	v_add_co_u32 v8, vcc_lo, s2, v8
	v_add_co_ci_u32_e64 v9, null, s3, v9, vcc_lo
	global_load_dword v8, v[8:9], off
	v_add_co_u32 v9, vcc_lo, v6, 1
	v_add_co_ci_u32_e64 v10, null, 0, v7, vcc_lo
	s_waitcnt vmcnt(0) lgkmcnt(0)
	v_cmp_lt_u32_e32 vcc_lo, v8, v5
	v_cndmask_b32_e32 v4, v7, v4, vcc_lo
	v_cndmask_b32_e32 v3, v6, v3, vcc_lo
	v_cndmask_b32_e32 v2, v2, v10, vcc_lo
	v_cndmask_b32_e32 v1, v1, v9, vcc_lo
	v_cmp_ge_u64_e32 vcc_lo, v[1:2], v[3:4]
	s_or_b32 s0, vcc_lo, s0
	s_andn2_b32 exec_lo, exec_lo, s0
	s_cbranch_execnz .LBB72_3
; %bb.4:
	s_inst_prefetch 0x2
	s_or_b32 exec_lo, exec_lo, s0
	s_branch .LBB72_6
.LBB72_5:
	v_mov_b32_e32 v1, 0
	v_mov_b32_e32 v2, 0
.LBB72_6:
	v_lshlrev_b32_e32 v3, 3, v0
	s_lshl_b64 s[14:15], s[8:9], 3
	s_add_u32 s0, s7, s14
	s_addc_u32 s6, s1, s15
	v_add_co_u32 v3, s0, s0, v3
	v_add_co_ci_u32_e64 v4, null, s6, 0, s0
	s_mov_b32 s0, 0
	flat_store_dwordx2 v[3:4], v[1:2]
.LBB72_7:
	s_and_b32 vcc_lo, exec_lo, s0
	s_cbranch_vccz .LBB72_16
; %bb.8:
	s_load_dword s0, s[4:5], 0x10
                                        ; implicit-def: $vgpr5
	s_waitcnt lgkmcnt(0)
	s_sub_i32 s4, s0, s8
	v_cmp_le_u32_e64 s0, s4, v0
	v_cmp_gt_u32_e32 vcc_lo, s4, v0
	s_and_saveexec_b32 s4, vcc_lo
	s_cbranch_execz .LBB72_10
; %bb.9:
	v_lshlrev_b32_e32 v1, 2, v0
	s_lshl_b64 s[14:15], s[8:9], 2
	s_add_u32 s5, s12, s14
	s_addc_u32 s6, s13, s15
	v_add_co_u32 v1, s5, s5, v1
	v_add_co_ci_u32_e64 v2, null, s6, 0, s5
	flat_load_dword v5, v[1:2]
.LBB72_10:
	s_or_b32 exec_lo, exec_lo, s4
	s_cmp_lg_u64 s[10:11], 0
	v_mov_b32_e32 v1, 0
	v_mov_b32_e32 v2, 0
	s_cselect_b32 s4, -1, 0
	s_xor_b32 s0, s0, -1
	s_and_b32 s0, s0, s4
	s_and_saveexec_b32 s4, s0
	s_cbranch_execz .LBB72_14
; %bb.11:
	v_mov_b32_e32 v1, 0
	v_mov_b32_e32 v3, s10
	;; [unrolled: 1-line block ×4, first 2 shown]
	s_mov_b32 s5, 0
	s_inst_prefetch 0x1
	.p2align	6
.LBB72_12:                              ; =>This Inner Loop Header: Depth=1
	v_sub_co_u32 v6, s0, v3, v1
	v_sub_co_ci_u32_e64 v7, null, v4, v2, s0
	v_lshrrev_b64 v[8:9], 1, v[6:7]
	v_lshrrev_b64 v[6:7], 6, v[6:7]
	v_add_co_u32 v8, s0, v8, v1
	v_add_co_ci_u32_e64 v9, null, v9, v2, s0
	v_add_co_u32 v6, s0, v8, v6
	v_add_co_ci_u32_e64 v7, null, v9, v7, s0
	v_lshlrev_b64 v[8:9], 2, v[6:7]
	v_add_co_u32 v8, s0, s2, v8
	v_add_co_ci_u32_e64 v9, null, s3, v9, s0
	global_load_dword v8, v[8:9], off
	v_add_co_u32 v9, s0, v6, 1
	v_add_co_ci_u32_e64 v10, null, 0, v7, s0
	s_waitcnt vmcnt(0) lgkmcnt(0)
	v_cmp_lt_u32_e64 s0, v8, v5
	v_cndmask_b32_e64 v4, v7, v4, s0
	v_cndmask_b32_e64 v3, v6, v3, s0
	;; [unrolled: 1-line block ×4, first 2 shown]
	v_cmp_ge_u64_e64 s0, v[1:2], v[3:4]
	s_or_b32 s5, s0, s5
	s_andn2_b32 exec_lo, exec_lo, s5
	s_cbranch_execnz .LBB72_12
; %bb.13:
	s_inst_prefetch 0x2
	s_or_b32 exec_lo, exec_lo, s5
.LBB72_14:
	s_or_b32 exec_lo, exec_lo, s4
	s_and_saveexec_b32 s0, vcc_lo
	s_cbranch_execz .LBB72_16
; %bb.15:
	v_lshlrev_b32_e32 v0, 3, v0
	s_lshl_b64 s[2:3], s[8:9], 3
	s_add_u32 s0, s7, s2
	s_addc_u32 s1, s1, s3
	v_add_co_u32 v3, s0, s0, v0
	v_add_co_ci_u32_e64 v4, null, s1, 0, s0
	flat_store_dwordx2 v[3:4], v[1:2]
.LBB72_16:
	s_endpgm
	.section	.rodata,"a",@progbits
	.p2align	6, 0x0
	.amdhsa_kernel _ZN7rocprim17ROCPRIM_400000_NS6detail17trampoline_kernelINS0_14default_configENS1_27lower_bound_config_selectorIjlEEZNS1_14transform_implILb0ES3_S5_N6thrust23THRUST_200600_302600_NS6detail15normal_iteratorINS8_7pointerIjNS8_11hip_rocprim5par_tENS8_11use_defaultESE_EEEENSA_INSB_IlSD_SE_SE_EEEEZNS1_13binary_searchIS3_S5_PjSG_SI_NS1_21lower_bound_search_opENS9_16wrapped_functionI11custom_lessbEEEE10hipError_tPvRmT1_T2_T3_mmT4_T5_P12ihipStream_tbEUlRKjE_EESP_ST_SU_mSV_SY_bEUlT_E_NS1_11comp_targetILNS1_3genE8ELNS1_11target_archE1030ELNS1_3gpuE2ELNS1_3repE0EEENS1_30default_config_static_selectorELNS0_4arch9wavefront6targetE0EEEvSS_
		.amdhsa_group_segment_fixed_size 0
		.amdhsa_private_segment_fixed_size 0
		.amdhsa_kernarg_size 312
		.amdhsa_user_sgpr_count 6
		.amdhsa_user_sgpr_private_segment_buffer 1
		.amdhsa_user_sgpr_dispatch_ptr 0
		.amdhsa_user_sgpr_queue_ptr 0
		.amdhsa_user_sgpr_kernarg_segment_ptr 1
		.amdhsa_user_sgpr_dispatch_id 0
		.amdhsa_user_sgpr_flat_scratch_init 0
		.amdhsa_user_sgpr_private_segment_size 0
		.amdhsa_wavefront_size32 1
		.amdhsa_uses_dynamic_stack 0
		.amdhsa_system_sgpr_private_segment_wavefront_offset 0
		.amdhsa_system_sgpr_workgroup_id_x 1
		.amdhsa_system_sgpr_workgroup_id_y 0
		.amdhsa_system_sgpr_workgroup_id_z 0
		.amdhsa_system_sgpr_workgroup_info 0
		.amdhsa_system_vgpr_workitem_id 0
		.amdhsa_next_free_vgpr 11
		.amdhsa_next_free_sgpr 17
		.amdhsa_reserve_vcc 1
		.amdhsa_reserve_flat_scratch 0
		.amdhsa_float_round_mode_32 0
		.amdhsa_float_round_mode_16_64 0
		.amdhsa_float_denorm_mode_32 3
		.amdhsa_float_denorm_mode_16_64 3
		.amdhsa_dx10_clamp 1
		.amdhsa_ieee_mode 1
		.amdhsa_fp16_overflow 0
		.amdhsa_workgroup_processor_mode 1
		.amdhsa_memory_ordered 1
		.amdhsa_forward_progress 1
		.amdhsa_shared_vgpr_count 0
		.amdhsa_exception_fp_ieee_invalid_op 0
		.amdhsa_exception_fp_denorm_src 0
		.amdhsa_exception_fp_ieee_div_zero 0
		.amdhsa_exception_fp_ieee_overflow 0
		.amdhsa_exception_fp_ieee_underflow 0
		.amdhsa_exception_fp_ieee_inexact 0
		.amdhsa_exception_int_div_zero 0
	.end_amdhsa_kernel
	.section	.text._ZN7rocprim17ROCPRIM_400000_NS6detail17trampoline_kernelINS0_14default_configENS1_27lower_bound_config_selectorIjlEEZNS1_14transform_implILb0ES3_S5_N6thrust23THRUST_200600_302600_NS6detail15normal_iteratorINS8_7pointerIjNS8_11hip_rocprim5par_tENS8_11use_defaultESE_EEEENSA_INSB_IlSD_SE_SE_EEEEZNS1_13binary_searchIS3_S5_PjSG_SI_NS1_21lower_bound_search_opENS9_16wrapped_functionI11custom_lessbEEEE10hipError_tPvRmT1_T2_T3_mmT4_T5_P12ihipStream_tbEUlRKjE_EESP_ST_SU_mSV_SY_bEUlT_E_NS1_11comp_targetILNS1_3genE8ELNS1_11target_archE1030ELNS1_3gpuE2ELNS1_3repE0EEENS1_30default_config_static_selectorELNS0_4arch9wavefront6targetE0EEEvSS_,"axG",@progbits,_ZN7rocprim17ROCPRIM_400000_NS6detail17trampoline_kernelINS0_14default_configENS1_27lower_bound_config_selectorIjlEEZNS1_14transform_implILb0ES3_S5_N6thrust23THRUST_200600_302600_NS6detail15normal_iteratorINS8_7pointerIjNS8_11hip_rocprim5par_tENS8_11use_defaultESE_EEEENSA_INSB_IlSD_SE_SE_EEEEZNS1_13binary_searchIS3_S5_PjSG_SI_NS1_21lower_bound_search_opENS9_16wrapped_functionI11custom_lessbEEEE10hipError_tPvRmT1_T2_T3_mmT4_T5_P12ihipStream_tbEUlRKjE_EESP_ST_SU_mSV_SY_bEUlT_E_NS1_11comp_targetILNS1_3genE8ELNS1_11target_archE1030ELNS1_3gpuE2ELNS1_3repE0EEENS1_30default_config_static_selectorELNS0_4arch9wavefront6targetE0EEEvSS_,comdat
.Lfunc_end72:
	.size	_ZN7rocprim17ROCPRIM_400000_NS6detail17trampoline_kernelINS0_14default_configENS1_27lower_bound_config_selectorIjlEEZNS1_14transform_implILb0ES3_S5_N6thrust23THRUST_200600_302600_NS6detail15normal_iteratorINS8_7pointerIjNS8_11hip_rocprim5par_tENS8_11use_defaultESE_EEEENSA_INSB_IlSD_SE_SE_EEEEZNS1_13binary_searchIS3_S5_PjSG_SI_NS1_21lower_bound_search_opENS9_16wrapped_functionI11custom_lessbEEEE10hipError_tPvRmT1_T2_T3_mmT4_T5_P12ihipStream_tbEUlRKjE_EESP_ST_SU_mSV_SY_bEUlT_E_NS1_11comp_targetILNS1_3genE8ELNS1_11target_archE1030ELNS1_3gpuE2ELNS1_3repE0EEENS1_30default_config_static_selectorELNS0_4arch9wavefront6targetE0EEEvSS_, .Lfunc_end72-_ZN7rocprim17ROCPRIM_400000_NS6detail17trampoline_kernelINS0_14default_configENS1_27lower_bound_config_selectorIjlEEZNS1_14transform_implILb0ES3_S5_N6thrust23THRUST_200600_302600_NS6detail15normal_iteratorINS8_7pointerIjNS8_11hip_rocprim5par_tENS8_11use_defaultESE_EEEENSA_INSB_IlSD_SE_SE_EEEEZNS1_13binary_searchIS3_S5_PjSG_SI_NS1_21lower_bound_search_opENS9_16wrapped_functionI11custom_lessbEEEE10hipError_tPvRmT1_T2_T3_mmT4_T5_P12ihipStream_tbEUlRKjE_EESP_ST_SU_mSV_SY_bEUlT_E_NS1_11comp_targetILNS1_3genE8ELNS1_11target_archE1030ELNS1_3gpuE2ELNS1_3repE0EEENS1_30default_config_static_selectorELNS0_4arch9wavefront6targetE0EEEvSS_
                                        ; -- End function
	.set _ZN7rocprim17ROCPRIM_400000_NS6detail17trampoline_kernelINS0_14default_configENS1_27lower_bound_config_selectorIjlEEZNS1_14transform_implILb0ES3_S5_N6thrust23THRUST_200600_302600_NS6detail15normal_iteratorINS8_7pointerIjNS8_11hip_rocprim5par_tENS8_11use_defaultESE_EEEENSA_INSB_IlSD_SE_SE_EEEEZNS1_13binary_searchIS3_S5_PjSG_SI_NS1_21lower_bound_search_opENS9_16wrapped_functionI11custom_lessbEEEE10hipError_tPvRmT1_T2_T3_mmT4_T5_P12ihipStream_tbEUlRKjE_EESP_ST_SU_mSV_SY_bEUlT_E_NS1_11comp_targetILNS1_3genE8ELNS1_11target_archE1030ELNS1_3gpuE2ELNS1_3repE0EEENS1_30default_config_static_selectorELNS0_4arch9wavefront6targetE0EEEvSS_.num_vgpr, 11
	.set _ZN7rocprim17ROCPRIM_400000_NS6detail17trampoline_kernelINS0_14default_configENS1_27lower_bound_config_selectorIjlEEZNS1_14transform_implILb0ES3_S5_N6thrust23THRUST_200600_302600_NS6detail15normal_iteratorINS8_7pointerIjNS8_11hip_rocprim5par_tENS8_11use_defaultESE_EEEENSA_INSB_IlSD_SE_SE_EEEEZNS1_13binary_searchIS3_S5_PjSG_SI_NS1_21lower_bound_search_opENS9_16wrapped_functionI11custom_lessbEEEE10hipError_tPvRmT1_T2_T3_mmT4_T5_P12ihipStream_tbEUlRKjE_EESP_ST_SU_mSV_SY_bEUlT_E_NS1_11comp_targetILNS1_3genE8ELNS1_11target_archE1030ELNS1_3gpuE2ELNS1_3repE0EEENS1_30default_config_static_selectorELNS0_4arch9wavefront6targetE0EEEvSS_.num_agpr, 0
	.set _ZN7rocprim17ROCPRIM_400000_NS6detail17trampoline_kernelINS0_14default_configENS1_27lower_bound_config_selectorIjlEEZNS1_14transform_implILb0ES3_S5_N6thrust23THRUST_200600_302600_NS6detail15normal_iteratorINS8_7pointerIjNS8_11hip_rocprim5par_tENS8_11use_defaultESE_EEEENSA_INSB_IlSD_SE_SE_EEEEZNS1_13binary_searchIS3_S5_PjSG_SI_NS1_21lower_bound_search_opENS9_16wrapped_functionI11custom_lessbEEEE10hipError_tPvRmT1_T2_T3_mmT4_T5_P12ihipStream_tbEUlRKjE_EESP_ST_SU_mSV_SY_bEUlT_E_NS1_11comp_targetILNS1_3genE8ELNS1_11target_archE1030ELNS1_3gpuE2ELNS1_3repE0EEENS1_30default_config_static_selectorELNS0_4arch9wavefront6targetE0EEEvSS_.numbered_sgpr, 17
	.set _ZN7rocprim17ROCPRIM_400000_NS6detail17trampoline_kernelINS0_14default_configENS1_27lower_bound_config_selectorIjlEEZNS1_14transform_implILb0ES3_S5_N6thrust23THRUST_200600_302600_NS6detail15normal_iteratorINS8_7pointerIjNS8_11hip_rocprim5par_tENS8_11use_defaultESE_EEEENSA_INSB_IlSD_SE_SE_EEEEZNS1_13binary_searchIS3_S5_PjSG_SI_NS1_21lower_bound_search_opENS9_16wrapped_functionI11custom_lessbEEEE10hipError_tPvRmT1_T2_T3_mmT4_T5_P12ihipStream_tbEUlRKjE_EESP_ST_SU_mSV_SY_bEUlT_E_NS1_11comp_targetILNS1_3genE8ELNS1_11target_archE1030ELNS1_3gpuE2ELNS1_3repE0EEENS1_30default_config_static_selectorELNS0_4arch9wavefront6targetE0EEEvSS_.num_named_barrier, 0
	.set _ZN7rocprim17ROCPRIM_400000_NS6detail17trampoline_kernelINS0_14default_configENS1_27lower_bound_config_selectorIjlEEZNS1_14transform_implILb0ES3_S5_N6thrust23THRUST_200600_302600_NS6detail15normal_iteratorINS8_7pointerIjNS8_11hip_rocprim5par_tENS8_11use_defaultESE_EEEENSA_INSB_IlSD_SE_SE_EEEEZNS1_13binary_searchIS3_S5_PjSG_SI_NS1_21lower_bound_search_opENS9_16wrapped_functionI11custom_lessbEEEE10hipError_tPvRmT1_T2_T3_mmT4_T5_P12ihipStream_tbEUlRKjE_EESP_ST_SU_mSV_SY_bEUlT_E_NS1_11comp_targetILNS1_3genE8ELNS1_11target_archE1030ELNS1_3gpuE2ELNS1_3repE0EEENS1_30default_config_static_selectorELNS0_4arch9wavefront6targetE0EEEvSS_.private_seg_size, 0
	.set _ZN7rocprim17ROCPRIM_400000_NS6detail17trampoline_kernelINS0_14default_configENS1_27lower_bound_config_selectorIjlEEZNS1_14transform_implILb0ES3_S5_N6thrust23THRUST_200600_302600_NS6detail15normal_iteratorINS8_7pointerIjNS8_11hip_rocprim5par_tENS8_11use_defaultESE_EEEENSA_INSB_IlSD_SE_SE_EEEEZNS1_13binary_searchIS3_S5_PjSG_SI_NS1_21lower_bound_search_opENS9_16wrapped_functionI11custom_lessbEEEE10hipError_tPvRmT1_T2_T3_mmT4_T5_P12ihipStream_tbEUlRKjE_EESP_ST_SU_mSV_SY_bEUlT_E_NS1_11comp_targetILNS1_3genE8ELNS1_11target_archE1030ELNS1_3gpuE2ELNS1_3repE0EEENS1_30default_config_static_selectorELNS0_4arch9wavefront6targetE0EEEvSS_.uses_vcc, 1
	.set _ZN7rocprim17ROCPRIM_400000_NS6detail17trampoline_kernelINS0_14default_configENS1_27lower_bound_config_selectorIjlEEZNS1_14transform_implILb0ES3_S5_N6thrust23THRUST_200600_302600_NS6detail15normal_iteratorINS8_7pointerIjNS8_11hip_rocprim5par_tENS8_11use_defaultESE_EEEENSA_INSB_IlSD_SE_SE_EEEEZNS1_13binary_searchIS3_S5_PjSG_SI_NS1_21lower_bound_search_opENS9_16wrapped_functionI11custom_lessbEEEE10hipError_tPvRmT1_T2_T3_mmT4_T5_P12ihipStream_tbEUlRKjE_EESP_ST_SU_mSV_SY_bEUlT_E_NS1_11comp_targetILNS1_3genE8ELNS1_11target_archE1030ELNS1_3gpuE2ELNS1_3repE0EEENS1_30default_config_static_selectorELNS0_4arch9wavefront6targetE0EEEvSS_.uses_flat_scratch, 0
	.set _ZN7rocprim17ROCPRIM_400000_NS6detail17trampoline_kernelINS0_14default_configENS1_27lower_bound_config_selectorIjlEEZNS1_14transform_implILb0ES3_S5_N6thrust23THRUST_200600_302600_NS6detail15normal_iteratorINS8_7pointerIjNS8_11hip_rocprim5par_tENS8_11use_defaultESE_EEEENSA_INSB_IlSD_SE_SE_EEEEZNS1_13binary_searchIS3_S5_PjSG_SI_NS1_21lower_bound_search_opENS9_16wrapped_functionI11custom_lessbEEEE10hipError_tPvRmT1_T2_T3_mmT4_T5_P12ihipStream_tbEUlRKjE_EESP_ST_SU_mSV_SY_bEUlT_E_NS1_11comp_targetILNS1_3genE8ELNS1_11target_archE1030ELNS1_3gpuE2ELNS1_3repE0EEENS1_30default_config_static_selectorELNS0_4arch9wavefront6targetE0EEEvSS_.has_dyn_sized_stack, 0
	.set _ZN7rocprim17ROCPRIM_400000_NS6detail17trampoline_kernelINS0_14default_configENS1_27lower_bound_config_selectorIjlEEZNS1_14transform_implILb0ES3_S5_N6thrust23THRUST_200600_302600_NS6detail15normal_iteratorINS8_7pointerIjNS8_11hip_rocprim5par_tENS8_11use_defaultESE_EEEENSA_INSB_IlSD_SE_SE_EEEEZNS1_13binary_searchIS3_S5_PjSG_SI_NS1_21lower_bound_search_opENS9_16wrapped_functionI11custom_lessbEEEE10hipError_tPvRmT1_T2_T3_mmT4_T5_P12ihipStream_tbEUlRKjE_EESP_ST_SU_mSV_SY_bEUlT_E_NS1_11comp_targetILNS1_3genE8ELNS1_11target_archE1030ELNS1_3gpuE2ELNS1_3repE0EEENS1_30default_config_static_selectorELNS0_4arch9wavefront6targetE0EEEvSS_.has_recursion, 0
	.set _ZN7rocprim17ROCPRIM_400000_NS6detail17trampoline_kernelINS0_14default_configENS1_27lower_bound_config_selectorIjlEEZNS1_14transform_implILb0ES3_S5_N6thrust23THRUST_200600_302600_NS6detail15normal_iteratorINS8_7pointerIjNS8_11hip_rocprim5par_tENS8_11use_defaultESE_EEEENSA_INSB_IlSD_SE_SE_EEEEZNS1_13binary_searchIS3_S5_PjSG_SI_NS1_21lower_bound_search_opENS9_16wrapped_functionI11custom_lessbEEEE10hipError_tPvRmT1_T2_T3_mmT4_T5_P12ihipStream_tbEUlRKjE_EESP_ST_SU_mSV_SY_bEUlT_E_NS1_11comp_targetILNS1_3genE8ELNS1_11target_archE1030ELNS1_3gpuE2ELNS1_3repE0EEENS1_30default_config_static_selectorELNS0_4arch9wavefront6targetE0EEEvSS_.has_indirect_call, 0
	.section	.AMDGPU.csdata,"",@progbits
; Kernel info:
; codeLenInByte = 816
; TotalNumSgprs: 19
; NumVgprs: 11
; ScratchSize: 0
; MemoryBound: 0
; FloatMode: 240
; IeeeMode: 1
; LDSByteSize: 0 bytes/workgroup (compile time only)
; SGPRBlocks: 0
; VGPRBlocks: 1
; NumSGPRsForWavesPerEU: 19
; NumVGPRsForWavesPerEU: 11
; Occupancy: 16
; WaveLimiterHint : 0
; COMPUTE_PGM_RSRC2:SCRATCH_EN: 0
; COMPUTE_PGM_RSRC2:USER_SGPR: 6
; COMPUTE_PGM_RSRC2:TRAP_HANDLER: 0
; COMPUTE_PGM_RSRC2:TGID_X_EN: 1
; COMPUTE_PGM_RSRC2:TGID_Y_EN: 0
; COMPUTE_PGM_RSRC2:TGID_Z_EN: 0
; COMPUTE_PGM_RSRC2:TIDIG_COMP_CNT: 0
	.section	.text._ZN7rocprim17ROCPRIM_400000_NS6detail17trampoline_kernelINS0_14default_configENS1_27lower_bound_config_selectorIjlEEZNS1_14transform_implILb0ES3_S5_N6thrust23THRUST_200600_302600_NS6detail15normal_iteratorINS8_7pointerIjNS8_11hip_rocprim5par_tENS8_11use_defaultESE_EEEENSA_INSB_IlSD_SE_SE_EEEEZNS1_13binary_searchIS3_S5_PjSG_SI_NS1_21lower_bound_search_opENS9_16wrapped_functionINS8_6system6detail7generic6detail18binary_search_lessEbEEEE10hipError_tPvRmT1_T2_T3_mmT4_T5_P12ihipStream_tbEUlRKjE_EEST_SX_SY_mSZ_S12_bEUlT_E_NS1_11comp_targetILNS1_3genE0ELNS1_11target_archE4294967295ELNS1_3gpuE0ELNS1_3repE0EEENS1_30default_config_static_selectorELNS0_4arch9wavefront6targetE0EEEvSW_,"axG",@progbits,_ZN7rocprim17ROCPRIM_400000_NS6detail17trampoline_kernelINS0_14default_configENS1_27lower_bound_config_selectorIjlEEZNS1_14transform_implILb0ES3_S5_N6thrust23THRUST_200600_302600_NS6detail15normal_iteratorINS8_7pointerIjNS8_11hip_rocprim5par_tENS8_11use_defaultESE_EEEENSA_INSB_IlSD_SE_SE_EEEEZNS1_13binary_searchIS3_S5_PjSG_SI_NS1_21lower_bound_search_opENS9_16wrapped_functionINS8_6system6detail7generic6detail18binary_search_lessEbEEEE10hipError_tPvRmT1_T2_T3_mmT4_T5_P12ihipStream_tbEUlRKjE_EEST_SX_SY_mSZ_S12_bEUlT_E_NS1_11comp_targetILNS1_3genE0ELNS1_11target_archE4294967295ELNS1_3gpuE0ELNS1_3repE0EEENS1_30default_config_static_selectorELNS0_4arch9wavefront6targetE0EEEvSW_,comdat
	.protected	_ZN7rocprim17ROCPRIM_400000_NS6detail17trampoline_kernelINS0_14default_configENS1_27lower_bound_config_selectorIjlEEZNS1_14transform_implILb0ES3_S5_N6thrust23THRUST_200600_302600_NS6detail15normal_iteratorINS8_7pointerIjNS8_11hip_rocprim5par_tENS8_11use_defaultESE_EEEENSA_INSB_IlSD_SE_SE_EEEEZNS1_13binary_searchIS3_S5_PjSG_SI_NS1_21lower_bound_search_opENS9_16wrapped_functionINS8_6system6detail7generic6detail18binary_search_lessEbEEEE10hipError_tPvRmT1_T2_T3_mmT4_T5_P12ihipStream_tbEUlRKjE_EEST_SX_SY_mSZ_S12_bEUlT_E_NS1_11comp_targetILNS1_3genE0ELNS1_11target_archE4294967295ELNS1_3gpuE0ELNS1_3repE0EEENS1_30default_config_static_selectorELNS0_4arch9wavefront6targetE0EEEvSW_ ; -- Begin function _ZN7rocprim17ROCPRIM_400000_NS6detail17trampoline_kernelINS0_14default_configENS1_27lower_bound_config_selectorIjlEEZNS1_14transform_implILb0ES3_S5_N6thrust23THRUST_200600_302600_NS6detail15normal_iteratorINS8_7pointerIjNS8_11hip_rocprim5par_tENS8_11use_defaultESE_EEEENSA_INSB_IlSD_SE_SE_EEEEZNS1_13binary_searchIS3_S5_PjSG_SI_NS1_21lower_bound_search_opENS9_16wrapped_functionINS8_6system6detail7generic6detail18binary_search_lessEbEEEE10hipError_tPvRmT1_T2_T3_mmT4_T5_P12ihipStream_tbEUlRKjE_EEST_SX_SY_mSZ_S12_bEUlT_E_NS1_11comp_targetILNS1_3genE0ELNS1_11target_archE4294967295ELNS1_3gpuE0ELNS1_3repE0EEENS1_30default_config_static_selectorELNS0_4arch9wavefront6targetE0EEEvSW_
	.globl	_ZN7rocprim17ROCPRIM_400000_NS6detail17trampoline_kernelINS0_14default_configENS1_27lower_bound_config_selectorIjlEEZNS1_14transform_implILb0ES3_S5_N6thrust23THRUST_200600_302600_NS6detail15normal_iteratorINS8_7pointerIjNS8_11hip_rocprim5par_tENS8_11use_defaultESE_EEEENSA_INSB_IlSD_SE_SE_EEEEZNS1_13binary_searchIS3_S5_PjSG_SI_NS1_21lower_bound_search_opENS9_16wrapped_functionINS8_6system6detail7generic6detail18binary_search_lessEbEEEE10hipError_tPvRmT1_T2_T3_mmT4_T5_P12ihipStream_tbEUlRKjE_EEST_SX_SY_mSZ_S12_bEUlT_E_NS1_11comp_targetILNS1_3genE0ELNS1_11target_archE4294967295ELNS1_3gpuE0ELNS1_3repE0EEENS1_30default_config_static_selectorELNS0_4arch9wavefront6targetE0EEEvSW_
	.p2align	8
	.type	_ZN7rocprim17ROCPRIM_400000_NS6detail17trampoline_kernelINS0_14default_configENS1_27lower_bound_config_selectorIjlEEZNS1_14transform_implILb0ES3_S5_N6thrust23THRUST_200600_302600_NS6detail15normal_iteratorINS8_7pointerIjNS8_11hip_rocprim5par_tENS8_11use_defaultESE_EEEENSA_INSB_IlSD_SE_SE_EEEEZNS1_13binary_searchIS3_S5_PjSG_SI_NS1_21lower_bound_search_opENS9_16wrapped_functionINS8_6system6detail7generic6detail18binary_search_lessEbEEEE10hipError_tPvRmT1_T2_T3_mmT4_T5_P12ihipStream_tbEUlRKjE_EEST_SX_SY_mSZ_S12_bEUlT_E_NS1_11comp_targetILNS1_3genE0ELNS1_11target_archE4294967295ELNS1_3gpuE0ELNS1_3repE0EEENS1_30default_config_static_selectorELNS0_4arch9wavefront6targetE0EEEvSW_,@function
_ZN7rocprim17ROCPRIM_400000_NS6detail17trampoline_kernelINS0_14default_configENS1_27lower_bound_config_selectorIjlEEZNS1_14transform_implILb0ES3_S5_N6thrust23THRUST_200600_302600_NS6detail15normal_iteratorINS8_7pointerIjNS8_11hip_rocprim5par_tENS8_11use_defaultESE_EEEENSA_INSB_IlSD_SE_SE_EEEEZNS1_13binary_searchIS3_S5_PjSG_SI_NS1_21lower_bound_search_opENS9_16wrapped_functionINS8_6system6detail7generic6detail18binary_search_lessEbEEEE10hipError_tPvRmT1_T2_T3_mmT4_T5_P12ihipStream_tbEUlRKjE_EEST_SX_SY_mSZ_S12_bEUlT_E_NS1_11comp_targetILNS1_3genE0ELNS1_11target_archE4294967295ELNS1_3gpuE0ELNS1_3repE0EEENS1_30default_config_static_selectorELNS0_4arch9wavefront6targetE0EEEvSW_: ; @_ZN7rocprim17ROCPRIM_400000_NS6detail17trampoline_kernelINS0_14default_configENS1_27lower_bound_config_selectorIjlEEZNS1_14transform_implILb0ES3_S5_N6thrust23THRUST_200600_302600_NS6detail15normal_iteratorINS8_7pointerIjNS8_11hip_rocprim5par_tENS8_11use_defaultESE_EEEENSA_INSB_IlSD_SE_SE_EEEEZNS1_13binary_searchIS3_S5_PjSG_SI_NS1_21lower_bound_search_opENS9_16wrapped_functionINS8_6system6detail7generic6detail18binary_search_lessEbEEEE10hipError_tPvRmT1_T2_T3_mmT4_T5_P12ihipStream_tbEUlRKjE_EEST_SX_SY_mSZ_S12_bEUlT_E_NS1_11comp_targetILNS1_3genE0ELNS1_11target_archE4294967295ELNS1_3gpuE0ELNS1_3repE0EEENS1_30default_config_static_selectorELNS0_4arch9wavefront6targetE0EEEvSW_
; %bb.0:
	.section	.rodata,"a",@progbits
	.p2align	6, 0x0
	.amdhsa_kernel _ZN7rocprim17ROCPRIM_400000_NS6detail17trampoline_kernelINS0_14default_configENS1_27lower_bound_config_selectorIjlEEZNS1_14transform_implILb0ES3_S5_N6thrust23THRUST_200600_302600_NS6detail15normal_iteratorINS8_7pointerIjNS8_11hip_rocprim5par_tENS8_11use_defaultESE_EEEENSA_INSB_IlSD_SE_SE_EEEEZNS1_13binary_searchIS3_S5_PjSG_SI_NS1_21lower_bound_search_opENS9_16wrapped_functionINS8_6system6detail7generic6detail18binary_search_lessEbEEEE10hipError_tPvRmT1_T2_T3_mmT4_T5_P12ihipStream_tbEUlRKjE_EEST_SX_SY_mSZ_S12_bEUlT_E_NS1_11comp_targetILNS1_3genE0ELNS1_11target_archE4294967295ELNS1_3gpuE0ELNS1_3repE0EEENS1_30default_config_static_selectorELNS0_4arch9wavefront6targetE0EEEvSW_
		.amdhsa_group_segment_fixed_size 0
		.amdhsa_private_segment_fixed_size 0
		.amdhsa_kernarg_size 56
		.amdhsa_user_sgpr_count 6
		.amdhsa_user_sgpr_private_segment_buffer 1
		.amdhsa_user_sgpr_dispatch_ptr 0
		.amdhsa_user_sgpr_queue_ptr 0
		.amdhsa_user_sgpr_kernarg_segment_ptr 1
		.amdhsa_user_sgpr_dispatch_id 0
		.amdhsa_user_sgpr_flat_scratch_init 0
		.amdhsa_user_sgpr_private_segment_size 0
		.amdhsa_wavefront_size32 1
		.amdhsa_uses_dynamic_stack 0
		.amdhsa_system_sgpr_private_segment_wavefront_offset 0
		.amdhsa_system_sgpr_workgroup_id_x 1
		.amdhsa_system_sgpr_workgroup_id_y 0
		.amdhsa_system_sgpr_workgroup_id_z 0
		.amdhsa_system_sgpr_workgroup_info 0
		.amdhsa_system_vgpr_workitem_id 0
		.amdhsa_next_free_vgpr 1
		.amdhsa_next_free_sgpr 1
		.amdhsa_reserve_vcc 0
		.amdhsa_reserve_flat_scratch 0
		.amdhsa_float_round_mode_32 0
		.amdhsa_float_round_mode_16_64 0
		.amdhsa_float_denorm_mode_32 3
		.amdhsa_float_denorm_mode_16_64 3
		.amdhsa_dx10_clamp 1
		.amdhsa_ieee_mode 1
		.amdhsa_fp16_overflow 0
		.amdhsa_workgroup_processor_mode 1
		.amdhsa_memory_ordered 1
		.amdhsa_forward_progress 1
		.amdhsa_shared_vgpr_count 0
		.amdhsa_exception_fp_ieee_invalid_op 0
		.amdhsa_exception_fp_denorm_src 0
		.amdhsa_exception_fp_ieee_div_zero 0
		.amdhsa_exception_fp_ieee_overflow 0
		.amdhsa_exception_fp_ieee_underflow 0
		.amdhsa_exception_fp_ieee_inexact 0
		.amdhsa_exception_int_div_zero 0
	.end_amdhsa_kernel
	.section	.text._ZN7rocprim17ROCPRIM_400000_NS6detail17trampoline_kernelINS0_14default_configENS1_27lower_bound_config_selectorIjlEEZNS1_14transform_implILb0ES3_S5_N6thrust23THRUST_200600_302600_NS6detail15normal_iteratorINS8_7pointerIjNS8_11hip_rocprim5par_tENS8_11use_defaultESE_EEEENSA_INSB_IlSD_SE_SE_EEEEZNS1_13binary_searchIS3_S5_PjSG_SI_NS1_21lower_bound_search_opENS9_16wrapped_functionINS8_6system6detail7generic6detail18binary_search_lessEbEEEE10hipError_tPvRmT1_T2_T3_mmT4_T5_P12ihipStream_tbEUlRKjE_EEST_SX_SY_mSZ_S12_bEUlT_E_NS1_11comp_targetILNS1_3genE0ELNS1_11target_archE4294967295ELNS1_3gpuE0ELNS1_3repE0EEENS1_30default_config_static_selectorELNS0_4arch9wavefront6targetE0EEEvSW_,"axG",@progbits,_ZN7rocprim17ROCPRIM_400000_NS6detail17trampoline_kernelINS0_14default_configENS1_27lower_bound_config_selectorIjlEEZNS1_14transform_implILb0ES3_S5_N6thrust23THRUST_200600_302600_NS6detail15normal_iteratorINS8_7pointerIjNS8_11hip_rocprim5par_tENS8_11use_defaultESE_EEEENSA_INSB_IlSD_SE_SE_EEEEZNS1_13binary_searchIS3_S5_PjSG_SI_NS1_21lower_bound_search_opENS9_16wrapped_functionINS8_6system6detail7generic6detail18binary_search_lessEbEEEE10hipError_tPvRmT1_T2_T3_mmT4_T5_P12ihipStream_tbEUlRKjE_EEST_SX_SY_mSZ_S12_bEUlT_E_NS1_11comp_targetILNS1_3genE0ELNS1_11target_archE4294967295ELNS1_3gpuE0ELNS1_3repE0EEENS1_30default_config_static_selectorELNS0_4arch9wavefront6targetE0EEEvSW_,comdat
.Lfunc_end73:
	.size	_ZN7rocprim17ROCPRIM_400000_NS6detail17trampoline_kernelINS0_14default_configENS1_27lower_bound_config_selectorIjlEEZNS1_14transform_implILb0ES3_S5_N6thrust23THRUST_200600_302600_NS6detail15normal_iteratorINS8_7pointerIjNS8_11hip_rocprim5par_tENS8_11use_defaultESE_EEEENSA_INSB_IlSD_SE_SE_EEEEZNS1_13binary_searchIS3_S5_PjSG_SI_NS1_21lower_bound_search_opENS9_16wrapped_functionINS8_6system6detail7generic6detail18binary_search_lessEbEEEE10hipError_tPvRmT1_T2_T3_mmT4_T5_P12ihipStream_tbEUlRKjE_EEST_SX_SY_mSZ_S12_bEUlT_E_NS1_11comp_targetILNS1_3genE0ELNS1_11target_archE4294967295ELNS1_3gpuE0ELNS1_3repE0EEENS1_30default_config_static_selectorELNS0_4arch9wavefront6targetE0EEEvSW_, .Lfunc_end73-_ZN7rocprim17ROCPRIM_400000_NS6detail17trampoline_kernelINS0_14default_configENS1_27lower_bound_config_selectorIjlEEZNS1_14transform_implILb0ES3_S5_N6thrust23THRUST_200600_302600_NS6detail15normal_iteratorINS8_7pointerIjNS8_11hip_rocprim5par_tENS8_11use_defaultESE_EEEENSA_INSB_IlSD_SE_SE_EEEEZNS1_13binary_searchIS3_S5_PjSG_SI_NS1_21lower_bound_search_opENS9_16wrapped_functionINS8_6system6detail7generic6detail18binary_search_lessEbEEEE10hipError_tPvRmT1_T2_T3_mmT4_T5_P12ihipStream_tbEUlRKjE_EEST_SX_SY_mSZ_S12_bEUlT_E_NS1_11comp_targetILNS1_3genE0ELNS1_11target_archE4294967295ELNS1_3gpuE0ELNS1_3repE0EEENS1_30default_config_static_selectorELNS0_4arch9wavefront6targetE0EEEvSW_
                                        ; -- End function
	.set _ZN7rocprim17ROCPRIM_400000_NS6detail17trampoline_kernelINS0_14default_configENS1_27lower_bound_config_selectorIjlEEZNS1_14transform_implILb0ES3_S5_N6thrust23THRUST_200600_302600_NS6detail15normal_iteratorINS8_7pointerIjNS8_11hip_rocprim5par_tENS8_11use_defaultESE_EEEENSA_INSB_IlSD_SE_SE_EEEEZNS1_13binary_searchIS3_S5_PjSG_SI_NS1_21lower_bound_search_opENS9_16wrapped_functionINS8_6system6detail7generic6detail18binary_search_lessEbEEEE10hipError_tPvRmT1_T2_T3_mmT4_T5_P12ihipStream_tbEUlRKjE_EEST_SX_SY_mSZ_S12_bEUlT_E_NS1_11comp_targetILNS1_3genE0ELNS1_11target_archE4294967295ELNS1_3gpuE0ELNS1_3repE0EEENS1_30default_config_static_selectorELNS0_4arch9wavefront6targetE0EEEvSW_.num_vgpr, 0
	.set _ZN7rocprim17ROCPRIM_400000_NS6detail17trampoline_kernelINS0_14default_configENS1_27lower_bound_config_selectorIjlEEZNS1_14transform_implILb0ES3_S5_N6thrust23THRUST_200600_302600_NS6detail15normal_iteratorINS8_7pointerIjNS8_11hip_rocprim5par_tENS8_11use_defaultESE_EEEENSA_INSB_IlSD_SE_SE_EEEEZNS1_13binary_searchIS3_S5_PjSG_SI_NS1_21lower_bound_search_opENS9_16wrapped_functionINS8_6system6detail7generic6detail18binary_search_lessEbEEEE10hipError_tPvRmT1_T2_T3_mmT4_T5_P12ihipStream_tbEUlRKjE_EEST_SX_SY_mSZ_S12_bEUlT_E_NS1_11comp_targetILNS1_3genE0ELNS1_11target_archE4294967295ELNS1_3gpuE0ELNS1_3repE0EEENS1_30default_config_static_selectorELNS0_4arch9wavefront6targetE0EEEvSW_.num_agpr, 0
	.set _ZN7rocprim17ROCPRIM_400000_NS6detail17trampoline_kernelINS0_14default_configENS1_27lower_bound_config_selectorIjlEEZNS1_14transform_implILb0ES3_S5_N6thrust23THRUST_200600_302600_NS6detail15normal_iteratorINS8_7pointerIjNS8_11hip_rocprim5par_tENS8_11use_defaultESE_EEEENSA_INSB_IlSD_SE_SE_EEEEZNS1_13binary_searchIS3_S5_PjSG_SI_NS1_21lower_bound_search_opENS9_16wrapped_functionINS8_6system6detail7generic6detail18binary_search_lessEbEEEE10hipError_tPvRmT1_T2_T3_mmT4_T5_P12ihipStream_tbEUlRKjE_EEST_SX_SY_mSZ_S12_bEUlT_E_NS1_11comp_targetILNS1_3genE0ELNS1_11target_archE4294967295ELNS1_3gpuE0ELNS1_3repE0EEENS1_30default_config_static_selectorELNS0_4arch9wavefront6targetE0EEEvSW_.numbered_sgpr, 0
	.set _ZN7rocprim17ROCPRIM_400000_NS6detail17trampoline_kernelINS0_14default_configENS1_27lower_bound_config_selectorIjlEEZNS1_14transform_implILb0ES3_S5_N6thrust23THRUST_200600_302600_NS6detail15normal_iteratorINS8_7pointerIjNS8_11hip_rocprim5par_tENS8_11use_defaultESE_EEEENSA_INSB_IlSD_SE_SE_EEEEZNS1_13binary_searchIS3_S5_PjSG_SI_NS1_21lower_bound_search_opENS9_16wrapped_functionINS8_6system6detail7generic6detail18binary_search_lessEbEEEE10hipError_tPvRmT1_T2_T3_mmT4_T5_P12ihipStream_tbEUlRKjE_EEST_SX_SY_mSZ_S12_bEUlT_E_NS1_11comp_targetILNS1_3genE0ELNS1_11target_archE4294967295ELNS1_3gpuE0ELNS1_3repE0EEENS1_30default_config_static_selectorELNS0_4arch9wavefront6targetE0EEEvSW_.num_named_barrier, 0
	.set _ZN7rocprim17ROCPRIM_400000_NS6detail17trampoline_kernelINS0_14default_configENS1_27lower_bound_config_selectorIjlEEZNS1_14transform_implILb0ES3_S5_N6thrust23THRUST_200600_302600_NS6detail15normal_iteratorINS8_7pointerIjNS8_11hip_rocprim5par_tENS8_11use_defaultESE_EEEENSA_INSB_IlSD_SE_SE_EEEEZNS1_13binary_searchIS3_S5_PjSG_SI_NS1_21lower_bound_search_opENS9_16wrapped_functionINS8_6system6detail7generic6detail18binary_search_lessEbEEEE10hipError_tPvRmT1_T2_T3_mmT4_T5_P12ihipStream_tbEUlRKjE_EEST_SX_SY_mSZ_S12_bEUlT_E_NS1_11comp_targetILNS1_3genE0ELNS1_11target_archE4294967295ELNS1_3gpuE0ELNS1_3repE0EEENS1_30default_config_static_selectorELNS0_4arch9wavefront6targetE0EEEvSW_.private_seg_size, 0
	.set _ZN7rocprim17ROCPRIM_400000_NS6detail17trampoline_kernelINS0_14default_configENS1_27lower_bound_config_selectorIjlEEZNS1_14transform_implILb0ES3_S5_N6thrust23THRUST_200600_302600_NS6detail15normal_iteratorINS8_7pointerIjNS8_11hip_rocprim5par_tENS8_11use_defaultESE_EEEENSA_INSB_IlSD_SE_SE_EEEEZNS1_13binary_searchIS3_S5_PjSG_SI_NS1_21lower_bound_search_opENS9_16wrapped_functionINS8_6system6detail7generic6detail18binary_search_lessEbEEEE10hipError_tPvRmT1_T2_T3_mmT4_T5_P12ihipStream_tbEUlRKjE_EEST_SX_SY_mSZ_S12_bEUlT_E_NS1_11comp_targetILNS1_3genE0ELNS1_11target_archE4294967295ELNS1_3gpuE0ELNS1_3repE0EEENS1_30default_config_static_selectorELNS0_4arch9wavefront6targetE0EEEvSW_.uses_vcc, 0
	.set _ZN7rocprim17ROCPRIM_400000_NS6detail17trampoline_kernelINS0_14default_configENS1_27lower_bound_config_selectorIjlEEZNS1_14transform_implILb0ES3_S5_N6thrust23THRUST_200600_302600_NS6detail15normal_iteratorINS8_7pointerIjNS8_11hip_rocprim5par_tENS8_11use_defaultESE_EEEENSA_INSB_IlSD_SE_SE_EEEEZNS1_13binary_searchIS3_S5_PjSG_SI_NS1_21lower_bound_search_opENS9_16wrapped_functionINS8_6system6detail7generic6detail18binary_search_lessEbEEEE10hipError_tPvRmT1_T2_T3_mmT4_T5_P12ihipStream_tbEUlRKjE_EEST_SX_SY_mSZ_S12_bEUlT_E_NS1_11comp_targetILNS1_3genE0ELNS1_11target_archE4294967295ELNS1_3gpuE0ELNS1_3repE0EEENS1_30default_config_static_selectorELNS0_4arch9wavefront6targetE0EEEvSW_.uses_flat_scratch, 0
	.set _ZN7rocprim17ROCPRIM_400000_NS6detail17trampoline_kernelINS0_14default_configENS1_27lower_bound_config_selectorIjlEEZNS1_14transform_implILb0ES3_S5_N6thrust23THRUST_200600_302600_NS6detail15normal_iteratorINS8_7pointerIjNS8_11hip_rocprim5par_tENS8_11use_defaultESE_EEEENSA_INSB_IlSD_SE_SE_EEEEZNS1_13binary_searchIS3_S5_PjSG_SI_NS1_21lower_bound_search_opENS9_16wrapped_functionINS8_6system6detail7generic6detail18binary_search_lessEbEEEE10hipError_tPvRmT1_T2_T3_mmT4_T5_P12ihipStream_tbEUlRKjE_EEST_SX_SY_mSZ_S12_bEUlT_E_NS1_11comp_targetILNS1_3genE0ELNS1_11target_archE4294967295ELNS1_3gpuE0ELNS1_3repE0EEENS1_30default_config_static_selectorELNS0_4arch9wavefront6targetE0EEEvSW_.has_dyn_sized_stack, 0
	.set _ZN7rocprim17ROCPRIM_400000_NS6detail17trampoline_kernelINS0_14default_configENS1_27lower_bound_config_selectorIjlEEZNS1_14transform_implILb0ES3_S5_N6thrust23THRUST_200600_302600_NS6detail15normal_iteratorINS8_7pointerIjNS8_11hip_rocprim5par_tENS8_11use_defaultESE_EEEENSA_INSB_IlSD_SE_SE_EEEEZNS1_13binary_searchIS3_S5_PjSG_SI_NS1_21lower_bound_search_opENS9_16wrapped_functionINS8_6system6detail7generic6detail18binary_search_lessEbEEEE10hipError_tPvRmT1_T2_T3_mmT4_T5_P12ihipStream_tbEUlRKjE_EEST_SX_SY_mSZ_S12_bEUlT_E_NS1_11comp_targetILNS1_3genE0ELNS1_11target_archE4294967295ELNS1_3gpuE0ELNS1_3repE0EEENS1_30default_config_static_selectorELNS0_4arch9wavefront6targetE0EEEvSW_.has_recursion, 0
	.set _ZN7rocprim17ROCPRIM_400000_NS6detail17trampoline_kernelINS0_14default_configENS1_27lower_bound_config_selectorIjlEEZNS1_14transform_implILb0ES3_S5_N6thrust23THRUST_200600_302600_NS6detail15normal_iteratorINS8_7pointerIjNS8_11hip_rocprim5par_tENS8_11use_defaultESE_EEEENSA_INSB_IlSD_SE_SE_EEEEZNS1_13binary_searchIS3_S5_PjSG_SI_NS1_21lower_bound_search_opENS9_16wrapped_functionINS8_6system6detail7generic6detail18binary_search_lessEbEEEE10hipError_tPvRmT1_T2_T3_mmT4_T5_P12ihipStream_tbEUlRKjE_EEST_SX_SY_mSZ_S12_bEUlT_E_NS1_11comp_targetILNS1_3genE0ELNS1_11target_archE4294967295ELNS1_3gpuE0ELNS1_3repE0EEENS1_30default_config_static_selectorELNS0_4arch9wavefront6targetE0EEEvSW_.has_indirect_call, 0
	.section	.AMDGPU.csdata,"",@progbits
; Kernel info:
; codeLenInByte = 0
; TotalNumSgprs: 0
; NumVgprs: 0
; ScratchSize: 0
; MemoryBound: 0
; FloatMode: 240
; IeeeMode: 1
; LDSByteSize: 0 bytes/workgroup (compile time only)
; SGPRBlocks: 0
; VGPRBlocks: 0
; NumSGPRsForWavesPerEU: 1
; NumVGPRsForWavesPerEU: 1
; Occupancy: 16
; WaveLimiterHint : 0
; COMPUTE_PGM_RSRC2:SCRATCH_EN: 0
; COMPUTE_PGM_RSRC2:USER_SGPR: 6
; COMPUTE_PGM_RSRC2:TRAP_HANDLER: 0
; COMPUTE_PGM_RSRC2:TGID_X_EN: 1
; COMPUTE_PGM_RSRC2:TGID_Y_EN: 0
; COMPUTE_PGM_RSRC2:TGID_Z_EN: 0
; COMPUTE_PGM_RSRC2:TIDIG_COMP_CNT: 0
	.section	.text._ZN7rocprim17ROCPRIM_400000_NS6detail17trampoline_kernelINS0_14default_configENS1_27lower_bound_config_selectorIjlEEZNS1_14transform_implILb0ES3_S5_N6thrust23THRUST_200600_302600_NS6detail15normal_iteratorINS8_7pointerIjNS8_11hip_rocprim5par_tENS8_11use_defaultESE_EEEENSA_INSB_IlSD_SE_SE_EEEEZNS1_13binary_searchIS3_S5_PjSG_SI_NS1_21lower_bound_search_opENS9_16wrapped_functionINS8_6system6detail7generic6detail18binary_search_lessEbEEEE10hipError_tPvRmT1_T2_T3_mmT4_T5_P12ihipStream_tbEUlRKjE_EEST_SX_SY_mSZ_S12_bEUlT_E_NS1_11comp_targetILNS1_3genE5ELNS1_11target_archE942ELNS1_3gpuE9ELNS1_3repE0EEENS1_30default_config_static_selectorELNS0_4arch9wavefront6targetE0EEEvSW_,"axG",@progbits,_ZN7rocprim17ROCPRIM_400000_NS6detail17trampoline_kernelINS0_14default_configENS1_27lower_bound_config_selectorIjlEEZNS1_14transform_implILb0ES3_S5_N6thrust23THRUST_200600_302600_NS6detail15normal_iteratorINS8_7pointerIjNS8_11hip_rocprim5par_tENS8_11use_defaultESE_EEEENSA_INSB_IlSD_SE_SE_EEEEZNS1_13binary_searchIS3_S5_PjSG_SI_NS1_21lower_bound_search_opENS9_16wrapped_functionINS8_6system6detail7generic6detail18binary_search_lessEbEEEE10hipError_tPvRmT1_T2_T3_mmT4_T5_P12ihipStream_tbEUlRKjE_EEST_SX_SY_mSZ_S12_bEUlT_E_NS1_11comp_targetILNS1_3genE5ELNS1_11target_archE942ELNS1_3gpuE9ELNS1_3repE0EEENS1_30default_config_static_selectorELNS0_4arch9wavefront6targetE0EEEvSW_,comdat
	.protected	_ZN7rocprim17ROCPRIM_400000_NS6detail17trampoline_kernelINS0_14default_configENS1_27lower_bound_config_selectorIjlEEZNS1_14transform_implILb0ES3_S5_N6thrust23THRUST_200600_302600_NS6detail15normal_iteratorINS8_7pointerIjNS8_11hip_rocprim5par_tENS8_11use_defaultESE_EEEENSA_INSB_IlSD_SE_SE_EEEEZNS1_13binary_searchIS3_S5_PjSG_SI_NS1_21lower_bound_search_opENS9_16wrapped_functionINS8_6system6detail7generic6detail18binary_search_lessEbEEEE10hipError_tPvRmT1_T2_T3_mmT4_T5_P12ihipStream_tbEUlRKjE_EEST_SX_SY_mSZ_S12_bEUlT_E_NS1_11comp_targetILNS1_3genE5ELNS1_11target_archE942ELNS1_3gpuE9ELNS1_3repE0EEENS1_30default_config_static_selectorELNS0_4arch9wavefront6targetE0EEEvSW_ ; -- Begin function _ZN7rocprim17ROCPRIM_400000_NS6detail17trampoline_kernelINS0_14default_configENS1_27lower_bound_config_selectorIjlEEZNS1_14transform_implILb0ES3_S5_N6thrust23THRUST_200600_302600_NS6detail15normal_iteratorINS8_7pointerIjNS8_11hip_rocprim5par_tENS8_11use_defaultESE_EEEENSA_INSB_IlSD_SE_SE_EEEEZNS1_13binary_searchIS3_S5_PjSG_SI_NS1_21lower_bound_search_opENS9_16wrapped_functionINS8_6system6detail7generic6detail18binary_search_lessEbEEEE10hipError_tPvRmT1_T2_T3_mmT4_T5_P12ihipStream_tbEUlRKjE_EEST_SX_SY_mSZ_S12_bEUlT_E_NS1_11comp_targetILNS1_3genE5ELNS1_11target_archE942ELNS1_3gpuE9ELNS1_3repE0EEENS1_30default_config_static_selectorELNS0_4arch9wavefront6targetE0EEEvSW_
	.globl	_ZN7rocprim17ROCPRIM_400000_NS6detail17trampoline_kernelINS0_14default_configENS1_27lower_bound_config_selectorIjlEEZNS1_14transform_implILb0ES3_S5_N6thrust23THRUST_200600_302600_NS6detail15normal_iteratorINS8_7pointerIjNS8_11hip_rocprim5par_tENS8_11use_defaultESE_EEEENSA_INSB_IlSD_SE_SE_EEEEZNS1_13binary_searchIS3_S5_PjSG_SI_NS1_21lower_bound_search_opENS9_16wrapped_functionINS8_6system6detail7generic6detail18binary_search_lessEbEEEE10hipError_tPvRmT1_T2_T3_mmT4_T5_P12ihipStream_tbEUlRKjE_EEST_SX_SY_mSZ_S12_bEUlT_E_NS1_11comp_targetILNS1_3genE5ELNS1_11target_archE942ELNS1_3gpuE9ELNS1_3repE0EEENS1_30default_config_static_selectorELNS0_4arch9wavefront6targetE0EEEvSW_
	.p2align	8
	.type	_ZN7rocprim17ROCPRIM_400000_NS6detail17trampoline_kernelINS0_14default_configENS1_27lower_bound_config_selectorIjlEEZNS1_14transform_implILb0ES3_S5_N6thrust23THRUST_200600_302600_NS6detail15normal_iteratorINS8_7pointerIjNS8_11hip_rocprim5par_tENS8_11use_defaultESE_EEEENSA_INSB_IlSD_SE_SE_EEEEZNS1_13binary_searchIS3_S5_PjSG_SI_NS1_21lower_bound_search_opENS9_16wrapped_functionINS8_6system6detail7generic6detail18binary_search_lessEbEEEE10hipError_tPvRmT1_T2_T3_mmT4_T5_P12ihipStream_tbEUlRKjE_EEST_SX_SY_mSZ_S12_bEUlT_E_NS1_11comp_targetILNS1_3genE5ELNS1_11target_archE942ELNS1_3gpuE9ELNS1_3repE0EEENS1_30default_config_static_selectorELNS0_4arch9wavefront6targetE0EEEvSW_,@function
_ZN7rocprim17ROCPRIM_400000_NS6detail17trampoline_kernelINS0_14default_configENS1_27lower_bound_config_selectorIjlEEZNS1_14transform_implILb0ES3_S5_N6thrust23THRUST_200600_302600_NS6detail15normal_iteratorINS8_7pointerIjNS8_11hip_rocprim5par_tENS8_11use_defaultESE_EEEENSA_INSB_IlSD_SE_SE_EEEEZNS1_13binary_searchIS3_S5_PjSG_SI_NS1_21lower_bound_search_opENS9_16wrapped_functionINS8_6system6detail7generic6detail18binary_search_lessEbEEEE10hipError_tPvRmT1_T2_T3_mmT4_T5_P12ihipStream_tbEUlRKjE_EEST_SX_SY_mSZ_S12_bEUlT_E_NS1_11comp_targetILNS1_3genE5ELNS1_11target_archE942ELNS1_3gpuE9ELNS1_3repE0EEENS1_30default_config_static_selectorELNS0_4arch9wavefront6targetE0EEEvSW_: ; @_ZN7rocprim17ROCPRIM_400000_NS6detail17trampoline_kernelINS0_14default_configENS1_27lower_bound_config_selectorIjlEEZNS1_14transform_implILb0ES3_S5_N6thrust23THRUST_200600_302600_NS6detail15normal_iteratorINS8_7pointerIjNS8_11hip_rocprim5par_tENS8_11use_defaultESE_EEEENSA_INSB_IlSD_SE_SE_EEEEZNS1_13binary_searchIS3_S5_PjSG_SI_NS1_21lower_bound_search_opENS9_16wrapped_functionINS8_6system6detail7generic6detail18binary_search_lessEbEEEE10hipError_tPvRmT1_T2_T3_mmT4_T5_P12ihipStream_tbEUlRKjE_EEST_SX_SY_mSZ_S12_bEUlT_E_NS1_11comp_targetILNS1_3genE5ELNS1_11target_archE942ELNS1_3gpuE9ELNS1_3repE0EEENS1_30default_config_static_selectorELNS0_4arch9wavefront6targetE0EEEvSW_
; %bb.0:
	.section	.rodata,"a",@progbits
	.p2align	6, 0x0
	.amdhsa_kernel _ZN7rocprim17ROCPRIM_400000_NS6detail17trampoline_kernelINS0_14default_configENS1_27lower_bound_config_selectorIjlEEZNS1_14transform_implILb0ES3_S5_N6thrust23THRUST_200600_302600_NS6detail15normal_iteratorINS8_7pointerIjNS8_11hip_rocprim5par_tENS8_11use_defaultESE_EEEENSA_INSB_IlSD_SE_SE_EEEEZNS1_13binary_searchIS3_S5_PjSG_SI_NS1_21lower_bound_search_opENS9_16wrapped_functionINS8_6system6detail7generic6detail18binary_search_lessEbEEEE10hipError_tPvRmT1_T2_T3_mmT4_T5_P12ihipStream_tbEUlRKjE_EEST_SX_SY_mSZ_S12_bEUlT_E_NS1_11comp_targetILNS1_3genE5ELNS1_11target_archE942ELNS1_3gpuE9ELNS1_3repE0EEENS1_30default_config_static_selectorELNS0_4arch9wavefront6targetE0EEEvSW_
		.amdhsa_group_segment_fixed_size 0
		.amdhsa_private_segment_fixed_size 0
		.amdhsa_kernarg_size 56
		.amdhsa_user_sgpr_count 6
		.amdhsa_user_sgpr_private_segment_buffer 1
		.amdhsa_user_sgpr_dispatch_ptr 0
		.amdhsa_user_sgpr_queue_ptr 0
		.amdhsa_user_sgpr_kernarg_segment_ptr 1
		.amdhsa_user_sgpr_dispatch_id 0
		.amdhsa_user_sgpr_flat_scratch_init 0
		.amdhsa_user_sgpr_private_segment_size 0
		.amdhsa_wavefront_size32 1
		.amdhsa_uses_dynamic_stack 0
		.amdhsa_system_sgpr_private_segment_wavefront_offset 0
		.amdhsa_system_sgpr_workgroup_id_x 1
		.amdhsa_system_sgpr_workgroup_id_y 0
		.amdhsa_system_sgpr_workgroup_id_z 0
		.amdhsa_system_sgpr_workgroup_info 0
		.amdhsa_system_vgpr_workitem_id 0
		.amdhsa_next_free_vgpr 1
		.amdhsa_next_free_sgpr 1
		.amdhsa_reserve_vcc 0
		.amdhsa_reserve_flat_scratch 0
		.amdhsa_float_round_mode_32 0
		.amdhsa_float_round_mode_16_64 0
		.amdhsa_float_denorm_mode_32 3
		.amdhsa_float_denorm_mode_16_64 3
		.amdhsa_dx10_clamp 1
		.amdhsa_ieee_mode 1
		.amdhsa_fp16_overflow 0
		.amdhsa_workgroup_processor_mode 1
		.amdhsa_memory_ordered 1
		.amdhsa_forward_progress 1
		.amdhsa_shared_vgpr_count 0
		.amdhsa_exception_fp_ieee_invalid_op 0
		.amdhsa_exception_fp_denorm_src 0
		.amdhsa_exception_fp_ieee_div_zero 0
		.amdhsa_exception_fp_ieee_overflow 0
		.amdhsa_exception_fp_ieee_underflow 0
		.amdhsa_exception_fp_ieee_inexact 0
		.amdhsa_exception_int_div_zero 0
	.end_amdhsa_kernel
	.section	.text._ZN7rocprim17ROCPRIM_400000_NS6detail17trampoline_kernelINS0_14default_configENS1_27lower_bound_config_selectorIjlEEZNS1_14transform_implILb0ES3_S5_N6thrust23THRUST_200600_302600_NS6detail15normal_iteratorINS8_7pointerIjNS8_11hip_rocprim5par_tENS8_11use_defaultESE_EEEENSA_INSB_IlSD_SE_SE_EEEEZNS1_13binary_searchIS3_S5_PjSG_SI_NS1_21lower_bound_search_opENS9_16wrapped_functionINS8_6system6detail7generic6detail18binary_search_lessEbEEEE10hipError_tPvRmT1_T2_T3_mmT4_T5_P12ihipStream_tbEUlRKjE_EEST_SX_SY_mSZ_S12_bEUlT_E_NS1_11comp_targetILNS1_3genE5ELNS1_11target_archE942ELNS1_3gpuE9ELNS1_3repE0EEENS1_30default_config_static_selectorELNS0_4arch9wavefront6targetE0EEEvSW_,"axG",@progbits,_ZN7rocprim17ROCPRIM_400000_NS6detail17trampoline_kernelINS0_14default_configENS1_27lower_bound_config_selectorIjlEEZNS1_14transform_implILb0ES3_S5_N6thrust23THRUST_200600_302600_NS6detail15normal_iteratorINS8_7pointerIjNS8_11hip_rocprim5par_tENS8_11use_defaultESE_EEEENSA_INSB_IlSD_SE_SE_EEEEZNS1_13binary_searchIS3_S5_PjSG_SI_NS1_21lower_bound_search_opENS9_16wrapped_functionINS8_6system6detail7generic6detail18binary_search_lessEbEEEE10hipError_tPvRmT1_T2_T3_mmT4_T5_P12ihipStream_tbEUlRKjE_EEST_SX_SY_mSZ_S12_bEUlT_E_NS1_11comp_targetILNS1_3genE5ELNS1_11target_archE942ELNS1_3gpuE9ELNS1_3repE0EEENS1_30default_config_static_selectorELNS0_4arch9wavefront6targetE0EEEvSW_,comdat
.Lfunc_end74:
	.size	_ZN7rocprim17ROCPRIM_400000_NS6detail17trampoline_kernelINS0_14default_configENS1_27lower_bound_config_selectorIjlEEZNS1_14transform_implILb0ES3_S5_N6thrust23THRUST_200600_302600_NS6detail15normal_iteratorINS8_7pointerIjNS8_11hip_rocprim5par_tENS8_11use_defaultESE_EEEENSA_INSB_IlSD_SE_SE_EEEEZNS1_13binary_searchIS3_S5_PjSG_SI_NS1_21lower_bound_search_opENS9_16wrapped_functionINS8_6system6detail7generic6detail18binary_search_lessEbEEEE10hipError_tPvRmT1_T2_T3_mmT4_T5_P12ihipStream_tbEUlRKjE_EEST_SX_SY_mSZ_S12_bEUlT_E_NS1_11comp_targetILNS1_3genE5ELNS1_11target_archE942ELNS1_3gpuE9ELNS1_3repE0EEENS1_30default_config_static_selectorELNS0_4arch9wavefront6targetE0EEEvSW_, .Lfunc_end74-_ZN7rocprim17ROCPRIM_400000_NS6detail17trampoline_kernelINS0_14default_configENS1_27lower_bound_config_selectorIjlEEZNS1_14transform_implILb0ES3_S5_N6thrust23THRUST_200600_302600_NS6detail15normal_iteratorINS8_7pointerIjNS8_11hip_rocprim5par_tENS8_11use_defaultESE_EEEENSA_INSB_IlSD_SE_SE_EEEEZNS1_13binary_searchIS3_S5_PjSG_SI_NS1_21lower_bound_search_opENS9_16wrapped_functionINS8_6system6detail7generic6detail18binary_search_lessEbEEEE10hipError_tPvRmT1_T2_T3_mmT4_T5_P12ihipStream_tbEUlRKjE_EEST_SX_SY_mSZ_S12_bEUlT_E_NS1_11comp_targetILNS1_3genE5ELNS1_11target_archE942ELNS1_3gpuE9ELNS1_3repE0EEENS1_30default_config_static_selectorELNS0_4arch9wavefront6targetE0EEEvSW_
                                        ; -- End function
	.set _ZN7rocprim17ROCPRIM_400000_NS6detail17trampoline_kernelINS0_14default_configENS1_27lower_bound_config_selectorIjlEEZNS1_14transform_implILb0ES3_S5_N6thrust23THRUST_200600_302600_NS6detail15normal_iteratorINS8_7pointerIjNS8_11hip_rocprim5par_tENS8_11use_defaultESE_EEEENSA_INSB_IlSD_SE_SE_EEEEZNS1_13binary_searchIS3_S5_PjSG_SI_NS1_21lower_bound_search_opENS9_16wrapped_functionINS8_6system6detail7generic6detail18binary_search_lessEbEEEE10hipError_tPvRmT1_T2_T3_mmT4_T5_P12ihipStream_tbEUlRKjE_EEST_SX_SY_mSZ_S12_bEUlT_E_NS1_11comp_targetILNS1_3genE5ELNS1_11target_archE942ELNS1_3gpuE9ELNS1_3repE0EEENS1_30default_config_static_selectorELNS0_4arch9wavefront6targetE0EEEvSW_.num_vgpr, 0
	.set _ZN7rocprim17ROCPRIM_400000_NS6detail17trampoline_kernelINS0_14default_configENS1_27lower_bound_config_selectorIjlEEZNS1_14transform_implILb0ES3_S5_N6thrust23THRUST_200600_302600_NS6detail15normal_iteratorINS8_7pointerIjNS8_11hip_rocprim5par_tENS8_11use_defaultESE_EEEENSA_INSB_IlSD_SE_SE_EEEEZNS1_13binary_searchIS3_S5_PjSG_SI_NS1_21lower_bound_search_opENS9_16wrapped_functionINS8_6system6detail7generic6detail18binary_search_lessEbEEEE10hipError_tPvRmT1_T2_T3_mmT4_T5_P12ihipStream_tbEUlRKjE_EEST_SX_SY_mSZ_S12_bEUlT_E_NS1_11comp_targetILNS1_3genE5ELNS1_11target_archE942ELNS1_3gpuE9ELNS1_3repE0EEENS1_30default_config_static_selectorELNS0_4arch9wavefront6targetE0EEEvSW_.num_agpr, 0
	.set _ZN7rocprim17ROCPRIM_400000_NS6detail17trampoline_kernelINS0_14default_configENS1_27lower_bound_config_selectorIjlEEZNS1_14transform_implILb0ES3_S5_N6thrust23THRUST_200600_302600_NS6detail15normal_iteratorINS8_7pointerIjNS8_11hip_rocprim5par_tENS8_11use_defaultESE_EEEENSA_INSB_IlSD_SE_SE_EEEEZNS1_13binary_searchIS3_S5_PjSG_SI_NS1_21lower_bound_search_opENS9_16wrapped_functionINS8_6system6detail7generic6detail18binary_search_lessEbEEEE10hipError_tPvRmT1_T2_T3_mmT4_T5_P12ihipStream_tbEUlRKjE_EEST_SX_SY_mSZ_S12_bEUlT_E_NS1_11comp_targetILNS1_3genE5ELNS1_11target_archE942ELNS1_3gpuE9ELNS1_3repE0EEENS1_30default_config_static_selectorELNS0_4arch9wavefront6targetE0EEEvSW_.numbered_sgpr, 0
	.set _ZN7rocprim17ROCPRIM_400000_NS6detail17trampoline_kernelINS0_14default_configENS1_27lower_bound_config_selectorIjlEEZNS1_14transform_implILb0ES3_S5_N6thrust23THRUST_200600_302600_NS6detail15normal_iteratorINS8_7pointerIjNS8_11hip_rocprim5par_tENS8_11use_defaultESE_EEEENSA_INSB_IlSD_SE_SE_EEEEZNS1_13binary_searchIS3_S5_PjSG_SI_NS1_21lower_bound_search_opENS9_16wrapped_functionINS8_6system6detail7generic6detail18binary_search_lessEbEEEE10hipError_tPvRmT1_T2_T3_mmT4_T5_P12ihipStream_tbEUlRKjE_EEST_SX_SY_mSZ_S12_bEUlT_E_NS1_11comp_targetILNS1_3genE5ELNS1_11target_archE942ELNS1_3gpuE9ELNS1_3repE0EEENS1_30default_config_static_selectorELNS0_4arch9wavefront6targetE0EEEvSW_.num_named_barrier, 0
	.set _ZN7rocprim17ROCPRIM_400000_NS6detail17trampoline_kernelINS0_14default_configENS1_27lower_bound_config_selectorIjlEEZNS1_14transform_implILb0ES3_S5_N6thrust23THRUST_200600_302600_NS6detail15normal_iteratorINS8_7pointerIjNS8_11hip_rocprim5par_tENS8_11use_defaultESE_EEEENSA_INSB_IlSD_SE_SE_EEEEZNS1_13binary_searchIS3_S5_PjSG_SI_NS1_21lower_bound_search_opENS9_16wrapped_functionINS8_6system6detail7generic6detail18binary_search_lessEbEEEE10hipError_tPvRmT1_T2_T3_mmT4_T5_P12ihipStream_tbEUlRKjE_EEST_SX_SY_mSZ_S12_bEUlT_E_NS1_11comp_targetILNS1_3genE5ELNS1_11target_archE942ELNS1_3gpuE9ELNS1_3repE0EEENS1_30default_config_static_selectorELNS0_4arch9wavefront6targetE0EEEvSW_.private_seg_size, 0
	.set _ZN7rocprim17ROCPRIM_400000_NS6detail17trampoline_kernelINS0_14default_configENS1_27lower_bound_config_selectorIjlEEZNS1_14transform_implILb0ES3_S5_N6thrust23THRUST_200600_302600_NS6detail15normal_iteratorINS8_7pointerIjNS8_11hip_rocprim5par_tENS8_11use_defaultESE_EEEENSA_INSB_IlSD_SE_SE_EEEEZNS1_13binary_searchIS3_S5_PjSG_SI_NS1_21lower_bound_search_opENS9_16wrapped_functionINS8_6system6detail7generic6detail18binary_search_lessEbEEEE10hipError_tPvRmT1_T2_T3_mmT4_T5_P12ihipStream_tbEUlRKjE_EEST_SX_SY_mSZ_S12_bEUlT_E_NS1_11comp_targetILNS1_3genE5ELNS1_11target_archE942ELNS1_3gpuE9ELNS1_3repE0EEENS1_30default_config_static_selectorELNS0_4arch9wavefront6targetE0EEEvSW_.uses_vcc, 0
	.set _ZN7rocprim17ROCPRIM_400000_NS6detail17trampoline_kernelINS0_14default_configENS1_27lower_bound_config_selectorIjlEEZNS1_14transform_implILb0ES3_S5_N6thrust23THRUST_200600_302600_NS6detail15normal_iteratorINS8_7pointerIjNS8_11hip_rocprim5par_tENS8_11use_defaultESE_EEEENSA_INSB_IlSD_SE_SE_EEEEZNS1_13binary_searchIS3_S5_PjSG_SI_NS1_21lower_bound_search_opENS9_16wrapped_functionINS8_6system6detail7generic6detail18binary_search_lessEbEEEE10hipError_tPvRmT1_T2_T3_mmT4_T5_P12ihipStream_tbEUlRKjE_EEST_SX_SY_mSZ_S12_bEUlT_E_NS1_11comp_targetILNS1_3genE5ELNS1_11target_archE942ELNS1_3gpuE9ELNS1_3repE0EEENS1_30default_config_static_selectorELNS0_4arch9wavefront6targetE0EEEvSW_.uses_flat_scratch, 0
	.set _ZN7rocprim17ROCPRIM_400000_NS6detail17trampoline_kernelINS0_14default_configENS1_27lower_bound_config_selectorIjlEEZNS1_14transform_implILb0ES3_S5_N6thrust23THRUST_200600_302600_NS6detail15normal_iteratorINS8_7pointerIjNS8_11hip_rocprim5par_tENS8_11use_defaultESE_EEEENSA_INSB_IlSD_SE_SE_EEEEZNS1_13binary_searchIS3_S5_PjSG_SI_NS1_21lower_bound_search_opENS9_16wrapped_functionINS8_6system6detail7generic6detail18binary_search_lessEbEEEE10hipError_tPvRmT1_T2_T3_mmT4_T5_P12ihipStream_tbEUlRKjE_EEST_SX_SY_mSZ_S12_bEUlT_E_NS1_11comp_targetILNS1_3genE5ELNS1_11target_archE942ELNS1_3gpuE9ELNS1_3repE0EEENS1_30default_config_static_selectorELNS0_4arch9wavefront6targetE0EEEvSW_.has_dyn_sized_stack, 0
	.set _ZN7rocprim17ROCPRIM_400000_NS6detail17trampoline_kernelINS0_14default_configENS1_27lower_bound_config_selectorIjlEEZNS1_14transform_implILb0ES3_S5_N6thrust23THRUST_200600_302600_NS6detail15normal_iteratorINS8_7pointerIjNS8_11hip_rocprim5par_tENS8_11use_defaultESE_EEEENSA_INSB_IlSD_SE_SE_EEEEZNS1_13binary_searchIS3_S5_PjSG_SI_NS1_21lower_bound_search_opENS9_16wrapped_functionINS8_6system6detail7generic6detail18binary_search_lessEbEEEE10hipError_tPvRmT1_T2_T3_mmT4_T5_P12ihipStream_tbEUlRKjE_EEST_SX_SY_mSZ_S12_bEUlT_E_NS1_11comp_targetILNS1_3genE5ELNS1_11target_archE942ELNS1_3gpuE9ELNS1_3repE0EEENS1_30default_config_static_selectorELNS0_4arch9wavefront6targetE0EEEvSW_.has_recursion, 0
	.set _ZN7rocprim17ROCPRIM_400000_NS6detail17trampoline_kernelINS0_14default_configENS1_27lower_bound_config_selectorIjlEEZNS1_14transform_implILb0ES3_S5_N6thrust23THRUST_200600_302600_NS6detail15normal_iteratorINS8_7pointerIjNS8_11hip_rocprim5par_tENS8_11use_defaultESE_EEEENSA_INSB_IlSD_SE_SE_EEEEZNS1_13binary_searchIS3_S5_PjSG_SI_NS1_21lower_bound_search_opENS9_16wrapped_functionINS8_6system6detail7generic6detail18binary_search_lessEbEEEE10hipError_tPvRmT1_T2_T3_mmT4_T5_P12ihipStream_tbEUlRKjE_EEST_SX_SY_mSZ_S12_bEUlT_E_NS1_11comp_targetILNS1_3genE5ELNS1_11target_archE942ELNS1_3gpuE9ELNS1_3repE0EEENS1_30default_config_static_selectorELNS0_4arch9wavefront6targetE0EEEvSW_.has_indirect_call, 0
	.section	.AMDGPU.csdata,"",@progbits
; Kernel info:
; codeLenInByte = 0
; TotalNumSgprs: 0
; NumVgprs: 0
; ScratchSize: 0
; MemoryBound: 0
; FloatMode: 240
; IeeeMode: 1
; LDSByteSize: 0 bytes/workgroup (compile time only)
; SGPRBlocks: 0
; VGPRBlocks: 0
; NumSGPRsForWavesPerEU: 1
; NumVGPRsForWavesPerEU: 1
; Occupancy: 16
; WaveLimiterHint : 0
; COMPUTE_PGM_RSRC2:SCRATCH_EN: 0
; COMPUTE_PGM_RSRC2:USER_SGPR: 6
; COMPUTE_PGM_RSRC2:TRAP_HANDLER: 0
; COMPUTE_PGM_RSRC2:TGID_X_EN: 1
; COMPUTE_PGM_RSRC2:TGID_Y_EN: 0
; COMPUTE_PGM_RSRC2:TGID_Z_EN: 0
; COMPUTE_PGM_RSRC2:TIDIG_COMP_CNT: 0
	.section	.text._ZN7rocprim17ROCPRIM_400000_NS6detail17trampoline_kernelINS0_14default_configENS1_27lower_bound_config_selectorIjlEEZNS1_14transform_implILb0ES3_S5_N6thrust23THRUST_200600_302600_NS6detail15normal_iteratorINS8_7pointerIjNS8_11hip_rocprim5par_tENS8_11use_defaultESE_EEEENSA_INSB_IlSD_SE_SE_EEEEZNS1_13binary_searchIS3_S5_PjSG_SI_NS1_21lower_bound_search_opENS9_16wrapped_functionINS8_6system6detail7generic6detail18binary_search_lessEbEEEE10hipError_tPvRmT1_T2_T3_mmT4_T5_P12ihipStream_tbEUlRKjE_EEST_SX_SY_mSZ_S12_bEUlT_E_NS1_11comp_targetILNS1_3genE4ELNS1_11target_archE910ELNS1_3gpuE8ELNS1_3repE0EEENS1_30default_config_static_selectorELNS0_4arch9wavefront6targetE0EEEvSW_,"axG",@progbits,_ZN7rocprim17ROCPRIM_400000_NS6detail17trampoline_kernelINS0_14default_configENS1_27lower_bound_config_selectorIjlEEZNS1_14transform_implILb0ES3_S5_N6thrust23THRUST_200600_302600_NS6detail15normal_iteratorINS8_7pointerIjNS8_11hip_rocprim5par_tENS8_11use_defaultESE_EEEENSA_INSB_IlSD_SE_SE_EEEEZNS1_13binary_searchIS3_S5_PjSG_SI_NS1_21lower_bound_search_opENS9_16wrapped_functionINS8_6system6detail7generic6detail18binary_search_lessEbEEEE10hipError_tPvRmT1_T2_T3_mmT4_T5_P12ihipStream_tbEUlRKjE_EEST_SX_SY_mSZ_S12_bEUlT_E_NS1_11comp_targetILNS1_3genE4ELNS1_11target_archE910ELNS1_3gpuE8ELNS1_3repE0EEENS1_30default_config_static_selectorELNS0_4arch9wavefront6targetE0EEEvSW_,comdat
	.protected	_ZN7rocprim17ROCPRIM_400000_NS6detail17trampoline_kernelINS0_14default_configENS1_27lower_bound_config_selectorIjlEEZNS1_14transform_implILb0ES3_S5_N6thrust23THRUST_200600_302600_NS6detail15normal_iteratorINS8_7pointerIjNS8_11hip_rocprim5par_tENS8_11use_defaultESE_EEEENSA_INSB_IlSD_SE_SE_EEEEZNS1_13binary_searchIS3_S5_PjSG_SI_NS1_21lower_bound_search_opENS9_16wrapped_functionINS8_6system6detail7generic6detail18binary_search_lessEbEEEE10hipError_tPvRmT1_T2_T3_mmT4_T5_P12ihipStream_tbEUlRKjE_EEST_SX_SY_mSZ_S12_bEUlT_E_NS1_11comp_targetILNS1_3genE4ELNS1_11target_archE910ELNS1_3gpuE8ELNS1_3repE0EEENS1_30default_config_static_selectorELNS0_4arch9wavefront6targetE0EEEvSW_ ; -- Begin function _ZN7rocprim17ROCPRIM_400000_NS6detail17trampoline_kernelINS0_14default_configENS1_27lower_bound_config_selectorIjlEEZNS1_14transform_implILb0ES3_S5_N6thrust23THRUST_200600_302600_NS6detail15normal_iteratorINS8_7pointerIjNS8_11hip_rocprim5par_tENS8_11use_defaultESE_EEEENSA_INSB_IlSD_SE_SE_EEEEZNS1_13binary_searchIS3_S5_PjSG_SI_NS1_21lower_bound_search_opENS9_16wrapped_functionINS8_6system6detail7generic6detail18binary_search_lessEbEEEE10hipError_tPvRmT1_T2_T3_mmT4_T5_P12ihipStream_tbEUlRKjE_EEST_SX_SY_mSZ_S12_bEUlT_E_NS1_11comp_targetILNS1_3genE4ELNS1_11target_archE910ELNS1_3gpuE8ELNS1_3repE0EEENS1_30default_config_static_selectorELNS0_4arch9wavefront6targetE0EEEvSW_
	.globl	_ZN7rocprim17ROCPRIM_400000_NS6detail17trampoline_kernelINS0_14default_configENS1_27lower_bound_config_selectorIjlEEZNS1_14transform_implILb0ES3_S5_N6thrust23THRUST_200600_302600_NS6detail15normal_iteratorINS8_7pointerIjNS8_11hip_rocprim5par_tENS8_11use_defaultESE_EEEENSA_INSB_IlSD_SE_SE_EEEEZNS1_13binary_searchIS3_S5_PjSG_SI_NS1_21lower_bound_search_opENS9_16wrapped_functionINS8_6system6detail7generic6detail18binary_search_lessEbEEEE10hipError_tPvRmT1_T2_T3_mmT4_T5_P12ihipStream_tbEUlRKjE_EEST_SX_SY_mSZ_S12_bEUlT_E_NS1_11comp_targetILNS1_3genE4ELNS1_11target_archE910ELNS1_3gpuE8ELNS1_3repE0EEENS1_30default_config_static_selectorELNS0_4arch9wavefront6targetE0EEEvSW_
	.p2align	8
	.type	_ZN7rocprim17ROCPRIM_400000_NS6detail17trampoline_kernelINS0_14default_configENS1_27lower_bound_config_selectorIjlEEZNS1_14transform_implILb0ES3_S5_N6thrust23THRUST_200600_302600_NS6detail15normal_iteratorINS8_7pointerIjNS8_11hip_rocprim5par_tENS8_11use_defaultESE_EEEENSA_INSB_IlSD_SE_SE_EEEEZNS1_13binary_searchIS3_S5_PjSG_SI_NS1_21lower_bound_search_opENS9_16wrapped_functionINS8_6system6detail7generic6detail18binary_search_lessEbEEEE10hipError_tPvRmT1_T2_T3_mmT4_T5_P12ihipStream_tbEUlRKjE_EEST_SX_SY_mSZ_S12_bEUlT_E_NS1_11comp_targetILNS1_3genE4ELNS1_11target_archE910ELNS1_3gpuE8ELNS1_3repE0EEENS1_30default_config_static_selectorELNS0_4arch9wavefront6targetE0EEEvSW_,@function
_ZN7rocprim17ROCPRIM_400000_NS6detail17trampoline_kernelINS0_14default_configENS1_27lower_bound_config_selectorIjlEEZNS1_14transform_implILb0ES3_S5_N6thrust23THRUST_200600_302600_NS6detail15normal_iteratorINS8_7pointerIjNS8_11hip_rocprim5par_tENS8_11use_defaultESE_EEEENSA_INSB_IlSD_SE_SE_EEEEZNS1_13binary_searchIS3_S5_PjSG_SI_NS1_21lower_bound_search_opENS9_16wrapped_functionINS8_6system6detail7generic6detail18binary_search_lessEbEEEE10hipError_tPvRmT1_T2_T3_mmT4_T5_P12ihipStream_tbEUlRKjE_EEST_SX_SY_mSZ_S12_bEUlT_E_NS1_11comp_targetILNS1_3genE4ELNS1_11target_archE910ELNS1_3gpuE8ELNS1_3repE0EEENS1_30default_config_static_selectorELNS0_4arch9wavefront6targetE0EEEvSW_: ; @_ZN7rocprim17ROCPRIM_400000_NS6detail17trampoline_kernelINS0_14default_configENS1_27lower_bound_config_selectorIjlEEZNS1_14transform_implILb0ES3_S5_N6thrust23THRUST_200600_302600_NS6detail15normal_iteratorINS8_7pointerIjNS8_11hip_rocprim5par_tENS8_11use_defaultESE_EEEENSA_INSB_IlSD_SE_SE_EEEEZNS1_13binary_searchIS3_S5_PjSG_SI_NS1_21lower_bound_search_opENS9_16wrapped_functionINS8_6system6detail7generic6detail18binary_search_lessEbEEEE10hipError_tPvRmT1_T2_T3_mmT4_T5_P12ihipStream_tbEUlRKjE_EEST_SX_SY_mSZ_S12_bEUlT_E_NS1_11comp_targetILNS1_3genE4ELNS1_11target_archE910ELNS1_3gpuE8ELNS1_3repE0EEENS1_30default_config_static_selectorELNS0_4arch9wavefront6targetE0EEEvSW_
; %bb.0:
	.section	.rodata,"a",@progbits
	.p2align	6, 0x0
	.amdhsa_kernel _ZN7rocprim17ROCPRIM_400000_NS6detail17trampoline_kernelINS0_14default_configENS1_27lower_bound_config_selectorIjlEEZNS1_14transform_implILb0ES3_S5_N6thrust23THRUST_200600_302600_NS6detail15normal_iteratorINS8_7pointerIjNS8_11hip_rocprim5par_tENS8_11use_defaultESE_EEEENSA_INSB_IlSD_SE_SE_EEEEZNS1_13binary_searchIS3_S5_PjSG_SI_NS1_21lower_bound_search_opENS9_16wrapped_functionINS8_6system6detail7generic6detail18binary_search_lessEbEEEE10hipError_tPvRmT1_T2_T3_mmT4_T5_P12ihipStream_tbEUlRKjE_EEST_SX_SY_mSZ_S12_bEUlT_E_NS1_11comp_targetILNS1_3genE4ELNS1_11target_archE910ELNS1_3gpuE8ELNS1_3repE0EEENS1_30default_config_static_selectorELNS0_4arch9wavefront6targetE0EEEvSW_
		.amdhsa_group_segment_fixed_size 0
		.amdhsa_private_segment_fixed_size 0
		.amdhsa_kernarg_size 56
		.amdhsa_user_sgpr_count 6
		.amdhsa_user_sgpr_private_segment_buffer 1
		.amdhsa_user_sgpr_dispatch_ptr 0
		.amdhsa_user_sgpr_queue_ptr 0
		.amdhsa_user_sgpr_kernarg_segment_ptr 1
		.amdhsa_user_sgpr_dispatch_id 0
		.amdhsa_user_sgpr_flat_scratch_init 0
		.amdhsa_user_sgpr_private_segment_size 0
		.amdhsa_wavefront_size32 1
		.amdhsa_uses_dynamic_stack 0
		.amdhsa_system_sgpr_private_segment_wavefront_offset 0
		.amdhsa_system_sgpr_workgroup_id_x 1
		.amdhsa_system_sgpr_workgroup_id_y 0
		.amdhsa_system_sgpr_workgroup_id_z 0
		.amdhsa_system_sgpr_workgroup_info 0
		.amdhsa_system_vgpr_workitem_id 0
		.amdhsa_next_free_vgpr 1
		.amdhsa_next_free_sgpr 1
		.amdhsa_reserve_vcc 0
		.amdhsa_reserve_flat_scratch 0
		.amdhsa_float_round_mode_32 0
		.amdhsa_float_round_mode_16_64 0
		.amdhsa_float_denorm_mode_32 3
		.amdhsa_float_denorm_mode_16_64 3
		.amdhsa_dx10_clamp 1
		.amdhsa_ieee_mode 1
		.amdhsa_fp16_overflow 0
		.amdhsa_workgroup_processor_mode 1
		.amdhsa_memory_ordered 1
		.amdhsa_forward_progress 1
		.amdhsa_shared_vgpr_count 0
		.amdhsa_exception_fp_ieee_invalid_op 0
		.amdhsa_exception_fp_denorm_src 0
		.amdhsa_exception_fp_ieee_div_zero 0
		.amdhsa_exception_fp_ieee_overflow 0
		.amdhsa_exception_fp_ieee_underflow 0
		.amdhsa_exception_fp_ieee_inexact 0
		.amdhsa_exception_int_div_zero 0
	.end_amdhsa_kernel
	.section	.text._ZN7rocprim17ROCPRIM_400000_NS6detail17trampoline_kernelINS0_14default_configENS1_27lower_bound_config_selectorIjlEEZNS1_14transform_implILb0ES3_S5_N6thrust23THRUST_200600_302600_NS6detail15normal_iteratorINS8_7pointerIjNS8_11hip_rocprim5par_tENS8_11use_defaultESE_EEEENSA_INSB_IlSD_SE_SE_EEEEZNS1_13binary_searchIS3_S5_PjSG_SI_NS1_21lower_bound_search_opENS9_16wrapped_functionINS8_6system6detail7generic6detail18binary_search_lessEbEEEE10hipError_tPvRmT1_T2_T3_mmT4_T5_P12ihipStream_tbEUlRKjE_EEST_SX_SY_mSZ_S12_bEUlT_E_NS1_11comp_targetILNS1_3genE4ELNS1_11target_archE910ELNS1_3gpuE8ELNS1_3repE0EEENS1_30default_config_static_selectorELNS0_4arch9wavefront6targetE0EEEvSW_,"axG",@progbits,_ZN7rocprim17ROCPRIM_400000_NS6detail17trampoline_kernelINS0_14default_configENS1_27lower_bound_config_selectorIjlEEZNS1_14transform_implILb0ES3_S5_N6thrust23THRUST_200600_302600_NS6detail15normal_iteratorINS8_7pointerIjNS8_11hip_rocprim5par_tENS8_11use_defaultESE_EEEENSA_INSB_IlSD_SE_SE_EEEEZNS1_13binary_searchIS3_S5_PjSG_SI_NS1_21lower_bound_search_opENS9_16wrapped_functionINS8_6system6detail7generic6detail18binary_search_lessEbEEEE10hipError_tPvRmT1_T2_T3_mmT4_T5_P12ihipStream_tbEUlRKjE_EEST_SX_SY_mSZ_S12_bEUlT_E_NS1_11comp_targetILNS1_3genE4ELNS1_11target_archE910ELNS1_3gpuE8ELNS1_3repE0EEENS1_30default_config_static_selectorELNS0_4arch9wavefront6targetE0EEEvSW_,comdat
.Lfunc_end75:
	.size	_ZN7rocprim17ROCPRIM_400000_NS6detail17trampoline_kernelINS0_14default_configENS1_27lower_bound_config_selectorIjlEEZNS1_14transform_implILb0ES3_S5_N6thrust23THRUST_200600_302600_NS6detail15normal_iteratorINS8_7pointerIjNS8_11hip_rocprim5par_tENS8_11use_defaultESE_EEEENSA_INSB_IlSD_SE_SE_EEEEZNS1_13binary_searchIS3_S5_PjSG_SI_NS1_21lower_bound_search_opENS9_16wrapped_functionINS8_6system6detail7generic6detail18binary_search_lessEbEEEE10hipError_tPvRmT1_T2_T3_mmT4_T5_P12ihipStream_tbEUlRKjE_EEST_SX_SY_mSZ_S12_bEUlT_E_NS1_11comp_targetILNS1_3genE4ELNS1_11target_archE910ELNS1_3gpuE8ELNS1_3repE0EEENS1_30default_config_static_selectorELNS0_4arch9wavefront6targetE0EEEvSW_, .Lfunc_end75-_ZN7rocprim17ROCPRIM_400000_NS6detail17trampoline_kernelINS0_14default_configENS1_27lower_bound_config_selectorIjlEEZNS1_14transform_implILb0ES3_S5_N6thrust23THRUST_200600_302600_NS6detail15normal_iteratorINS8_7pointerIjNS8_11hip_rocprim5par_tENS8_11use_defaultESE_EEEENSA_INSB_IlSD_SE_SE_EEEEZNS1_13binary_searchIS3_S5_PjSG_SI_NS1_21lower_bound_search_opENS9_16wrapped_functionINS8_6system6detail7generic6detail18binary_search_lessEbEEEE10hipError_tPvRmT1_T2_T3_mmT4_T5_P12ihipStream_tbEUlRKjE_EEST_SX_SY_mSZ_S12_bEUlT_E_NS1_11comp_targetILNS1_3genE4ELNS1_11target_archE910ELNS1_3gpuE8ELNS1_3repE0EEENS1_30default_config_static_selectorELNS0_4arch9wavefront6targetE0EEEvSW_
                                        ; -- End function
	.set _ZN7rocprim17ROCPRIM_400000_NS6detail17trampoline_kernelINS0_14default_configENS1_27lower_bound_config_selectorIjlEEZNS1_14transform_implILb0ES3_S5_N6thrust23THRUST_200600_302600_NS6detail15normal_iteratorINS8_7pointerIjNS8_11hip_rocprim5par_tENS8_11use_defaultESE_EEEENSA_INSB_IlSD_SE_SE_EEEEZNS1_13binary_searchIS3_S5_PjSG_SI_NS1_21lower_bound_search_opENS9_16wrapped_functionINS8_6system6detail7generic6detail18binary_search_lessEbEEEE10hipError_tPvRmT1_T2_T3_mmT4_T5_P12ihipStream_tbEUlRKjE_EEST_SX_SY_mSZ_S12_bEUlT_E_NS1_11comp_targetILNS1_3genE4ELNS1_11target_archE910ELNS1_3gpuE8ELNS1_3repE0EEENS1_30default_config_static_selectorELNS0_4arch9wavefront6targetE0EEEvSW_.num_vgpr, 0
	.set _ZN7rocprim17ROCPRIM_400000_NS6detail17trampoline_kernelINS0_14default_configENS1_27lower_bound_config_selectorIjlEEZNS1_14transform_implILb0ES3_S5_N6thrust23THRUST_200600_302600_NS6detail15normal_iteratorINS8_7pointerIjNS8_11hip_rocprim5par_tENS8_11use_defaultESE_EEEENSA_INSB_IlSD_SE_SE_EEEEZNS1_13binary_searchIS3_S5_PjSG_SI_NS1_21lower_bound_search_opENS9_16wrapped_functionINS8_6system6detail7generic6detail18binary_search_lessEbEEEE10hipError_tPvRmT1_T2_T3_mmT4_T5_P12ihipStream_tbEUlRKjE_EEST_SX_SY_mSZ_S12_bEUlT_E_NS1_11comp_targetILNS1_3genE4ELNS1_11target_archE910ELNS1_3gpuE8ELNS1_3repE0EEENS1_30default_config_static_selectorELNS0_4arch9wavefront6targetE0EEEvSW_.num_agpr, 0
	.set _ZN7rocprim17ROCPRIM_400000_NS6detail17trampoline_kernelINS0_14default_configENS1_27lower_bound_config_selectorIjlEEZNS1_14transform_implILb0ES3_S5_N6thrust23THRUST_200600_302600_NS6detail15normal_iteratorINS8_7pointerIjNS8_11hip_rocprim5par_tENS8_11use_defaultESE_EEEENSA_INSB_IlSD_SE_SE_EEEEZNS1_13binary_searchIS3_S5_PjSG_SI_NS1_21lower_bound_search_opENS9_16wrapped_functionINS8_6system6detail7generic6detail18binary_search_lessEbEEEE10hipError_tPvRmT1_T2_T3_mmT4_T5_P12ihipStream_tbEUlRKjE_EEST_SX_SY_mSZ_S12_bEUlT_E_NS1_11comp_targetILNS1_3genE4ELNS1_11target_archE910ELNS1_3gpuE8ELNS1_3repE0EEENS1_30default_config_static_selectorELNS0_4arch9wavefront6targetE0EEEvSW_.numbered_sgpr, 0
	.set _ZN7rocprim17ROCPRIM_400000_NS6detail17trampoline_kernelINS0_14default_configENS1_27lower_bound_config_selectorIjlEEZNS1_14transform_implILb0ES3_S5_N6thrust23THRUST_200600_302600_NS6detail15normal_iteratorINS8_7pointerIjNS8_11hip_rocprim5par_tENS8_11use_defaultESE_EEEENSA_INSB_IlSD_SE_SE_EEEEZNS1_13binary_searchIS3_S5_PjSG_SI_NS1_21lower_bound_search_opENS9_16wrapped_functionINS8_6system6detail7generic6detail18binary_search_lessEbEEEE10hipError_tPvRmT1_T2_T3_mmT4_T5_P12ihipStream_tbEUlRKjE_EEST_SX_SY_mSZ_S12_bEUlT_E_NS1_11comp_targetILNS1_3genE4ELNS1_11target_archE910ELNS1_3gpuE8ELNS1_3repE0EEENS1_30default_config_static_selectorELNS0_4arch9wavefront6targetE0EEEvSW_.num_named_barrier, 0
	.set _ZN7rocprim17ROCPRIM_400000_NS6detail17trampoline_kernelINS0_14default_configENS1_27lower_bound_config_selectorIjlEEZNS1_14transform_implILb0ES3_S5_N6thrust23THRUST_200600_302600_NS6detail15normal_iteratorINS8_7pointerIjNS8_11hip_rocprim5par_tENS8_11use_defaultESE_EEEENSA_INSB_IlSD_SE_SE_EEEEZNS1_13binary_searchIS3_S5_PjSG_SI_NS1_21lower_bound_search_opENS9_16wrapped_functionINS8_6system6detail7generic6detail18binary_search_lessEbEEEE10hipError_tPvRmT1_T2_T3_mmT4_T5_P12ihipStream_tbEUlRKjE_EEST_SX_SY_mSZ_S12_bEUlT_E_NS1_11comp_targetILNS1_3genE4ELNS1_11target_archE910ELNS1_3gpuE8ELNS1_3repE0EEENS1_30default_config_static_selectorELNS0_4arch9wavefront6targetE0EEEvSW_.private_seg_size, 0
	.set _ZN7rocprim17ROCPRIM_400000_NS6detail17trampoline_kernelINS0_14default_configENS1_27lower_bound_config_selectorIjlEEZNS1_14transform_implILb0ES3_S5_N6thrust23THRUST_200600_302600_NS6detail15normal_iteratorINS8_7pointerIjNS8_11hip_rocprim5par_tENS8_11use_defaultESE_EEEENSA_INSB_IlSD_SE_SE_EEEEZNS1_13binary_searchIS3_S5_PjSG_SI_NS1_21lower_bound_search_opENS9_16wrapped_functionINS8_6system6detail7generic6detail18binary_search_lessEbEEEE10hipError_tPvRmT1_T2_T3_mmT4_T5_P12ihipStream_tbEUlRKjE_EEST_SX_SY_mSZ_S12_bEUlT_E_NS1_11comp_targetILNS1_3genE4ELNS1_11target_archE910ELNS1_3gpuE8ELNS1_3repE0EEENS1_30default_config_static_selectorELNS0_4arch9wavefront6targetE0EEEvSW_.uses_vcc, 0
	.set _ZN7rocprim17ROCPRIM_400000_NS6detail17trampoline_kernelINS0_14default_configENS1_27lower_bound_config_selectorIjlEEZNS1_14transform_implILb0ES3_S5_N6thrust23THRUST_200600_302600_NS6detail15normal_iteratorINS8_7pointerIjNS8_11hip_rocprim5par_tENS8_11use_defaultESE_EEEENSA_INSB_IlSD_SE_SE_EEEEZNS1_13binary_searchIS3_S5_PjSG_SI_NS1_21lower_bound_search_opENS9_16wrapped_functionINS8_6system6detail7generic6detail18binary_search_lessEbEEEE10hipError_tPvRmT1_T2_T3_mmT4_T5_P12ihipStream_tbEUlRKjE_EEST_SX_SY_mSZ_S12_bEUlT_E_NS1_11comp_targetILNS1_3genE4ELNS1_11target_archE910ELNS1_3gpuE8ELNS1_3repE0EEENS1_30default_config_static_selectorELNS0_4arch9wavefront6targetE0EEEvSW_.uses_flat_scratch, 0
	.set _ZN7rocprim17ROCPRIM_400000_NS6detail17trampoline_kernelINS0_14default_configENS1_27lower_bound_config_selectorIjlEEZNS1_14transform_implILb0ES3_S5_N6thrust23THRUST_200600_302600_NS6detail15normal_iteratorINS8_7pointerIjNS8_11hip_rocprim5par_tENS8_11use_defaultESE_EEEENSA_INSB_IlSD_SE_SE_EEEEZNS1_13binary_searchIS3_S5_PjSG_SI_NS1_21lower_bound_search_opENS9_16wrapped_functionINS8_6system6detail7generic6detail18binary_search_lessEbEEEE10hipError_tPvRmT1_T2_T3_mmT4_T5_P12ihipStream_tbEUlRKjE_EEST_SX_SY_mSZ_S12_bEUlT_E_NS1_11comp_targetILNS1_3genE4ELNS1_11target_archE910ELNS1_3gpuE8ELNS1_3repE0EEENS1_30default_config_static_selectorELNS0_4arch9wavefront6targetE0EEEvSW_.has_dyn_sized_stack, 0
	.set _ZN7rocprim17ROCPRIM_400000_NS6detail17trampoline_kernelINS0_14default_configENS1_27lower_bound_config_selectorIjlEEZNS1_14transform_implILb0ES3_S5_N6thrust23THRUST_200600_302600_NS6detail15normal_iteratorINS8_7pointerIjNS8_11hip_rocprim5par_tENS8_11use_defaultESE_EEEENSA_INSB_IlSD_SE_SE_EEEEZNS1_13binary_searchIS3_S5_PjSG_SI_NS1_21lower_bound_search_opENS9_16wrapped_functionINS8_6system6detail7generic6detail18binary_search_lessEbEEEE10hipError_tPvRmT1_T2_T3_mmT4_T5_P12ihipStream_tbEUlRKjE_EEST_SX_SY_mSZ_S12_bEUlT_E_NS1_11comp_targetILNS1_3genE4ELNS1_11target_archE910ELNS1_3gpuE8ELNS1_3repE0EEENS1_30default_config_static_selectorELNS0_4arch9wavefront6targetE0EEEvSW_.has_recursion, 0
	.set _ZN7rocprim17ROCPRIM_400000_NS6detail17trampoline_kernelINS0_14default_configENS1_27lower_bound_config_selectorIjlEEZNS1_14transform_implILb0ES3_S5_N6thrust23THRUST_200600_302600_NS6detail15normal_iteratorINS8_7pointerIjNS8_11hip_rocprim5par_tENS8_11use_defaultESE_EEEENSA_INSB_IlSD_SE_SE_EEEEZNS1_13binary_searchIS3_S5_PjSG_SI_NS1_21lower_bound_search_opENS9_16wrapped_functionINS8_6system6detail7generic6detail18binary_search_lessEbEEEE10hipError_tPvRmT1_T2_T3_mmT4_T5_P12ihipStream_tbEUlRKjE_EEST_SX_SY_mSZ_S12_bEUlT_E_NS1_11comp_targetILNS1_3genE4ELNS1_11target_archE910ELNS1_3gpuE8ELNS1_3repE0EEENS1_30default_config_static_selectorELNS0_4arch9wavefront6targetE0EEEvSW_.has_indirect_call, 0
	.section	.AMDGPU.csdata,"",@progbits
; Kernel info:
; codeLenInByte = 0
; TotalNumSgprs: 0
; NumVgprs: 0
; ScratchSize: 0
; MemoryBound: 0
; FloatMode: 240
; IeeeMode: 1
; LDSByteSize: 0 bytes/workgroup (compile time only)
; SGPRBlocks: 0
; VGPRBlocks: 0
; NumSGPRsForWavesPerEU: 1
; NumVGPRsForWavesPerEU: 1
; Occupancy: 16
; WaveLimiterHint : 0
; COMPUTE_PGM_RSRC2:SCRATCH_EN: 0
; COMPUTE_PGM_RSRC2:USER_SGPR: 6
; COMPUTE_PGM_RSRC2:TRAP_HANDLER: 0
; COMPUTE_PGM_RSRC2:TGID_X_EN: 1
; COMPUTE_PGM_RSRC2:TGID_Y_EN: 0
; COMPUTE_PGM_RSRC2:TGID_Z_EN: 0
; COMPUTE_PGM_RSRC2:TIDIG_COMP_CNT: 0
	.section	.text._ZN7rocprim17ROCPRIM_400000_NS6detail17trampoline_kernelINS0_14default_configENS1_27lower_bound_config_selectorIjlEEZNS1_14transform_implILb0ES3_S5_N6thrust23THRUST_200600_302600_NS6detail15normal_iteratorINS8_7pointerIjNS8_11hip_rocprim5par_tENS8_11use_defaultESE_EEEENSA_INSB_IlSD_SE_SE_EEEEZNS1_13binary_searchIS3_S5_PjSG_SI_NS1_21lower_bound_search_opENS9_16wrapped_functionINS8_6system6detail7generic6detail18binary_search_lessEbEEEE10hipError_tPvRmT1_T2_T3_mmT4_T5_P12ihipStream_tbEUlRKjE_EEST_SX_SY_mSZ_S12_bEUlT_E_NS1_11comp_targetILNS1_3genE3ELNS1_11target_archE908ELNS1_3gpuE7ELNS1_3repE0EEENS1_30default_config_static_selectorELNS0_4arch9wavefront6targetE0EEEvSW_,"axG",@progbits,_ZN7rocprim17ROCPRIM_400000_NS6detail17trampoline_kernelINS0_14default_configENS1_27lower_bound_config_selectorIjlEEZNS1_14transform_implILb0ES3_S5_N6thrust23THRUST_200600_302600_NS6detail15normal_iteratorINS8_7pointerIjNS8_11hip_rocprim5par_tENS8_11use_defaultESE_EEEENSA_INSB_IlSD_SE_SE_EEEEZNS1_13binary_searchIS3_S5_PjSG_SI_NS1_21lower_bound_search_opENS9_16wrapped_functionINS8_6system6detail7generic6detail18binary_search_lessEbEEEE10hipError_tPvRmT1_T2_T3_mmT4_T5_P12ihipStream_tbEUlRKjE_EEST_SX_SY_mSZ_S12_bEUlT_E_NS1_11comp_targetILNS1_3genE3ELNS1_11target_archE908ELNS1_3gpuE7ELNS1_3repE0EEENS1_30default_config_static_selectorELNS0_4arch9wavefront6targetE0EEEvSW_,comdat
	.protected	_ZN7rocprim17ROCPRIM_400000_NS6detail17trampoline_kernelINS0_14default_configENS1_27lower_bound_config_selectorIjlEEZNS1_14transform_implILb0ES3_S5_N6thrust23THRUST_200600_302600_NS6detail15normal_iteratorINS8_7pointerIjNS8_11hip_rocprim5par_tENS8_11use_defaultESE_EEEENSA_INSB_IlSD_SE_SE_EEEEZNS1_13binary_searchIS3_S5_PjSG_SI_NS1_21lower_bound_search_opENS9_16wrapped_functionINS8_6system6detail7generic6detail18binary_search_lessEbEEEE10hipError_tPvRmT1_T2_T3_mmT4_T5_P12ihipStream_tbEUlRKjE_EEST_SX_SY_mSZ_S12_bEUlT_E_NS1_11comp_targetILNS1_3genE3ELNS1_11target_archE908ELNS1_3gpuE7ELNS1_3repE0EEENS1_30default_config_static_selectorELNS0_4arch9wavefront6targetE0EEEvSW_ ; -- Begin function _ZN7rocprim17ROCPRIM_400000_NS6detail17trampoline_kernelINS0_14default_configENS1_27lower_bound_config_selectorIjlEEZNS1_14transform_implILb0ES3_S5_N6thrust23THRUST_200600_302600_NS6detail15normal_iteratorINS8_7pointerIjNS8_11hip_rocprim5par_tENS8_11use_defaultESE_EEEENSA_INSB_IlSD_SE_SE_EEEEZNS1_13binary_searchIS3_S5_PjSG_SI_NS1_21lower_bound_search_opENS9_16wrapped_functionINS8_6system6detail7generic6detail18binary_search_lessEbEEEE10hipError_tPvRmT1_T2_T3_mmT4_T5_P12ihipStream_tbEUlRKjE_EEST_SX_SY_mSZ_S12_bEUlT_E_NS1_11comp_targetILNS1_3genE3ELNS1_11target_archE908ELNS1_3gpuE7ELNS1_3repE0EEENS1_30default_config_static_selectorELNS0_4arch9wavefront6targetE0EEEvSW_
	.globl	_ZN7rocprim17ROCPRIM_400000_NS6detail17trampoline_kernelINS0_14default_configENS1_27lower_bound_config_selectorIjlEEZNS1_14transform_implILb0ES3_S5_N6thrust23THRUST_200600_302600_NS6detail15normal_iteratorINS8_7pointerIjNS8_11hip_rocprim5par_tENS8_11use_defaultESE_EEEENSA_INSB_IlSD_SE_SE_EEEEZNS1_13binary_searchIS3_S5_PjSG_SI_NS1_21lower_bound_search_opENS9_16wrapped_functionINS8_6system6detail7generic6detail18binary_search_lessEbEEEE10hipError_tPvRmT1_T2_T3_mmT4_T5_P12ihipStream_tbEUlRKjE_EEST_SX_SY_mSZ_S12_bEUlT_E_NS1_11comp_targetILNS1_3genE3ELNS1_11target_archE908ELNS1_3gpuE7ELNS1_3repE0EEENS1_30default_config_static_selectorELNS0_4arch9wavefront6targetE0EEEvSW_
	.p2align	8
	.type	_ZN7rocprim17ROCPRIM_400000_NS6detail17trampoline_kernelINS0_14default_configENS1_27lower_bound_config_selectorIjlEEZNS1_14transform_implILb0ES3_S5_N6thrust23THRUST_200600_302600_NS6detail15normal_iteratorINS8_7pointerIjNS8_11hip_rocprim5par_tENS8_11use_defaultESE_EEEENSA_INSB_IlSD_SE_SE_EEEEZNS1_13binary_searchIS3_S5_PjSG_SI_NS1_21lower_bound_search_opENS9_16wrapped_functionINS8_6system6detail7generic6detail18binary_search_lessEbEEEE10hipError_tPvRmT1_T2_T3_mmT4_T5_P12ihipStream_tbEUlRKjE_EEST_SX_SY_mSZ_S12_bEUlT_E_NS1_11comp_targetILNS1_3genE3ELNS1_11target_archE908ELNS1_3gpuE7ELNS1_3repE0EEENS1_30default_config_static_selectorELNS0_4arch9wavefront6targetE0EEEvSW_,@function
_ZN7rocprim17ROCPRIM_400000_NS6detail17trampoline_kernelINS0_14default_configENS1_27lower_bound_config_selectorIjlEEZNS1_14transform_implILb0ES3_S5_N6thrust23THRUST_200600_302600_NS6detail15normal_iteratorINS8_7pointerIjNS8_11hip_rocprim5par_tENS8_11use_defaultESE_EEEENSA_INSB_IlSD_SE_SE_EEEEZNS1_13binary_searchIS3_S5_PjSG_SI_NS1_21lower_bound_search_opENS9_16wrapped_functionINS8_6system6detail7generic6detail18binary_search_lessEbEEEE10hipError_tPvRmT1_T2_T3_mmT4_T5_P12ihipStream_tbEUlRKjE_EEST_SX_SY_mSZ_S12_bEUlT_E_NS1_11comp_targetILNS1_3genE3ELNS1_11target_archE908ELNS1_3gpuE7ELNS1_3repE0EEENS1_30default_config_static_selectorELNS0_4arch9wavefront6targetE0EEEvSW_: ; @_ZN7rocprim17ROCPRIM_400000_NS6detail17trampoline_kernelINS0_14default_configENS1_27lower_bound_config_selectorIjlEEZNS1_14transform_implILb0ES3_S5_N6thrust23THRUST_200600_302600_NS6detail15normal_iteratorINS8_7pointerIjNS8_11hip_rocprim5par_tENS8_11use_defaultESE_EEEENSA_INSB_IlSD_SE_SE_EEEEZNS1_13binary_searchIS3_S5_PjSG_SI_NS1_21lower_bound_search_opENS9_16wrapped_functionINS8_6system6detail7generic6detail18binary_search_lessEbEEEE10hipError_tPvRmT1_T2_T3_mmT4_T5_P12ihipStream_tbEUlRKjE_EEST_SX_SY_mSZ_S12_bEUlT_E_NS1_11comp_targetILNS1_3genE3ELNS1_11target_archE908ELNS1_3gpuE7ELNS1_3repE0EEENS1_30default_config_static_selectorELNS0_4arch9wavefront6targetE0EEEvSW_
; %bb.0:
	.section	.rodata,"a",@progbits
	.p2align	6, 0x0
	.amdhsa_kernel _ZN7rocprim17ROCPRIM_400000_NS6detail17trampoline_kernelINS0_14default_configENS1_27lower_bound_config_selectorIjlEEZNS1_14transform_implILb0ES3_S5_N6thrust23THRUST_200600_302600_NS6detail15normal_iteratorINS8_7pointerIjNS8_11hip_rocprim5par_tENS8_11use_defaultESE_EEEENSA_INSB_IlSD_SE_SE_EEEEZNS1_13binary_searchIS3_S5_PjSG_SI_NS1_21lower_bound_search_opENS9_16wrapped_functionINS8_6system6detail7generic6detail18binary_search_lessEbEEEE10hipError_tPvRmT1_T2_T3_mmT4_T5_P12ihipStream_tbEUlRKjE_EEST_SX_SY_mSZ_S12_bEUlT_E_NS1_11comp_targetILNS1_3genE3ELNS1_11target_archE908ELNS1_3gpuE7ELNS1_3repE0EEENS1_30default_config_static_selectorELNS0_4arch9wavefront6targetE0EEEvSW_
		.amdhsa_group_segment_fixed_size 0
		.amdhsa_private_segment_fixed_size 0
		.amdhsa_kernarg_size 56
		.amdhsa_user_sgpr_count 6
		.amdhsa_user_sgpr_private_segment_buffer 1
		.amdhsa_user_sgpr_dispatch_ptr 0
		.amdhsa_user_sgpr_queue_ptr 0
		.amdhsa_user_sgpr_kernarg_segment_ptr 1
		.amdhsa_user_sgpr_dispatch_id 0
		.amdhsa_user_sgpr_flat_scratch_init 0
		.amdhsa_user_sgpr_private_segment_size 0
		.amdhsa_wavefront_size32 1
		.amdhsa_uses_dynamic_stack 0
		.amdhsa_system_sgpr_private_segment_wavefront_offset 0
		.amdhsa_system_sgpr_workgroup_id_x 1
		.amdhsa_system_sgpr_workgroup_id_y 0
		.amdhsa_system_sgpr_workgroup_id_z 0
		.amdhsa_system_sgpr_workgroup_info 0
		.amdhsa_system_vgpr_workitem_id 0
		.amdhsa_next_free_vgpr 1
		.amdhsa_next_free_sgpr 1
		.amdhsa_reserve_vcc 0
		.amdhsa_reserve_flat_scratch 0
		.amdhsa_float_round_mode_32 0
		.amdhsa_float_round_mode_16_64 0
		.amdhsa_float_denorm_mode_32 3
		.amdhsa_float_denorm_mode_16_64 3
		.amdhsa_dx10_clamp 1
		.amdhsa_ieee_mode 1
		.amdhsa_fp16_overflow 0
		.amdhsa_workgroup_processor_mode 1
		.amdhsa_memory_ordered 1
		.amdhsa_forward_progress 1
		.amdhsa_shared_vgpr_count 0
		.amdhsa_exception_fp_ieee_invalid_op 0
		.amdhsa_exception_fp_denorm_src 0
		.amdhsa_exception_fp_ieee_div_zero 0
		.amdhsa_exception_fp_ieee_overflow 0
		.amdhsa_exception_fp_ieee_underflow 0
		.amdhsa_exception_fp_ieee_inexact 0
		.amdhsa_exception_int_div_zero 0
	.end_amdhsa_kernel
	.section	.text._ZN7rocprim17ROCPRIM_400000_NS6detail17trampoline_kernelINS0_14default_configENS1_27lower_bound_config_selectorIjlEEZNS1_14transform_implILb0ES3_S5_N6thrust23THRUST_200600_302600_NS6detail15normal_iteratorINS8_7pointerIjNS8_11hip_rocprim5par_tENS8_11use_defaultESE_EEEENSA_INSB_IlSD_SE_SE_EEEEZNS1_13binary_searchIS3_S5_PjSG_SI_NS1_21lower_bound_search_opENS9_16wrapped_functionINS8_6system6detail7generic6detail18binary_search_lessEbEEEE10hipError_tPvRmT1_T2_T3_mmT4_T5_P12ihipStream_tbEUlRKjE_EEST_SX_SY_mSZ_S12_bEUlT_E_NS1_11comp_targetILNS1_3genE3ELNS1_11target_archE908ELNS1_3gpuE7ELNS1_3repE0EEENS1_30default_config_static_selectorELNS0_4arch9wavefront6targetE0EEEvSW_,"axG",@progbits,_ZN7rocprim17ROCPRIM_400000_NS6detail17trampoline_kernelINS0_14default_configENS1_27lower_bound_config_selectorIjlEEZNS1_14transform_implILb0ES3_S5_N6thrust23THRUST_200600_302600_NS6detail15normal_iteratorINS8_7pointerIjNS8_11hip_rocprim5par_tENS8_11use_defaultESE_EEEENSA_INSB_IlSD_SE_SE_EEEEZNS1_13binary_searchIS3_S5_PjSG_SI_NS1_21lower_bound_search_opENS9_16wrapped_functionINS8_6system6detail7generic6detail18binary_search_lessEbEEEE10hipError_tPvRmT1_T2_T3_mmT4_T5_P12ihipStream_tbEUlRKjE_EEST_SX_SY_mSZ_S12_bEUlT_E_NS1_11comp_targetILNS1_3genE3ELNS1_11target_archE908ELNS1_3gpuE7ELNS1_3repE0EEENS1_30default_config_static_selectorELNS0_4arch9wavefront6targetE0EEEvSW_,comdat
.Lfunc_end76:
	.size	_ZN7rocprim17ROCPRIM_400000_NS6detail17trampoline_kernelINS0_14default_configENS1_27lower_bound_config_selectorIjlEEZNS1_14transform_implILb0ES3_S5_N6thrust23THRUST_200600_302600_NS6detail15normal_iteratorINS8_7pointerIjNS8_11hip_rocprim5par_tENS8_11use_defaultESE_EEEENSA_INSB_IlSD_SE_SE_EEEEZNS1_13binary_searchIS3_S5_PjSG_SI_NS1_21lower_bound_search_opENS9_16wrapped_functionINS8_6system6detail7generic6detail18binary_search_lessEbEEEE10hipError_tPvRmT1_T2_T3_mmT4_T5_P12ihipStream_tbEUlRKjE_EEST_SX_SY_mSZ_S12_bEUlT_E_NS1_11comp_targetILNS1_3genE3ELNS1_11target_archE908ELNS1_3gpuE7ELNS1_3repE0EEENS1_30default_config_static_selectorELNS0_4arch9wavefront6targetE0EEEvSW_, .Lfunc_end76-_ZN7rocprim17ROCPRIM_400000_NS6detail17trampoline_kernelINS0_14default_configENS1_27lower_bound_config_selectorIjlEEZNS1_14transform_implILb0ES3_S5_N6thrust23THRUST_200600_302600_NS6detail15normal_iteratorINS8_7pointerIjNS8_11hip_rocprim5par_tENS8_11use_defaultESE_EEEENSA_INSB_IlSD_SE_SE_EEEEZNS1_13binary_searchIS3_S5_PjSG_SI_NS1_21lower_bound_search_opENS9_16wrapped_functionINS8_6system6detail7generic6detail18binary_search_lessEbEEEE10hipError_tPvRmT1_T2_T3_mmT4_T5_P12ihipStream_tbEUlRKjE_EEST_SX_SY_mSZ_S12_bEUlT_E_NS1_11comp_targetILNS1_3genE3ELNS1_11target_archE908ELNS1_3gpuE7ELNS1_3repE0EEENS1_30default_config_static_selectorELNS0_4arch9wavefront6targetE0EEEvSW_
                                        ; -- End function
	.set _ZN7rocprim17ROCPRIM_400000_NS6detail17trampoline_kernelINS0_14default_configENS1_27lower_bound_config_selectorIjlEEZNS1_14transform_implILb0ES3_S5_N6thrust23THRUST_200600_302600_NS6detail15normal_iteratorINS8_7pointerIjNS8_11hip_rocprim5par_tENS8_11use_defaultESE_EEEENSA_INSB_IlSD_SE_SE_EEEEZNS1_13binary_searchIS3_S5_PjSG_SI_NS1_21lower_bound_search_opENS9_16wrapped_functionINS8_6system6detail7generic6detail18binary_search_lessEbEEEE10hipError_tPvRmT1_T2_T3_mmT4_T5_P12ihipStream_tbEUlRKjE_EEST_SX_SY_mSZ_S12_bEUlT_E_NS1_11comp_targetILNS1_3genE3ELNS1_11target_archE908ELNS1_3gpuE7ELNS1_3repE0EEENS1_30default_config_static_selectorELNS0_4arch9wavefront6targetE0EEEvSW_.num_vgpr, 0
	.set _ZN7rocprim17ROCPRIM_400000_NS6detail17trampoline_kernelINS0_14default_configENS1_27lower_bound_config_selectorIjlEEZNS1_14transform_implILb0ES3_S5_N6thrust23THRUST_200600_302600_NS6detail15normal_iteratorINS8_7pointerIjNS8_11hip_rocprim5par_tENS8_11use_defaultESE_EEEENSA_INSB_IlSD_SE_SE_EEEEZNS1_13binary_searchIS3_S5_PjSG_SI_NS1_21lower_bound_search_opENS9_16wrapped_functionINS8_6system6detail7generic6detail18binary_search_lessEbEEEE10hipError_tPvRmT1_T2_T3_mmT4_T5_P12ihipStream_tbEUlRKjE_EEST_SX_SY_mSZ_S12_bEUlT_E_NS1_11comp_targetILNS1_3genE3ELNS1_11target_archE908ELNS1_3gpuE7ELNS1_3repE0EEENS1_30default_config_static_selectorELNS0_4arch9wavefront6targetE0EEEvSW_.num_agpr, 0
	.set _ZN7rocprim17ROCPRIM_400000_NS6detail17trampoline_kernelINS0_14default_configENS1_27lower_bound_config_selectorIjlEEZNS1_14transform_implILb0ES3_S5_N6thrust23THRUST_200600_302600_NS6detail15normal_iteratorINS8_7pointerIjNS8_11hip_rocprim5par_tENS8_11use_defaultESE_EEEENSA_INSB_IlSD_SE_SE_EEEEZNS1_13binary_searchIS3_S5_PjSG_SI_NS1_21lower_bound_search_opENS9_16wrapped_functionINS8_6system6detail7generic6detail18binary_search_lessEbEEEE10hipError_tPvRmT1_T2_T3_mmT4_T5_P12ihipStream_tbEUlRKjE_EEST_SX_SY_mSZ_S12_bEUlT_E_NS1_11comp_targetILNS1_3genE3ELNS1_11target_archE908ELNS1_3gpuE7ELNS1_3repE0EEENS1_30default_config_static_selectorELNS0_4arch9wavefront6targetE0EEEvSW_.numbered_sgpr, 0
	.set _ZN7rocprim17ROCPRIM_400000_NS6detail17trampoline_kernelINS0_14default_configENS1_27lower_bound_config_selectorIjlEEZNS1_14transform_implILb0ES3_S5_N6thrust23THRUST_200600_302600_NS6detail15normal_iteratorINS8_7pointerIjNS8_11hip_rocprim5par_tENS8_11use_defaultESE_EEEENSA_INSB_IlSD_SE_SE_EEEEZNS1_13binary_searchIS3_S5_PjSG_SI_NS1_21lower_bound_search_opENS9_16wrapped_functionINS8_6system6detail7generic6detail18binary_search_lessEbEEEE10hipError_tPvRmT1_T2_T3_mmT4_T5_P12ihipStream_tbEUlRKjE_EEST_SX_SY_mSZ_S12_bEUlT_E_NS1_11comp_targetILNS1_3genE3ELNS1_11target_archE908ELNS1_3gpuE7ELNS1_3repE0EEENS1_30default_config_static_selectorELNS0_4arch9wavefront6targetE0EEEvSW_.num_named_barrier, 0
	.set _ZN7rocprim17ROCPRIM_400000_NS6detail17trampoline_kernelINS0_14default_configENS1_27lower_bound_config_selectorIjlEEZNS1_14transform_implILb0ES3_S5_N6thrust23THRUST_200600_302600_NS6detail15normal_iteratorINS8_7pointerIjNS8_11hip_rocprim5par_tENS8_11use_defaultESE_EEEENSA_INSB_IlSD_SE_SE_EEEEZNS1_13binary_searchIS3_S5_PjSG_SI_NS1_21lower_bound_search_opENS9_16wrapped_functionINS8_6system6detail7generic6detail18binary_search_lessEbEEEE10hipError_tPvRmT1_T2_T3_mmT4_T5_P12ihipStream_tbEUlRKjE_EEST_SX_SY_mSZ_S12_bEUlT_E_NS1_11comp_targetILNS1_3genE3ELNS1_11target_archE908ELNS1_3gpuE7ELNS1_3repE0EEENS1_30default_config_static_selectorELNS0_4arch9wavefront6targetE0EEEvSW_.private_seg_size, 0
	.set _ZN7rocprim17ROCPRIM_400000_NS6detail17trampoline_kernelINS0_14default_configENS1_27lower_bound_config_selectorIjlEEZNS1_14transform_implILb0ES3_S5_N6thrust23THRUST_200600_302600_NS6detail15normal_iteratorINS8_7pointerIjNS8_11hip_rocprim5par_tENS8_11use_defaultESE_EEEENSA_INSB_IlSD_SE_SE_EEEEZNS1_13binary_searchIS3_S5_PjSG_SI_NS1_21lower_bound_search_opENS9_16wrapped_functionINS8_6system6detail7generic6detail18binary_search_lessEbEEEE10hipError_tPvRmT1_T2_T3_mmT4_T5_P12ihipStream_tbEUlRKjE_EEST_SX_SY_mSZ_S12_bEUlT_E_NS1_11comp_targetILNS1_3genE3ELNS1_11target_archE908ELNS1_3gpuE7ELNS1_3repE0EEENS1_30default_config_static_selectorELNS0_4arch9wavefront6targetE0EEEvSW_.uses_vcc, 0
	.set _ZN7rocprim17ROCPRIM_400000_NS6detail17trampoline_kernelINS0_14default_configENS1_27lower_bound_config_selectorIjlEEZNS1_14transform_implILb0ES3_S5_N6thrust23THRUST_200600_302600_NS6detail15normal_iteratorINS8_7pointerIjNS8_11hip_rocprim5par_tENS8_11use_defaultESE_EEEENSA_INSB_IlSD_SE_SE_EEEEZNS1_13binary_searchIS3_S5_PjSG_SI_NS1_21lower_bound_search_opENS9_16wrapped_functionINS8_6system6detail7generic6detail18binary_search_lessEbEEEE10hipError_tPvRmT1_T2_T3_mmT4_T5_P12ihipStream_tbEUlRKjE_EEST_SX_SY_mSZ_S12_bEUlT_E_NS1_11comp_targetILNS1_3genE3ELNS1_11target_archE908ELNS1_3gpuE7ELNS1_3repE0EEENS1_30default_config_static_selectorELNS0_4arch9wavefront6targetE0EEEvSW_.uses_flat_scratch, 0
	.set _ZN7rocprim17ROCPRIM_400000_NS6detail17trampoline_kernelINS0_14default_configENS1_27lower_bound_config_selectorIjlEEZNS1_14transform_implILb0ES3_S5_N6thrust23THRUST_200600_302600_NS6detail15normal_iteratorINS8_7pointerIjNS8_11hip_rocprim5par_tENS8_11use_defaultESE_EEEENSA_INSB_IlSD_SE_SE_EEEEZNS1_13binary_searchIS3_S5_PjSG_SI_NS1_21lower_bound_search_opENS9_16wrapped_functionINS8_6system6detail7generic6detail18binary_search_lessEbEEEE10hipError_tPvRmT1_T2_T3_mmT4_T5_P12ihipStream_tbEUlRKjE_EEST_SX_SY_mSZ_S12_bEUlT_E_NS1_11comp_targetILNS1_3genE3ELNS1_11target_archE908ELNS1_3gpuE7ELNS1_3repE0EEENS1_30default_config_static_selectorELNS0_4arch9wavefront6targetE0EEEvSW_.has_dyn_sized_stack, 0
	.set _ZN7rocprim17ROCPRIM_400000_NS6detail17trampoline_kernelINS0_14default_configENS1_27lower_bound_config_selectorIjlEEZNS1_14transform_implILb0ES3_S5_N6thrust23THRUST_200600_302600_NS6detail15normal_iteratorINS8_7pointerIjNS8_11hip_rocprim5par_tENS8_11use_defaultESE_EEEENSA_INSB_IlSD_SE_SE_EEEEZNS1_13binary_searchIS3_S5_PjSG_SI_NS1_21lower_bound_search_opENS9_16wrapped_functionINS8_6system6detail7generic6detail18binary_search_lessEbEEEE10hipError_tPvRmT1_T2_T3_mmT4_T5_P12ihipStream_tbEUlRKjE_EEST_SX_SY_mSZ_S12_bEUlT_E_NS1_11comp_targetILNS1_3genE3ELNS1_11target_archE908ELNS1_3gpuE7ELNS1_3repE0EEENS1_30default_config_static_selectorELNS0_4arch9wavefront6targetE0EEEvSW_.has_recursion, 0
	.set _ZN7rocprim17ROCPRIM_400000_NS6detail17trampoline_kernelINS0_14default_configENS1_27lower_bound_config_selectorIjlEEZNS1_14transform_implILb0ES3_S5_N6thrust23THRUST_200600_302600_NS6detail15normal_iteratorINS8_7pointerIjNS8_11hip_rocprim5par_tENS8_11use_defaultESE_EEEENSA_INSB_IlSD_SE_SE_EEEEZNS1_13binary_searchIS3_S5_PjSG_SI_NS1_21lower_bound_search_opENS9_16wrapped_functionINS8_6system6detail7generic6detail18binary_search_lessEbEEEE10hipError_tPvRmT1_T2_T3_mmT4_T5_P12ihipStream_tbEUlRKjE_EEST_SX_SY_mSZ_S12_bEUlT_E_NS1_11comp_targetILNS1_3genE3ELNS1_11target_archE908ELNS1_3gpuE7ELNS1_3repE0EEENS1_30default_config_static_selectorELNS0_4arch9wavefront6targetE0EEEvSW_.has_indirect_call, 0
	.section	.AMDGPU.csdata,"",@progbits
; Kernel info:
; codeLenInByte = 0
; TotalNumSgprs: 0
; NumVgprs: 0
; ScratchSize: 0
; MemoryBound: 0
; FloatMode: 240
; IeeeMode: 1
; LDSByteSize: 0 bytes/workgroup (compile time only)
; SGPRBlocks: 0
; VGPRBlocks: 0
; NumSGPRsForWavesPerEU: 1
; NumVGPRsForWavesPerEU: 1
; Occupancy: 16
; WaveLimiterHint : 0
; COMPUTE_PGM_RSRC2:SCRATCH_EN: 0
; COMPUTE_PGM_RSRC2:USER_SGPR: 6
; COMPUTE_PGM_RSRC2:TRAP_HANDLER: 0
; COMPUTE_PGM_RSRC2:TGID_X_EN: 1
; COMPUTE_PGM_RSRC2:TGID_Y_EN: 0
; COMPUTE_PGM_RSRC2:TGID_Z_EN: 0
; COMPUTE_PGM_RSRC2:TIDIG_COMP_CNT: 0
	.section	.text._ZN7rocprim17ROCPRIM_400000_NS6detail17trampoline_kernelINS0_14default_configENS1_27lower_bound_config_selectorIjlEEZNS1_14transform_implILb0ES3_S5_N6thrust23THRUST_200600_302600_NS6detail15normal_iteratorINS8_7pointerIjNS8_11hip_rocprim5par_tENS8_11use_defaultESE_EEEENSA_INSB_IlSD_SE_SE_EEEEZNS1_13binary_searchIS3_S5_PjSG_SI_NS1_21lower_bound_search_opENS9_16wrapped_functionINS8_6system6detail7generic6detail18binary_search_lessEbEEEE10hipError_tPvRmT1_T2_T3_mmT4_T5_P12ihipStream_tbEUlRKjE_EEST_SX_SY_mSZ_S12_bEUlT_E_NS1_11comp_targetILNS1_3genE2ELNS1_11target_archE906ELNS1_3gpuE6ELNS1_3repE0EEENS1_30default_config_static_selectorELNS0_4arch9wavefront6targetE0EEEvSW_,"axG",@progbits,_ZN7rocprim17ROCPRIM_400000_NS6detail17trampoline_kernelINS0_14default_configENS1_27lower_bound_config_selectorIjlEEZNS1_14transform_implILb0ES3_S5_N6thrust23THRUST_200600_302600_NS6detail15normal_iteratorINS8_7pointerIjNS8_11hip_rocprim5par_tENS8_11use_defaultESE_EEEENSA_INSB_IlSD_SE_SE_EEEEZNS1_13binary_searchIS3_S5_PjSG_SI_NS1_21lower_bound_search_opENS9_16wrapped_functionINS8_6system6detail7generic6detail18binary_search_lessEbEEEE10hipError_tPvRmT1_T2_T3_mmT4_T5_P12ihipStream_tbEUlRKjE_EEST_SX_SY_mSZ_S12_bEUlT_E_NS1_11comp_targetILNS1_3genE2ELNS1_11target_archE906ELNS1_3gpuE6ELNS1_3repE0EEENS1_30default_config_static_selectorELNS0_4arch9wavefront6targetE0EEEvSW_,comdat
	.protected	_ZN7rocprim17ROCPRIM_400000_NS6detail17trampoline_kernelINS0_14default_configENS1_27lower_bound_config_selectorIjlEEZNS1_14transform_implILb0ES3_S5_N6thrust23THRUST_200600_302600_NS6detail15normal_iteratorINS8_7pointerIjNS8_11hip_rocprim5par_tENS8_11use_defaultESE_EEEENSA_INSB_IlSD_SE_SE_EEEEZNS1_13binary_searchIS3_S5_PjSG_SI_NS1_21lower_bound_search_opENS9_16wrapped_functionINS8_6system6detail7generic6detail18binary_search_lessEbEEEE10hipError_tPvRmT1_T2_T3_mmT4_T5_P12ihipStream_tbEUlRKjE_EEST_SX_SY_mSZ_S12_bEUlT_E_NS1_11comp_targetILNS1_3genE2ELNS1_11target_archE906ELNS1_3gpuE6ELNS1_3repE0EEENS1_30default_config_static_selectorELNS0_4arch9wavefront6targetE0EEEvSW_ ; -- Begin function _ZN7rocprim17ROCPRIM_400000_NS6detail17trampoline_kernelINS0_14default_configENS1_27lower_bound_config_selectorIjlEEZNS1_14transform_implILb0ES3_S5_N6thrust23THRUST_200600_302600_NS6detail15normal_iteratorINS8_7pointerIjNS8_11hip_rocprim5par_tENS8_11use_defaultESE_EEEENSA_INSB_IlSD_SE_SE_EEEEZNS1_13binary_searchIS3_S5_PjSG_SI_NS1_21lower_bound_search_opENS9_16wrapped_functionINS8_6system6detail7generic6detail18binary_search_lessEbEEEE10hipError_tPvRmT1_T2_T3_mmT4_T5_P12ihipStream_tbEUlRKjE_EEST_SX_SY_mSZ_S12_bEUlT_E_NS1_11comp_targetILNS1_3genE2ELNS1_11target_archE906ELNS1_3gpuE6ELNS1_3repE0EEENS1_30default_config_static_selectorELNS0_4arch9wavefront6targetE0EEEvSW_
	.globl	_ZN7rocprim17ROCPRIM_400000_NS6detail17trampoline_kernelINS0_14default_configENS1_27lower_bound_config_selectorIjlEEZNS1_14transform_implILb0ES3_S5_N6thrust23THRUST_200600_302600_NS6detail15normal_iteratorINS8_7pointerIjNS8_11hip_rocprim5par_tENS8_11use_defaultESE_EEEENSA_INSB_IlSD_SE_SE_EEEEZNS1_13binary_searchIS3_S5_PjSG_SI_NS1_21lower_bound_search_opENS9_16wrapped_functionINS8_6system6detail7generic6detail18binary_search_lessEbEEEE10hipError_tPvRmT1_T2_T3_mmT4_T5_P12ihipStream_tbEUlRKjE_EEST_SX_SY_mSZ_S12_bEUlT_E_NS1_11comp_targetILNS1_3genE2ELNS1_11target_archE906ELNS1_3gpuE6ELNS1_3repE0EEENS1_30default_config_static_selectorELNS0_4arch9wavefront6targetE0EEEvSW_
	.p2align	8
	.type	_ZN7rocprim17ROCPRIM_400000_NS6detail17trampoline_kernelINS0_14default_configENS1_27lower_bound_config_selectorIjlEEZNS1_14transform_implILb0ES3_S5_N6thrust23THRUST_200600_302600_NS6detail15normal_iteratorINS8_7pointerIjNS8_11hip_rocprim5par_tENS8_11use_defaultESE_EEEENSA_INSB_IlSD_SE_SE_EEEEZNS1_13binary_searchIS3_S5_PjSG_SI_NS1_21lower_bound_search_opENS9_16wrapped_functionINS8_6system6detail7generic6detail18binary_search_lessEbEEEE10hipError_tPvRmT1_T2_T3_mmT4_T5_P12ihipStream_tbEUlRKjE_EEST_SX_SY_mSZ_S12_bEUlT_E_NS1_11comp_targetILNS1_3genE2ELNS1_11target_archE906ELNS1_3gpuE6ELNS1_3repE0EEENS1_30default_config_static_selectorELNS0_4arch9wavefront6targetE0EEEvSW_,@function
_ZN7rocprim17ROCPRIM_400000_NS6detail17trampoline_kernelINS0_14default_configENS1_27lower_bound_config_selectorIjlEEZNS1_14transform_implILb0ES3_S5_N6thrust23THRUST_200600_302600_NS6detail15normal_iteratorINS8_7pointerIjNS8_11hip_rocprim5par_tENS8_11use_defaultESE_EEEENSA_INSB_IlSD_SE_SE_EEEEZNS1_13binary_searchIS3_S5_PjSG_SI_NS1_21lower_bound_search_opENS9_16wrapped_functionINS8_6system6detail7generic6detail18binary_search_lessEbEEEE10hipError_tPvRmT1_T2_T3_mmT4_T5_P12ihipStream_tbEUlRKjE_EEST_SX_SY_mSZ_S12_bEUlT_E_NS1_11comp_targetILNS1_3genE2ELNS1_11target_archE906ELNS1_3gpuE6ELNS1_3repE0EEENS1_30default_config_static_selectorELNS0_4arch9wavefront6targetE0EEEvSW_: ; @_ZN7rocprim17ROCPRIM_400000_NS6detail17trampoline_kernelINS0_14default_configENS1_27lower_bound_config_selectorIjlEEZNS1_14transform_implILb0ES3_S5_N6thrust23THRUST_200600_302600_NS6detail15normal_iteratorINS8_7pointerIjNS8_11hip_rocprim5par_tENS8_11use_defaultESE_EEEENSA_INSB_IlSD_SE_SE_EEEEZNS1_13binary_searchIS3_S5_PjSG_SI_NS1_21lower_bound_search_opENS9_16wrapped_functionINS8_6system6detail7generic6detail18binary_search_lessEbEEEE10hipError_tPvRmT1_T2_T3_mmT4_T5_P12ihipStream_tbEUlRKjE_EEST_SX_SY_mSZ_S12_bEUlT_E_NS1_11comp_targetILNS1_3genE2ELNS1_11target_archE906ELNS1_3gpuE6ELNS1_3repE0EEENS1_30default_config_static_selectorELNS0_4arch9wavefront6targetE0EEEvSW_
; %bb.0:
	.section	.rodata,"a",@progbits
	.p2align	6, 0x0
	.amdhsa_kernel _ZN7rocprim17ROCPRIM_400000_NS6detail17trampoline_kernelINS0_14default_configENS1_27lower_bound_config_selectorIjlEEZNS1_14transform_implILb0ES3_S5_N6thrust23THRUST_200600_302600_NS6detail15normal_iteratorINS8_7pointerIjNS8_11hip_rocprim5par_tENS8_11use_defaultESE_EEEENSA_INSB_IlSD_SE_SE_EEEEZNS1_13binary_searchIS3_S5_PjSG_SI_NS1_21lower_bound_search_opENS9_16wrapped_functionINS8_6system6detail7generic6detail18binary_search_lessEbEEEE10hipError_tPvRmT1_T2_T3_mmT4_T5_P12ihipStream_tbEUlRKjE_EEST_SX_SY_mSZ_S12_bEUlT_E_NS1_11comp_targetILNS1_3genE2ELNS1_11target_archE906ELNS1_3gpuE6ELNS1_3repE0EEENS1_30default_config_static_selectorELNS0_4arch9wavefront6targetE0EEEvSW_
		.amdhsa_group_segment_fixed_size 0
		.amdhsa_private_segment_fixed_size 0
		.amdhsa_kernarg_size 56
		.amdhsa_user_sgpr_count 6
		.amdhsa_user_sgpr_private_segment_buffer 1
		.amdhsa_user_sgpr_dispatch_ptr 0
		.amdhsa_user_sgpr_queue_ptr 0
		.amdhsa_user_sgpr_kernarg_segment_ptr 1
		.amdhsa_user_sgpr_dispatch_id 0
		.amdhsa_user_sgpr_flat_scratch_init 0
		.amdhsa_user_sgpr_private_segment_size 0
		.amdhsa_wavefront_size32 1
		.amdhsa_uses_dynamic_stack 0
		.amdhsa_system_sgpr_private_segment_wavefront_offset 0
		.amdhsa_system_sgpr_workgroup_id_x 1
		.amdhsa_system_sgpr_workgroup_id_y 0
		.amdhsa_system_sgpr_workgroup_id_z 0
		.amdhsa_system_sgpr_workgroup_info 0
		.amdhsa_system_vgpr_workitem_id 0
		.amdhsa_next_free_vgpr 1
		.amdhsa_next_free_sgpr 1
		.amdhsa_reserve_vcc 0
		.amdhsa_reserve_flat_scratch 0
		.amdhsa_float_round_mode_32 0
		.amdhsa_float_round_mode_16_64 0
		.amdhsa_float_denorm_mode_32 3
		.amdhsa_float_denorm_mode_16_64 3
		.amdhsa_dx10_clamp 1
		.amdhsa_ieee_mode 1
		.amdhsa_fp16_overflow 0
		.amdhsa_workgroup_processor_mode 1
		.amdhsa_memory_ordered 1
		.amdhsa_forward_progress 1
		.amdhsa_shared_vgpr_count 0
		.amdhsa_exception_fp_ieee_invalid_op 0
		.amdhsa_exception_fp_denorm_src 0
		.amdhsa_exception_fp_ieee_div_zero 0
		.amdhsa_exception_fp_ieee_overflow 0
		.amdhsa_exception_fp_ieee_underflow 0
		.amdhsa_exception_fp_ieee_inexact 0
		.amdhsa_exception_int_div_zero 0
	.end_amdhsa_kernel
	.section	.text._ZN7rocprim17ROCPRIM_400000_NS6detail17trampoline_kernelINS0_14default_configENS1_27lower_bound_config_selectorIjlEEZNS1_14transform_implILb0ES3_S5_N6thrust23THRUST_200600_302600_NS6detail15normal_iteratorINS8_7pointerIjNS8_11hip_rocprim5par_tENS8_11use_defaultESE_EEEENSA_INSB_IlSD_SE_SE_EEEEZNS1_13binary_searchIS3_S5_PjSG_SI_NS1_21lower_bound_search_opENS9_16wrapped_functionINS8_6system6detail7generic6detail18binary_search_lessEbEEEE10hipError_tPvRmT1_T2_T3_mmT4_T5_P12ihipStream_tbEUlRKjE_EEST_SX_SY_mSZ_S12_bEUlT_E_NS1_11comp_targetILNS1_3genE2ELNS1_11target_archE906ELNS1_3gpuE6ELNS1_3repE0EEENS1_30default_config_static_selectorELNS0_4arch9wavefront6targetE0EEEvSW_,"axG",@progbits,_ZN7rocprim17ROCPRIM_400000_NS6detail17trampoline_kernelINS0_14default_configENS1_27lower_bound_config_selectorIjlEEZNS1_14transform_implILb0ES3_S5_N6thrust23THRUST_200600_302600_NS6detail15normal_iteratorINS8_7pointerIjNS8_11hip_rocprim5par_tENS8_11use_defaultESE_EEEENSA_INSB_IlSD_SE_SE_EEEEZNS1_13binary_searchIS3_S5_PjSG_SI_NS1_21lower_bound_search_opENS9_16wrapped_functionINS8_6system6detail7generic6detail18binary_search_lessEbEEEE10hipError_tPvRmT1_T2_T3_mmT4_T5_P12ihipStream_tbEUlRKjE_EEST_SX_SY_mSZ_S12_bEUlT_E_NS1_11comp_targetILNS1_3genE2ELNS1_11target_archE906ELNS1_3gpuE6ELNS1_3repE0EEENS1_30default_config_static_selectorELNS0_4arch9wavefront6targetE0EEEvSW_,comdat
.Lfunc_end77:
	.size	_ZN7rocprim17ROCPRIM_400000_NS6detail17trampoline_kernelINS0_14default_configENS1_27lower_bound_config_selectorIjlEEZNS1_14transform_implILb0ES3_S5_N6thrust23THRUST_200600_302600_NS6detail15normal_iteratorINS8_7pointerIjNS8_11hip_rocprim5par_tENS8_11use_defaultESE_EEEENSA_INSB_IlSD_SE_SE_EEEEZNS1_13binary_searchIS3_S5_PjSG_SI_NS1_21lower_bound_search_opENS9_16wrapped_functionINS8_6system6detail7generic6detail18binary_search_lessEbEEEE10hipError_tPvRmT1_T2_T3_mmT4_T5_P12ihipStream_tbEUlRKjE_EEST_SX_SY_mSZ_S12_bEUlT_E_NS1_11comp_targetILNS1_3genE2ELNS1_11target_archE906ELNS1_3gpuE6ELNS1_3repE0EEENS1_30default_config_static_selectorELNS0_4arch9wavefront6targetE0EEEvSW_, .Lfunc_end77-_ZN7rocprim17ROCPRIM_400000_NS6detail17trampoline_kernelINS0_14default_configENS1_27lower_bound_config_selectorIjlEEZNS1_14transform_implILb0ES3_S5_N6thrust23THRUST_200600_302600_NS6detail15normal_iteratorINS8_7pointerIjNS8_11hip_rocprim5par_tENS8_11use_defaultESE_EEEENSA_INSB_IlSD_SE_SE_EEEEZNS1_13binary_searchIS3_S5_PjSG_SI_NS1_21lower_bound_search_opENS9_16wrapped_functionINS8_6system6detail7generic6detail18binary_search_lessEbEEEE10hipError_tPvRmT1_T2_T3_mmT4_T5_P12ihipStream_tbEUlRKjE_EEST_SX_SY_mSZ_S12_bEUlT_E_NS1_11comp_targetILNS1_3genE2ELNS1_11target_archE906ELNS1_3gpuE6ELNS1_3repE0EEENS1_30default_config_static_selectorELNS0_4arch9wavefront6targetE0EEEvSW_
                                        ; -- End function
	.set _ZN7rocprim17ROCPRIM_400000_NS6detail17trampoline_kernelINS0_14default_configENS1_27lower_bound_config_selectorIjlEEZNS1_14transform_implILb0ES3_S5_N6thrust23THRUST_200600_302600_NS6detail15normal_iteratorINS8_7pointerIjNS8_11hip_rocprim5par_tENS8_11use_defaultESE_EEEENSA_INSB_IlSD_SE_SE_EEEEZNS1_13binary_searchIS3_S5_PjSG_SI_NS1_21lower_bound_search_opENS9_16wrapped_functionINS8_6system6detail7generic6detail18binary_search_lessEbEEEE10hipError_tPvRmT1_T2_T3_mmT4_T5_P12ihipStream_tbEUlRKjE_EEST_SX_SY_mSZ_S12_bEUlT_E_NS1_11comp_targetILNS1_3genE2ELNS1_11target_archE906ELNS1_3gpuE6ELNS1_3repE0EEENS1_30default_config_static_selectorELNS0_4arch9wavefront6targetE0EEEvSW_.num_vgpr, 0
	.set _ZN7rocprim17ROCPRIM_400000_NS6detail17trampoline_kernelINS0_14default_configENS1_27lower_bound_config_selectorIjlEEZNS1_14transform_implILb0ES3_S5_N6thrust23THRUST_200600_302600_NS6detail15normal_iteratorINS8_7pointerIjNS8_11hip_rocprim5par_tENS8_11use_defaultESE_EEEENSA_INSB_IlSD_SE_SE_EEEEZNS1_13binary_searchIS3_S5_PjSG_SI_NS1_21lower_bound_search_opENS9_16wrapped_functionINS8_6system6detail7generic6detail18binary_search_lessEbEEEE10hipError_tPvRmT1_T2_T3_mmT4_T5_P12ihipStream_tbEUlRKjE_EEST_SX_SY_mSZ_S12_bEUlT_E_NS1_11comp_targetILNS1_3genE2ELNS1_11target_archE906ELNS1_3gpuE6ELNS1_3repE0EEENS1_30default_config_static_selectorELNS0_4arch9wavefront6targetE0EEEvSW_.num_agpr, 0
	.set _ZN7rocprim17ROCPRIM_400000_NS6detail17trampoline_kernelINS0_14default_configENS1_27lower_bound_config_selectorIjlEEZNS1_14transform_implILb0ES3_S5_N6thrust23THRUST_200600_302600_NS6detail15normal_iteratorINS8_7pointerIjNS8_11hip_rocprim5par_tENS8_11use_defaultESE_EEEENSA_INSB_IlSD_SE_SE_EEEEZNS1_13binary_searchIS3_S5_PjSG_SI_NS1_21lower_bound_search_opENS9_16wrapped_functionINS8_6system6detail7generic6detail18binary_search_lessEbEEEE10hipError_tPvRmT1_T2_T3_mmT4_T5_P12ihipStream_tbEUlRKjE_EEST_SX_SY_mSZ_S12_bEUlT_E_NS1_11comp_targetILNS1_3genE2ELNS1_11target_archE906ELNS1_3gpuE6ELNS1_3repE0EEENS1_30default_config_static_selectorELNS0_4arch9wavefront6targetE0EEEvSW_.numbered_sgpr, 0
	.set _ZN7rocprim17ROCPRIM_400000_NS6detail17trampoline_kernelINS0_14default_configENS1_27lower_bound_config_selectorIjlEEZNS1_14transform_implILb0ES3_S5_N6thrust23THRUST_200600_302600_NS6detail15normal_iteratorINS8_7pointerIjNS8_11hip_rocprim5par_tENS8_11use_defaultESE_EEEENSA_INSB_IlSD_SE_SE_EEEEZNS1_13binary_searchIS3_S5_PjSG_SI_NS1_21lower_bound_search_opENS9_16wrapped_functionINS8_6system6detail7generic6detail18binary_search_lessEbEEEE10hipError_tPvRmT1_T2_T3_mmT4_T5_P12ihipStream_tbEUlRKjE_EEST_SX_SY_mSZ_S12_bEUlT_E_NS1_11comp_targetILNS1_3genE2ELNS1_11target_archE906ELNS1_3gpuE6ELNS1_3repE0EEENS1_30default_config_static_selectorELNS0_4arch9wavefront6targetE0EEEvSW_.num_named_barrier, 0
	.set _ZN7rocprim17ROCPRIM_400000_NS6detail17trampoline_kernelINS0_14default_configENS1_27lower_bound_config_selectorIjlEEZNS1_14transform_implILb0ES3_S5_N6thrust23THRUST_200600_302600_NS6detail15normal_iteratorINS8_7pointerIjNS8_11hip_rocprim5par_tENS8_11use_defaultESE_EEEENSA_INSB_IlSD_SE_SE_EEEEZNS1_13binary_searchIS3_S5_PjSG_SI_NS1_21lower_bound_search_opENS9_16wrapped_functionINS8_6system6detail7generic6detail18binary_search_lessEbEEEE10hipError_tPvRmT1_T2_T3_mmT4_T5_P12ihipStream_tbEUlRKjE_EEST_SX_SY_mSZ_S12_bEUlT_E_NS1_11comp_targetILNS1_3genE2ELNS1_11target_archE906ELNS1_3gpuE6ELNS1_3repE0EEENS1_30default_config_static_selectorELNS0_4arch9wavefront6targetE0EEEvSW_.private_seg_size, 0
	.set _ZN7rocprim17ROCPRIM_400000_NS6detail17trampoline_kernelINS0_14default_configENS1_27lower_bound_config_selectorIjlEEZNS1_14transform_implILb0ES3_S5_N6thrust23THRUST_200600_302600_NS6detail15normal_iteratorINS8_7pointerIjNS8_11hip_rocprim5par_tENS8_11use_defaultESE_EEEENSA_INSB_IlSD_SE_SE_EEEEZNS1_13binary_searchIS3_S5_PjSG_SI_NS1_21lower_bound_search_opENS9_16wrapped_functionINS8_6system6detail7generic6detail18binary_search_lessEbEEEE10hipError_tPvRmT1_T2_T3_mmT4_T5_P12ihipStream_tbEUlRKjE_EEST_SX_SY_mSZ_S12_bEUlT_E_NS1_11comp_targetILNS1_3genE2ELNS1_11target_archE906ELNS1_3gpuE6ELNS1_3repE0EEENS1_30default_config_static_selectorELNS0_4arch9wavefront6targetE0EEEvSW_.uses_vcc, 0
	.set _ZN7rocprim17ROCPRIM_400000_NS6detail17trampoline_kernelINS0_14default_configENS1_27lower_bound_config_selectorIjlEEZNS1_14transform_implILb0ES3_S5_N6thrust23THRUST_200600_302600_NS6detail15normal_iteratorINS8_7pointerIjNS8_11hip_rocprim5par_tENS8_11use_defaultESE_EEEENSA_INSB_IlSD_SE_SE_EEEEZNS1_13binary_searchIS3_S5_PjSG_SI_NS1_21lower_bound_search_opENS9_16wrapped_functionINS8_6system6detail7generic6detail18binary_search_lessEbEEEE10hipError_tPvRmT1_T2_T3_mmT4_T5_P12ihipStream_tbEUlRKjE_EEST_SX_SY_mSZ_S12_bEUlT_E_NS1_11comp_targetILNS1_3genE2ELNS1_11target_archE906ELNS1_3gpuE6ELNS1_3repE0EEENS1_30default_config_static_selectorELNS0_4arch9wavefront6targetE0EEEvSW_.uses_flat_scratch, 0
	.set _ZN7rocprim17ROCPRIM_400000_NS6detail17trampoline_kernelINS0_14default_configENS1_27lower_bound_config_selectorIjlEEZNS1_14transform_implILb0ES3_S5_N6thrust23THRUST_200600_302600_NS6detail15normal_iteratorINS8_7pointerIjNS8_11hip_rocprim5par_tENS8_11use_defaultESE_EEEENSA_INSB_IlSD_SE_SE_EEEEZNS1_13binary_searchIS3_S5_PjSG_SI_NS1_21lower_bound_search_opENS9_16wrapped_functionINS8_6system6detail7generic6detail18binary_search_lessEbEEEE10hipError_tPvRmT1_T2_T3_mmT4_T5_P12ihipStream_tbEUlRKjE_EEST_SX_SY_mSZ_S12_bEUlT_E_NS1_11comp_targetILNS1_3genE2ELNS1_11target_archE906ELNS1_3gpuE6ELNS1_3repE0EEENS1_30default_config_static_selectorELNS0_4arch9wavefront6targetE0EEEvSW_.has_dyn_sized_stack, 0
	.set _ZN7rocprim17ROCPRIM_400000_NS6detail17trampoline_kernelINS0_14default_configENS1_27lower_bound_config_selectorIjlEEZNS1_14transform_implILb0ES3_S5_N6thrust23THRUST_200600_302600_NS6detail15normal_iteratorINS8_7pointerIjNS8_11hip_rocprim5par_tENS8_11use_defaultESE_EEEENSA_INSB_IlSD_SE_SE_EEEEZNS1_13binary_searchIS3_S5_PjSG_SI_NS1_21lower_bound_search_opENS9_16wrapped_functionINS8_6system6detail7generic6detail18binary_search_lessEbEEEE10hipError_tPvRmT1_T2_T3_mmT4_T5_P12ihipStream_tbEUlRKjE_EEST_SX_SY_mSZ_S12_bEUlT_E_NS1_11comp_targetILNS1_3genE2ELNS1_11target_archE906ELNS1_3gpuE6ELNS1_3repE0EEENS1_30default_config_static_selectorELNS0_4arch9wavefront6targetE0EEEvSW_.has_recursion, 0
	.set _ZN7rocprim17ROCPRIM_400000_NS6detail17trampoline_kernelINS0_14default_configENS1_27lower_bound_config_selectorIjlEEZNS1_14transform_implILb0ES3_S5_N6thrust23THRUST_200600_302600_NS6detail15normal_iteratorINS8_7pointerIjNS8_11hip_rocprim5par_tENS8_11use_defaultESE_EEEENSA_INSB_IlSD_SE_SE_EEEEZNS1_13binary_searchIS3_S5_PjSG_SI_NS1_21lower_bound_search_opENS9_16wrapped_functionINS8_6system6detail7generic6detail18binary_search_lessEbEEEE10hipError_tPvRmT1_T2_T3_mmT4_T5_P12ihipStream_tbEUlRKjE_EEST_SX_SY_mSZ_S12_bEUlT_E_NS1_11comp_targetILNS1_3genE2ELNS1_11target_archE906ELNS1_3gpuE6ELNS1_3repE0EEENS1_30default_config_static_selectorELNS0_4arch9wavefront6targetE0EEEvSW_.has_indirect_call, 0
	.section	.AMDGPU.csdata,"",@progbits
; Kernel info:
; codeLenInByte = 0
; TotalNumSgprs: 0
; NumVgprs: 0
; ScratchSize: 0
; MemoryBound: 0
; FloatMode: 240
; IeeeMode: 1
; LDSByteSize: 0 bytes/workgroup (compile time only)
; SGPRBlocks: 0
; VGPRBlocks: 0
; NumSGPRsForWavesPerEU: 1
; NumVGPRsForWavesPerEU: 1
; Occupancy: 16
; WaveLimiterHint : 0
; COMPUTE_PGM_RSRC2:SCRATCH_EN: 0
; COMPUTE_PGM_RSRC2:USER_SGPR: 6
; COMPUTE_PGM_RSRC2:TRAP_HANDLER: 0
; COMPUTE_PGM_RSRC2:TGID_X_EN: 1
; COMPUTE_PGM_RSRC2:TGID_Y_EN: 0
; COMPUTE_PGM_RSRC2:TGID_Z_EN: 0
; COMPUTE_PGM_RSRC2:TIDIG_COMP_CNT: 0
	.section	.text._ZN7rocprim17ROCPRIM_400000_NS6detail17trampoline_kernelINS0_14default_configENS1_27lower_bound_config_selectorIjlEEZNS1_14transform_implILb0ES3_S5_N6thrust23THRUST_200600_302600_NS6detail15normal_iteratorINS8_7pointerIjNS8_11hip_rocprim5par_tENS8_11use_defaultESE_EEEENSA_INSB_IlSD_SE_SE_EEEEZNS1_13binary_searchIS3_S5_PjSG_SI_NS1_21lower_bound_search_opENS9_16wrapped_functionINS8_6system6detail7generic6detail18binary_search_lessEbEEEE10hipError_tPvRmT1_T2_T3_mmT4_T5_P12ihipStream_tbEUlRKjE_EEST_SX_SY_mSZ_S12_bEUlT_E_NS1_11comp_targetILNS1_3genE10ELNS1_11target_archE1201ELNS1_3gpuE5ELNS1_3repE0EEENS1_30default_config_static_selectorELNS0_4arch9wavefront6targetE0EEEvSW_,"axG",@progbits,_ZN7rocprim17ROCPRIM_400000_NS6detail17trampoline_kernelINS0_14default_configENS1_27lower_bound_config_selectorIjlEEZNS1_14transform_implILb0ES3_S5_N6thrust23THRUST_200600_302600_NS6detail15normal_iteratorINS8_7pointerIjNS8_11hip_rocprim5par_tENS8_11use_defaultESE_EEEENSA_INSB_IlSD_SE_SE_EEEEZNS1_13binary_searchIS3_S5_PjSG_SI_NS1_21lower_bound_search_opENS9_16wrapped_functionINS8_6system6detail7generic6detail18binary_search_lessEbEEEE10hipError_tPvRmT1_T2_T3_mmT4_T5_P12ihipStream_tbEUlRKjE_EEST_SX_SY_mSZ_S12_bEUlT_E_NS1_11comp_targetILNS1_3genE10ELNS1_11target_archE1201ELNS1_3gpuE5ELNS1_3repE0EEENS1_30default_config_static_selectorELNS0_4arch9wavefront6targetE0EEEvSW_,comdat
	.protected	_ZN7rocprim17ROCPRIM_400000_NS6detail17trampoline_kernelINS0_14default_configENS1_27lower_bound_config_selectorIjlEEZNS1_14transform_implILb0ES3_S5_N6thrust23THRUST_200600_302600_NS6detail15normal_iteratorINS8_7pointerIjNS8_11hip_rocprim5par_tENS8_11use_defaultESE_EEEENSA_INSB_IlSD_SE_SE_EEEEZNS1_13binary_searchIS3_S5_PjSG_SI_NS1_21lower_bound_search_opENS9_16wrapped_functionINS8_6system6detail7generic6detail18binary_search_lessEbEEEE10hipError_tPvRmT1_T2_T3_mmT4_T5_P12ihipStream_tbEUlRKjE_EEST_SX_SY_mSZ_S12_bEUlT_E_NS1_11comp_targetILNS1_3genE10ELNS1_11target_archE1201ELNS1_3gpuE5ELNS1_3repE0EEENS1_30default_config_static_selectorELNS0_4arch9wavefront6targetE0EEEvSW_ ; -- Begin function _ZN7rocprim17ROCPRIM_400000_NS6detail17trampoline_kernelINS0_14default_configENS1_27lower_bound_config_selectorIjlEEZNS1_14transform_implILb0ES3_S5_N6thrust23THRUST_200600_302600_NS6detail15normal_iteratorINS8_7pointerIjNS8_11hip_rocprim5par_tENS8_11use_defaultESE_EEEENSA_INSB_IlSD_SE_SE_EEEEZNS1_13binary_searchIS3_S5_PjSG_SI_NS1_21lower_bound_search_opENS9_16wrapped_functionINS8_6system6detail7generic6detail18binary_search_lessEbEEEE10hipError_tPvRmT1_T2_T3_mmT4_T5_P12ihipStream_tbEUlRKjE_EEST_SX_SY_mSZ_S12_bEUlT_E_NS1_11comp_targetILNS1_3genE10ELNS1_11target_archE1201ELNS1_3gpuE5ELNS1_3repE0EEENS1_30default_config_static_selectorELNS0_4arch9wavefront6targetE0EEEvSW_
	.globl	_ZN7rocprim17ROCPRIM_400000_NS6detail17trampoline_kernelINS0_14default_configENS1_27lower_bound_config_selectorIjlEEZNS1_14transform_implILb0ES3_S5_N6thrust23THRUST_200600_302600_NS6detail15normal_iteratorINS8_7pointerIjNS8_11hip_rocprim5par_tENS8_11use_defaultESE_EEEENSA_INSB_IlSD_SE_SE_EEEEZNS1_13binary_searchIS3_S5_PjSG_SI_NS1_21lower_bound_search_opENS9_16wrapped_functionINS8_6system6detail7generic6detail18binary_search_lessEbEEEE10hipError_tPvRmT1_T2_T3_mmT4_T5_P12ihipStream_tbEUlRKjE_EEST_SX_SY_mSZ_S12_bEUlT_E_NS1_11comp_targetILNS1_3genE10ELNS1_11target_archE1201ELNS1_3gpuE5ELNS1_3repE0EEENS1_30default_config_static_selectorELNS0_4arch9wavefront6targetE0EEEvSW_
	.p2align	8
	.type	_ZN7rocprim17ROCPRIM_400000_NS6detail17trampoline_kernelINS0_14default_configENS1_27lower_bound_config_selectorIjlEEZNS1_14transform_implILb0ES3_S5_N6thrust23THRUST_200600_302600_NS6detail15normal_iteratorINS8_7pointerIjNS8_11hip_rocprim5par_tENS8_11use_defaultESE_EEEENSA_INSB_IlSD_SE_SE_EEEEZNS1_13binary_searchIS3_S5_PjSG_SI_NS1_21lower_bound_search_opENS9_16wrapped_functionINS8_6system6detail7generic6detail18binary_search_lessEbEEEE10hipError_tPvRmT1_T2_T3_mmT4_T5_P12ihipStream_tbEUlRKjE_EEST_SX_SY_mSZ_S12_bEUlT_E_NS1_11comp_targetILNS1_3genE10ELNS1_11target_archE1201ELNS1_3gpuE5ELNS1_3repE0EEENS1_30default_config_static_selectorELNS0_4arch9wavefront6targetE0EEEvSW_,@function
_ZN7rocprim17ROCPRIM_400000_NS6detail17trampoline_kernelINS0_14default_configENS1_27lower_bound_config_selectorIjlEEZNS1_14transform_implILb0ES3_S5_N6thrust23THRUST_200600_302600_NS6detail15normal_iteratorINS8_7pointerIjNS8_11hip_rocprim5par_tENS8_11use_defaultESE_EEEENSA_INSB_IlSD_SE_SE_EEEEZNS1_13binary_searchIS3_S5_PjSG_SI_NS1_21lower_bound_search_opENS9_16wrapped_functionINS8_6system6detail7generic6detail18binary_search_lessEbEEEE10hipError_tPvRmT1_T2_T3_mmT4_T5_P12ihipStream_tbEUlRKjE_EEST_SX_SY_mSZ_S12_bEUlT_E_NS1_11comp_targetILNS1_3genE10ELNS1_11target_archE1201ELNS1_3gpuE5ELNS1_3repE0EEENS1_30default_config_static_selectorELNS0_4arch9wavefront6targetE0EEEvSW_: ; @_ZN7rocprim17ROCPRIM_400000_NS6detail17trampoline_kernelINS0_14default_configENS1_27lower_bound_config_selectorIjlEEZNS1_14transform_implILb0ES3_S5_N6thrust23THRUST_200600_302600_NS6detail15normal_iteratorINS8_7pointerIjNS8_11hip_rocprim5par_tENS8_11use_defaultESE_EEEENSA_INSB_IlSD_SE_SE_EEEEZNS1_13binary_searchIS3_S5_PjSG_SI_NS1_21lower_bound_search_opENS9_16wrapped_functionINS8_6system6detail7generic6detail18binary_search_lessEbEEEE10hipError_tPvRmT1_T2_T3_mmT4_T5_P12ihipStream_tbEUlRKjE_EEST_SX_SY_mSZ_S12_bEUlT_E_NS1_11comp_targetILNS1_3genE10ELNS1_11target_archE1201ELNS1_3gpuE5ELNS1_3repE0EEENS1_30default_config_static_selectorELNS0_4arch9wavefront6targetE0EEEvSW_
; %bb.0:
	.section	.rodata,"a",@progbits
	.p2align	6, 0x0
	.amdhsa_kernel _ZN7rocprim17ROCPRIM_400000_NS6detail17trampoline_kernelINS0_14default_configENS1_27lower_bound_config_selectorIjlEEZNS1_14transform_implILb0ES3_S5_N6thrust23THRUST_200600_302600_NS6detail15normal_iteratorINS8_7pointerIjNS8_11hip_rocprim5par_tENS8_11use_defaultESE_EEEENSA_INSB_IlSD_SE_SE_EEEEZNS1_13binary_searchIS3_S5_PjSG_SI_NS1_21lower_bound_search_opENS9_16wrapped_functionINS8_6system6detail7generic6detail18binary_search_lessEbEEEE10hipError_tPvRmT1_T2_T3_mmT4_T5_P12ihipStream_tbEUlRKjE_EEST_SX_SY_mSZ_S12_bEUlT_E_NS1_11comp_targetILNS1_3genE10ELNS1_11target_archE1201ELNS1_3gpuE5ELNS1_3repE0EEENS1_30default_config_static_selectorELNS0_4arch9wavefront6targetE0EEEvSW_
		.amdhsa_group_segment_fixed_size 0
		.amdhsa_private_segment_fixed_size 0
		.amdhsa_kernarg_size 56
		.amdhsa_user_sgpr_count 6
		.amdhsa_user_sgpr_private_segment_buffer 1
		.amdhsa_user_sgpr_dispatch_ptr 0
		.amdhsa_user_sgpr_queue_ptr 0
		.amdhsa_user_sgpr_kernarg_segment_ptr 1
		.amdhsa_user_sgpr_dispatch_id 0
		.amdhsa_user_sgpr_flat_scratch_init 0
		.amdhsa_user_sgpr_private_segment_size 0
		.amdhsa_wavefront_size32 1
		.amdhsa_uses_dynamic_stack 0
		.amdhsa_system_sgpr_private_segment_wavefront_offset 0
		.amdhsa_system_sgpr_workgroup_id_x 1
		.amdhsa_system_sgpr_workgroup_id_y 0
		.amdhsa_system_sgpr_workgroup_id_z 0
		.amdhsa_system_sgpr_workgroup_info 0
		.amdhsa_system_vgpr_workitem_id 0
		.amdhsa_next_free_vgpr 1
		.amdhsa_next_free_sgpr 1
		.amdhsa_reserve_vcc 0
		.amdhsa_reserve_flat_scratch 0
		.amdhsa_float_round_mode_32 0
		.amdhsa_float_round_mode_16_64 0
		.amdhsa_float_denorm_mode_32 3
		.amdhsa_float_denorm_mode_16_64 3
		.amdhsa_dx10_clamp 1
		.amdhsa_ieee_mode 1
		.amdhsa_fp16_overflow 0
		.amdhsa_workgroup_processor_mode 1
		.amdhsa_memory_ordered 1
		.amdhsa_forward_progress 1
		.amdhsa_shared_vgpr_count 0
		.amdhsa_exception_fp_ieee_invalid_op 0
		.amdhsa_exception_fp_denorm_src 0
		.amdhsa_exception_fp_ieee_div_zero 0
		.amdhsa_exception_fp_ieee_overflow 0
		.amdhsa_exception_fp_ieee_underflow 0
		.amdhsa_exception_fp_ieee_inexact 0
		.amdhsa_exception_int_div_zero 0
	.end_amdhsa_kernel
	.section	.text._ZN7rocprim17ROCPRIM_400000_NS6detail17trampoline_kernelINS0_14default_configENS1_27lower_bound_config_selectorIjlEEZNS1_14transform_implILb0ES3_S5_N6thrust23THRUST_200600_302600_NS6detail15normal_iteratorINS8_7pointerIjNS8_11hip_rocprim5par_tENS8_11use_defaultESE_EEEENSA_INSB_IlSD_SE_SE_EEEEZNS1_13binary_searchIS3_S5_PjSG_SI_NS1_21lower_bound_search_opENS9_16wrapped_functionINS8_6system6detail7generic6detail18binary_search_lessEbEEEE10hipError_tPvRmT1_T2_T3_mmT4_T5_P12ihipStream_tbEUlRKjE_EEST_SX_SY_mSZ_S12_bEUlT_E_NS1_11comp_targetILNS1_3genE10ELNS1_11target_archE1201ELNS1_3gpuE5ELNS1_3repE0EEENS1_30default_config_static_selectorELNS0_4arch9wavefront6targetE0EEEvSW_,"axG",@progbits,_ZN7rocprim17ROCPRIM_400000_NS6detail17trampoline_kernelINS0_14default_configENS1_27lower_bound_config_selectorIjlEEZNS1_14transform_implILb0ES3_S5_N6thrust23THRUST_200600_302600_NS6detail15normal_iteratorINS8_7pointerIjNS8_11hip_rocprim5par_tENS8_11use_defaultESE_EEEENSA_INSB_IlSD_SE_SE_EEEEZNS1_13binary_searchIS3_S5_PjSG_SI_NS1_21lower_bound_search_opENS9_16wrapped_functionINS8_6system6detail7generic6detail18binary_search_lessEbEEEE10hipError_tPvRmT1_T2_T3_mmT4_T5_P12ihipStream_tbEUlRKjE_EEST_SX_SY_mSZ_S12_bEUlT_E_NS1_11comp_targetILNS1_3genE10ELNS1_11target_archE1201ELNS1_3gpuE5ELNS1_3repE0EEENS1_30default_config_static_selectorELNS0_4arch9wavefront6targetE0EEEvSW_,comdat
.Lfunc_end78:
	.size	_ZN7rocprim17ROCPRIM_400000_NS6detail17trampoline_kernelINS0_14default_configENS1_27lower_bound_config_selectorIjlEEZNS1_14transform_implILb0ES3_S5_N6thrust23THRUST_200600_302600_NS6detail15normal_iteratorINS8_7pointerIjNS8_11hip_rocprim5par_tENS8_11use_defaultESE_EEEENSA_INSB_IlSD_SE_SE_EEEEZNS1_13binary_searchIS3_S5_PjSG_SI_NS1_21lower_bound_search_opENS9_16wrapped_functionINS8_6system6detail7generic6detail18binary_search_lessEbEEEE10hipError_tPvRmT1_T2_T3_mmT4_T5_P12ihipStream_tbEUlRKjE_EEST_SX_SY_mSZ_S12_bEUlT_E_NS1_11comp_targetILNS1_3genE10ELNS1_11target_archE1201ELNS1_3gpuE5ELNS1_3repE0EEENS1_30default_config_static_selectorELNS0_4arch9wavefront6targetE0EEEvSW_, .Lfunc_end78-_ZN7rocprim17ROCPRIM_400000_NS6detail17trampoline_kernelINS0_14default_configENS1_27lower_bound_config_selectorIjlEEZNS1_14transform_implILb0ES3_S5_N6thrust23THRUST_200600_302600_NS6detail15normal_iteratorINS8_7pointerIjNS8_11hip_rocprim5par_tENS8_11use_defaultESE_EEEENSA_INSB_IlSD_SE_SE_EEEEZNS1_13binary_searchIS3_S5_PjSG_SI_NS1_21lower_bound_search_opENS9_16wrapped_functionINS8_6system6detail7generic6detail18binary_search_lessEbEEEE10hipError_tPvRmT1_T2_T3_mmT4_T5_P12ihipStream_tbEUlRKjE_EEST_SX_SY_mSZ_S12_bEUlT_E_NS1_11comp_targetILNS1_3genE10ELNS1_11target_archE1201ELNS1_3gpuE5ELNS1_3repE0EEENS1_30default_config_static_selectorELNS0_4arch9wavefront6targetE0EEEvSW_
                                        ; -- End function
	.set _ZN7rocprim17ROCPRIM_400000_NS6detail17trampoline_kernelINS0_14default_configENS1_27lower_bound_config_selectorIjlEEZNS1_14transform_implILb0ES3_S5_N6thrust23THRUST_200600_302600_NS6detail15normal_iteratorINS8_7pointerIjNS8_11hip_rocprim5par_tENS8_11use_defaultESE_EEEENSA_INSB_IlSD_SE_SE_EEEEZNS1_13binary_searchIS3_S5_PjSG_SI_NS1_21lower_bound_search_opENS9_16wrapped_functionINS8_6system6detail7generic6detail18binary_search_lessEbEEEE10hipError_tPvRmT1_T2_T3_mmT4_T5_P12ihipStream_tbEUlRKjE_EEST_SX_SY_mSZ_S12_bEUlT_E_NS1_11comp_targetILNS1_3genE10ELNS1_11target_archE1201ELNS1_3gpuE5ELNS1_3repE0EEENS1_30default_config_static_selectorELNS0_4arch9wavefront6targetE0EEEvSW_.num_vgpr, 0
	.set _ZN7rocprim17ROCPRIM_400000_NS6detail17trampoline_kernelINS0_14default_configENS1_27lower_bound_config_selectorIjlEEZNS1_14transform_implILb0ES3_S5_N6thrust23THRUST_200600_302600_NS6detail15normal_iteratorINS8_7pointerIjNS8_11hip_rocprim5par_tENS8_11use_defaultESE_EEEENSA_INSB_IlSD_SE_SE_EEEEZNS1_13binary_searchIS3_S5_PjSG_SI_NS1_21lower_bound_search_opENS9_16wrapped_functionINS8_6system6detail7generic6detail18binary_search_lessEbEEEE10hipError_tPvRmT1_T2_T3_mmT4_T5_P12ihipStream_tbEUlRKjE_EEST_SX_SY_mSZ_S12_bEUlT_E_NS1_11comp_targetILNS1_3genE10ELNS1_11target_archE1201ELNS1_3gpuE5ELNS1_3repE0EEENS1_30default_config_static_selectorELNS0_4arch9wavefront6targetE0EEEvSW_.num_agpr, 0
	.set _ZN7rocprim17ROCPRIM_400000_NS6detail17trampoline_kernelINS0_14default_configENS1_27lower_bound_config_selectorIjlEEZNS1_14transform_implILb0ES3_S5_N6thrust23THRUST_200600_302600_NS6detail15normal_iteratorINS8_7pointerIjNS8_11hip_rocprim5par_tENS8_11use_defaultESE_EEEENSA_INSB_IlSD_SE_SE_EEEEZNS1_13binary_searchIS3_S5_PjSG_SI_NS1_21lower_bound_search_opENS9_16wrapped_functionINS8_6system6detail7generic6detail18binary_search_lessEbEEEE10hipError_tPvRmT1_T2_T3_mmT4_T5_P12ihipStream_tbEUlRKjE_EEST_SX_SY_mSZ_S12_bEUlT_E_NS1_11comp_targetILNS1_3genE10ELNS1_11target_archE1201ELNS1_3gpuE5ELNS1_3repE0EEENS1_30default_config_static_selectorELNS0_4arch9wavefront6targetE0EEEvSW_.numbered_sgpr, 0
	.set _ZN7rocprim17ROCPRIM_400000_NS6detail17trampoline_kernelINS0_14default_configENS1_27lower_bound_config_selectorIjlEEZNS1_14transform_implILb0ES3_S5_N6thrust23THRUST_200600_302600_NS6detail15normal_iteratorINS8_7pointerIjNS8_11hip_rocprim5par_tENS8_11use_defaultESE_EEEENSA_INSB_IlSD_SE_SE_EEEEZNS1_13binary_searchIS3_S5_PjSG_SI_NS1_21lower_bound_search_opENS9_16wrapped_functionINS8_6system6detail7generic6detail18binary_search_lessEbEEEE10hipError_tPvRmT1_T2_T3_mmT4_T5_P12ihipStream_tbEUlRKjE_EEST_SX_SY_mSZ_S12_bEUlT_E_NS1_11comp_targetILNS1_3genE10ELNS1_11target_archE1201ELNS1_3gpuE5ELNS1_3repE0EEENS1_30default_config_static_selectorELNS0_4arch9wavefront6targetE0EEEvSW_.num_named_barrier, 0
	.set _ZN7rocprim17ROCPRIM_400000_NS6detail17trampoline_kernelINS0_14default_configENS1_27lower_bound_config_selectorIjlEEZNS1_14transform_implILb0ES3_S5_N6thrust23THRUST_200600_302600_NS6detail15normal_iteratorINS8_7pointerIjNS8_11hip_rocprim5par_tENS8_11use_defaultESE_EEEENSA_INSB_IlSD_SE_SE_EEEEZNS1_13binary_searchIS3_S5_PjSG_SI_NS1_21lower_bound_search_opENS9_16wrapped_functionINS8_6system6detail7generic6detail18binary_search_lessEbEEEE10hipError_tPvRmT1_T2_T3_mmT4_T5_P12ihipStream_tbEUlRKjE_EEST_SX_SY_mSZ_S12_bEUlT_E_NS1_11comp_targetILNS1_3genE10ELNS1_11target_archE1201ELNS1_3gpuE5ELNS1_3repE0EEENS1_30default_config_static_selectorELNS0_4arch9wavefront6targetE0EEEvSW_.private_seg_size, 0
	.set _ZN7rocprim17ROCPRIM_400000_NS6detail17trampoline_kernelINS0_14default_configENS1_27lower_bound_config_selectorIjlEEZNS1_14transform_implILb0ES3_S5_N6thrust23THRUST_200600_302600_NS6detail15normal_iteratorINS8_7pointerIjNS8_11hip_rocprim5par_tENS8_11use_defaultESE_EEEENSA_INSB_IlSD_SE_SE_EEEEZNS1_13binary_searchIS3_S5_PjSG_SI_NS1_21lower_bound_search_opENS9_16wrapped_functionINS8_6system6detail7generic6detail18binary_search_lessEbEEEE10hipError_tPvRmT1_T2_T3_mmT4_T5_P12ihipStream_tbEUlRKjE_EEST_SX_SY_mSZ_S12_bEUlT_E_NS1_11comp_targetILNS1_3genE10ELNS1_11target_archE1201ELNS1_3gpuE5ELNS1_3repE0EEENS1_30default_config_static_selectorELNS0_4arch9wavefront6targetE0EEEvSW_.uses_vcc, 0
	.set _ZN7rocprim17ROCPRIM_400000_NS6detail17trampoline_kernelINS0_14default_configENS1_27lower_bound_config_selectorIjlEEZNS1_14transform_implILb0ES3_S5_N6thrust23THRUST_200600_302600_NS6detail15normal_iteratorINS8_7pointerIjNS8_11hip_rocprim5par_tENS8_11use_defaultESE_EEEENSA_INSB_IlSD_SE_SE_EEEEZNS1_13binary_searchIS3_S5_PjSG_SI_NS1_21lower_bound_search_opENS9_16wrapped_functionINS8_6system6detail7generic6detail18binary_search_lessEbEEEE10hipError_tPvRmT1_T2_T3_mmT4_T5_P12ihipStream_tbEUlRKjE_EEST_SX_SY_mSZ_S12_bEUlT_E_NS1_11comp_targetILNS1_3genE10ELNS1_11target_archE1201ELNS1_3gpuE5ELNS1_3repE0EEENS1_30default_config_static_selectorELNS0_4arch9wavefront6targetE0EEEvSW_.uses_flat_scratch, 0
	.set _ZN7rocprim17ROCPRIM_400000_NS6detail17trampoline_kernelINS0_14default_configENS1_27lower_bound_config_selectorIjlEEZNS1_14transform_implILb0ES3_S5_N6thrust23THRUST_200600_302600_NS6detail15normal_iteratorINS8_7pointerIjNS8_11hip_rocprim5par_tENS8_11use_defaultESE_EEEENSA_INSB_IlSD_SE_SE_EEEEZNS1_13binary_searchIS3_S5_PjSG_SI_NS1_21lower_bound_search_opENS9_16wrapped_functionINS8_6system6detail7generic6detail18binary_search_lessEbEEEE10hipError_tPvRmT1_T2_T3_mmT4_T5_P12ihipStream_tbEUlRKjE_EEST_SX_SY_mSZ_S12_bEUlT_E_NS1_11comp_targetILNS1_3genE10ELNS1_11target_archE1201ELNS1_3gpuE5ELNS1_3repE0EEENS1_30default_config_static_selectorELNS0_4arch9wavefront6targetE0EEEvSW_.has_dyn_sized_stack, 0
	.set _ZN7rocprim17ROCPRIM_400000_NS6detail17trampoline_kernelINS0_14default_configENS1_27lower_bound_config_selectorIjlEEZNS1_14transform_implILb0ES3_S5_N6thrust23THRUST_200600_302600_NS6detail15normal_iteratorINS8_7pointerIjNS8_11hip_rocprim5par_tENS8_11use_defaultESE_EEEENSA_INSB_IlSD_SE_SE_EEEEZNS1_13binary_searchIS3_S5_PjSG_SI_NS1_21lower_bound_search_opENS9_16wrapped_functionINS8_6system6detail7generic6detail18binary_search_lessEbEEEE10hipError_tPvRmT1_T2_T3_mmT4_T5_P12ihipStream_tbEUlRKjE_EEST_SX_SY_mSZ_S12_bEUlT_E_NS1_11comp_targetILNS1_3genE10ELNS1_11target_archE1201ELNS1_3gpuE5ELNS1_3repE0EEENS1_30default_config_static_selectorELNS0_4arch9wavefront6targetE0EEEvSW_.has_recursion, 0
	.set _ZN7rocprim17ROCPRIM_400000_NS6detail17trampoline_kernelINS0_14default_configENS1_27lower_bound_config_selectorIjlEEZNS1_14transform_implILb0ES3_S5_N6thrust23THRUST_200600_302600_NS6detail15normal_iteratorINS8_7pointerIjNS8_11hip_rocprim5par_tENS8_11use_defaultESE_EEEENSA_INSB_IlSD_SE_SE_EEEEZNS1_13binary_searchIS3_S5_PjSG_SI_NS1_21lower_bound_search_opENS9_16wrapped_functionINS8_6system6detail7generic6detail18binary_search_lessEbEEEE10hipError_tPvRmT1_T2_T3_mmT4_T5_P12ihipStream_tbEUlRKjE_EEST_SX_SY_mSZ_S12_bEUlT_E_NS1_11comp_targetILNS1_3genE10ELNS1_11target_archE1201ELNS1_3gpuE5ELNS1_3repE0EEENS1_30default_config_static_selectorELNS0_4arch9wavefront6targetE0EEEvSW_.has_indirect_call, 0
	.section	.AMDGPU.csdata,"",@progbits
; Kernel info:
; codeLenInByte = 0
; TotalNumSgprs: 0
; NumVgprs: 0
; ScratchSize: 0
; MemoryBound: 0
; FloatMode: 240
; IeeeMode: 1
; LDSByteSize: 0 bytes/workgroup (compile time only)
; SGPRBlocks: 0
; VGPRBlocks: 0
; NumSGPRsForWavesPerEU: 1
; NumVGPRsForWavesPerEU: 1
; Occupancy: 16
; WaveLimiterHint : 0
; COMPUTE_PGM_RSRC2:SCRATCH_EN: 0
; COMPUTE_PGM_RSRC2:USER_SGPR: 6
; COMPUTE_PGM_RSRC2:TRAP_HANDLER: 0
; COMPUTE_PGM_RSRC2:TGID_X_EN: 1
; COMPUTE_PGM_RSRC2:TGID_Y_EN: 0
; COMPUTE_PGM_RSRC2:TGID_Z_EN: 0
; COMPUTE_PGM_RSRC2:TIDIG_COMP_CNT: 0
	.section	.text._ZN7rocprim17ROCPRIM_400000_NS6detail17trampoline_kernelINS0_14default_configENS1_27lower_bound_config_selectorIjlEEZNS1_14transform_implILb0ES3_S5_N6thrust23THRUST_200600_302600_NS6detail15normal_iteratorINS8_7pointerIjNS8_11hip_rocprim5par_tENS8_11use_defaultESE_EEEENSA_INSB_IlSD_SE_SE_EEEEZNS1_13binary_searchIS3_S5_PjSG_SI_NS1_21lower_bound_search_opENS9_16wrapped_functionINS8_6system6detail7generic6detail18binary_search_lessEbEEEE10hipError_tPvRmT1_T2_T3_mmT4_T5_P12ihipStream_tbEUlRKjE_EEST_SX_SY_mSZ_S12_bEUlT_E_NS1_11comp_targetILNS1_3genE10ELNS1_11target_archE1200ELNS1_3gpuE4ELNS1_3repE0EEENS1_30default_config_static_selectorELNS0_4arch9wavefront6targetE0EEEvSW_,"axG",@progbits,_ZN7rocprim17ROCPRIM_400000_NS6detail17trampoline_kernelINS0_14default_configENS1_27lower_bound_config_selectorIjlEEZNS1_14transform_implILb0ES3_S5_N6thrust23THRUST_200600_302600_NS6detail15normal_iteratorINS8_7pointerIjNS8_11hip_rocprim5par_tENS8_11use_defaultESE_EEEENSA_INSB_IlSD_SE_SE_EEEEZNS1_13binary_searchIS3_S5_PjSG_SI_NS1_21lower_bound_search_opENS9_16wrapped_functionINS8_6system6detail7generic6detail18binary_search_lessEbEEEE10hipError_tPvRmT1_T2_T3_mmT4_T5_P12ihipStream_tbEUlRKjE_EEST_SX_SY_mSZ_S12_bEUlT_E_NS1_11comp_targetILNS1_3genE10ELNS1_11target_archE1200ELNS1_3gpuE4ELNS1_3repE0EEENS1_30default_config_static_selectorELNS0_4arch9wavefront6targetE0EEEvSW_,comdat
	.protected	_ZN7rocprim17ROCPRIM_400000_NS6detail17trampoline_kernelINS0_14default_configENS1_27lower_bound_config_selectorIjlEEZNS1_14transform_implILb0ES3_S5_N6thrust23THRUST_200600_302600_NS6detail15normal_iteratorINS8_7pointerIjNS8_11hip_rocprim5par_tENS8_11use_defaultESE_EEEENSA_INSB_IlSD_SE_SE_EEEEZNS1_13binary_searchIS3_S5_PjSG_SI_NS1_21lower_bound_search_opENS9_16wrapped_functionINS8_6system6detail7generic6detail18binary_search_lessEbEEEE10hipError_tPvRmT1_T2_T3_mmT4_T5_P12ihipStream_tbEUlRKjE_EEST_SX_SY_mSZ_S12_bEUlT_E_NS1_11comp_targetILNS1_3genE10ELNS1_11target_archE1200ELNS1_3gpuE4ELNS1_3repE0EEENS1_30default_config_static_selectorELNS0_4arch9wavefront6targetE0EEEvSW_ ; -- Begin function _ZN7rocprim17ROCPRIM_400000_NS6detail17trampoline_kernelINS0_14default_configENS1_27lower_bound_config_selectorIjlEEZNS1_14transform_implILb0ES3_S5_N6thrust23THRUST_200600_302600_NS6detail15normal_iteratorINS8_7pointerIjNS8_11hip_rocprim5par_tENS8_11use_defaultESE_EEEENSA_INSB_IlSD_SE_SE_EEEEZNS1_13binary_searchIS3_S5_PjSG_SI_NS1_21lower_bound_search_opENS9_16wrapped_functionINS8_6system6detail7generic6detail18binary_search_lessEbEEEE10hipError_tPvRmT1_T2_T3_mmT4_T5_P12ihipStream_tbEUlRKjE_EEST_SX_SY_mSZ_S12_bEUlT_E_NS1_11comp_targetILNS1_3genE10ELNS1_11target_archE1200ELNS1_3gpuE4ELNS1_3repE0EEENS1_30default_config_static_selectorELNS0_4arch9wavefront6targetE0EEEvSW_
	.globl	_ZN7rocprim17ROCPRIM_400000_NS6detail17trampoline_kernelINS0_14default_configENS1_27lower_bound_config_selectorIjlEEZNS1_14transform_implILb0ES3_S5_N6thrust23THRUST_200600_302600_NS6detail15normal_iteratorINS8_7pointerIjNS8_11hip_rocprim5par_tENS8_11use_defaultESE_EEEENSA_INSB_IlSD_SE_SE_EEEEZNS1_13binary_searchIS3_S5_PjSG_SI_NS1_21lower_bound_search_opENS9_16wrapped_functionINS8_6system6detail7generic6detail18binary_search_lessEbEEEE10hipError_tPvRmT1_T2_T3_mmT4_T5_P12ihipStream_tbEUlRKjE_EEST_SX_SY_mSZ_S12_bEUlT_E_NS1_11comp_targetILNS1_3genE10ELNS1_11target_archE1200ELNS1_3gpuE4ELNS1_3repE0EEENS1_30default_config_static_selectorELNS0_4arch9wavefront6targetE0EEEvSW_
	.p2align	8
	.type	_ZN7rocprim17ROCPRIM_400000_NS6detail17trampoline_kernelINS0_14default_configENS1_27lower_bound_config_selectorIjlEEZNS1_14transform_implILb0ES3_S5_N6thrust23THRUST_200600_302600_NS6detail15normal_iteratorINS8_7pointerIjNS8_11hip_rocprim5par_tENS8_11use_defaultESE_EEEENSA_INSB_IlSD_SE_SE_EEEEZNS1_13binary_searchIS3_S5_PjSG_SI_NS1_21lower_bound_search_opENS9_16wrapped_functionINS8_6system6detail7generic6detail18binary_search_lessEbEEEE10hipError_tPvRmT1_T2_T3_mmT4_T5_P12ihipStream_tbEUlRKjE_EEST_SX_SY_mSZ_S12_bEUlT_E_NS1_11comp_targetILNS1_3genE10ELNS1_11target_archE1200ELNS1_3gpuE4ELNS1_3repE0EEENS1_30default_config_static_selectorELNS0_4arch9wavefront6targetE0EEEvSW_,@function
_ZN7rocprim17ROCPRIM_400000_NS6detail17trampoline_kernelINS0_14default_configENS1_27lower_bound_config_selectorIjlEEZNS1_14transform_implILb0ES3_S5_N6thrust23THRUST_200600_302600_NS6detail15normal_iteratorINS8_7pointerIjNS8_11hip_rocprim5par_tENS8_11use_defaultESE_EEEENSA_INSB_IlSD_SE_SE_EEEEZNS1_13binary_searchIS3_S5_PjSG_SI_NS1_21lower_bound_search_opENS9_16wrapped_functionINS8_6system6detail7generic6detail18binary_search_lessEbEEEE10hipError_tPvRmT1_T2_T3_mmT4_T5_P12ihipStream_tbEUlRKjE_EEST_SX_SY_mSZ_S12_bEUlT_E_NS1_11comp_targetILNS1_3genE10ELNS1_11target_archE1200ELNS1_3gpuE4ELNS1_3repE0EEENS1_30default_config_static_selectorELNS0_4arch9wavefront6targetE0EEEvSW_: ; @_ZN7rocprim17ROCPRIM_400000_NS6detail17trampoline_kernelINS0_14default_configENS1_27lower_bound_config_selectorIjlEEZNS1_14transform_implILb0ES3_S5_N6thrust23THRUST_200600_302600_NS6detail15normal_iteratorINS8_7pointerIjNS8_11hip_rocprim5par_tENS8_11use_defaultESE_EEEENSA_INSB_IlSD_SE_SE_EEEEZNS1_13binary_searchIS3_S5_PjSG_SI_NS1_21lower_bound_search_opENS9_16wrapped_functionINS8_6system6detail7generic6detail18binary_search_lessEbEEEE10hipError_tPvRmT1_T2_T3_mmT4_T5_P12ihipStream_tbEUlRKjE_EEST_SX_SY_mSZ_S12_bEUlT_E_NS1_11comp_targetILNS1_3genE10ELNS1_11target_archE1200ELNS1_3gpuE4ELNS1_3repE0EEENS1_30default_config_static_selectorELNS0_4arch9wavefront6targetE0EEEvSW_
; %bb.0:
	.section	.rodata,"a",@progbits
	.p2align	6, 0x0
	.amdhsa_kernel _ZN7rocprim17ROCPRIM_400000_NS6detail17trampoline_kernelINS0_14default_configENS1_27lower_bound_config_selectorIjlEEZNS1_14transform_implILb0ES3_S5_N6thrust23THRUST_200600_302600_NS6detail15normal_iteratorINS8_7pointerIjNS8_11hip_rocprim5par_tENS8_11use_defaultESE_EEEENSA_INSB_IlSD_SE_SE_EEEEZNS1_13binary_searchIS3_S5_PjSG_SI_NS1_21lower_bound_search_opENS9_16wrapped_functionINS8_6system6detail7generic6detail18binary_search_lessEbEEEE10hipError_tPvRmT1_T2_T3_mmT4_T5_P12ihipStream_tbEUlRKjE_EEST_SX_SY_mSZ_S12_bEUlT_E_NS1_11comp_targetILNS1_3genE10ELNS1_11target_archE1200ELNS1_3gpuE4ELNS1_3repE0EEENS1_30default_config_static_selectorELNS0_4arch9wavefront6targetE0EEEvSW_
		.amdhsa_group_segment_fixed_size 0
		.amdhsa_private_segment_fixed_size 0
		.amdhsa_kernarg_size 56
		.amdhsa_user_sgpr_count 6
		.amdhsa_user_sgpr_private_segment_buffer 1
		.amdhsa_user_sgpr_dispatch_ptr 0
		.amdhsa_user_sgpr_queue_ptr 0
		.amdhsa_user_sgpr_kernarg_segment_ptr 1
		.amdhsa_user_sgpr_dispatch_id 0
		.amdhsa_user_sgpr_flat_scratch_init 0
		.amdhsa_user_sgpr_private_segment_size 0
		.amdhsa_wavefront_size32 1
		.amdhsa_uses_dynamic_stack 0
		.amdhsa_system_sgpr_private_segment_wavefront_offset 0
		.amdhsa_system_sgpr_workgroup_id_x 1
		.amdhsa_system_sgpr_workgroup_id_y 0
		.amdhsa_system_sgpr_workgroup_id_z 0
		.amdhsa_system_sgpr_workgroup_info 0
		.amdhsa_system_vgpr_workitem_id 0
		.amdhsa_next_free_vgpr 1
		.amdhsa_next_free_sgpr 1
		.amdhsa_reserve_vcc 0
		.amdhsa_reserve_flat_scratch 0
		.amdhsa_float_round_mode_32 0
		.amdhsa_float_round_mode_16_64 0
		.amdhsa_float_denorm_mode_32 3
		.amdhsa_float_denorm_mode_16_64 3
		.amdhsa_dx10_clamp 1
		.amdhsa_ieee_mode 1
		.amdhsa_fp16_overflow 0
		.amdhsa_workgroup_processor_mode 1
		.amdhsa_memory_ordered 1
		.amdhsa_forward_progress 1
		.amdhsa_shared_vgpr_count 0
		.amdhsa_exception_fp_ieee_invalid_op 0
		.amdhsa_exception_fp_denorm_src 0
		.amdhsa_exception_fp_ieee_div_zero 0
		.amdhsa_exception_fp_ieee_overflow 0
		.amdhsa_exception_fp_ieee_underflow 0
		.amdhsa_exception_fp_ieee_inexact 0
		.amdhsa_exception_int_div_zero 0
	.end_amdhsa_kernel
	.section	.text._ZN7rocprim17ROCPRIM_400000_NS6detail17trampoline_kernelINS0_14default_configENS1_27lower_bound_config_selectorIjlEEZNS1_14transform_implILb0ES3_S5_N6thrust23THRUST_200600_302600_NS6detail15normal_iteratorINS8_7pointerIjNS8_11hip_rocprim5par_tENS8_11use_defaultESE_EEEENSA_INSB_IlSD_SE_SE_EEEEZNS1_13binary_searchIS3_S5_PjSG_SI_NS1_21lower_bound_search_opENS9_16wrapped_functionINS8_6system6detail7generic6detail18binary_search_lessEbEEEE10hipError_tPvRmT1_T2_T3_mmT4_T5_P12ihipStream_tbEUlRKjE_EEST_SX_SY_mSZ_S12_bEUlT_E_NS1_11comp_targetILNS1_3genE10ELNS1_11target_archE1200ELNS1_3gpuE4ELNS1_3repE0EEENS1_30default_config_static_selectorELNS0_4arch9wavefront6targetE0EEEvSW_,"axG",@progbits,_ZN7rocprim17ROCPRIM_400000_NS6detail17trampoline_kernelINS0_14default_configENS1_27lower_bound_config_selectorIjlEEZNS1_14transform_implILb0ES3_S5_N6thrust23THRUST_200600_302600_NS6detail15normal_iteratorINS8_7pointerIjNS8_11hip_rocprim5par_tENS8_11use_defaultESE_EEEENSA_INSB_IlSD_SE_SE_EEEEZNS1_13binary_searchIS3_S5_PjSG_SI_NS1_21lower_bound_search_opENS9_16wrapped_functionINS8_6system6detail7generic6detail18binary_search_lessEbEEEE10hipError_tPvRmT1_T2_T3_mmT4_T5_P12ihipStream_tbEUlRKjE_EEST_SX_SY_mSZ_S12_bEUlT_E_NS1_11comp_targetILNS1_3genE10ELNS1_11target_archE1200ELNS1_3gpuE4ELNS1_3repE0EEENS1_30default_config_static_selectorELNS0_4arch9wavefront6targetE0EEEvSW_,comdat
.Lfunc_end79:
	.size	_ZN7rocprim17ROCPRIM_400000_NS6detail17trampoline_kernelINS0_14default_configENS1_27lower_bound_config_selectorIjlEEZNS1_14transform_implILb0ES3_S5_N6thrust23THRUST_200600_302600_NS6detail15normal_iteratorINS8_7pointerIjNS8_11hip_rocprim5par_tENS8_11use_defaultESE_EEEENSA_INSB_IlSD_SE_SE_EEEEZNS1_13binary_searchIS3_S5_PjSG_SI_NS1_21lower_bound_search_opENS9_16wrapped_functionINS8_6system6detail7generic6detail18binary_search_lessEbEEEE10hipError_tPvRmT1_T2_T3_mmT4_T5_P12ihipStream_tbEUlRKjE_EEST_SX_SY_mSZ_S12_bEUlT_E_NS1_11comp_targetILNS1_3genE10ELNS1_11target_archE1200ELNS1_3gpuE4ELNS1_3repE0EEENS1_30default_config_static_selectorELNS0_4arch9wavefront6targetE0EEEvSW_, .Lfunc_end79-_ZN7rocprim17ROCPRIM_400000_NS6detail17trampoline_kernelINS0_14default_configENS1_27lower_bound_config_selectorIjlEEZNS1_14transform_implILb0ES3_S5_N6thrust23THRUST_200600_302600_NS6detail15normal_iteratorINS8_7pointerIjNS8_11hip_rocprim5par_tENS8_11use_defaultESE_EEEENSA_INSB_IlSD_SE_SE_EEEEZNS1_13binary_searchIS3_S5_PjSG_SI_NS1_21lower_bound_search_opENS9_16wrapped_functionINS8_6system6detail7generic6detail18binary_search_lessEbEEEE10hipError_tPvRmT1_T2_T3_mmT4_T5_P12ihipStream_tbEUlRKjE_EEST_SX_SY_mSZ_S12_bEUlT_E_NS1_11comp_targetILNS1_3genE10ELNS1_11target_archE1200ELNS1_3gpuE4ELNS1_3repE0EEENS1_30default_config_static_selectorELNS0_4arch9wavefront6targetE0EEEvSW_
                                        ; -- End function
	.set _ZN7rocprim17ROCPRIM_400000_NS6detail17trampoline_kernelINS0_14default_configENS1_27lower_bound_config_selectorIjlEEZNS1_14transform_implILb0ES3_S5_N6thrust23THRUST_200600_302600_NS6detail15normal_iteratorINS8_7pointerIjNS8_11hip_rocprim5par_tENS8_11use_defaultESE_EEEENSA_INSB_IlSD_SE_SE_EEEEZNS1_13binary_searchIS3_S5_PjSG_SI_NS1_21lower_bound_search_opENS9_16wrapped_functionINS8_6system6detail7generic6detail18binary_search_lessEbEEEE10hipError_tPvRmT1_T2_T3_mmT4_T5_P12ihipStream_tbEUlRKjE_EEST_SX_SY_mSZ_S12_bEUlT_E_NS1_11comp_targetILNS1_3genE10ELNS1_11target_archE1200ELNS1_3gpuE4ELNS1_3repE0EEENS1_30default_config_static_selectorELNS0_4arch9wavefront6targetE0EEEvSW_.num_vgpr, 0
	.set _ZN7rocprim17ROCPRIM_400000_NS6detail17trampoline_kernelINS0_14default_configENS1_27lower_bound_config_selectorIjlEEZNS1_14transform_implILb0ES3_S5_N6thrust23THRUST_200600_302600_NS6detail15normal_iteratorINS8_7pointerIjNS8_11hip_rocprim5par_tENS8_11use_defaultESE_EEEENSA_INSB_IlSD_SE_SE_EEEEZNS1_13binary_searchIS3_S5_PjSG_SI_NS1_21lower_bound_search_opENS9_16wrapped_functionINS8_6system6detail7generic6detail18binary_search_lessEbEEEE10hipError_tPvRmT1_T2_T3_mmT4_T5_P12ihipStream_tbEUlRKjE_EEST_SX_SY_mSZ_S12_bEUlT_E_NS1_11comp_targetILNS1_3genE10ELNS1_11target_archE1200ELNS1_3gpuE4ELNS1_3repE0EEENS1_30default_config_static_selectorELNS0_4arch9wavefront6targetE0EEEvSW_.num_agpr, 0
	.set _ZN7rocprim17ROCPRIM_400000_NS6detail17trampoline_kernelINS0_14default_configENS1_27lower_bound_config_selectorIjlEEZNS1_14transform_implILb0ES3_S5_N6thrust23THRUST_200600_302600_NS6detail15normal_iteratorINS8_7pointerIjNS8_11hip_rocprim5par_tENS8_11use_defaultESE_EEEENSA_INSB_IlSD_SE_SE_EEEEZNS1_13binary_searchIS3_S5_PjSG_SI_NS1_21lower_bound_search_opENS9_16wrapped_functionINS8_6system6detail7generic6detail18binary_search_lessEbEEEE10hipError_tPvRmT1_T2_T3_mmT4_T5_P12ihipStream_tbEUlRKjE_EEST_SX_SY_mSZ_S12_bEUlT_E_NS1_11comp_targetILNS1_3genE10ELNS1_11target_archE1200ELNS1_3gpuE4ELNS1_3repE0EEENS1_30default_config_static_selectorELNS0_4arch9wavefront6targetE0EEEvSW_.numbered_sgpr, 0
	.set _ZN7rocprim17ROCPRIM_400000_NS6detail17trampoline_kernelINS0_14default_configENS1_27lower_bound_config_selectorIjlEEZNS1_14transform_implILb0ES3_S5_N6thrust23THRUST_200600_302600_NS6detail15normal_iteratorINS8_7pointerIjNS8_11hip_rocprim5par_tENS8_11use_defaultESE_EEEENSA_INSB_IlSD_SE_SE_EEEEZNS1_13binary_searchIS3_S5_PjSG_SI_NS1_21lower_bound_search_opENS9_16wrapped_functionINS8_6system6detail7generic6detail18binary_search_lessEbEEEE10hipError_tPvRmT1_T2_T3_mmT4_T5_P12ihipStream_tbEUlRKjE_EEST_SX_SY_mSZ_S12_bEUlT_E_NS1_11comp_targetILNS1_3genE10ELNS1_11target_archE1200ELNS1_3gpuE4ELNS1_3repE0EEENS1_30default_config_static_selectorELNS0_4arch9wavefront6targetE0EEEvSW_.num_named_barrier, 0
	.set _ZN7rocprim17ROCPRIM_400000_NS6detail17trampoline_kernelINS0_14default_configENS1_27lower_bound_config_selectorIjlEEZNS1_14transform_implILb0ES3_S5_N6thrust23THRUST_200600_302600_NS6detail15normal_iteratorINS8_7pointerIjNS8_11hip_rocprim5par_tENS8_11use_defaultESE_EEEENSA_INSB_IlSD_SE_SE_EEEEZNS1_13binary_searchIS3_S5_PjSG_SI_NS1_21lower_bound_search_opENS9_16wrapped_functionINS8_6system6detail7generic6detail18binary_search_lessEbEEEE10hipError_tPvRmT1_T2_T3_mmT4_T5_P12ihipStream_tbEUlRKjE_EEST_SX_SY_mSZ_S12_bEUlT_E_NS1_11comp_targetILNS1_3genE10ELNS1_11target_archE1200ELNS1_3gpuE4ELNS1_3repE0EEENS1_30default_config_static_selectorELNS0_4arch9wavefront6targetE0EEEvSW_.private_seg_size, 0
	.set _ZN7rocprim17ROCPRIM_400000_NS6detail17trampoline_kernelINS0_14default_configENS1_27lower_bound_config_selectorIjlEEZNS1_14transform_implILb0ES3_S5_N6thrust23THRUST_200600_302600_NS6detail15normal_iteratorINS8_7pointerIjNS8_11hip_rocprim5par_tENS8_11use_defaultESE_EEEENSA_INSB_IlSD_SE_SE_EEEEZNS1_13binary_searchIS3_S5_PjSG_SI_NS1_21lower_bound_search_opENS9_16wrapped_functionINS8_6system6detail7generic6detail18binary_search_lessEbEEEE10hipError_tPvRmT1_T2_T3_mmT4_T5_P12ihipStream_tbEUlRKjE_EEST_SX_SY_mSZ_S12_bEUlT_E_NS1_11comp_targetILNS1_3genE10ELNS1_11target_archE1200ELNS1_3gpuE4ELNS1_3repE0EEENS1_30default_config_static_selectorELNS0_4arch9wavefront6targetE0EEEvSW_.uses_vcc, 0
	.set _ZN7rocprim17ROCPRIM_400000_NS6detail17trampoline_kernelINS0_14default_configENS1_27lower_bound_config_selectorIjlEEZNS1_14transform_implILb0ES3_S5_N6thrust23THRUST_200600_302600_NS6detail15normal_iteratorINS8_7pointerIjNS8_11hip_rocprim5par_tENS8_11use_defaultESE_EEEENSA_INSB_IlSD_SE_SE_EEEEZNS1_13binary_searchIS3_S5_PjSG_SI_NS1_21lower_bound_search_opENS9_16wrapped_functionINS8_6system6detail7generic6detail18binary_search_lessEbEEEE10hipError_tPvRmT1_T2_T3_mmT4_T5_P12ihipStream_tbEUlRKjE_EEST_SX_SY_mSZ_S12_bEUlT_E_NS1_11comp_targetILNS1_3genE10ELNS1_11target_archE1200ELNS1_3gpuE4ELNS1_3repE0EEENS1_30default_config_static_selectorELNS0_4arch9wavefront6targetE0EEEvSW_.uses_flat_scratch, 0
	.set _ZN7rocprim17ROCPRIM_400000_NS6detail17trampoline_kernelINS0_14default_configENS1_27lower_bound_config_selectorIjlEEZNS1_14transform_implILb0ES3_S5_N6thrust23THRUST_200600_302600_NS6detail15normal_iteratorINS8_7pointerIjNS8_11hip_rocprim5par_tENS8_11use_defaultESE_EEEENSA_INSB_IlSD_SE_SE_EEEEZNS1_13binary_searchIS3_S5_PjSG_SI_NS1_21lower_bound_search_opENS9_16wrapped_functionINS8_6system6detail7generic6detail18binary_search_lessEbEEEE10hipError_tPvRmT1_T2_T3_mmT4_T5_P12ihipStream_tbEUlRKjE_EEST_SX_SY_mSZ_S12_bEUlT_E_NS1_11comp_targetILNS1_3genE10ELNS1_11target_archE1200ELNS1_3gpuE4ELNS1_3repE0EEENS1_30default_config_static_selectorELNS0_4arch9wavefront6targetE0EEEvSW_.has_dyn_sized_stack, 0
	.set _ZN7rocprim17ROCPRIM_400000_NS6detail17trampoline_kernelINS0_14default_configENS1_27lower_bound_config_selectorIjlEEZNS1_14transform_implILb0ES3_S5_N6thrust23THRUST_200600_302600_NS6detail15normal_iteratorINS8_7pointerIjNS8_11hip_rocprim5par_tENS8_11use_defaultESE_EEEENSA_INSB_IlSD_SE_SE_EEEEZNS1_13binary_searchIS3_S5_PjSG_SI_NS1_21lower_bound_search_opENS9_16wrapped_functionINS8_6system6detail7generic6detail18binary_search_lessEbEEEE10hipError_tPvRmT1_T2_T3_mmT4_T5_P12ihipStream_tbEUlRKjE_EEST_SX_SY_mSZ_S12_bEUlT_E_NS1_11comp_targetILNS1_3genE10ELNS1_11target_archE1200ELNS1_3gpuE4ELNS1_3repE0EEENS1_30default_config_static_selectorELNS0_4arch9wavefront6targetE0EEEvSW_.has_recursion, 0
	.set _ZN7rocprim17ROCPRIM_400000_NS6detail17trampoline_kernelINS0_14default_configENS1_27lower_bound_config_selectorIjlEEZNS1_14transform_implILb0ES3_S5_N6thrust23THRUST_200600_302600_NS6detail15normal_iteratorINS8_7pointerIjNS8_11hip_rocprim5par_tENS8_11use_defaultESE_EEEENSA_INSB_IlSD_SE_SE_EEEEZNS1_13binary_searchIS3_S5_PjSG_SI_NS1_21lower_bound_search_opENS9_16wrapped_functionINS8_6system6detail7generic6detail18binary_search_lessEbEEEE10hipError_tPvRmT1_T2_T3_mmT4_T5_P12ihipStream_tbEUlRKjE_EEST_SX_SY_mSZ_S12_bEUlT_E_NS1_11comp_targetILNS1_3genE10ELNS1_11target_archE1200ELNS1_3gpuE4ELNS1_3repE0EEENS1_30default_config_static_selectorELNS0_4arch9wavefront6targetE0EEEvSW_.has_indirect_call, 0
	.section	.AMDGPU.csdata,"",@progbits
; Kernel info:
; codeLenInByte = 0
; TotalNumSgprs: 0
; NumVgprs: 0
; ScratchSize: 0
; MemoryBound: 0
; FloatMode: 240
; IeeeMode: 1
; LDSByteSize: 0 bytes/workgroup (compile time only)
; SGPRBlocks: 0
; VGPRBlocks: 0
; NumSGPRsForWavesPerEU: 1
; NumVGPRsForWavesPerEU: 1
; Occupancy: 16
; WaveLimiterHint : 0
; COMPUTE_PGM_RSRC2:SCRATCH_EN: 0
; COMPUTE_PGM_RSRC2:USER_SGPR: 6
; COMPUTE_PGM_RSRC2:TRAP_HANDLER: 0
; COMPUTE_PGM_RSRC2:TGID_X_EN: 1
; COMPUTE_PGM_RSRC2:TGID_Y_EN: 0
; COMPUTE_PGM_RSRC2:TGID_Z_EN: 0
; COMPUTE_PGM_RSRC2:TIDIG_COMP_CNT: 0
	.section	.text._ZN7rocprim17ROCPRIM_400000_NS6detail17trampoline_kernelINS0_14default_configENS1_27lower_bound_config_selectorIjlEEZNS1_14transform_implILb0ES3_S5_N6thrust23THRUST_200600_302600_NS6detail15normal_iteratorINS8_7pointerIjNS8_11hip_rocprim5par_tENS8_11use_defaultESE_EEEENSA_INSB_IlSD_SE_SE_EEEEZNS1_13binary_searchIS3_S5_PjSG_SI_NS1_21lower_bound_search_opENS9_16wrapped_functionINS8_6system6detail7generic6detail18binary_search_lessEbEEEE10hipError_tPvRmT1_T2_T3_mmT4_T5_P12ihipStream_tbEUlRKjE_EEST_SX_SY_mSZ_S12_bEUlT_E_NS1_11comp_targetILNS1_3genE9ELNS1_11target_archE1100ELNS1_3gpuE3ELNS1_3repE0EEENS1_30default_config_static_selectorELNS0_4arch9wavefront6targetE0EEEvSW_,"axG",@progbits,_ZN7rocprim17ROCPRIM_400000_NS6detail17trampoline_kernelINS0_14default_configENS1_27lower_bound_config_selectorIjlEEZNS1_14transform_implILb0ES3_S5_N6thrust23THRUST_200600_302600_NS6detail15normal_iteratorINS8_7pointerIjNS8_11hip_rocprim5par_tENS8_11use_defaultESE_EEEENSA_INSB_IlSD_SE_SE_EEEEZNS1_13binary_searchIS3_S5_PjSG_SI_NS1_21lower_bound_search_opENS9_16wrapped_functionINS8_6system6detail7generic6detail18binary_search_lessEbEEEE10hipError_tPvRmT1_T2_T3_mmT4_T5_P12ihipStream_tbEUlRKjE_EEST_SX_SY_mSZ_S12_bEUlT_E_NS1_11comp_targetILNS1_3genE9ELNS1_11target_archE1100ELNS1_3gpuE3ELNS1_3repE0EEENS1_30default_config_static_selectorELNS0_4arch9wavefront6targetE0EEEvSW_,comdat
	.protected	_ZN7rocprim17ROCPRIM_400000_NS6detail17trampoline_kernelINS0_14default_configENS1_27lower_bound_config_selectorIjlEEZNS1_14transform_implILb0ES3_S5_N6thrust23THRUST_200600_302600_NS6detail15normal_iteratorINS8_7pointerIjNS8_11hip_rocprim5par_tENS8_11use_defaultESE_EEEENSA_INSB_IlSD_SE_SE_EEEEZNS1_13binary_searchIS3_S5_PjSG_SI_NS1_21lower_bound_search_opENS9_16wrapped_functionINS8_6system6detail7generic6detail18binary_search_lessEbEEEE10hipError_tPvRmT1_T2_T3_mmT4_T5_P12ihipStream_tbEUlRKjE_EEST_SX_SY_mSZ_S12_bEUlT_E_NS1_11comp_targetILNS1_3genE9ELNS1_11target_archE1100ELNS1_3gpuE3ELNS1_3repE0EEENS1_30default_config_static_selectorELNS0_4arch9wavefront6targetE0EEEvSW_ ; -- Begin function _ZN7rocprim17ROCPRIM_400000_NS6detail17trampoline_kernelINS0_14default_configENS1_27lower_bound_config_selectorIjlEEZNS1_14transform_implILb0ES3_S5_N6thrust23THRUST_200600_302600_NS6detail15normal_iteratorINS8_7pointerIjNS8_11hip_rocprim5par_tENS8_11use_defaultESE_EEEENSA_INSB_IlSD_SE_SE_EEEEZNS1_13binary_searchIS3_S5_PjSG_SI_NS1_21lower_bound_search_opENS9_16wrapped_functionINS8_6system6detail7generic6detail18binary_search_lessEbEEEE10hipError_tPvRmT1_T2_T3_mmT4_T5_P12ihipStream_tbEUlRKjE_EEST_SX_SY_mSZ_S12_bEUlT_E_NS1_11comp_targetILNS1_3genE9ELNS1_11target_archE1100ELNS1_3gpuE3ELNS1_3repE0EEENS1_30default_config_static_selectorELNS0_4arch9wavefront6targetE0EEEvSW_
	.globl	_ZN7rocprim17ROCPRIM_400000_NS6detail17trampoline_kernelINS0_14default_configENS1_27lower_bound_config_selectorIjlEEZNS1_14transform_implILb0ES3_S5_N6thrust23THRUST_200600_302600_NS6detail15normal_iteratorINS8_7pointerIjNS8_11hip_rocprim5par_tENS8_11use_defaultESE_EEEENSA_INSB_IlSD_SE_SE_EEEEZNS1_13binary_searchIS3_S5_PjSG_SI_NS1_21lower_bound_search_opENS9_16wrapped_functionINS8_6system6detail7generic6detail18binary_search_lessEbEEEE10hipError_tPvRmT1_T2_T3_mmT4_T5_P12ihipStream_tbEUlRKjE_EEST_SX_SY_mSZ_S12_bEUlT_E_NS1_11comp_targetILNS1_3genE9ELNS1_11target_archE1100ELNS1_3gpuE3ELNS1_3repE0EEENS1_30default_config_static_selectorELNS0_4arch9wavefront6targetE0EEEvSW_
	.p2align	8
	.type	_ZN7rocprim17ROCPRIM_400000_NS6detail17trampoline_kernelINS0_14default_configENS1_27lower_bound_config_selectorIjlEEZNS1_14transform_implILb0ES3_S5_N6thrust23THRUST_200600_302600_NS6detail15normal_iteratorINS8_7pointerIjNS8_11hip_rocprim5par_tENS8_11use_defaultESE_EEEENSA_INSB_IlSD_SE_SE_EEEEZNS1_13binary_searchIS3_S5_PjSG_SI_NS1_21lower_bound_search_opENS9_16wrapped_functionINS8_6system6detail7generic6detail18binary_search_lessEbEEEE10hipError_tPvRmT1_T2_T3_mmT4_T5_P12ihipStream_tbEUlRKjE_EEST_SX_SY_mSZ_S12_bEUlT_E_NS1_11comp_targetILNS1_3genE9ELNS1_11target_archE1100ELNS1_3gpuE3ELNS1_3repE0EEENS1_30default_config_static_selectorELNS0_4arch9wavefront6targetE0EEEvSW_,@function
_ZN7rocprim17ROCPRIM_400000_NS6detail17trampoline_kernelINS0_14default_configENS1_27lower_bound_config_selectorIjlEEZNS1_14transform_implILb0ES3_S5_N6thrust23THRUST_200600_302600_NS6detail15normal_iteratorINS8_7pointerIjNS8_11hip_rocprim5par_tENS8_11use_defaultESE_EEEENSA_INSB_IlSD_SE_SE_EEEEZNS1_13binary_searchIS3_S5_PjSG_SI_NS1_21lower_bound_search_opENS9_16wrapped_functionINS8_6system6detail7generic6detail18binary_search_lessEbEEEE10hipError_tPvRmT1_T2_T3_mmT4_T5_P12ihipStream_tbEUlRKjE_EEST_SX_SY_mSZ_S12_bEUlT_E_NS1_11comp_targetILNS1_3genE9ELNS1_11target_archE1100ELNS1_3gpuE3ELNS1_3repE0EEENS1_30default_config_static_selectorELNS0_4arch9wavefront6targetE0EEEvSW_: ; @_ZN7rocprim17ROCPRIM_400000_NS6detail17trampoline_kernelINS0_14default_configENS1_27lower_bound_config_selectorIjlEEZNS1_14transform_implILb0ES3_S5_N6thrust23THRUST_200600_302600_NS6detail15normal_iteratorINS8_7pointerIjNS8_11hip_rocprim5par_tENS8_11use_defaultESE_EEEENSA_INSB_IlSD_SE_SE_EEEEZNS1_13binary_searchIS3_S5_PjSG_SI_NS1_21lower_bound_search_opENS9_16wrapped_functionINS8_6system6detail7generic6detail18binary_search_lessEbEEEE10hipError_tPvRmT1_T2_T3_mmT4_T5_P12ihipStream_tbEUlRKjE_EEST_SX_SY_mSZ_S12_bEUlT_E_NS1_11comp_targetILNS1_3genE9ELNS1_11target_archE1100ELNS1_3gpuE3ELNS1_3repE0EEENS1_30default_config_static_selectorELNS0_4arch9wavefront6targetE0EEEvSW_
; %bb.0:
	.section	.rodata,"a",@progbits
	.p2align	6, 0x0
	.amdhsa_kernel _ZN7rocprim17ROCPRIM_400000_NS6detail17trampoline_kernelINS0_14default_configENS1_27lower_bound_config_selectorIjlEEZNS1_14transform_implILb0ES3_S5_N6thrust23THRUST_200600_302600_NS6detail15normal_iteratorINS8_7pointerIjNS8_11hip_rocprim5par_tENS8_11use_defaultESE_EEEENSA_INSB_IlSD_SE_SE_EEEEZNS1_13binary_searchIS3_S5_PjSG_SI_NS1_21lower_bound_search_opENS9_16wrapped_functionINS8_6system6detail7generic6detail18binary_search_lessEbEEEE10hipError_tPvRmT1_T2_T3_mmT4_T5_P12ihipStream_tbEUlRKjE_EEST_SX_SY_mSZ_S12_bEUlT_E_NS1_11comp_targetILNS1_3genE9ELNS1_11target_archE1100ELNS1_3gpuE3ELNS1_3repE0EEENS1_30default_config_static_selectorELNS0_4arch9wavefront6targetE0EEEvSW_
		.amdhsa_group_segment_fixed_size 0
		.amdhsa_private_segment_fixed_size 0
		.amdhsa_kernarg_size 56
		.amdhsa_user_sgpr_count 6
		.amdhsa_user_sgpr_private_segment_buffer 1
		.amdhsa_user_sgpr_dispatch_ptr 0
		.amdhsa_user_sgpr_queue_ptr 0
		.amdhsa_user_sgpr_kernarg_segment_ptr 1
		.amdhsa_user_sgpr_dispatch_id 0
		.amdhsa_user_sgpr_flat_scratch_init 0
		.amdhsa_user_sgpr_private_segment_size 0
		.amdhsa_wavefront_size32 1
		.amdhsa_uses_dynamic_stack 0
		.amdhsa_system_sgpr_private_segment_wavefront_offset 0
		.amdhsa_system_sgpr_workgroup_id_x 1
		.amdhsa_system_sgpr_workgroup_id_y 0
		.amdhsa_system_sgpr_workgroup_id_z 0
		.amdhsa_system_sgpr_workgroup_info 0
		.amdhsa_system_vgpr_workitem_id 0
		.amdhsa_next_free_vgpr 1
		.amdhsa_next_free_sgpr 1
		.amdhsa_reserve_vcc 0
		.amdhsa_reserve_flat_scratch 0
		.amdhsa_float_round_mode_32 0
		.amdhsa_float_round_mode_16_64 0
		.amdhsa_float_denorm_mode_32 3
		.amdhsa_float_denorm_mode_16_64 3
		.amdhsa_dx10_clamp 1
		.amdhsa_ieee_mode 1
		.amdhsa_fp16_overflow 0
		.amdhsa_workgroup_processor_mode 1
		.amdhsa_memory_ordered 1
		.amdhsa_forward_progress 1
		.amdhsa_shared_vgpr_count 0
		.amdhsa_exception_fp_ieee_invalid_op 0
		.amdhsa_exception_fp_denorm_src 0
		.amdhsa_exception_fp_ieee_div_zero 0
		.amdhsa_exception_fp_ieee_overflow 0
		.amdhsa_exception_fp_ieee_underflow 0
		.amdhsa_exception_fp_ieee_inexact 0
		.amdhsa_exception_int_div_zero 0
	.end_amdhsa_kernel
	.section	.text._ZN7rocprim17ROCPRIM_400000_NS6detail17trampoline_kernelINS0_14default_configENS1_27lower_bound_config_selectorIjlEEZNS1_14transform_implILb0ES3_S5_N6thrust23THRUST_200600_302600_NS6detail15normal_iteratorINS8_7pointerIjNS8_11hip_rocprim5par_tENS8_11use_defaultESE_EEEENSA_INSB_IlSD_SE_SE_EEEEZNS1_13binary_searchIS3_S5_PjSG_SI_NS1_21lower_bound_search_opENS9_16wrapped_functionINS8_6system6detail7generic6detail18binary_search_lessEbEEEE10hipError_tPvRmT1_T2_T3_mmT4_T5_P12ihipStream_tbEUlRKjE_EEST_SX_SY_mSZ_S12_bEUlT_E_NS1_11comp_targetILNS1_3genE9ELNS1_11target_archE1100ELNS1_3gpuE3ELNS1_3repE0EEENS1_30default_config_static_selectorELNS0_4arch9wavefront6targetE0EEEvSW_,"axG",@progbits,_ZN7rocprim17ROCPRIM_400000_NS6detail17trampoline_kernelINS0_14default_configENS1_27lower_bound_config_selectorIjlEEZNS1_14transform_implILb0ES3_S5_N6thrust23THRUST_200600_302600_NS6detail15normal_iteratorINS8_7pointerIjNS8_11hip_rocprim5par_tENS8_11use_defaultESE_EEEENSA_INSB_IlSD_SE_SE_EEEEZNS1_13binary_searchIS3_S5_PjSG_SI_NS1_21lower_bound_search_opENS9_16wrapped_functionINS8_6system6detail7generic6detail18binary_search_lessEbEEEE10hipError_tPvRmT1_T2_T3_mmT4_T5_P12ihipStream_tbEUlRKjE_EEST_SX_SY_mSZ_S12_bEUlT_E_NS1_11comp_targetILNS1_3genE9ELNS1_11target_archE1100ELNS1_3gpuE3ELNS1_3repE0EEENS1_30default_config_static_selectorELNS0_4arch9wavefront6targetE0EEEvSW_,comdat
.Lfunc_end80:
	.size	_ZN7rocprim17ROCPRIM_400000_NS6detail17trampoline_kernelINS0_14default_configENS1_27lower_bound_config_selectorIjlEEZNS1_14transform_implILb0ES3_S5_N6thrust23THRUST_200600_302600_NS6detail15normal_iteratorINS8_7pointerIjNS8_11hip_rocprim5par_tENS8_11use_defaultESE_EEEENSA_INSB_IlSD_SE_SE_EEEEZNS1_13binary_searchIS3_S5_PjSG_SI_NS1_21lower_bound_search_opENS9_16wrapped_functionINS8_6system6detail7generic6detail18binary_search_lessEbEEEE10hipError_tPvRmT1_T2_T3_mmT4_T5_P12ihipStream_tbEUlRKjE_EEST_SX_SY_mSZ_S12_bEUlT_E_NS1_11comp_targetILNS1_3genE9ELNS1_11target_archE1100ELNS1_3gpuE3ELNS1_3repE0EEENS1_30default_config_static_selectorELNS0_4arch9wavefront6targetE0EEEvSW_, .Lfunc_end80-_ZN7rocprim17ROCPRIM_400000_NS6detail17trampoline_kernelINS0_14default_configENS1_27lower_bound_config_selectorIjlEEZNS1_14transform_implILb0ES3_S5_N6thrust23THRUST_200600_302600_NS6detail15normal_iteratorINS8_7pointerIjNS8_11hip_rocprim5par_tENS8_11use_defaultESE_EEEENSA_INSB_IlSD_SE_SE_EEEEZNS1_13binary_searchIS3_S5_PjSG_SI_NS1_21lower_bound_search_opENS9_16wrapped_functionINS8_6system6detail7generic6detail18binary_search_lessEbEEEE10hipError_tPvRmT1_T2_T3_mmT4_T5_P12ihipStream_tbEUlRKjE_EEST_SX_SY_mSZ_S12_bEUlT_E_NS1_11comp_targetILNS1_3genE9ELNS1_11target_archE1100ELNS1_3gpuE3ELNS1_3repE0EEENS1_30default_config_static_selectorELNS0_4arch9wavefront6targetE0EEEvSW_
                                        ; -- End function
	.set _ZN7rocprim17ROCPRIM_400000_NS6detail17trampoline_kernelINS0_14default_configENS1_27lower_bound_config_selectorIjlEEZNS1_14transform_implILb0ES3_S5_N6thrust23THRUST_200600_302600_NS6detail15normal_iteratorINS8_7pointerIjNS8_11hip_rocprim5par_tENS8_11use_defaultESE_EEEENSA_INSB_IlSD_SE_SE_EEEEZNS1_13binary_searchIS3_S5_PjSG_SI_NS1_21lower_bound_search_opENS9_16wrapped_functionINS8_6system6detail7generic6detail18binary_search_lessEbEEEE10hipError_tPvRmT1_T2_T3_mmT4_T5_P12ihipStream_tbEUlRKjE_EEST_SX_SY_mSZ_S12_bEUlT_E_NS1_11comp_targetILNS1_3genE9ELNS1_11target_archE1100ELNS1_3gpuE3ELNS1_3repE0EEENS1_30default_config_static_selectorELNS0_4arch9wavefront6targetE0EEEvSW_.num_vgpr, 0
	.set _ZN7rocprim17ROCPRIM_400000_NS6detail17trampoline_kernelINS0_14default_configENS1_27lower_bound_config_selectorIjlEEZNS1_14transform_implILb0ES3_S5_N6thrust23THRUST_200600_302600_NS6detail15normal_iteratorINS8_7pointerIjNS8_11hip_rocprim5par_tENS8_11use_defaultESE_EEEENSA_INSB_IlSD_SE_SE_EEEEZNS1_13binary_searchIS3_S5_PjSG_SI_NS1_21lower_bound_search_opENS9_16wrapped_functionINS8_6system6detail7generic6detail18binary_search_lessEbEEEE10hipError_tPvRmT1_T2_T3_mmT4_T5_P12ihipStream_tbEUlRKjE_EEST_SX_SY_mSZ_S12_bEUlT_E_NS1_11comp_targetILNS1_3genE9ELNS1_11target_archE1100ELNS1_3gpuE3ELNS1_3repE0EEENS1_30default_config_static_selectorELNS0_4arch9wavefront6targetE0EEEvSW_.num_agpr, 0
	.set _ZN7rocprim17ROCPRIM_400000_NS6detail17trampoline_kernelINS0_14default_configENS1_27lower_bound_config_selectorIjlEEZNS1_14transform_implILb0ES3_S5_N6thrust23THRUST_200600_302600_NS6detail15normal_iteratorINS8_7pointerIjNS8_11hip_rocprim5par_tENS8_11use_defaultESE_EEEENSA_INSB_IlSD_SE_SE_EEEEZNS1_13binary_searchIS3_S5_PjSG_SI_NS1_21lower_bound_search_opENS9_16wrapped_functionINS8_6system6detail7generic6detail18binary_search_lessEbEEEE10hipError_tPvRmT1_T2_T3_mmT4_T5_P12ihipStream_tbEUlRKjE_EEST_SX_SY_mSZ_S12_bEUlT_E_NS1_11comp_targetILNS1_3genE9ELNS1_11target_archE1100ELNS1_3gpuE3ELNS1_3repE0EEENS1_30default_config_static_selectorELNS0_4arch9wavefront6targetE0EEEvSW_.numbered_sgpr, 0
	.set _ZN7rocprim17ROCPRIM_400000_NS6detail17trampoline_kernelINS0_14default_configENS1_27lower_bound_config_selectorIjlEEZNS1_14transform_implILb0ES3_S5_N6thrust23THRUST_200600_302600_NS6detail15normal_iteratorINS8_7pointerIjNS8_11hip_rocprim5par_tENS8_11use_defaultESE_EEEENSA_INSB_IlSD_SE_SE_EEEEZNS1_13binary_searchIS3_S5_PjSG_SI_NS1_21lower_bound_search_opENS9_16wrapped_functionINS8_6system6detail7generic6detail18binary_search_lessEbEEEE10hipError_tPvRmT1_T2_T3_mmT4_T5_P12ihipStream_tbEUlRKjE_EEST_SX_SY_mSZ_S12_bEUlT_E_NS1_11comp_targetILNS1_3genE9ELNS1_11target_archE1100ELNS1_3gpuE3ELNS1_3repE0EEENS1_30default_config_static_selectorELNS0_4arch9wavefront6targetE0EEEvSW_.num_named_barrier, 0
	.set _ZN7rocprim17ROCPRIM_400000_NS6detail17trampoline_kernelINS0_14default_configENS1_27lower_bound_config_selectorIjlEEZNS1_14transform_implILb0ES3_S5_N6thrust23THRUST_200600_302600_NS6detail15normal_iteratorINS8_7pointerIjNS8_11hip_rocprim5par_tENS8_11use_defaultESE_EEEENSA_INSB_IlSD_SE_SE_EEEEZNS1_13binary_searchIS3_S5_PjSG_SI_NS1_21lower_bound_search_opENS9_16wrapped_functionINS8_6system6detail7generic6detail18binary_search_lessEbEEEE10hipError_tPvRmT1_T2_T3_mmT4_T5_P12ihipStream_tbEUlRKjE_EEST_SX_SY_mSZ_S12_bEUlT_E_NS1_11comp_targetILNS1_3genE9ELNS1_11target_archE1100ELNS1_3gpuE3ELNS1_3repE0EEENS1_30default_config_static_selectorELNS0_4arch9wavefront6targetE0EEEvSW_.private_seg_size, 0
	.set _ZN7rocprim17ROCPRIM_400000_NS6detail17trampoline_kernelINS0_14default_configENS1_27lower_bound_config_selectorIjlEEZNS1_14transform_implILb0ES3_S5_N6thrust23THRUST_200600_302600_NS6detail15normal_iteratorINS8_7pointerIjNS8_11hip_rocprim5par_tENS8_11use_defaultESE_EEEENSA_INSB_IlSD_SE_SE_EEEEZNS1_13binary_searchIS3_S5_PjSG_SI_NS1_21lower_bound_search_opENS9_16wrapped_functionINS8_6system6detail7generic6detail18binary_search_lessEbEEEE10hipError_tPvRmT1_T2_T3_mmT4_T5_P12ihipStream_tbEUlRKjE_EEST_SX_SY_mSZ_S12_bEUlT_E_NS1_11comp_targetILNS1_3genE9ELNS1_11target_archE1100ELNS1_3gpuE3ELNS1_3repE0EEENS1_30default_config_static_selectorELNS0_4arch9wavefront6targetE0EEEvSW_.uses_vcc, 0
	.set _ZN7rocprim17ROCPRIM_400000_NS6detail17trampoline_kernelINS0_14default_configENS1_27lower_bound_config_selectorIjlEEZNS1_14transform_implILb0ES3_S5_N6thrust23THRUST_200600_302600_NS6detail15normal_iteratorINS8_7pointerIjNS8_11hip_rocprim5par_tENS8_11use_defaultESE_EEEENSA_INSB_IlSD_SE_SE_EEEEZNS1_13binary_searchIS3_S5_PjSG_SI_NS1_21lower_bound_search_opENS9_16wrapped_functionINS8_6system6detail7generic6detail18binary_search_lessEbEEEE10hipError_tPvRmT1_T2_T3_mmT4_T5_P12ihipStream_tbEUlRKjE_EEST_SX_SY_mSZ_S12_bEUlT_E_NS1_11comp_targetILNS1_3genE9ELNS1_11target_archE1100ELNS1_3gpuE3ELNS1_3repE0EEENS1_30default_config_static_selectorELNS0_4arch9wavefront6targetE0EEEvSW_.uses_flat_scratch, 0
	.set _ZN7rocprim17ROCPRIM_400000_NS6detail17trampoline_kernelINS0_14default_configENS1_27lower_bound_config_selectorIjlEEZNS1_14transform_implILb0ES3_S5_N6thrust23THRUST_200600_302600_NS6detail15normal_iteratorINS8_7pointerIjNS8_11hip_rocprim5par_tENS8_11use_defaultESE_EEEENSA_INSB_IlSD_SE_SE_EEEEZNS1_13binary_searchIS3_S5_PjSG_SI_NS1_21lower_bound_search_opENS9_16wrapped_functionINS8_6system6detail7generic6detail18binary_search_lessEbEEEE10hipError_tPvRmT1_T2_T3_mmT4_T5_P12ihipStream_tbEUlRKjE_EEST_SX_SY_mSZ_S12_bEUlT_E_NS1_11comp_targetILNS1_3genE9ELNS1_11target_archE1100ELNS1_3gpuE3ELNS1_3repE0EEENS1_30default_config_static_selectorELNS0_4arch9wavefront6targetE0EEEvSW_.has_dyn_sized_stack, 0
	.set _ZN7rocprim17ROCPRIM_400000_NS6detail17trampoline_kernelINS0_14default_configENS1_27lower_bound_config_selectorIjlEEZNS1_14transform_implILb0ES3_S5_N6thrust23THRUST_200600_302600_NS6detail15normal_iteratorINS8_7pointerIjNS8_11hip_rocprim5par_tENS8_11use_defaultESE_EEEENSA_INSB_IlSD_SE_SE_EEEEZNS1_13binary_searchIS3_S5_PjSG_SI_NS1_21lower_bound_search_opENS9_16wrapped_functionINS8_6system6detail7generic6detail18binary_search_lessEbEEEE10hipError_tPvRmT1_T2_T3_mmT4_T5_P12ihipStream_tbEUlRKjE_EEST_SX_SY_mSZ_S12_bEUlT_E_NS1_11comp_targetILNS1_3genE9ELNS1_11target_archE1100ELNS1_3gpuE3ELNS1_3repE0EEENS1_30default_config_static_selectorELNS0_4arch9wavefront6targetE0EEEvSW_.has_recursion, 0
	.set _ZN7rocprim17ROCPRIM_400000_NS6detail17trampoline_kernelINS0_14default_configENS1_27lower_bound_config_selectorIjlEEZNS1_14transform_implILb0ES3_S5_N6thrust23THRUST_200600_302600_NS6detail15normal_iteratorINS8_7pointerIjNS8_11hip_rocprim5par_tENS8_11use_defaultESE_EEEENSA_INSB_IlSD_SE_SE_EEEEZNS1_13binary_searchIS3_S5_PjSG_SI_NS1_21lower_bound_search_opENS9_16wrapped_functionINS8_6system6detail7generic6detail18binary_search_lessEbEEEE10hipError_tPvRmT1_T2_T3_mmT4_T5_P12ihipStream_tbEUlRKjE_EEST_SX_SY_mSZ_S12_bEUlT_E_NS1_11comp_targetILNS1_3genE9ELNS1_11target_archE1100ELNS1_3gpuE3ELNS1_3repE0EEENS1_30default_config_static_selectorELNS0_4arch9wavefront6targetE0EEEvSW_.has_indirect_call, 0
	.section	.AMDGPU.csdata,"",@progbits
; Kernel info:
; codeLenInByte = 0
; TotalNumSgprs: 0
; NumVgprs: 0
; ScratchSize: 0
; MemoryBound: 0
; FloatMode: 240
; IeeeMode: 1
; LDSByteSize: 0 bytes/workgroup (compile time only)
; SGPRBlocks: 0
; VGPRBlocks: 0
; NumSGPRsForWavesPerEU: 1
; NumVGPRsForWavesPerEU: 1
; Occupancy: 16
; WaveLimiterHint : 0
; COMPUTE_PGM_RSRC2:SCRATCH_EN: 0
; COMPUTE_PGM_RSRC2:USER_SGPR: 6
; COMPUTE_PGM_RSRC2:TRAP_HANDLER: 0
; COMPUTE_PGM_RSRC2:TGID_X_EN: 1
; COMPUTE_PGM_RSRC2:TGID_Y_EN: 0
; COMPUTE_PGM_RSRC2:TGID_Z_EN: 0
; COMPUTE_PGM_RSRC2:TIDIG_COMP_CNT: 0
	.section	.text._ZN7rocprim17ROCPRIM_400000_NS6detail17trampoline_kernelINS0_14default_configENS1_27lower_bound_config_selectorIjlEEZNS1_14transform_implILb0ES3_S5_N6thrust23THRUST_200600_302600_NS6detail15normal_iteratorINS8_7pointerIjNS8_11hip_rocprim5par_tENS8_11use_defaultESE_EEEENSA_INSB_IlSD_SE_SE_EEEEZNS1_13binary_searchIS3_S5_PjSG_SI_NS1_21lower_bound_search_opENS9_16wrapped_functionINS8_6system6detail7generic6detail18binary_search_lessEbEEEE10hipError_tPvRmT1_T2_T3_mmT4_T5_P12ihipStream_tbEUlRKjE_EEST_SX_SY_mSZ_S12_bEUlT_E_NS1_11comp_targetILNS1_3genE8ELNS1_11target_archE1030ELNS1_3gpuE2ELNS1_3repE0EEENS1_30default_config_static_selectorELNS0_4arch9wavefront6targetE0EEEvSW_,"axG",@progbits,_ZN7rocprim17ROCPRIM_400000_NS6detail17trampoline_kernelINS0_14default_configENS1_27lower_bound_config_selectorIjlEEZNS1_14transform_implILb0ES3_S5_N6thrust23THRUST_200600_302600_NS6detail15normal_iteratorINS8_7pointerIjNS8_11hip_rocprim5par_tENS8_11use_defaultESE_EEEENSA_INSB_IlSD_SE_SE_EEEEZNS1_13binary_searchIS3_S5_PjSG_SI_NS1_21lower_bound_search_opENS9_16wrapped_functionINS8_6system6detail7generic6detail18binary_search_lessEbEEEE10hipError_tPvRmT1_T2_T3_mmT4_T5_P12ihipStream_tbEUlRKjE_EEST_SX_SY_mSZ_S12_bEUlT_E_NS1_11comp_targetILNS1_3genE8ELNS1_11target_archE1030ELNS1_3gpuE2ELNS1_3repE0EEENS1_30default_config_static_selectorELNS0_4arch9wavefront6targetE0EEEvSW_,comdat
	.protected	_ZN7rocprim17ROCPRIM_400000_NS6detail17trampoline_kernelINS0_14default_configENS1_27lower_bound_config_selectorIjlEEZNS1_14transform_implILb0ES3_S5_N6thrust23THRUST_200600_302600_NS6detail15normal_iteratorINS8_7pointerIjNS8_11hip_rocprim5par_tENS8_11use_defaultESE_EEEENSA_INSB_IlSD_SE_SE_EEEEZNS1_13binary_searchIS3_S5_PjSG_SI_NS1_21lower_bound_search_opENS9_16wrapped_functionINS8_6system6detail7generic6detail18binary_search_lessEbEEEE10hipError_tPvRmT1_T2_T3_mmT4_T5_P12ihipStream_tbEUlRKjE_EEST_SX_SY_mSZ_S12_bEUlT_E_NS1_11comp_targetILNS1_3genE8ELNS1_11target_archE1030ELNS1_3gpuE2ELNS1_3repE0EEENS1_30default_config_static_selectorELNS0_4arch9wavefront6targetE0EEEvSW_ ; -- Begin function _ZN7rocprim17ROCPRIM_400000_NS6detail17trampoline_kernelINS0_14default_configENS1_27lower_bound_config_selectorIjlEEZNS1_14transform_implILb0ES3_S5_N6thrust23THRUST_200600_302600_NS6detail15normal_iteratorINS8_7pointerIjNS8_11hip_rocprim5par_tENS8_11use_defaultESE_EEEENSA_INSB_IlSD_SE_SE_EEEEZNS1_13binary_searchIS3_S5_PjSG_SI_NS1_21lower_bound_search_opENS9_16wrapped_functionINS8_6system6detail7generic6detail18binary_search_lessEbEEEE10hipError_tPvRmT1_T2_T3_mmT4_T5_P12ihipStream_tbEUlRKjE_EEST_SX_SY_mSZ_S12_bEUlT_E_NS1_11comp_targetILNS1_3genE8ELNS1_11target_archE1030ELNS1_3gpuE2ELNS1_3repE0EEENS1_30default_config_static_selectorELNS0_4arch9wavefront6targetE0EEEvSW_
	.globl	_ZN7rocprim17ROCPRIM_400000_NS6detail17trampoline_kernelINS0_14default_configENS1_27lower_bound_config_selectorIjlEEZNS1_14transform_implILb0ES3_S5_N6thrust23THRUST_200600_302600_NS6detail15normal_iteratorINS8_7pointerIjNS8_11hip_rocprim5par_tENS8_11use_defaultESE_EEEENSA_INSB_IlSD_SE_SE_EEEEZNS1_13binary_searchIS3_S5_PjSG_SI_NS1_21lower_bound_search_opENS9_16wrapped_functionINS8_6system6detail7generic6detail18binary_search_lessEbEEEE10hipError_tPvRmT1_T2_T3_mmT4_T5_P12ihipStream_tbEUlRKjE_EEST_SX_SY_mSZ_S12_bEUlT_E_NS1_11comp_targetILNS1_3genE8ELNS1_11target_archE1030ELNS1_3gpuE2ELNS1_3repE0EEENS1_30default_config_static_selectorELNS0_4arch9wavefront6targetE0EEEvSW_
	.p2align	8
	.type	_ZN7rocprim17ROCPRIM_400000_NS6detail17trampoline_kernelINS0_14default_configENS1_27lower_bound_config_selectorIjlEEZNS1_14transform_implILb0ES3_S5_N6thrust23THRUST_200600_302600_NS6detail15normal_iteratorINS8_7pointerIjNS8_11hip_rocprim5par_tENS8_11use_defaultESE_EEEENSA_INSB_IlSD_SE_SE_EEEEZNS1_13binary_searchIS3_S5_PjSG_SI_NS1_21lower_bound_search_opENS9_16wrapped_functionINS8_6system6detail7generic6detail18binary_search_lessEbEEEE10hipError_tPvRmT1_T2_T3_mmT4_T5_P12ihipStream_tbEUlRKjE_EEST_SX_SY_mSZ_S12_bEUlT_E_NS1_11comp_targetILNS1_3genE8ELNS1_11target_archE1030ELNS1_3gpuE2ELNS1_3repE0EEENS1_30default_config_static_selectorELNS0_4arch9wavefront6targetE0EEEvSW_,@function
_ZN7rocprim17ROCPRIM_400000_NS6detail17trampoline_kernelINS0_14default_configENS1_27lower_bound_config_selectorIjlEEZNS1_14transform_implILb0ES3_S5_N6thrust23THRUST_200600_302600_NS6detail15normal_iteratorINS8_7pointerIjNS8_11hip_rocprim5par_tENS8_11use_defaultESE_EEEENSA_INSB_IlSD_SE_SE_EEEEZNS1_13binary_searchIS3_S5_PjSG_SI_NS1_21lower_bound_search_opENS9_16wrapped_functionINS8_6system6detail7generic6detail18binary_search_lessEbEEEE10hipError_tPvRmT1_T2_T3_mmT4_T5_P12ihipStream_tbEUlRKjE_EEST_SX_SY_mSZ_S12_bEUlT_E_NS1_11comp_targetILNS1_3genE8ELNS1_11target_archE1030ELNS1_3gpuE2ELNS1_3repE0EEENS1_30default_config_static_selectorELNS0_4arch9wavefront6targetE0EEEvSW_: ; @_ZN7rocprim17ROCPRIM_400000_NS6detail17trampoline_kernelINS0_14default_configENS1_27lower_bound_config_selectorIjlEEZNS1_14transform_implILb0ES3_S5_N6thrust23THRUST_200600_302600_NS6detail15normal_iteratorINS8_7pointerIjNS8_11hip_rocprim5par_tENS8_11use_defaultESE_EEEENSA_INSB_IlSD_SE_SE_EEEEZNS1_13binary_searchIS3_S5_PjSG_SI_NS1_21lower_bound_search_opENS9_16wrapped_functionINS8_6system6detail7generic6detail18binary_search_lessEbEEEE10hipError_tPvRmT1_T2_T3_mmT4_T5_P12ihipStream_tbEUlRKjE_EEST_SX_SY_mSZ_S12_bEUlT_E_NS1_11comp_targetILNS1_3genE8ELNS1_11target_archE1030ELNS1_3gpuE2ELNS1_3repE0EEENS1_30default_config_static_selectorELNS0_4arch9wavefront6targetE0EEEvSW_
; %bb.0:
	s_clause 0x3
	s_load_dwordx4 s[12:15], s[4:5], 0x0
	s_load_dwordx4 s[0:3], s[4:5], 0x18
	s_load_dword s16, s[4:5], 0x38
	s_load_dwordx2 s[10:11], s[4:5], 0x28
	s_waitcnt lgkmcnt(0)
	s_lshl_b64 s[8:9], s[14:15], 2
	s_add_u32 s12, s12, s8
	s_addc_u32 s13, s13, s9
	s_lshl_b64 s[8:9], s[14:15], 3
	s_add_u32 s7, s0, s8
	s_addc_u32 s1, s1, s9
	s_add_i32 s16, s16, -1
	s_lshl_b32 s8, s6, 8
	s_mov_b32 s9, 0
	s_cmp_lg_u32 s6, s16
	s_mov_b32 s0, -1
	s_cbranch_scc0 .LBB81_7
; %bb.1:
	s_cmp_eq_u64 s[10:11], 0
	s_cbranch_scc1 .LBB81_5
; %bb.2:
	v_lshlrev_b32_e32 v1, 2, v0
	s_lshl_b64 s[14:15], s[8:9], 2
	v_mov_b32_e32 v3, s10
	s_add_u32 s0, s12, s14
	s_addc_u32 s6, s13, s15
	v_add_co_u32 v1, s0, s0, v1
	v_add_co_ci_u32_e64 v2, null, s6, 0, s0
	v_mov_b32_e32 v4, s11
	s_mov_b32 s0, 0
	flat_load_dword v5, v[1:2]
	v_mov_b32_e32 v1, 0
	v_mov_b32_e32 v2, 0
	s_inst_prefetch 0x1
	.p2align	6
.LBB81_3:                               ; =>This Inner Loop Header: Depth=1
	v_sub_co_u32 v6, vcc_lo, v3, v1
	v_sub_co_ci_u32_e64 v7, null, v4, v2, vcc_lo
	v_lshrrev_b64 v[8:9], 1, v[6:7]
	v_lshrrev_b64 v[6:7], 6, v[6:7]
	v_add_co_u32 v8, vcc_lo, v8, v1
	v_add_co_ci_u32_e64 v9, null, v9, v2, vcc_lo
	v_add_co_u32 v6, vcc_lo, v8, v6
	v_add_co_ci_u32_e64 v7, null, v9, v7, vcc_lo
	v_lshlrev_b64 v[8:9], 2, v[6:7]
	v_add_co_u32 v8, vcc_lo, s2, v8
	v_add_co_ci_u32_e64 v9, null, s3, v9, vcc_lo
	global_load_dword v8, v[8:9], off
	v_add_co_u32 v9, vcc_lo, v6, 1
	v_add_co_ci_u32_e64 v10, null, 0, v7, vcc_lo
	s_waitcnt vmcnt(0) lgkmcnt(0)
	v_cmp_lt_u32_e32 vcc_lo, v8, v5
	v_cndmask_b32_e32 v4, v7, v4, vcc_lo
	v_cndmask_b32_e32 v3, v6, v3, vcc_lo
	;; [unrolled: 1-line block ×4, first 2 shown]
	v_cmp_ge_u64_e32 vcc_lo, v[1:2], v[3:4]
	s_or_b32 s0, vcc_lo, s0
	s_andn2_b32 exec_lo, exec_lo, s0
	s_cbranch_execnz .LBB81_3
; %bb.4:
	s_inst_prefetch 0x2
	s_or_b32 exec_lo, exec_lo, s0
	s_branch .LBB81_6
.LBB81_5:
	v_mov_b32_e32 v1, 0
	v_mov_b32_e32 v2, 0
.LBB81_6:
	v_lshlrev_b32_e32 v3, 3, v0
	s_lshl_b64 s[14:15], s[8:9], 3
	s_add_u32 s0, s7, s14
	s_addc_u32 s6, s1, s15
	v_add_co_u32 v3, s0, s0, v3
	v_add_co_ci_u32_e64 v4, null, s6, 0, s0
	s_mov_b32 s0, 0
	flat_store_dwordx2 v[3:4], v[1:2]
.LBB81_7:
	s_and_b32 vcc_lo, exec_lo, s0
	s_cbranch_vccz .LBB81_16
; %bb.8:
	s_load_dword s0, s[4:5], 0x10
                                        ; implicit-def: $vgpr5
	s_waitcnt lgkmcnt(0)
	s_sub_i32 s4, s0, s8
	v_cmp_le_u32_e64 s0, s4, v0
	v_cmp_gt_u32_e32 vcc_lo, s4, v0
	s_and_saveexec_b32 s4, vcc_lo
	s_cbranch_execz .LBB81_10
; %bb.9:
	v_lshlrev_b32_e32 v1, 2, v0
	s_lshl_b64 s[14:15], s[8:9], 2
	s_add_u32 s5, s12, s14
	s_addc_u32 s6, s13, s15
	v_add_co_u32 v1, s5, s5, v1
	v_add_co_ci_u32_e64 v2, null, s6, 0, s5
	flat_load_dword v5, v[1:2]
.LBB81_10:
	s_or_b32 exec_lo, exec_lo, s4
	s_cmp_lg_u64 s[10:11], 0
	v_mov_b32_e32 v1, 0
	v_mov_b32_e32 v2, 0
	s_cselect_b32 s4, -1, 0
	s_xor_b32 s0, s0, -1
	s_and_b32 s0, s0, s4
	s_and_saveexec_b32 s4, s0
	s_cbranch_execz .LBB81_14
; %bb.11:
	v_mov_b32_e32 v1, 0
	v_mov_b32_e32 v3, s10
	;; [unrolled: 1-line block ×4, first 2 shown]
	s_mov_b32 s5, 0
	s_inst_prefetch 0x1
	.p2align	6
.LBB81_12:                              ; =>This Inner Loop Header: Depth=1
	v_sub_co_u32 v6, s0, v3, v1
	v_sub_co_ci_u32_e64 v7, null, v4, v2, s0
	v_lshrrev_b64 v[8:9], 1, v[6:7]
	v_lshrrev_b64 v[6:7], 6, v[6:7]
	v_add_co_u32 v8, s0, v8, v1
	v_add_co_ci_u32_e64 v9, null, v9, v2, s0
	v_add_co_u32 v6, s0, v8, v6
	v_add_co_ci_u32_e64 v7, null, v9, v7, s0
	v_lshlrev_b64 v[8:9], 2, v[6:7]
	v_add_co_u32 v8, s0, s2, v8
	v_add_co_ci_u32_e64 v9, null, s3, v9, s0
	global_load_dword v8, v[8:9], off
	v_add_co_u32 v9, s0, v6, 1
	v_add_co_ci_u32_e64 v10, null, 0, v7, s0
	s_waitcnt vmcnt(0) lgkmcnt(0)
	v_cmp_lt_u32_e64 s0, v8, v5
	v_cndmask_b32_e64 v4, v7, v4, s0
	v_cndmask_b32_e64 v3, v6, v3, s0
	;; [unrolled: 1-line block ×4, first 2 shown]
	v_cmp_ge_u64_e64 s0, v[1:2], v[3:4]
	s_or_b32 s5, s0, s5
	s_andn2_b32 exec_lo, exec_lo, s5
	s_cbranch_execnz .LBB81_12
; %bb.13:
	s_inst_prefetch 0x2
	s_or_b32 exec_lo, exec_lo, s5
.LBB81_14:
	s_or_b32 exec_lo, exec_lo, s4
	s_and_saveexec_b32 s0, vcc_lo
	s_cbranch_execz .LBB81_16
; %bb.15:
	v_lshlrev_b32_e32 v0, 3, v0
	s_lshl_b64 s[2:3], s[8:9], 3
	s_add_u32 s0, s7, s2
	s_addc_u32 s1, s1, s3
	v_add_co_u32 v3, s0, s0, v0
	v_add_co_ci_u32_e64 v4, null, s1, 0, s0
	flat_store_dwordx2 v[3:4], v[1:2]
.LBB81_16:
	s_endpgm
	.section	.rodata,"a",@progbits
	.p2align	6, 0x0
	.amdhsa_kernel _ZN7rocprim17ROCPRIM_400000_NS6detail17trampoline_kernelINS0_14default_configENS1_27lower_bound_config_selectorIjlEEZNS1_14transform_implILb0ES3_S5_N6thrust23THRUST_200600_302600_NS6detail15normal_iteratorINS8_7pointerIjNS8_11hip_rocprim5par_tENS8_11use_defaultESE_EEEENSA_INSB_IlSD_SE_SE_EEEEZNS1_13binary_searchIS3_S5_PjSG_SI_NS1_21lower_bound_search_opENS9_16wrapped_functionINS8_6system6detail7generic6detail18binary_search_lessEbEEEE10hipError_tPvRmT1_T2_T3_mmT4_T5_P12ihipStream_tbEUlRKjE_EEST_SX_SY_mSZ_S12_bEUlT_E_NS1_11comp_targetILNS1_3genE8ELNS1_11target_archE1030ELNS1_3gpuE2ELNS1_3repE0EEENS1_30default_config_static_selectorELNS0_4arch9wavefront6targetE0EEEvSW_
		.amdhsa_group_segment_fixed_size 0
		.amdhsa_private_segment_fixed_size 0
		.amdhsa_kernarg_size 312
		.amdhsa_user_sgpr_count 6
		.amdhsa_user_sgpr_private_segment_buffer 1
		.amdhsa_user_sgpr_dispatch_ptr 0
		.amdhsa_user_sgpr_queue_ptr 0
		.amdhsa_user_sgpr_kernarg_segment_ptr 1
		.amdhsa_user_sgpr_dispatch_id 0
		.amdhsa_user_sgpr_flat_scratch_init 0
		.amdhsa_user_sgpr_private_segment_size 0
		.amdhsa_wavefront_size32 1
		.amdhsa_uses_dynamic_stack 0
		.amdhsa_system_sgpr_private_segment_wavefront_offset 0
		.amdhsa_system_sgpr_workgroup_id_x 1
		.amdhsa_system_sgpr_workgroup_id_y 0
		.amdhsa_system_sgpr_workgroup_id_z 0
		.amdhsa_system_sgpr_workgroup_info 0
		.amdhsa_system_vgpr_workitem_id 0
		.amdhsa_next_free_vgpr 11
		.amdhsa_next_free_sgpr 17
		.amdhsa_reserve_vcc 1
		.amdhsa_reserve_flat_scratch 0
		.amdhsa_float_round_mode_32 0
		.amdhsa_float_round_mode_16_64 0
		.amdhsa_float_denorm_mode_32 3
		.amdhsa_float_denorm_mode_16_64 3
		.amdhsa_dx10_clamp 1
		.amdhsa_ieee_mode 1
		.amdhsa_fp16_overflow 0
		.amdhsa_workgroup_processor_mode 1
		.amdhsa_memory_ordered 1
		.amdhsa_forward_progress 1
		.amdhsa_shared_vgpr_count 0
		.amdhsa_exception_fp_ieee_invalid_op 0
		.amdhsa_exception_fp_denorm_src 0
		.amdhsa_exception_fp_ieee_div_zero 0
		.amdhsa_exception_fp_ieee_overflow 0
		.amdhsa_exception_fp_ieee_underflow 0
		.amdhsa_exception_fp_ieee_inexact 0
		.amdhsa_exception_int_div_zero 0
	.end_amdhsa_kernel
	.section	.text._ZN7rocprim17ROCPRIM_400000_NS6detail17trampoline_kernelINS0_14default_configENS1_27lower_bound_config_selectorIjlEEZNS1_14transform_implILb0ES3_S5_N6thrust23THRUST_200600_302600_NS6detail15normal_iteratorINS8_7pointerIjNS8_11hip_rocprim5par_tENS8_11use_defaultESE_EEEENSA_INSB_IlSD_SE_SE_EEEEZNS1_13binary_searchIS3_S5_PjSG_SI_NS1_21lower_bound_search_opENS9_16wrapped_functionINS8_6system6detail7generic6detail18binary_search_lessEbEEEE10hipError_tPvRmT1_T2_T3_mmT4_T5_P12ihipStream_tbEUlRKjE_EEST_SX_SY_mSZ_S12_bEUlT_E_NS1_11comp_targetILNS1_3genE8ELNS1_11target_archE1030ELNS1_3gpuE2ELNS1_3repE0EEENS1_30default_config_static_selectorELNS0_4arch9wavefront6targetE0EEEvSW_,"axG",@progbits,_ZN7rocprim17ROCPRIM_400000_NS6detail17trampoline_kernelINS0_14default_configENS1_27lower_bound_config_selectorIjlEEZNS1_14transform_implILb0ES3_S5_N6thrust23THRUST_200600_302600_NS6detail15normal_iteratorINS8_7pointerIjNS8_11hip_rocprim5par_tENS8_11use_defaultESE_EEEENSA_INSB_IlSD_SE_SE_EEEEZNS1_13binary_searchIS3_S5_PjSG_SI_NS1_21lower_bound_search_opENS9_16wrapped_functionINS8_6system6detail7generic6detail18binary_search_lessEbEEEE10hipError_tPvRmT1_T2_T3_mmT4_T5_P12ihipStream_tbEUlRKjE_EEST_SX_SY_mSZ_S12_bEUlT_E_NS1_11comp_targetILNS1_3genE8ELNS1_11target_archE1030ELNS1_3gpuE2ELNS1_3repE0EEENS1_30default_config_static_selectorELNS0_4arch9wavefront6targetE0EEEvSW_,comdat
.Lfunc_end81:
	.size	_ZN7rocprim17ROCPRIM_400000_NS6detail17trampoline_kernelINS0_14default_configENS1_27lower_bound_config_selectorIjlEEZNS1_14transform_implILb0ES3_S5_N6thrust23THRUST_200600_302600_NS6detail15normal_iteratorINS8_7pointerIjNS8_11hip_rocprim5par_tENS8_11use_defaultESE_EEEENSA_INSB_IlSD_SE_SE_EEEEZNS1_13binary_searchIS3_S5_PjSG_SI_NS1_21lower_bound_search_opENS9_16wrapped_functionINS8_6system6detail7generic6detail18binary_search_lessEbEEEE10hipError_tPvRmT1_T2_T3_mmT4_T5_P12ihipStream_tbEUlRKjE_EEST_SX_SY_mSZ_S12_bEUlT_E_NS1_11comp_targetILNS1_3genE8ELNS1_11target_archE1030ELNS1_3gpuE2ELNS1_3repE0EEENS1_30default_config_static_selectorELNS0_4arch9wavefront6targetE0EEEvSW_, .Lfunc_end81-_ZN7rocprim17ROCPRIM_400000_NS6detail17trampoline_kernelINS0_14default_configENS1_27lower_bound_config_selectorIjlEEZNS1_14transform_implILb0ES3_S5_N6thrust23THRUST_200600_302600_NS6detail15normal_iteratorINS8_7pointerIjNS8_11hip_rocprim5par_tENS8_11use_defaultESE_EEEENSA_INSB_IlSD_SE_SE_EEEEZNS1_13binary_searchIS3_S5_PjSG_SI_NS1_21lower_bound_search_opENS9_16wrapped_functionINS8_6system6detail7generic6detail18binary_search_lessEbEEEE10hipError_tPvRmT1_T2_T3_mmT4_T5_P12ihipStream_tbEUlRKjE_EEST_SX_SY_mSZ_S12_bEUlT_E_NS1_11comp_targetILNS1_3genE8ELNS1_11target_archE1030ELNS1_3gpuE2ELNS1_3repE0EEENS1_30default_config_static_selectorELNS0_4arch9wavefront6targetE0EEEvSW_
                                        ; -- End function
	.set _ZN7rocprim17ROCPRIM_400000_NS6detail17trampoline_kernelINS0_14default_configENS1_27lower_bound_config_selectorIjlEEZNS1_14transform_implILb0ES3_S5_N6thrust23THRUST_200600_302600_NS6detail15normal_iteratorINS8_7pointerIjNS8_11hip_rocprim5par_tENS8_11use_defaultESE_EEEENSA_INSB_IlSD_SE_SE_EEEEZNS1_13binary_searchIS3_S5_PjSG_SI_NS1_21lower_bound_search_opENS9_16wrapped_functionINS8_6system6detail7generic6detail18binary_search_lessEbEEEE10hipError_tPvRmT1_T2_T3_mmT4_T5_P12ihipStream_tbEUlRKjE_EEST_SX_SY_mSZ_S12_bEUlT_E_NS1_11comp_targetILNS1_3genE8ELNS1_11target_archE1030ELNS1_3gpuE2ELNS1_3repE0EEENS1_30default_config_static_selectorELNS0_4arch9wavefront6targetE0EEEvSW_.num_vgpr, 11
	.set _ZN7rocprim17ROCPRIM_400000_NS6detail17trampoline_kernelINS0_14default_configENS1_27lower_bound_config_selectorIjlEEZNS1_14transform_implILb0ES3_S5_N6thrust23THRUST_200600_302600_NS6detail15normal_iteratorINS8_7pointerIjNS8_11hip_rocprim5par_tENS8_11use_defaultESE_EEEENSA_INSB_IlSD_SE_SE_EEEEZNS1_13binary_searchIS3_S5_PjSG_SI_NS1_21lower_bound_search_opENS9_16wrapped_functionINS8_6system6detail7generic6detail18binary_search_lessEbEEEE10hipError_tPvRmT1_T2_T3_mmT4_T5_P12ihipStream_tbEUlRKjE_EEST_SX_SY_mSZ_S12_bEUlT_E_NS1_11comp_targetILNS1_3genE8ELNS1_11target_archE1030ELNS1_3gpuE2ELNS1_3repE0EEENS1_30default_config_static_selectorELNS0_4arch9wavefront6targetE0EEEvSW_.num_agpr, 0
	.set _ZN7rocprim17ROCPRIM_400000_NS6detail17trampoline_kernelINS0_14default_configENS1_27lower_bound_config_selectorIjlEEZNS1_14transform_implILb0ES3_S5_N6thrust23THRUST_200600_302600_NS6detail15normal_iteratorINS8_7pointerIjNS8_11hip_rocprim5par_tENS8_11use_defaultESE_EEEENSA_INSB_IlSD_SE_SE_EEEEZNS1_13binary_searchIS3_S5_PjSG_SI_NS1_21lower_bound_search_opENS9_16wrapped_functionINS8_6system6detail7generic6detail18binary_search_lessEbEEEE10hipError_tPvRmT1_T2_T3_mmT4_T5_P12ihipStream_tbEUlRKjE_EEST_SX_SY_mSZ_S12_bEUlT_E_NS1_11comp_targetILNS1_3genE8ELNS1_11target_archE1030ELNS1_3gpuE2ELNS1_3repE0EEENS1_30default_config_static_selectorELNS0_4arch9wavefront6targetE0EEEvSW_.numbered_sgpr, 17
	.set _ZN7rocprim17ROCPRIM_400000_NS6detail17trampoline_kernelINS0_14default_configENS1_27lower_bound_config_selectorIjlEEZNS1_14transform_implILb0ES3_S5_N6thrust23THRUST_200600_302600_NS6detail15normal_iteratorINS8_7pointerIjNS8_11hip_rocprim5par_tENS8_11use_defaultESE_EEEENSA_INSB_IlSD_SE_SE_EEEEZNS1_13binary_searchIS3_S5_PjSG_SI_NS1_21lower_bound_search_opENS9_16wrapped_functionINS8_6system6detail7generic6detail18binary_search_lessEbEEEE10hipError_tPvRmT1_T2_T3_mmT4_T5_P12ihipStream_tbEUlRKjE_EEST_SX_SY_mSZ_S12_bEUlT_E_NS1_11comp_targetILNS1_3genE8ELNS1_11target_archE1030ELNS1_3gpuE2ELNS1_3repE0EEENS1_30default_config_static_selectorELNS0_4arch9wavefront6targetE0EEEvSW_.num_named_barrier, 0
	.set _ZN7rocprim17ROCPRIM_400000_NS6detail17trampoline_kernelINS0_14default_configENS1_27lower_bound_config_selectorIjlEEZNS1_14transform_implILb0ES3_S5_N6thrust23THRUST_200600_302600_NS6detail15normal_iteratorINS8_7pointerIjNS8_11hip_rocprim5par_tENS8_11use_defaultESE_EEEENSA_INSB_IlSD_SE_SE_EEEEZNS1_13binary_searchIS3_S5_PjSG_SI_NS1_21lower_bound_search_opENS9_16wrapped_functionINS8_6system6detail7generic6detail18binary_search_lessEbEEEE10hipError_tPvRmT1_T2_T3_mmT4_T5_P12ihipStream_tbEUlRKjE_EEST_SX_SY_mSZ_S12_bEUlT_E_NS1_11comp_targetILNS1_3genE8ELNS1_11target_archE1030ELNS1_3gpuE2ELNS1_3repE0EEENS1_30default_config_static_selectorELNS0_4arch9wavefront6targetE0EEEvSW_.private_seg_size, 0
	.set _ZN7rocprim17ROCPRIM_400000_NS6detail17trampoline_kernelINS0_14default_configENS1_27lower_bound_config_selectorIjlEEZNS1_14transform_implILb0ES3_S5_N6thrust23THRUST_200600_302600_NS6detail15normal_iteratorINS8_7pointerIjNS8_11hip_rocprim5par_tENS8_11use_defaultESE_EEEENSA_INSB_IlSD_SE_SE_EEEEZNS1_13binary_searchIS3_S5_PjSG_SI_NS1_21lower_bound_search_opENS9_16wrapped_functionINS8_6system6detail7generic6detail18binary_search_lessEbEEEE10hipError_tPvRmT1_T2_T3_mmT4_T5_P12ihipStream_tbEUlRKjE_EEST_SX_SY_mSZ_S12_bEUlT_E_NS1_11comp_targetILNS1_3genE8ELNS1_11target_archE1030ELNS1_3gpuE2ELNS1_3repE0EEENS1_30default_config_static_selectorELNS0_4arch9wavefront6targetE0EEEvSW_.uses_vcc, 1
	.set _ZN7rocprim17ROCPRIM_400000_NS6detail17trampoline_kernelINS0_14default_configENS1_27lower_bound_config_selectorIjlEEZNS1_14transform_implILb0ES3_S5_N6thrust23THRUST_200600_302600_NS6detail15normal_iteratorINS8_7pointerIjNS8_11hip_rocprim5par_tENS8_11use_defaultESE_EEEENSA_INSB_IlSD_SE_SE_EEEEZNS1_13binary_searchIS3_S5_PjSG_SI_NS1_21lower_bound_search_opENS9_16wrapped_functionINS8_6system6detail7generic6detail18binary_search_lessEbEEEE10hipError_tPvRmT1_T2_T3_mmT4_T5_P12ihipStream_tbEUlRKjE_EEST_SX_SY_mSZ_S12_bEUlT_E_NS1_11comp_targetILNS1_3genE8ELNS1_11target_archE1030ELNS1_3gpuE2ELNS1_3repE0EEENS1_30default_config_static_selectorELNS0_4arch9wavefront6targetE0EEEvSW_.uses_flat_scratch, 0
	.set _ZN7rocprim17ROCPRIM_400000_NS6detail17trampoline_kernelINS0_14default_configENS1_27lower_bound_config_selectorIjlEEZNS1_14transform_implILb0ES3_S5_N6thrust23THRUST_200600_302600_NS6detail15normal_iteratorINS8_7pointerIjNS8_11hip_rocprim5par_tENS8_11use_defaultESE_EEEENSA_INSB_IlSD_SE_SE_EEEEZNS1_13binary_searchIS3_S5_PjSG_SI_NS1_21lower_bound_search_opENS9_16wrapped_functionINS8_6system6detail7generic6detail18binary_search_lessEbEEEE10hipError_tPvRmT1_T2_T3_mmT4_T5_P12ihipStream_tbEUlRKjE_EEST_SX_SY_mSZ_S12_bEUlT_E_NS1_11comp_targetILNS1_3genE8ELNS1_11target_archE1030ELNS1_3gpuE2ELNS1_3repE0EEENS1_30default_config_static_selectorELNS0_4arch9wavefront6targetE0EEEvSW_.has_dyn_sized_stack, 0
	.set _ZN7rocprim17ROCPRIM_400000_NS6detail17trampoline_kernelINS0_14default_configENS1_27lower_bound_config_selectorIjlEEZNS1_14transform_implILb0ES3_S5_N6thrust23THRUST_200600_302600_NS6detail15normal_iteratorINS8_7pointerIjNS8_11hip_rocprim5par_tENS8_11use_defaultESE_EEEENSA_INSB_IlSD_SE_SE_EEEEZNS1_13binary_searchIS3_S5_PjSG_SI_NS1_21lower_bound_search_opENS9_16wrapped_functionINS8_6system6detail7generic6detail18binary_search_lessEbEEEE10hipError_tPvRmT1_T2_T3_mmT4_T5_P12ihipStream_tbEUlRKjE_EEST_SX_SY_mSZ_S12_bEUlT_E_NS1_11comp_targetILNS1_3genE8ELNS1_11target_archE1030ELNS1_3gpuE2ELNS1_3repE0EEENS1_30default_config_static_selectorELNS0_4arch9wavefront6targetE0EEEvSW_.has_recursion, 0
	.set _ZN7rocprim17ROCPRIM_400000_NS6detail17trampoline_kernelINS0_14default_configENS1_27lower_bound_config_selectorIjlEEZNS1_14transform_implILb0ES3_S5_N6thrust23THRUST_200600_302600_NS6detail15normal_iteratorINS8_7pointerIjNS8_11hip_rocprim5par_tENS8_11use_defaultESE_EEEENSA_INSB_IlSD_SE_SE_EEEEZNS1_13binary_searchIS3_S5_PjSG_SI_NS1_21lower_bound_search_opENS9_16wrapped_functionINS8_6system6detail7generic6detail18binary_search_lessEbEEEE10hipError_tPvRmT1_T2_T3_mmT4_T5_P12ihipStream_tbEUlRKjE_EEST_SX_SY_mSZ_S12_bEUlT_E_NS1_11comp_targetILNS1_3genE8ELNS1_11target_archE1030ELNS1_3gpuE2ELNS1_3repE0EEENS1_30default_config_static_selectorELNS0_4arch9wavefront6targetE0EEEvSW_.has_indirect_call, 0
	.section	.AMDGPU.csdata,"",@progbits
; Kernel info:
; codeLenInByte = 816
; TotalNumSgprs: 19
; NumVgprs: 11
; ScratchSize: 0
; MemoryBound: 0
; FloatMode: 240
; IeeeMode: 1
; LDSByteSize: 0 bytes/workgroup (compile time only)
; SGPRBlocks: 0
; VGPRBlocks: 1
; NumSGPRsForWavesPerEU: 19
; NumVGPRsForWavesPerEU: 11
; Occupancy: 16
; WaveLimiterHint : 0
; COMPUTE_PGM_RSRC2:SCRATCH_EN: 0
; COMPUTE_PGM_RSRC2:USER_SGPR: 6
; COMPUTE_PGM_RSRC2:TRAP_HANDLER: 0
; COMPUTE_PGM_RSRC2:TGID_X_EN: 1
; COMPUTE_PGM_RSRC2:TGID_Y_EN: 0
; COMPUTE_PGM_RSRC2:TGID_Z_EN: 0
; COMPUTE_PGM_RSRC2:TIDIG_COMP_CNT: 0
	.section	.text._ZN6thrust23THRUST_200600_302600_NS11hip_rocprim14__parallel_for6kernelILj256ENS1_20__uninitialized_fill7functorINS0_10device_ptrItEEtEEmLj1EEEvT0_T1_SA_,"axG",@progbits,_ZN6thrust23THRUST_200600_302600_NS11hip_rocprim14__parallel_for6kernelILj256ENS1_20__uninitialized_fill7functorINS0_10device_ptrItEEtEEmLj1EEEvT0_T1_SA_,comdat
	.protected	_ZN6thrust23THRUST_200600_302600_NS11hip_rocprim14__parallel_for6kernelILj256ENS1_20__uninitialized_fill7functorINS0_10device_ptrItEEtEEmLj1EEEvT0_T1_SA_ ; -- Begin function _ZN6thrust23THRUST_200600_302600_NS11hip_rocprim14__parallel_for6kernelILj256ENS1_20__uninitialized_fill7functorINS0_10device_ptrItEEtEEmLj1EEEvT0_T1_SA_
	.globl	_ZN6thrust23THRUST_200600_302600_NS11hip_rocprim14__parallel_for6kernelILj256ENS1_20__uninitialized_fill7functorINS0_10device_ptrItEEtEEmLj1EEEvT0_T1_SA_
	.p2align	8
	.type	_ZN6thrust23THRUST_200600_302600_NS11hip_rocprim14__parallel_for6kernelILj256ENS1_20__uninitialized_fill7functorINS0_10device_ptrItEEtEEmLj1EEEvT0_T1_SA_,@function
_ZN6thrust23THRUST_200600_302600_NS11hip_rocprim14__parallel_for6kernelILj256ENS1_20__uninitialized_fill7functorINS0_10device_ptrItEEtEEmLj1EEEvT0_T1_SA_: ; @_ZN6thrust23THRUST_200600_302600_NS11hip_rocprim14__parallel_for6kernelILj256ENS1_20__uninitialized_fill7functorINS0_10device_ptrItEEtEEmLj1EEEvT0_T1_SA_
; %bb.0:
	s_clause 0x2
	s_load_dwordx4 s[8:11], s[4:5], 0x10
	s_load_dwordx2 s[0:1], s[4:5], 0x0
	s_load_dword s7, s[4:5], 0x8
	s_lshl_b32 s2, s6, 8
	s_waitcnt lgkmcnt(0)
	s_add_u32 s2, s10, s2
	s_addc_u32 s3, s11, 0
	s_sub_u32 s4, s8, s2
	s_subb_u32 s5, s9, s3
	v_cmp_lt_u64_e64 s5, 0xff, s[4:5]
	s_and_b32 vcc_lo, exec_lo, s5
	s_mov_b32 s5, -1
	s_cbranch_vccz .LBB82_3
; %bb.1:
	s_andn2_b32 vcc_lo, exec_lo, s5
	s_cbranch_vccz .LBB82_6
.LBB82_2:
	s_endpgm
.LBB82_3:
	v_cmp_gt_u32_e32 vcc_lo, s4, v0
	s_and_saveexec_b32 s4, vcc_lo
	s_cbranch_execz .LBB82_5
; %bb.4:
	v_lshlrev_b32_e32 v1, 1, v0
	s_lshl_b64 s[8:9], s[2:3], 1
	v_mov_b32_e32 v3, s7
	s_add_u32 s5, s0, s8
	s_addc_u32 s6, s1, s9
	v_add_co_u32 v1, s5, s5, v1
	v_add_co_ci_u32_e64 v2, null, s6, 0, s5
	flat_store_short v[1:2], v3
.LBB82_5:
	s_or_b32 exec_lo, exec_lo, s4
	s_cbranch_execnz .LBB82_2
.LBB82_6:
	v_lshlrev_b32_e32 v0, 1, v0
	s_lshl_b64 s[2:3], s[2:3], 1
	v_mov_b32_e32 v2, s7
	s_add_u32 s0, s0, s2
	s_addc_u32 s1, s1, s3
	v_add_co_u32 v0, s0, s0, v0
	v_add_co_ci_u32_e64 v1, null, s1, 0, s0
	flat_store_short v[0:1], v2
	s_endpgm
	.section	.rodata,"a",@progbits
	.p2align	6, 0x0
	.amdhsa_kernel _ZN6thrust23THRUST_200600_302600_NS11hip_rocprim14__parallel_for6kernelILj256ENS1_20__uninitialized_fill7functorINS0_10device_ptrItEEtEEmLj1EEEvT0_T1_SA_
		.amdhsa_group_segment_fixed_size 0
		.amdhsa_private_segment_fixed_size 0
		.amdhsa_kernarg_size 32
		.amdhsa_user_sgpr_count 6
		.amdhsa_user_sgpr_private_segment_buffer 1
		.amdhsa_user_sgpr_dispatch_ptr 0
		.amdhsa_user_sgpr_queue_ptr 0
		.amdhsa_user_sgpr_kernarg_segment_ptr 1
		.amdhsa_user_sgpr_dispatch_id 0
		.amdhsa_user_sgpr_flat_scratch_init 0
		.amdhsa_user_sgpr_private_segment_size 0
		.amdhsa_wavefront_size32 1
		.amdhsa_uses_dynamic_stack 0
		.amdhsa_system_sgpr_private_segment_wavefront_offset 0
		.amdhsa_system_sgpr_workgroup_id_x 1
		.amdhsa_system_sgpr_workgroup_id_y 0
		.amdhsa_system_sgpr_workgroup_id_z 0
		.amdhsa_system_sgpr_workgroup_info 0
		.amdhsa_system_vgpr_workitem_id 0
		.amdhsa_next_free_vgpr 4
		.amdhsa_next_free_sgpr 12
		.amdhsa_reserve_vcc 1
		.amdhsa_reserve_flat_scratch 0
		.amdhsa_float_round_mode_32 0
		.amdhsa_float_round_mode_16_64 0
		.amdhsa_float_denorm_mode_32 3
		.amdhsa_float_denorm_mode_16_64 3
		.amdhsa_dx10_clamp 1
		.amdhsa_ieee_mode 1
		.amdhsa_fp16_overflow 0
		.amdhsa_workgroup_processor_mode 1
		.amdhsa_memory_ordered 1
		.amdhsa_forward_progress 1
		.amdhsa_shared_vgpr_count 0
		.amdhsa_exception_fp_ieee_invalid_op 0
		.amdhsa_exception_fp_denorm_src 0
		.amdhsa_exception_fp_ieee_div_zero 0
		.amdhsa_exception_fp_ieee_overflow 0
		.amdhsa_exception_fp_ieee_underflow 0
		.amdhsa_exception_fp_ieee_inexact 0
		.amdhsa_exception_int_div_zero 0
	.end_amdhsa_kernel
	.section	.text._ZN6thrust23THRUST_200600_302600_NS11hip_rocprim14__parallel_for6kernelILj256ENS1_20__uninitialized_fill7functorINS0_10device_ptrItEEtEEmLj1EEEvT0_T1_SA_,"axG",@progbits,_ZN6thrust23THRUST_200600_302600_NS11hip_rocprim14__parallel_for6kernelILj256ENS1_20__uninitialized_fill7functorINS0_10device_ptrItEEtEEmLj1EEEvT0_T1_SA_,comdat
.Lfunc_end82:
	.size	_ZN6thrust23THRUST_200600_302600_NS11hip_rocprim14__parallel_for6kernelILj256ENS1_20__uninitialized_fill7functorINS0_10device_ptrItEEtEEmLj1EEEvT0_T1_SA_, .Lfunc_end82-_ZN6thrust23THRUST_200600_302600_NS11hip_rocprim14__parallel_for6kernelILj256ENS1_20__uninitialized_fill7functorINS0_10device_ptrItEEtEEmLj1EEEvT0_T1_SA_
                                        ; -- End function
	.set _ZN6thrust23THRUST_200600_302600_NS11hip_rocprim14__parallel_for6kernelILj256ENS1_20__uninitialized_fill7functorINS0_10device_ptrItEEtEEmLj1EEEvT0_T1_SA_.num_vgpr, 4
	.set _ZN6thrust23THRUST_200600_302600_NS11hip_rocprim14__parallel_for6kernelILj256ENS1_20__uninitialized_fill7functorINS0_10device_ptrItEEtEEmLj1EEEvT0_T1_SA_.num_agpr, 0
	.set _ZN6thrust23THRUST_200600_302600_NS11hip_rocprim14__parallel_for6kernelILj256ENS1_20__uninitialized_fill7functorINS0_10device_ptrItEEtEEmLj1EEEvT0_T1_SA_.numbered_sgpr, 12
	.set _ZN6thrust23THRUST_200600_302600_NS11hip_rocprim14__parallel_for6kernelILj256ENS1_20__uninitialized_fill7functorINS0_10device_ptrItEEtEEmLj1EEEvT0_T1_SA_.num_named_barrier, 0
	.set _ZN6thrust23THRUST_200600_302600_NS11hip_rocprim14__parallel_for6kernelILj256ENS1_20__uninitialized_fill7functorINS0_10device_ptrItEEtEEmLj1EEEvT0_T1_SA_.private_seg_size, 0
	.set _ZN6thrust23THRUST_200600_302600_NS11hip_rocprim14__parallel_for6kernelILj256ENS1_20__uninitialized_fill7functorINS0_10device_ptrItEEtEEmLj1EEEvT0_T1_SA_.uses_vcc, 1
	.set _ZN6thrust23THRUST_200600_302600_NS11hip_rocprim14__parallel_for6kernelILj256ENS1_20__uninitialized_fill7functorINS0_10device_ptrItEEtEEmLj1EEEvT0_T1_SA_.uses_flat_scratch, 0
	.set _ZN6thrust23THRUST_200600_302600_NS11hip_rocprim14__parallel_for6kernelILj256ENS1_20__uninitialized_fill7functorINS0_10device_ptrItEEtEEmLj1EEEvT0_T1_SA_.has_dyn_sized_stack, 0
	.set _ZN6thrust23THRUST_200600_302600_NS11hip_rocprim14__parallel_for6kernelILj256ENS1_20__uninitialized_fill7functorINS0_10device_ptrItEEtEEmLj1EEEvT0_T1_SA_.has_recursion, 0
	.set _ZN6thrust23THRUST_200600_302600_NS11hip_rocprim14__parallel_for6kernelILj256ENS1_20__uninitialized_fill7functorINS0_10device_ptrItEEtEEmLj1EEEvT0_T1_SA_.has_indirect_call, 0
	.section	.AMDGPU.csdata,"",@progbits
; Kernel info:
; codeLenInByte = 200
; TotalNumSgprs: 14
; NumVgprs: 4
; ScratchSize: 0
; MemoryBound: 0
; FloatMode: 240
; IeeeMode: 1
; LDSByteSize: 0 bytes/workgroup (compile time only)
; SGPRBlocks: 0
; VGPRBlocks: 0
; NumSGPRsForWavesPerEU: 14
; NumVGPRsForWavesPerEU: 4
; Occupancy: 16
; WaveLimiterHint : 0
; COMPUTE_PGM_RSRC2:SCRATCH_EN: 0
; COMPUTE_PGM_RSRC2:USER_SGPR: 6
; COMPUTE_PGM_RSRC2:TRAP_HANDLER: 0
; COMPUTE_PGM_RSRC2:TGID_X_EN: 1
; COMPUTE_PGM_RSRC2:TGID_Y_EN: 0
; COMPUTE_PGM_RSRC2:TGID_Z_EN: 0
; COMPUTE_PGM_RSRC2:TIDIG_COMP_CNT: 0
	.section	.text._Z18lower_bound_kernelItEvmPT_Pl,"axG",@progbits,_Z18lower_bound_kernelItEvmPT_Pl,comdat
	.protected	_Z18lower_bound_kernelItEvmPT_Pl ; -- Begin function _Z18lower_bound_kernelItEvmPT_Pl
	.globl	_Z18lower_bound_kernelItEvmPT_Pl
	.p2align	8
	.type	_Z18lower_bound_kernelItEvmPT_Pl,@function
_Z18lower_bound_kernelItEvmPT_Pl:       ; @_Z18lower_bound_kernelItEvmPT_Pl
; %bb.0:
	s_clause 0x1
	s_load_dwordx4 s[0:3], s[4:5], 0x0
	s_load_dwordx2 s[4:5], s[4:5], 0x10
	v_mov_b32_e32 v0, 0
	v_mov_b32_e32 v1, v0
	s_waitcnt lgkmcnt(0)
	s_lshl_b64 s[0:1], s[0:1], 1
	global_store_dwordx2 v0, v[0:1], s[4:5]
	s_add_u32 s0, s2, s0
	s_addc_u32 s1, s3, s1
	s_sub_u32 s0, s0, s2
	s_subb_u32 s1, s1, s3
	s_ashr_i64 s[6:7], s[0:1], 1
	s_mov_b32 s1, -1
	v_cmp_lt_i64_e64 s0, s[6:7], 1
	s_and_b32 s0, exec_lo, s0
	s_mov_b32 vcc_lo, s0
	s_cbranch_vccz .LBB83_2
; %bb.1:
	v_mov_b32_e32 v1, v0
	v_mov_b32_e32 v2, v0
	;; [unrolled: 1-line block ×3, first 2 shown]
	s_mov_b32 s1, 0
	global_store_dwordx4 v0, v[0:3], s[4:5] offset:8
.LBB83_2:
	s_andn2_b32 vcc_lo, exec_lo, s1
	s_mov_b64 s[8:9], 0
	s_cbranch_vccnz .LBB83_9
; %bb.3:
	v_mov_b32_e32 v0, 0
	s_mov_b64 s[10:11], s[6:7]
	.p2align	6
.LBB83_4:                               ; =>This Inner Loop Header: Depth=1
	s_sub_u32 s12, s10, s8
	s_subb_u32 s13, s11, s9
	s_lshr_b64 s[12:13], s[12:13], 1
	s_add_u32 s12, s12, s8
	s_addc_u32 s13, s13, s9
	s_lshl_b64 s[14:15], s[12:13], 1
	s_add_u32 s14, s2, s14
	s_addc_u32 s15, s3, s15
	global_load_ushort v1, v0, s[14:15]
	s_waitcnt vmcnt(0)
	v_readfirstlane_b32 s1, v1
	s_and_b32 s1, 0xffff, s1
	s_add_u32 s14, s12, 1
	s_addc_u32 s15, s13, 0
	s_cmp_eq_u32 s1, 0
	s_cselect_b32 s9, s15, s9
	s_cselect_b32 s8, s14, s8
	s_cselect_b32 s11, s11, s13
	s_cselect_b32 s10, s10, s12
	v_cmp_lt_i64_e64 s1, s[8:9], s[10:11]
	s_and_b32 vcc_lo, exec_lo, s1
	s_cbranch_vccnz .LBB83_4
; %bb.5:
	s_lshl_b64 s[8:9], s[8:9], 1
	v_mov_b32_e32 v0, 0
	s_add_u32 s1, s2, s8
	s_addc_u32 s9, s3, s9
	s_sub_u32 s8, s1, s2
	s_subb_u32 s9, s9, s3
	s_mov_b64 s[10:11], s[6:7]
	s_ashr_i64 s[8:9], s[8:9], 1
	v_mov_b32_e32 v1, s8
	v_mov_b32_e32 v2, s9
	s_mov_b64 s[8:9], 0
	global_store_dwordx2 v0, v[1:2], s[4:5] offset:8
	.p2align	6
.LBB83_6:                               ; =>This Inner Loop Header: Depth=1
	s_sub_u32 s12, s10, s8
	s_subb_u32 s13, s11, s9
	s_lshr_b64 s[12:13], s[12:13], 1
	s_add_u32 s12, s12, s8
	s_addc_u32 s13, s13, s9
	s_lshl_b64 s[14:15], s[12:13], 1
	s_add_u32 s14, s2, s14
	s_addc_u32 s15, s3, s15
	global_load_ushort v1, v0, s[14:15]
	s_waitcnt vmcnt(0)
	v_readfirstlane_b32 s1, v1
	s_and_b32 s1, 0xffff, s1
	s_add_u32 s14, s12, 1
	s_addc_u32 s15, s13, 0
	s_cmp_lt_u32 s1, 2
	s_cselect_b32 s9, s15, s9
	s_cselect_b32 s8, s14, s8
	;; [unrolled: 1-line block ×4, first 2 shown]
	v_cmp_lt_i64_e64 s1, s[8:9], s[10:11]
	s_and_b32 vcc_lo, exec_lo, s1
	s_cbranch_vccnz .LBB83_6
; %bb.7:
	s_lshl_b64 s[8:9], s[8:9], 1
	v_mov_b32_e32 v0, 0
	s_add_u32 s1, s2, s8
	s_addc_u32 s9, s3, s9
	s_sub_u32 s8, s1, s2
	s_subb_u32 s9, s9, s3
	s_mov_b64 s[10:11], s[6:7]
	s_ashr_i64 s[8:9], s[8:9], 1
	v_mov_b32_e32 v1, s8
	v_mov_b32_e32 v2, s9
	s_mov_b64 s[8:9], 0
	global_store_dwordx2 v0, v[1:2], s[4:5] offset:16
	.p2align	6
.LBB83_8:                               ; =>This Inner Loop Header: Depth=1
	s_sub_u32 s12, s10, s8
	s_subb_u32 s13, s11, s9
	s_lshr_b64 s[12:13], s[12:13], 1
	s_add_u32 s12, s12, s8
	s_addc_u32 s13, s13, s9
	s_lshl_b64 s[14:15], s[12:13], 1
	s_add_u32 s14, s2, s14
	s_addc_u32 s15, s3, s15
	global_load_ushort v1, v0, s[14:15]
	s_waitcnt vmcnt(0)
	v_readfirstlane_b32 s1, v1
	s_and_b32 s1, 0xffff, s1
	s_add_u32 s14, s12, 1
	s_addc_u32 s15, s13, 0
	s_cmp_lt_u32 s1, 3
	s_cselect_b32 s9, s15, s9
	s_cselect_b32 s8, s14, s8
	s_cselect_b32 s11, s11, s13
	s_cselect_b32 s10, s10, s12
	v_cmp_ge_i64_e64 s1, s[8:9], s[10:11]
	s_and_b32 vcc_lo, exec_lo, s1
	s_cbranch_vccz .LBB83_8
.LBB83_9:
	s_lshl_b64 s[8:9], s[8:9], 1
	v_mov_b32_e32 v0, 0
	s_add_u32 s1, s2, s8
	s_addc_u32 s9, s3, s9
	s_sub_u32 s8, s1, s2
	s_subb_u32 s9, s9, s3
	s_mov_b32 s1, -1
	s_ashr_i64 s[8:9], s[8:9], 1
	s_mov_b32 vcc_lo, s0
	v_mov_b32_e32 v1, s8
	v_mov_b32_e32 v2, s9
	global_store_dwordx2 v0, v[1:2], s[4:5] offset:24
	s_cbranch_vccz .LBB83_11
; %bb.10:
	v_mov_b32_e32 v1, v0
	s_mov_b32 s1, 0
	global_store_dwordx2 v0, v[0:1], s[4:5] offset:32
.LBB83_11:
	s_andn2_b32 vcc_lo, exec_lo, s1
	s_mov_b64 s[8:9], 0
	s_cbranch_vccnz .LBB83_16
; %bb.12:
	v_mov_b32_e32 v0, 0
	s_mov_b64 s[10:11], s[6:7]
	.p2align	6
.LBB83_13:                              ; =>This Inner Loop Header: Depth=1
	s_sub_u32 s12, s10, s8
	s_subb_u32 s13, s11, s9
	s_lshr_b64 s[12:13], s[12:13], 1
	s_add_u32 s12, s12, s8
	s_addc_u32 s13, s13, s9
	s_lshl_b64 s[14:15], s[12:13], 1
	s_add_u32 s14, s2, s14
	s_addc_u32 s15, s3, s15
	global_load_ushort v1, v0, s[14:15]
	s_waitcnt vmcnt(0)
	v_readfirstlane_b32 s1, v1
	s_and_b32 s1, 0xffff, s1
	s_add_u32 s14, s12, 1
	s_addc_u32 s15, s13, 0
	s_cmp_lt_u32 s1, 4
	s_cselect_b32 s9, s15, s9
	s_cselect_b32 s8, s14, s8
	;; [unrolled: 1-line block ×4, first 2 shown]
	v_cmp_lt_i64_e64 s1, s[8:9], s[10:11]
	s_and_b32 vcc_lo, exec_lo, s1
	s_cbranch_vccnz .LBB83_13
; %bb.14:
	s_lshl_b64 s[8:9], s[8:9], 1
	v_mov_b32_e32 v0, 0
	s_add_u32 s1, s2, s8
	s_addc_u32 s9, s3, s9
	s_sub_u32 s8, s1, s2
	s_subb_u32 s9, s9, s3
	s_mov_b64 s[10:11], s[6:7]
	s_ashr_i64 s[8:9], s[8:9], 1
	v_mov_b32_e32 v1, s8
	v_mov_b32_e32 v2, s9
	s_mov_b64 s[8:9], 0
	global_store_dwordx2 v0, v[1:2], s[4:5] offset:32
	.p2align	6
.LBB83_15:                              ; =>This Inner Loop Header: Depth=1
	s_sub_u32 s12, s10, s8
	s_subb_u32 s13, s11, s9
	s_lshr_b64 s[12:13], s[12:13], 1
	s_add_u32 s12, s12, s8
	s_addc_u32 s13, s13, s9
	s_lshl_b64 s[14:15], s[12:13], 1
	s_add_u32 s14, s2, s14
	s_addc_u32 s15, s3, s15
	global_load_ushort v1, v0, s[14:15]
	s_waitcnt vmcnt(0)
	v_readfirstlane_b32 s1, v1
	s_and_b32 s1, 0xffff, s1
	s_add_u32 s14, s12, 1
	s_addc_u32 s15, s13, 0
	s_cmp_lt_u32 s1, 5
	s_cselect_b32 s9, s15, s9
	s_cselect_b32 s8, s14, s8
	;; [unrolled: 1-line block ×4, first 2 shown]
	v_cmp_ge_i64_e64 s1, s[8:9], s[10:11]
	s_and_b32 vcc_lo, exec_lo, s1
	s_cbranch_vccz .LBB83_15
.LBB83_16:
	s_lshl_b64 s[8:9], s[8:9], 1
	v_mov_b32_e32 v0, 0
	s_add_u32 s1, s2, s8
	s_addc_u32 s9, s3, s9
	s_sub_u32 s8, s1, s2
	s_subb_u32 s9, s9, s3
	s_mov_b32 s1, -1
	s_ashr_i64 s[8:9], s[8:9], 1
	s_mov_b32 vcc_lo, s0
	v_mov_b32_e32 v1, s8
	v_mov_b32_e32 v2, s9
	global_store_dwordx2 v0, v[1:2], s[4:5] offset:40
	s_cbranch_vccz .LBB83_18
; %bb.17:
	v_mov_b32_e32 v1, v0
	s_mov_b32 s1, 0
	global_store_dwordx2 v0, v[0:1], s[4:5] offset:48
.LBB83_18:
	s_andn2_b32 vcc_lo, exec_lo, s1
	s_mov_b64 s[8:9], 0
	s_cbranch_vccnz .LBB83_23
; %bb.19:
	v_mov_b32_e32 v0, 0
	s_mov_b64 s[10:11], s[6:7]
	.p2align	6
.LBB83_20:                              ; =>This Inner Loop Header: Depth=1
	s_sub_u32 s12, s10, s8
	s_subb_u32 s13, s11, s9
	s_lshr_b64 s[12:13], s[12:13], 1
	s_add_u32 s12, s12, s8
	s_addc_u32 s13, s13, s9
	s_lshl_b64 s[14:15], s[12:13], 1
	s_add_u32 s14, s2, s14
	s_addc_u32 s15, s3, s15
	global_load_ushort v1, v0, s[14:15]
	s_waitcnt vmcnt(0)
	v_readfirstlane_b32 s1, v1
	s_and_b32 s1, 0xffff, s1
	s_add_u32 s14, s12, 1
	s_addc_u32 s15, s13, 0
	s_cmp_lt_u32 s1, 6
	s_cselect_b32 s9, s15, s9
	s_cselect_b32 s8, s14, s8
	;; [unrolled: 1-line block ×4, first 2 shown]
	v_cmp_lt_i64_e64 s1, s[8:9], s[10:11]
	s_and_b32 vcc_lo, exec_lo, s1
	s_cbranch_vccnz .LBB83_20
; %bb.21:
	s_lshl_b64 s[8:9], s[8:9], 1
	v_mov_b32_e32 v0, 0
	s_add_u32 s1, s2, s8
	s_addc_u32 s9, s3, s9
	s_sub_u32 s8, s1, s2
	s_subb_u32 s9, s9, s3
	s_mov_b64 s[10:11], s[6:7]
	s_ashr_i64 s[8:9], s[8:9], 1
	v_mov_b32_e32 v1, s8
	v_mov_b32_e32 v2, s9
	s_mov_b64 s[8:9], 0
	global_store_dwordx2 v0, v[1:2], s[4:5] offset:48
	.p2align	6
.LBB83_22:                              ; =>This Inner Loop Header: Depth=1
	s_sub_u32 s12, s10, s8
	s_subb_u32 s13, s11, s9
	s_lshr_b64 s[12:13], s[12:13], 1
	s_add_u32 s12, s12, s8
	s_addc_u32 s13, s13, s9
	s_lshl_b64 s[14:15], s[12:13], 1
	s_add_u32 s14, s2, s14
	s_addc_u32 s15, s3, s15
	global_load_ushort v1, v0, s[14:15]
	s_waitcnt vmcnt(0)
	v_readfirstlane_b32 s1, v1
	s_and_b32 s1, 0xffff, s1
	s_add_u32 s14, s12, 1
	s_addc_u32 s15, s13, 0
	s_cmp_lt_u32 s1, 7
	s_cselect_b32 s9, s15, s9
	s_cselect_b32 s8, s14, s8
	;; [unrolled: 1-line block ×4, first 2 shown]
	v_cmp_ge_i64_e64 s1, s[8:9], s[10:11]
	s_and_b32 vcc_lo, exec_lo, s1
	s_cbranch_vccz .LBB83_22
.LBB83_23:
	s_lshl_b64 s[8:9], s[8:9], 1
	v_mov_b32_e32 v0, 0
	s_add_u32 s1, s2, s8
	s_addc_u32 s9, s3, s9
	s_sub_u32 s8, s1, s2
	s_subb_u32 s9, s9, s3
	s_mov_b32 s1, -1
	s_ashr_i64 s[8:9], s[8:9], 1
	s_mov_b32 vcc_lo, s0
	v_mov_b32_e32 v1, s8
	v_mov_b32_e32 v2, s9
	global_store_dwordx2 v0, v[1:2], s[4:5] offset:56
	s_cbranch_vccz .LBB83_25
; %bb.24:
	v_mov_b32_e32 v1, v0
	s_mov_b32 s1, 0
	global_store_dwordx2 v0, v[0:1], s[4:5] offset:64
.LBB83_25:
	s_andn2_b32 vcc_lo, exec_lo, s1
	s_mov_b64 s[0:1], 0
	s_cbranch_vccnz .LBB83_30
; %bb.26:
	v_mov_b32_e32 v0, 0
	s_mov_b64 s[8:9], s[6:7]
	.p2align	6
.LBB83_27:                              ; =>This Inner Loop Header: Depth=1
	s_sub_u32 s10, s8, s0
	s_subb_u32 s11, s9, s1
	s_lshr_b64 s[10:11], s[10:11], 1
	s_add_u32 s10, s10, s0
	s_addc_u32 s11, s11, s1
	s_lshl_b64 s[12:13], s[10:11], 1
	s_add_u32 s12, s2, s12
	s_addc_u32 s13, s3, s13
	global_load_ushort v1, v0, s[12:13]
	s_waitcnt vmcnt(0)
	v_readfirstlane_b32 s12, v1
	s_and_b32 s12, 0xffff, s12
	s_add_u32 s13, s10, 1
	s_addc_u32 s14, s11, 0
	s_cmp_lt_u32 s12, 8
	s_cselect_b32 s1, s14, s1
	s_cselect_b32 s0, s13, s0
	;; [unrolled: 1-line block ×4, first 2 shown]
	v_cmp_lt_i64_e64 s10, s[0:1], s[8:9]
	s_and_b32 vcc_lo, exec_lo, s10
	s_cbranch_vccnz .LBB83_27
; %bb.28:
	s_lshl_b64 s[0:1], s[0:1], 1
	v_mov_b32_e32 v0, 0
	s_add_u32 s0, s2, s0
	s_addc_u32 s1, s3, s1
	s_sub_u32 s0, s0, s2
	s_subb_u32 s1, s1, s3
	s_ashr_i64 s[0:1], s[0:1], 1
	v_mov_b32_e32 v2, s1
	v_mov_b32_e32 v1, s0
	s_mov_b64 s[0:1], 0
	global_store_dwordx2 v0, v[1:2], s[4:5] offset:64
	.p2align	6
.LBB83_29:                              ; =>This Inner Loop Header: Depth=1
	s_sub_u32 s8, s6, s0
	s_subb_u32 s9, s7, s1
	s_lshr_b64 s[8:9], s[8:9], 1
	s_add_u32 s8, s8, s0
	s_addc_u32 s9, s9, s1
	s_lshl_b64 s[10:11], s[8:9], 1
	s_add_u32 s10, s2, s10
	s_addc_u32 s11, s3, s11
	global_load_ushort v1, v0, s[10:11]
	s_waitcnt vmcnt(0)
	v_readfirstlane_b32 s10, v1
	s_and_b32 s10, 0xffff, s10
	s_add_u32 s11, s8, 1
	s_addc_u32 s12, s9, 0
	s_cmp_lt_u32 s10, 9
	s_cselect_b32 s1, s12, s1
	s_cselect_b32 s0, s11, s0
	;; [unrolled: 1-line block ×4, first 2 shown]
	v_cmp_ge_i64_e64 s8, s[0:1], s[6:7]
	s_and_b32 vcc_lo, exec_lo, s8
	s_cbranch_vccz .LBB83_29
.LBB83_30:
	s_lshl_b64 s[0:1], s[0:1], 1
	v_mov_b32_e32 v2, 0
	s_add_u32 s0, s2, s0
	s_addc_u32 s1, s3, s1
	s_sub_u32 s0, s0, s2
	s_subb_u32 s1, s1, s3
	s_ashr_i64 s[0:1], s[0:1], 1
	v_mov_b32_e32 v0, s0
	v_mov_b32_e32 v1, s1
	global_store_dwordx2 v2, v[0:1], s[4:5] offset:72
	s_endpgm
	.section	.rodata,"a",@progbits
	.p2align	6, 0x0
	.amdhsa_kernel _Z18lower_bound_kernelItEvmPT_Pl
		.amdhsa_group_segment_fixed_size 0
		.amdhsa_private_segment_fixed_size 0
		.amdhsa_kernarg_size 24
		.amdhsa_user_sgpr_count 6
		.amdhsa_user_sgpr_private_segment_buffer 1
		.amdhsa_user_sgpr_dispatch_ptr 0
		.amdhsa_user_sgpr_queue_ptr 0
		.amdhsa_user_sgpr_kernarg_segment_ptr 1
		.amdhsa_user_sgpr_dispatch_id 0
		.amdhsa_user_sgpr_flat_scratch_init 0
		.amdhsa_user_sgpr_private_segment_size 0
		.amdhsa_wavefront_size32 1
		.amdhsa_uses_dynamic_stack 0
		.amdhsa_system_sgpr_private_segment_wavefront_offset 0
		.amdhsa_system_sgpr_workgroup_id_x 1
		.amdhsa_system_sgpr_workgroup_id_y 0
		.amdhsa_system_sgpr_workgroup_id_z 0
		.amdhsa_system_sgpr_workgroup_info 0
		.amdhsa_system_vgpr_workitem_id 0
		.amdhsa_next_free_vgpr 4
		.amdhsa_next_free_sgpr 16
		.amdhsa_reserve_vcc 1
		.amdhsa_reserve_flat_scratch 0
		.amdhsa_float_round_mode_32 0
		.amdhsa_float_round_mode_16_64 0
		.amdhsa_float_denorm_mode_32 3
		.amdhsa_float_denorm_mode_16_64 3
		.amdhsa_dx10_clamp 1
		.amdhsa_ieee_mode 1
		.amdhsa_fp16_overflow 0
		.amdhsa_workgroup_processor_mode 1
		.amdhsa_memory_ordered 1
		.amdhsa_forward_progress 1
		.amdhsa_shared_vgpr_count 0
		.amdhsa_exception_fp_ieee_invalid_op 0
		.amdhsa_exception_fp_denorm_src 0
		.amdhsa_exception_fp_ieee_div_zero 0
		.amdhsa_exception_fp_ieee_overflow 0
		.amdhsa_exception_fp_ieee_underflow 0
		.amdhsa_exception_fp_ieee_inexact 0
		.amdhsa_exception_int_div_zero 0
	.end_amdhsa_kernel
	.section	.text._Z18lower_bound_kernelItEvmPT_Pl,"axG",@progbits,_Z18lower_bound_kernelItEvmPT_Pl,comdat
.Lfunc_end83:
	.size	_Z18lower_bound_kernelItEvmPT_Pl, .Lfunc_end83-_Z18lower_bound_kernelItEvmPT_Pl
                                        ; -- End function
	.set _Z18lower_bound_kernelItEvmPT_Pl.num_vgpr, 4
	.set _Z18lower_bound_kernelItEvmPT_Pl.num_agpr, 0
	.set _Z18lower_bound_kernelItEvmPT_Pl.numbered_sgpr, 16
	.set _Z18lower_bound_kernelItEvmPT_Pl.num_named_barrier, 0
	.set _Z18lower_bound_kernelItEvmPT_Pl.private_seg_size, 0
	.set _Z18lower_bound_kernelItEvmPT_Pl.uses_vcc, 1
	.set _Z18lower_bound_kernelItEvmPT_Pl.uses_flat_scratch, 0
	.set _Z18lower_bound_kernelItEvmPT_Pl.has_dyn_sized_stack, 0
	.set _Z18lower_bound_kernelItEvmPT_Pl.has_recursion, 0
	.set _Z18lower_bound_kernelItEvmPT_Pl.has_indirect_call, 0
	.section	.AMDGPU.csdata,"",@progbits
; Kernel info:
; codeLenInByte = 1876
; TotalNumSgprs: 18
; NumVgprs: 4
; ScratchSize: 0
; MemoryBound: 0
; FloatMode: 240
; IeeeMode: 1
; LDSByteSize: 0 bytes/workgroup (compile time only)
; SGPRBlocks: 0
; VGPRBlocks: 0
; NumSGPRsForWavesPerEU: 18
; NumVGPRsForWavesPerEU: 4
; Occupancy: 16
; WaveLimiterHint : 0
; COMPUTE_PGM_RSRC2:SCRATCH_EN: 0
; COMPUTE_PGM_RSRC2:USER_SGPR: 6
; COMPUTE_PGM_RSRC2:TRAP_HANDLER: 0
; COMPUTE_PGM_RSRC2:TGID_X_EN: 1
; COMPUTE_PGM_RSRC2:TGID_Y_EN: 0
; COMPUTE_PGM_RSRC2:TGID_Z_EN: 0
; COMPUTE_PGM_RSRC2:TIDIG_COMP_CNT: 0
	.section	.text._ZN7rocprim17ROCPRIM_400000_NS6detail17trampoline_kernelINS0_14default_configENS1_27lower_bound_config_selectorItlEEZNS1_14transform_implILb0ES3_S5_N6thrust23THRUST_200600_302600_NS6detail15normal_iteratorINS8_7pointerItNS8_11hip_rocprim5par_tENS8_11use_defaultESE_EEEENSA_INSB_IlSD_SE_SE_EEEEZNS1_13binary_searchIS3_S5_PtSG_SI_NS1_21lower_bound_search_opENS9_16wrapped_functionI11custom_lessbEEEE10hipError_tPvRmT1_T2_T3_mmT4_T5_P12ihipStream_tbEUlRKtE_EESP_ST_SU_mSV_SY_bEUlT_E_NS1_11comp_targetILNS1_3genE0ELNS1_11target_archE4294967295ELNS1_3gpuE0ELNS1_3repE0EEENS1_30default_config_static_selectorELNS0_4arch9wavefront6targetE0EEEvSS_,"axG",@progbits,_ZN7rocprim17ROCPRIM_400000_NS6detail17trampoline_kernelINS0_14default_configENS1_27lower_bound_config_selectorItlEEZNS1_14transform_implILb0ES3_S5_N6thrust23THRUST_200600_302600_NS6detail15normal_iteratorINS8_7pointerItNS8_11hip_rocprim5par_tENS8_11use_defaultESE_EEEENSA_INSB_IlSD_SE_SE_EEEEZNS1_13binary_searchIS3_S5_PtSG_SI_NS1_21lower_bound_search_opENS9_16wrapped_functionI11custom_lessbEEEE10hipError_tPvRmT1_T2_T3_mmT4_T5_P12ihipStream_tbEUlRKtE_EESP_ST_SU_mSV_SY_bEUlT_E_NS1_11comp_targetILNS1_3genE0ELNS1_11target_archE4294967295ELNS1_3gpuE0ELNS1_3repE0EEENS1_30default_config_static_selectorELNS0_4arch9wavefront6targetE0EEEvSS_,comdat
	.protected	_ZN7rocprim17ROCPRIM_400000_NS6detail17trampoline_kernelINS0_14default_configENS1_27lower_bound_config_selectorItlEEZNS1_14transform_implILb0ES3_S5_N6thrust23THRUST_200600_302600_NS6detail15normal_iteratorINS8_7pointerItNS8_11hip_rocprim5par_tENS8_11use_defaultESE_EEEENSA_INSB_IlSD_SE_SE_EEEEZNS1_13binary_searchIS3_S5_PtSG_SI_NS1_21lower_bound_search_opENS9_16wrapped_functionI11custom_lessbEEEE10hipError_tPvRmT1_T2_T3_mmT4_T5_P12ihipStream_tbEUlRKtE_EESP_ST_SU_mSV_SY_bEUlT_E_NS1_11comp_targetILNS1_3genE0ELNS1_11target_archE4294967295ELNS1_3gpuE0ELNS1_3repE0EEENS1_30default_config_static_selectorELNS0_4arch9wavefront6targetE0EEEvSS_ ; -- Begin function _ZN7rocprim17ROCPRIM_400000_NS6detail17trampoline_kernelINS0_14default_configENS1_27lower_bound_config_selectorItlEEZNS1_14transform_implILb0ES3_S5_N6thrust23THRUST_200600_302600_NS6detail15normal_iteratorINS8_7pointerItNS8_11hip_rocprim5par_tENS8_11use_defaultESE_EEEENSA_INSB_IlSD_SE_SE_EEEEZNS1_13binary_searchIS3_S5_PtSG_SI_NS1_21lower_bound_search_opENS9_16wrapped_functionI11custom_lessbEEEE10hipError_tPvRmT1_T2_T3_mmT4_T5_P12ihipStream_tbEUlRKtE_EESP_ST_SU_mSV_SY_bEUlT_E_NS1_11comp_targetILNS1_3genE0ELNS1_11target_archE4294967295ELNS1_3gpuE0ELNS1_3repE0EEENS1_30default_config_static_selectorELNS0_4arch9wavefront6targetE0EEEvSS_
	.globl	_ZN7rocprim17ROCPRIM_400000_NS6detail17trampoline_kernelINS0_14default_configENS1_27lower_bound_config_selectorItlEEZNS1_14transform_implILb0ES3_S5_N6thrust23THRUST_200600_302600_NS6detail15normal_iteratorINS8_7pointerItNS8_11hip_rocprim5par_tENS8_11use_defaultESE_EEEENSA_INSB_IlSD_SE_SE_EEEEZNS1_13binary_searchIS3_S5_PtSG_SI_NS1_21lower_bound_search_opENS9_16wrapped_functionI11custom_lessbEEEE10hipError_tPvRmT1_T2_T3_mmT4_T5_P12ihipStream_tbEUlRKtE_EESP_ST_SU_mSV_SY_bEUlT_E_NS1_11comp_targetILNS1_3genE0ELNS1_11target_archE4294967295ELNS1_3gpuE0ELNS1_3repE0EEENS1_30default_config_static_selectorELNS0_4arch9wavefront6targetE0EEEvSS_
	.p2align	8
	.type	_ZN7rocprim17ROCPRIM_400000_NS6detail17trampoline_kernelINS0_14default_configENS1_27lower_bound_config_selectorItlEEZNS1_14transform_implILb0ES3_S5_N6thrust23THRUST_200600_302600_NS6detail15normal_iteratorINS8_7pointerItNS8_11hip_rocprim5par_tENS8_11use_defaultESE_EEEENSA_INSB_IlSD_SE_SE_EEEEZNS1_13binary_searchIS3_S5_PtSG_SI_NS1_21lower_bound_search_opENS9_16wrapped_functionI11custom_lessbEEEE10hipError_tPvRmT1_T2_T3_mmT4_T5_P12ihipStream_tbEUlRKtE_EESP_ST_SU_mSV_SY_bEUlT_E_NS1_11comp_targetILNS1_3genE0ELNS1_11target_archE4294967295ELNS1_3gpuE0ELNS1_3repE0EEENS1_30default_config_static_selectorELNS0_4arch9wavefront6targetE0EEEvSS_,@function
_ZN7rocprim17ROCPRIM_400000_NS6detail17trampoline_kernelINS0_14default_configENS1_27lower_bound_config_selectorItlEEZNS1_14transform_implILb0ES3_S5_N6thrust23THRUST_200600_302600_NS6detail15normal_iteratorINS8_7pointerItNS8_11hip_rocprim5par_tENS8_11use_defaultESE_EEEENSA_INSB_IlSD_SE_SE_EEEEZNS1_13binary_searchIS3_S5_PtSG_SI_NS1_21lower_bound_search_opENS9_16wrapped_functionI11custom_lessbEEEE10hipError_tPvRmT1_T2_T3_mmT4_T5_P12ihipStream_tbEUlRKtE_EESP_ST_SU_mSV_SY_bEUlT_E_NS1_11comp_targetILNS1_3genE0ELNS1_11target_archE4294967295ELNS1_3gpuE0ELNS1_3repE0EEENS1_30default_config_static_selectorELNS0_4arch9wavefront6targetE0EEEvSS_: ; @_ZN7rocprim17ROCPRIM_400000_NS6detail17trampoline_kernelINS0_14default_configENS1_27lower_bound_config_selectorItlEEZNS1_14transform_implILb0ES3_S5_N6thrust23THRUST_200600_302600_NS6detail15normal_iteratorINS8_7pointerItNS8_11hip_rocprim5par_tENS8_11use_defaultESE_EEEENSA_INSB_IlSD_SE_SE_EEEEZNS1_13binary_searchIS3_S5_PtSG_SI_NS1_21lower_bound_search_opENS9_16wrapped_functionI11custom_lessbEEEE10hipError_tPvRmT1_T2_T3_mmT4_T5_P12ihipStream_tbEUlRKtE_EESP_ST_SU_mSV_SY_bEUlT_E_NS1_11comp_targetILNS1_3genE0ELNS1_11target_archE4294967295ELNS1_3gpuE0ELNS1_3repE0EEENS1_30default_config_static_selectorELNS0_4arch9wavefront6targetE0EEEvSS_
; %bb.0:
	.section	.rodata,"a",@progbits
	.p2align	6, 0x0
	.amdhsa_kernel _ZN7rocprim17ROCPRIM_400000_NS6detail17trampoline_kernelINS0_14default_configENS1_27lower_bound_config_selectorItlEEZNS1_14transform_implILb0ES3_S5_N6thrust23THRUST_200600_302600_NS6detail15normal_iteratorINS8_7pointerItNS8_11hip_rocprim5par_tENS8_11use_defaultESE_EEEENSA_INSB_IlSD_SE_SE_EEEEZNS1_13binary_searchIS3_S5_PtSG_SI_NS1_21lower_bound_search_opENS9_16wrapped_functionI11custom_lessbEEEE10hipError_tPvRmT1_T2_T3_mmT4_T5_P12ihipStream_tbEUlRKtE_EESP_ST_SU_mSV_SY_bEUlT_E_NS1_11comp_targetILNS1_3genE0ELNS1_11target_archE4294967295ELNS1_3gpuE0ELNS1_3repE0EEENS1_30default_config_static_selectorELNS0_4arch9wavefront6targetE0EEEvSS_
		.amdhsa_group_segment_fixed_size 0
		.amdhsa_private_segment_fixed_size 0
		.amdhsa_kernarg_size 56
		.amdhsa_user_sgpr_count 6
		.amdhsa_user_sgpr_private_segment_buffer 1
		.amdhsa_user_sgpr_dispatch_ptr 0
		.amdhsa_user_sgpr_queue_ptr 0
		.amdhsa_user_sgpr_kernarg_segment_ptr 1
		.amdhsa_user_sgpr_dispatch_id 0
		.amdhsa_user_sgpr_flat_scratch_init 0
		.amdhsa_user_sgpr_private_segment_size 0
		.amdhsa_wavefront_size32 1
		.amdhsa_uses_dynamic_stack 0
		.amdhsa_system_sgpr_private_segment_wavefront_offset 0
		.amdhsa_system_sgpr_workgroup_id_x 1
		.amdhsa_system_sgpr_workgroup_id_y 0
		.amdhsa_system_sgpr_workgroup_id_z 0
		.amdhsa_system_sgpr_workgroup_info 0
		.amdhsa_system_vgpr_workitem_id 0
		.amdhsa_next_free_vgpr 1
		.amdhsa_next_free_sgpr 1
		.amdhsa_reserve_vcc 0
		.amdhsa_reserve_flat_scratch 0
		.amdhsa_float_round_mode_32 0
		.amdhsa_float_round_mode_16_64 0
		.amdhsa_float_denorm_mode_32 3
		.amdhsa_float_denorm_mode_16_64 3
		.amdhsa_dx10_clamp 1
		.amdhsa_ieee_mode 1
		.amdhsa_fp16_overflow 0
		.amdhsa_workgroup_processor_mode 1
		.amdhsa_memory_ordered 1
		.amdhsa_forward_progress 1
		.amdhsa_shared_vgpr_count 0
		.amdhsa_exception_fp_ieee_invalid_op 0
		.amdhsa_exception_fp_denorm_src 0
		.amdhsa_exception_fp_ieee_div_zero 0
		.amdhsa_exception_fp_ieee_overflow 0
		.amdhsa_exception_fp_ieee_underflow 0
		.amdhsa_exception_fp_ieee_inexact 0
		.amdhsa_exception_int_div_zero 0
	.end_amdhsa_kernel
	.section	.text._ZN7rocprim17ROCPRIM_400000_NS6detail17trampoline_kernelINS0_14default_configENS1_27lower_bound_config_selectorItlEEZNS1_14transform_implILb0ES3_S5_N6thrust23THRUST_200600_302600_NS6detail15normal_iteratorINS8_7pointerItNS8_11hip_rocprim5par_tENS8_11use_defaultESE_EEEENSA_INSB_IlSD_SE_SE_EEEEZNS1_13binary_searchIS3_S5_PtSG_SI_NS1_21lower_bound_search_opENS9_16wrapped_functionI11custom_lessbEEEE10hipError_tPvRmT1_T2_T3_mmT4_T5_P12ihipStream_tbEUlRKtE_EESP_ST_SU_mSV_SY_bEUlT_E_NS1_11comp_targetILNS1_3genE0ELNS1_11target_archE4294967295ELNS1_3gpuE0ELNS1_3repE0EEENS1_30default_config_static_selectorELNS0_4arch9wavefront6targetE0EEEvSS_,"axG",@progbits,_ZN7rocprim17ROCPRIM_400000_NS6detail17trampoline_kernelINS0_14default_configENS1_27lower_bound_config_selectorItlEEZNS1_14transform_implILb0ES3_S5_N6thrust23THRUST_200600_302600_NS6detail15normal_iteratorINS8_7pointerItNS8_11hip_rocprim5par_tENS8_11use_defaultESE_EEEENSA_INSB_IlSD_SE_SE_EEEEZNS1_13binary_searchIS3_S5_PtSG_SI_NS1_21lower_bound_search_opENS9_16wrapped_functionI11custom_lessbEEEE10hipError_tPvRmT1_T2_T3_mmT4_T5_P12ihipStream_tbEUlRKtE_EESP_ST_SU_mSV_SY_bEUlT_E_NS1_11comp_targetILNS1_3genE0ELNS1_11target_archE4294967295ELNS1_3gpuE0ELNS1_3repE0EEENS1_30default_config_static_selectorELNS0_4arch9wavefront6targetE0EEEvSS_,comdat
.Lfunc_end84:
	.size	_ZN7rocprim17ROCPRIM_400000_NS6detail17trampoline_kernelINS0_14default_configENS1_27lower_bound_config_selectorItlEEZNS1_14transform_implILb0ES3_S5_N6thrust23THRUST_200600_302600_NS6detail15normal_iteratorINS8_7pointerItNS8_11hip_rocprim5par_tENS8_11use_defaultESE_EEEENSA_INSB_IlSD_SE_SE_EEEEZNS1_13binary_searchIS3_S5_PtSG_SI_NS1_21lower_bound_search_opENS9_16wrapped_functionI11custom_lessbEEEE10hipError_tPvRmT1_T2_T3_mmT4_T5_P12ihipStream_tbEUlRKtE_EESP_ST_SU_mSV_SY_bEUlT_E_NS1_11comp_targetILNS1_3genE0ELNS1_11target_archE4294967295ELNS1_3gpuE0ELNS1_3repE0EEENS1_30default_config_static_selectorELNS0_4arch9wavefront6targetE0EEEvSS_, .Lfunc_end84-_ZN7rocprim17ROCPRIM_400000_NS6detail17trampoline_kernelINS0_14default_configENS1_27lower_bound_config_selectorItlEEZNS1_14transform_implILb0ES3_S5_N6thrust23THRUST_200600_302600_NS6detail15normal_iteratorINS8_7pointerItNS8_11hip_rocprim5par_tENS8_11use_defaultESE_EEEENSA_INSB_IlSD_SE_SE_EEEEZNS1_13binary_searchIS3_S5_PtSG_SI_NS1_21lower_bound_search_opENS9_16wrapped_functionI11custom_lessbEEEE10hipError_tPvRmT1_T2_T3_mmT4_T5_P12ihipStream_tbEUlRKtE_EESP_ST_SU_mSV_SY_bEUlT_E_NS1_11comp_targetILNS1_3genE0ELNS1_11target_archE4294967295ELNS1_3gpuE0ELNS1_3repE0EEENS1_30default_config_static_selectorELNS0_4arch9wavefront6targetE0EEEvSS_
                                        ; -- End function
	.set _ZN7rocprim17ROCPRIM_400000_NS6detail17trampoline_kernelINS0_14default_configENS1_27lower_bound_config_selectorItlEEZNS1_14transform_implILb0ES3_S5_N6thrust23THRUST_200600_302600_NS6detail15normal_iteratorINS8_7pointerItNS8_11hip_rocprim5par_tENS8_11use_defaultESE_EEEENSA_INSB_IlSD_SE_SE_EEEEZNS1_13binary_searchIS3_S5_PtSG_SI_NS1_21lower_bound_search_opENS9_16wrapped_functionI11custom_lessbEEEE10hipError_tPvRmT1_T2_T3_mmT4_T5_P12ihipStream_tbEUlRKtE_EESP_ST_SU_mSV_SY_bEUlT_E_NS1_11comp_targetILNS1_3genE0ELNS1_11target_archE4294967295ELNS1_3gpuE0ELNS1_3repE0EEENS1_30default_config_static_selectorELNS0_4arch9wavefront6targetE0EEEvSS_.num_vgpr, 0
	.set _ZN7rocprim17ROCPRIM_400000_NS6detail17trampoline_kernelINS0_14default_configENS1_27lower_bound_config_selectorItlEEZNS1_14transform_implILb0ES3_S5_N6thrust23THRUST_200600_302600_NS6detail15normal_iteratorINS8_7pointerItNS8_11hip_rocprim5par_tENS8_11use_defaultESE_EEEENSA_INSB_IlSD_SE_SE_EEEEZNS1_13binary_searchIS3_S5_PtSG_SI_NS1_21lower_bound_search_opENS9_16wrapped_functionI11custom_lessbEEEE10hipError_tPvRmT1_T2_T3_mmT4_T5_P12ihipStream_tbEUlRKtE_EESP_ST_SU_mSV_SY_bEUlT_E_NS1_11comp_targetILNS1_3genE0ELNS1_11target_archE4294967295ELNS1_3gpuE0ELNS1_3repE0EEENS1_30default_config_static_selectorELNS0_4arch9wavefront6targetE0EEEvSS_.num_agpr, 0
	.set _ZN7rocprim17ROCPRIM_400000_NS6detail17trampoline_kernelINS0_14default_configENS1_27lower_bound_config_selectorItlEEZNS1_14transform_implILb0ES3_S5_N6thrust23THRUST_200600_302600_NS6detail15normal_iteratorINS8_7pointerItNS8_11hip_rocprim5par_tENS8_11use_defaultESE_EEEENSA_INSB_IlSD_SE_SE_EEEEZNS1_13binary_searchIS3_S5_PtSG_SI_NS1_21lower_bound_search_opENS9_16wrapped_functionI11custom_lessbEEEE10hipError_tPvRmT1_T2_T3_mmT4_T5_P12ihipStream_tbEUlRKtE_EESP_ST_SU_mSV_SY_bEUlT_E_NS1_11comp_targetILNS1_3genE0ELNS1_11target_archE4294967295ELNS1_3gpuE0ELNS1_3repE0EEENS1_30default_config_static_selectorELNS0_4arch9wavefront6targetE0EEEvSS_.numbered_sgpr, 0
	.set _ZN7rocprim17ROCPRIM_400000_NS6detail17trampoline_kernelINS0_14default_configENS1_27lower_bound_config_selectorItlEEZNS1_14transform_implILb0ES3_S5_N6thrust23THRUST_200600_302600_NS6detail15normal_iteratorINS8_7pointerItNS8_11hip_rocprim5par_tENS8_11use_defaultESE_EEEENSA_INSB_IlSD_SE_SE_EEEEZNS1_13binary_searchIS3_S5_PtSG_SI_NS1_21lower_bound_search_opENS9_16wrapped_functionI11custom_lessbEEEE10hipError_tPvRmT1_T2_T3_mmT4_T5_P12ihipStream_tbEUlRKtE_EESP_ST_SU_mSV_SY_bEUlT_E_NS1_11comp_targetILNS1_3genE0ELNS1_11target_archE4294967295ELNS1_3gpuE0ELNS1_3repE0EEENS1_30default_config_static_selectorELNS0_4arch9wavefront6targetE0EEEvSS_.num_named_barrier, 0
	.set _ZN7rocprim17ROCPRIM_400000_NS6detail17trampoline_kernelINS0_14default_configENS1_27lower_bound_config_selectorItlEEZNS1_14transform_implILb0ES3_S5_N6thrust23THRUST_200600_302600_NS6detail15normal_iteratorINS8_7pointerItNS8_11hip_rocprim5par_tENS8_11use_defaultESE_EEEENSA_INSB_IlSD_SE_SE_EEEEZNS1_13binary_searchIS3_S5_PtSG_SI_NS1_21lower_bound_search_opENS9_16wrapped_functionI11custom_lessbEEEE10hipError_tPvRmT1_T2_T3_mmT4_T5_P12ihipStream_tbEUlRKtE_EESP_ST_SU_mSV_SY_bEUlT_E_NS1_11comp_targetILNS1_3genE0ELNS1_11target_archE4294967295ELNS1_3gpuE0ELNS1_3repE0EEENS1_30default_config_static_selectorELNS0_4arch9wavefront6targetE0EEEvSS_.private_seg_size, 0
	.set _ZN7rocprim17ROCPRIM_400000_NS6detail17trampoline_kernelINS0_14default_configENS1_27lower_bound_config_selectorItlEEZNS1_14transform_implILb0ES3_S5_N6thrust23THRUST_200600_302600_NS6detail15normal_iteratorINS8_7pointerItNS8_11hip_rocprim5par_tENS8_11use_defaultESE_EEEENSA_INSB_IlSD_SE_SE_EEEEZNS1_13binary_searchIS3_S5_PtSG_SI_NS1_21lower_bound_search_opENS9_16wrapped_functionI11custom_lessbEEEE10hipError_tPvRmT1_T2_T3_mmT4_T5_P12ihipStream_tbEUlRKtE_EESP_ST_SU_mSV_SY_bEUlT_E_NS1_11comp_targetILNS1_3genE0ELNS1_11target_archE4294967295ELNS1_3gpuE0ELNS1_3repE0EEENS1_30default_config_static_selectorELNS0_4arch9wavefront6targetE0EEEvSS_.uses_vcc, 0
	.set _ZN7rocprim17ROCPRIM_400000_NS6detail17trampoline_kernelINS0_14default_configENS1_27lower_bound_config_selectorItlEEZNS1_14transform_implILb0ES3_S5_N6thrust23THRUST_200600_302600_NS6detail15normal_iteratorINS8_7pointerItNS8_11hip_rocprim5par_tENS8_11use_defaultESE_EEEENSA_INSB_IlSD_SE_SE_EEEEZNS1_13binary_searchIS3_S5_PtSG_SI_NS1_21lower_bound_search_opENS9_16wrapped_functionI11custom_lessbEEEE10hipError_tPvRmT1_T2_T3_mmT4_T5_P12ihipStream_tbEUlRKtE_EESP_ST_SU_mSV_SY_bEUlT_E_NS1_11comp_targetILNS1_3genE0ELNS1_11target_archE4294967295ELNS1_3gpuE0ELNS1_3repE0EEENS1_30default_config_static_selectorELNS0_4arch9wavefront6targetE0EEEvSS_.uses_flat_scratch, 0
	.set _ZN7rocprim17ROCPRIM_400000_NS6detail17trampoline_kernelINS0_14default_configENS1_27lower_bound_config_selectorItlEEZNS1_14transform_implILb0ES3_S5_N6thrust23THRUST_200600_302600_NS6detail15normal_iteratorINS8_7pointerItNS8_11hip_rocprim5par_tENS8_11use_defaultESE_EEEENSA_INSB_IlSD_SE_SE_EEEEZNS1_13binary_searchIS3_S5_PtSG_SI_NS1_21lower_bound_search_opENS9_16wrapped_functionI11custom_lessbEEEE10hipError_tPvRmT1_T2_T3_mmT4_T5_P12ihipStream_tbEUlRKtE_EESP_ST_SU_mSV_SY_bEUlT_E_NS1_11comp_targetILNS1_3genE0ELNS1_11target_archE4294967295ELNS1_3gpuE0ELNS1_3repE0EEENS1_30default_config_static_selectorELNS0_4arch9wavefront6targetE0EEEvSS_.has_dyn_sized_stack, 0
	.set _ZN7rocprim17ROCPRIM_400000_NS6detail17trampoline_kernelINS0_14default_configENS1_27lower_bound_config_selectorItlEEZNS1_14transform_implILb0ES3_S5_N6thrust23THRUST_200600_302600_NS6detail15normal_iteratorINS8_7pointerItNS8_11hip_rocprim5par_tENS8_11use_defaultESE_EEEENSA_INSB_IlSD_SE_SE_EEEEZNS1_13binary_searchIS3_S5_PtSG_SI_NS1_21lower_bound_search_opENS9_16wrapped_functionI11custom_lessbEEEE10hipError_tPvRmT1_T2_T3_mmT4_T5_P12ihipStream_tbEUlRKtE_EESP_ST_SU_mSV_SY_bEUlT_E_NS1_11comp_targetILNS1_3genE0ELNS1_11target_archE4294967295ELNS1_3gpuE0ELNS1_3repE0EEENS1_30default_config_static_selectorELNS0_4arch9wavefront6targetE0EEEvSS_.has_recursion, 0
	.set _ZN7rocprim17ROCPRIM_400000_NS6detail17trampoline_kernelINS0_14default_configENS1_27lower_bound_config_selectorItlEEZNS1_14transform_implILb0ES3_S5_N6thrust23THRUST_200600_302600_NS6detail15normal_iteratorINS8_7pointerItNS8_11hip_rocprim5par_tENS8_11use_defaultESE_EEEENSA_INSB_IlSD_SE_SE_EEEEZNS1_13binary_searchIS3_S5_PtSG_SI_NS1_21lower_bound_search_opENS9_16wrapped_functionI11custom_lessbEEEE10hipError_tPvRmT1_T2_T3_mmT4_T5_P12ihipStream_tbEUlRKtE_EESP_ST_SU_mSV_SY_bEUlT_E_NS1_11comp_targetILNS1_3genE0ELNS1_11target_archE4294967295ELNS1_3gpuE0ELNS1_3repE0EEENS1_30default_config_static_selectorELNS0_4arch9wavefront6targetE0EEEvSS_.has_indirect_call, 0
	.section	.AMDGPU.csdata,"",@progbits
; Kernel info:
; codeLenInByte = 0
; TotalNumSgprs: 0
; NumVgprs: 0
; ScratchSize: 0
; MemoryBound: 0
; FloatMode: 240
; IeeeMode: 1
; LDSByteSize: 0 bytes/workgroup (compile time only)
; SGPRBlocks: 0
; VGPRBlocks: 0
; NumSGPRsForWavesPerEU: 1
; NumVGPRsForWavesPerEU: 1
; Occupancy: 16
; WaveLimiterHint : 0
; COMPUTE_PGM_RSRC2:SCRATCH_EN: 0
; COMPUTE_PGM_RSRC2:USER_SGPR: 6
; COMPUTE_PGM_RSRC2:TRAP_HANDLER: 0
; COMPUTE_PGM_RSRC2:TGID_X_EN: 1
; COMPUTE_PGM_RSRC2:TGID_Y_EN: 0
; COMPUTE_PGM_RSRC2:TGID_Z_EN: 0
; COMPUTE_PGM_RSRC2:TIDIG_COMP_CNT: 0
	.section	.text._ZN7rocprim17ROCPRIM_400000_NS6detail17trampoline_kernelINS0_14default_configENS1_27lower_bound_config_selectorItlEEZNS1_14transform_implILb0ES3_S5_N6thrust23THRUST_200600_302600_NS6detail15normal_iteratorINS8_7pointerItNS8_11hip_rocprim5par_tENS8_11use_defaultESE_EEEENSA_INSB_IlSD_SE_SE_EEEEZNS1_13binary_searchIS3_S5_PtSG_SI_NS1_21lower_bound_search_opENS9_16wrapped_functionI11custom_lessbEEEE10hipError_tPvRmT1_T2_T3_mmT4_T5_P12ihipStream_tbEUlRKtE_EESP_ST_SU_mSV_SY_bEUlT_E_NS1_11comp_targetILNS1_3genE5ELNS1_11target_archE942ELNS1_3gpuE9ELNS1_3repE0EEENS1_30default_config_static_selectorELNS0_4arch9wavefront6targetE0EEEvSS_,"axG",@progbits,_ZN7rocprim17ROCPRIM_400000_NS6detail17trampoline_kernelINS0_14default_configENS1_27lower_bound_config_selectorItlEEZNS1_14transform_implILb0ES3_S5_N6thrust23THRUST_200600_302600_NS6detail15normal_iteratorINS8_7pointerItNS8_11hip_rocprim5par_tENS8_11use_defaultESE_EEEENSA_INSB_IlSD_SE_SE_EEEEZNS1_13binary_searchIS3_S5_PtSG_SI_NS1_21lower_bound_search_opENS9_16wrapped_functionI11custom_lessbEEEE10hipError_tPvRmT1_T2_T3_mmT4_T5_P12ihipStream_tbEUlRKtE_EESP_ST_SU_mSV_SY_bEUlT_E_NS1_11comp_targetILNS1_3genE5ELNS1_11target_archE942ELNS1_3gpuE9ELNS1_3repE0EEENS1_30default_config_static_selectorELNS0_4arch9wavefront6targetE0EEEvSS_,comdat
	.protected	_ZN7rocprim17ROCPRIM_400000_NS6detail17trampoline_kernelINS0_14default_configENS1_27lower_bound_config_selectorItlEEZNS1_14transform_implILb0ES3_S5_N6thrust23THRUST_200600_302600_NS6detail15normal_iteratorINS8_7pointerItNS8_11hip_rocprim5par_tENS8_11use_defaultESE_EEEENSA_INSB_IlSD_SE_SE_EEEEZNS1_13binary_searchIS3_S5_PtSG_SI_NS1_21lower_bound_search_opENS9_16wrapped_functionI11custom_lessbEEEE10hipError_tPvRmT1_T2_T3_mmT4_T5_P12ihipStream_tbEUlRKtE_EESP_ST_SU_mSV_SY_bEUlT_E_NS1_11comp_targetILNS1_3genE5ELNS1_11target_archE942ELNS1_3gpuE9ELNS1_3repE0EEENS1_30default_config_static_selectorELNS0_4arch9wavefront6targetE0EEEvSS_ ; -- Begin function _ZN7rocprim17ROCPRIM_400000_NS6detail17trampoline_kernelINS0_14default_configENS1_27lower_bound_config_selectorItlEEZNS1_14transform_implILb0ES3_S5_N6thrust23THRUST_200600_302600_NS6detail15normal_iteratorINS8_7pointerItNS8_11hip_rocprim5par_tENS8_11use_defaultESE_EEEENSA_INSB_IlSD_SE_SE_EEEEZNS1_13binary_searchIS3_S5_PtSG_SI_NS1_21lower_bound_search_opENS9_16wrapped_functionI11custom_lessbEEEE10hipError_tPvRmT1_T2_T3_mmT4_T5_P12ihipStream_tbEUlRKtE_EESP_ST_SU_mSV_SY_bEUlT_E_NS1_11comp_targetILNS1_3genE5ELNS1_11target_archE942ELNS1_3gpuE9ELNS1_3repE0EEENS1_30default_config_static_selectorELNS0_4arch9wavefront6targetE0EEEvSS_
	.globl	_ZN7rocprim17ROCPRIM_400000_NS6detail17trampoline_kernelINS0_14default_configENS1_27lower_bound_config_selectorItlEEZNS1_14transform_implILb0ES3_S5_N6thrust23THRUST_200600_302600_NS6detail15normal_iteratorINS8_7pointerItNS8_11hip_rocprim5par_tENS8_11use_defaultESE_EEEENSA_INSB_IlSD_SE_SE_EEEEZNS1_13binary_searchIS3_S5_PtSG_SI_NS1_21lower_bound_search_opENS9_16wrapped_functionI11custom_lessbEEEE10hipError_tPvRmT1_T2_T3_mmT4_T5_P12ihipStream_tbEUlRKtE_EESP_ST_SU_mSV_SY_bEUlT_E_NS1_11comp_targetILNS1_3genE5ELNS1_11target_archE942ELNS1_3gpuE9ELNS1_3repE0EEENS1_30default_config_static_selectorELNS0_4arch9wavefront6targetE0EEEvSS_
	.p2align	8
	.type	_ZN7rocprim17ROCPRIM_400000_NS6detail17trampoline_kernelINS0_14default_configENS1_27lower_bound_config_selectorItlEEZNS1_14transform_implILb0ES3_S5_N6thrust23THRUST_200600_302600_NS6detail15normal_iteratorINS8_7pointerItNS8_11hip_rocprim5par_tENS8_11use_defaultESE_EEEENSA_INSB_IlSD_SE_SE_EEEEZNS1_13binary_searchIS3_S5_PtSG_SI_NS1_21lower_bound_search_opENS9_16wrapped_functionI11custom_lessbEEEE10hipError_tPvRmT1_T2_T3_mmT4_T5_P12ihipStream_tbEUlRKtE_EESP_ST_SU_mSV_SY_bEUlT_E_NS1_11comp_targetILNS1_3genE5ELNS1_11target_archE942ELNS1_3gpuE9ELNS1_3repE0EEENS1_30default_config_static_selectorELNS0_4arch9wavefront6targetE0EEEvSS_,@function
_ZN7rocprim17ROCPRIM_400000_NS6detail17trampoline_kernelINS0_14default_configENS1_27lower_bound_config_selectorItlEEZNS1_14transform_implILb0ES3_S5_N6thrust23THRUST_200600_302600_NS6detail15normal_iteratorINS8_7pointerItNS8_11hip_rocprim5par_tENS8_11use_defaultESE_EEEENSA_INSB_IlSD_SE_SE_EEEEZNS1_13binary_searchIS3_S5_PtSG_SI_NS1_21lower_bound_search_opENS9_16wrapped_functionI11custom_lessbEEEE10hipError_tPvRmT1_T2_T3_mmT4_T5_P12ihipStream_tbEUlRKtE_EESP_ST_SU_mSV_SY_bEUlT_E_NS1_11comp_targetILNS1_3genE5ELNS1_11target_archE942ELNS1_3gpuE9ELNS1_3repE0EEENS1_30default_config_static_selectorELNS0_4arch9wavefront6targetE0EEEvSS_: ; @_ZN7rocprim17ROCPRIM_400000_NS6detail17trampoline_kernelINS0_14default_configENS1_27lower_bound_config_selectorItlEEZNS1_14transform_implILb0ES3_S5_N6thrust23THRUST_200600_302600_NS6detail15normal_iteratorINS8_7pointerItNS8_11hip_rocprim5par_tENS8_11use_defaultESE_EEEENSA_INSB_IlSD_SE_SE_EEEEZNS1_13binary_searchIS3_S5_PtSG_SI_NS1_21lower_bound_search_opENS9_16wrapped_functionI11custom_lessbEEEE10hipError_tPvRmT1_T2_T3_mmT4_T5_P12ihipStream_tbEUlRKtE_EESP_ST_SU_mSV_SY_bEUlT_E_NS1_11comp_targetILNS1_3genE5ELNS1_11target_archE942ELNS1_3gpuE9ELNS1_3repE0EEENS1_30default_config_static_selectorELNS0_4arch9wavefront6targetE0EEEvSS_
; %bb.0:
	.section	.rodata,"a",@progbits
	.p2align	6, 0x0
	.amdhsa_kernel _ZN7rocprim17ROCPRIM_400000_NS6detail17trampoline_kernelINS0_14default_configENS1_27lower_bound_config_selectorItlEEZNS1_14transform_implILb0ES3_S5_N6thrust23THRUST_200600_302600_NS6detail15normal_iteratorINS8_7pointerItNS8_11hip_rocprim5par_tENS8_11use_defaultESE_EEEENSA_INSB_IlSD_SE_SE_EEEEZNS1_13binary_searchIS3_S5_PtSG_SI_NS1_21lower_bound_search_opENS9_16wrapped_functionI11custom_lessbEEEE10hipError_tPvRmT1_T2_T3_mmT4_T5_P12ihipStream_tbEUlRKtE_EESP_ST_SU_mSV_SY_bEUlT_E_NS1_11comp_targetILNS1_3genE5ELNS1_11target_archE942ELNS1_3gpuE9ELNS1_3repE0EEENS1_30default_config_static_selectorELNS0_4arch9wavefront6targetE0EEEvSS_
		.amdhsa_group_segment_fixed_size 0
		.amdhsa_private_segment_fixed_size 0
		.amdhsa_kernarg_size 56
		.amdhsa_user_sgpr_count 6
		.amdhsa_user_sgpr_private_segment_buffer 1
		.amdhsa_user_sgpr_dispatch_ptr 0
		.amdhsa_user_sgpr_queue_ptr 0
		.amdhsa_user_sgpr_kernarg_segment_ptr 1
		.amdhsa_user_sgpr_dispatch_id 0
		.amdhsa_user_sgpr_flat_scratch_init 0
		.amdhsa_user_sgpr_private_segment_size 0
		.amdhsa_wavefront_size32 1
		.amdhsa_uses_dynamic_stack 0
		.amdhsa_system_sgpr_private_segment_wavefront_offset 0
		.amdhsa_system_sgpr_workgroup_id_x 1
		.amdhsa_system_sgpr_workgroup_id_y 0
		.amdhsa_system_sgpr_workgroup_id_z 0
		.amdhsa_system_sgpr_workgroup_info 0
		.amdhsa_system_vgpr_workitem_id 0
		.amdhsa_next_free_vgpr 1
		.amdhsa_next_free_sgpr 1
		.amdhsa_reserve_vcc 0
		.amdhsa_reserve_flat_scratch 0
		.amdhsa_float_round_mode_32 0
		.amdhsa_float_round_mode_16_64 0
		.amdhsa_float_denorm_mode_32 3
		.amdhsa_float_denorm_mode_16_64 3
		.amdhsa_dx10_clamp 1
		.amdhsa_ieee_mode 1
		.amdhsa_fp16_overflow 0
		.amdhsa_workgroup_processor_mode 1
		.amdhsa_memory_ordered 1
		.amdhsa_forward_progress 1
		.amdhsa_shared_vgpr_count 0
		.amdhsa_exception_fp_ieee_invalid_op 0
		.amdhsa_exception_fp_denorm_src 0
		.amdhsa_exception_fp_ieee_div_zero 0
		.amdhsa_exception_fp_ieee_overflow 0
		.amdhsa_exception_fp_ieee_underflow 0
		.amdhsa_exception_fp_ieee_inexact 0
		.amdhsa_exception_int_div_zero 0
	.end_amdhsa_kernel
	.section	.text._ZN7rocprim17ROCPRIM_400000_NS6detail17trampoline_kernelINS0_14default_configENS1_27lower_bound_config_selectorItlEEZNS1_14transform_implILb0ES3_S5_N6thrust23THRUST_200600_302600_NS6detail15normal_iteratorINS8_7pointerItNS8_11hip_rocprim5par_tENS8_11use_defaultESE_EEEENSA_INSB_IlSD_SE_SE_EEEEZNS1_13binary_searchIS3_S5_PtSG_SI_NS1_21lower_bound_search_opENS9_16wrapped_functionI11custom_lessbEEEE10hipError_tPvRmT1_T2_T3_mmT4_T5_P12ihipStream_tbEUlRKtE_EESP_ST_SU_mSV_SY_bEUlT_E_NS1_11comp_targetILNS1_3genE5ELNS1_11target_archE942ELNS1_3gpuE9ELNS1_3repE0EEENS1_30default_config_static_selectorELNS0_4arch9wavefront6targetE0EEEvSS_,"axG",@progbits,_ZN7rocprim17ROCPRIM_400000_NS6detail17trampoline_kernelINS0_14default_configENS1_27lower_bound_config_selectorItlEEZNS1_14transform_implILb0ES3_S5_N6thrust23THRUST_200600_302600_NS6detail15normal_iteratorINS8_7pointerItNS8_11hip_rocprim5par_tENS8_11use_defaultESE_EEEENSA_INSB_IlSD_SE_SE_EEEEZNS1_13binary_searchIS3_S5_PtSG_SI_NS1_21lower_bound_search_opENS9_16wrapped_functionI11custom_lessbEEEE10hipError_tPvRmT1_T2_T3_mmT4_T5_P12ihipStream_tbEUlRKtE_EESP_ST_SU_mSV_SY_bEUlT_E_NS1_11comp_targetILNS1_3genE5ELNS1_11target_archE942ELNS1_3gpuE9ELNS1_3repE0EEENS1_30default_config_static_selectorELNS0_4arch9wavefront6targetE0EEEvSS_,comdat
.Lfunc_end85:
	.size	_ZN7rocprim17ROCPRIM_400000_NS6detail17trampoline_kernelINS0_14default_configENS1_27lower_bound_config_selectorItlEEZNS1_14transform_implILb0ES3_S5_N6thrust23THRUST_200600_302600_NS6detail15normal_iteratorINS8_7pointerItNS8_11hip_rocprim5par_tENS8_11use_defaultESE_EEEENSA_INSB_IlSD_SE_SE_EEEEZNS1_13binary_searchIS3_S5_PtSG_SI_NS1_21lower_bound_search_opENS9_16wrapped_functionI11custom_lessbEEEE10hipError_tPvRmT1_T2_T3_mmT4_T5_P12ihipStream_tbEUlRKtE_EESP_ST_SU_mSV_SY_bEUlT_E_NS1_11comp_targetILNS1_3genE5ELNS1_11target_archE942ELNS1_3gpuE9ELNS1_3repE0EEENS1_30default_config_static_selectorELNS0_4arch9wavefront6targetE0EEEvSS_, .Lfunc_end85-_ZN7rocprim17ROCPRIM_400000_NS6detail17trampoline_kernelINS0_14default_configENS1_27lower_bound_config_selectorItlEEZNS1_14transform_implILb0ES3_S5_N6thrust23THRUST_200600_302600_NS6detail15normal_iteratorINS8_7pointerItNS8_11hip_rocprim5par_tENS8_11use_defaultESE_EEEENSA_INSB_IlSD_SE_SE_EEEEZNS1_13binary_searchIS3_S5_PtSG_SI_NS1_21lower_bound_search_opENS9_16wrapped_functionI11custom_lessbEEEE10hipError_tPvRmT1_T2_T3_mmT4_T5_P12ihipStream_tbEUlRKtE_EESP_ST_SU_mSV_SY_bEUlT_E_NS1_11comp_targetILNS1_3genE5ELNS1_11target_archE942ELNS1_3gpuE9ELNS1_3repE0EEENS1_30default_config_static_selectorELNS0_4arch9wavefront6targetE0EEEvSS_
                                        ; -- End function
	.set _ZN7rocprim17ROCPRIM_400000_NS6detail17trampoline_kernelINS0_14default_configENS1_27lower_bound_config_selectorItlEEZNS1_14transform_implILb0ES3_S5_N6thrust23THRUST_200600_302600_NS6detail15normal_iteratorINS8_7pointerItNS8_11hip_rocprim5par_tENS8_11use_defaultESE_EEEENSA_INSB_IlSD_SE_SE_EEEEZNS1_13binary_searchIS3_S5_PtSG_SI_NS1_21lower_bound_search_opENS9_16wrapped_functionI11custom_lessbEEEE10hipError_tPvRmT1_T2_T3_mmT4_T5_P12ihipStream_tbEUlRKtE_EESP_ST_SU_mSV_SY_bEUlT_E_NS1_11comp_targetILNS1_3genE5ELNS1_11target_archE942ELNS1_3gpuE9ELNS1_3repE0EEENS1_30default_config_static_selectorELNS0_4arch9wavefront6targetE0EEEvSS_.num_vgpr, 0
	.set _ZN7rocprim17ROCPRIM_400000_NS6detail17trampoline_kernelINS0_14default_configENS1_27lower_bound_config_selectorItlEEZNS1_14transform_implILb0ES3_S5_N6thrust23THRUST_200600_302600_NS6detail15normal_iteratorINS8_7pointerItNS8_11hip_rocprim5par_tENS8_11use_defaultESE_EEEENSA_INSB_IlSD_SE_SE_EEEEZNS1_13binary_searchIS3_S5_PtSG_SI_NS1_21lower_bound_search_opENS9_16wrapped_functionI11custom_lessbEEEE10hipError_tPvRmT1_T2_T3_mmT4_T5_P12ihipStream_tbEUlRKtE_EESP_ST_SU_mSV_SY_bEUlT_E_NS1_11comp_targetILNS1_3genE5ELNS1_11target_archE942ELNS1_3gpuE9ELNS1_3repE0EEENS1_30default_config_static_selectorELNS0_4arch9wavefront6targetE0EEEvSS_.num_agpr, 0
	.set _ZN7rocprim17ROCPRIM_400000_NS6detail17trampoline_kernelINS0_14default_configENS1_27lower_bound_config_selectorItlEEZNS1_14transform_implILb0ES3_S5_N6thrust23THRUST_200600_302600_NS6detail15normal_iteratorINS8_7pointerItNS8_11hip_rocprim5par_tENS8_11use_defaultESE_EEEENSA_INSB_IlSD_SE_SE_EEEEZNS1_13binary_searchIS3_S5_PtSG_SI_NS1_21lower_bound_search_opENS9_16wrapped_functionI11custom_lessbEEEE10hipError_tPvRmT1_T2_T3_mmT4_T5_P12ihipStream_tbEUlRKtE_EESP_ST_SU_mSV_SY_bEUlT_E_NS1_11comp_targetILNS1_3genE5ELNS1_11target_archE942ELNS1_3gpuE9ELNS1_3repE0EEENS1_30default_config_static_selectorELNS0_4arch9wavefront6targetE0EEEvSS_.numbered_sgpr, 0
	.set _ZN7rocprim17ROCPRIM_400000_NS6detail17trampoline_kernelINS0_14default_configENS1_27lower_bound_config_selectorItlEEZNS1_14transform_implILb0ES3_S5_N6thrust23THRUST_200600_302600_NS6detail15normal_iteratorINS8_7pointerItNS8_11hip_rocprim5par_tENS8_11use_defaultESE_EEEENSA_INSB_IlSD_SE_SE_EEEEZNS1_13binary_searchIS3_S5_PtSG_SI_NS1_21lower_bound_search_opENS9_16wrapped_functionI11custom_lessbEEEE10hipError_tPvRmT1_T2_T3_mmT4_T5_P12ihipStream_tbEUlRKtE_EESP_ST_SU_mSV_SY_bEUlT_E_NS1_11comp_targetILNS1_3genE5ELNS1_11target_archE942ELNS1_3gpuE9ELNS1_3repE0EEENS1_30default_config_static_selectorELNS0_4arch9wavefront6targetE0EEEvSS_.num_named_barrier, 0
	.set _ZN7rocprim17ROCPRIM_400000_NS6detail17trampoline_kernelINS0_14default_configENS1_27lower_bound_config_selectorItlEEZNS1_14transform_implILb0ES3_S5_N6thrust23THRUST_200600_302600_NS6detail15normal_iteratorINS8_7pointerItNS8_11hip_rocprim5par_tENS8_11use_defaultESE_EEEENSA_INSB_IlSD_SE_SE_EEEEZNS1_13binary_searchIS3_S5_PtSG_SI_NS1_21lower_bound_search_opENS9_16wrapped_functionI11custom_lessbEEEE10hipError_tPvRmT1_T2_T3_mmT4_T5_P12ihipStream_tbEUlRKtE_EESP_ST_SU_mSV_SY_bEUlT_E_NS1_11comp_targetILNS1_3genE5ELNS1_11target_archE942ELNS1_3gpuE9ELNS1_3repE0EEENS1_30default_config_static_selectorELNS0_4arch9wavefront6targetE0EEEvSS_.private_seg_size, 0
	.set _ZN7rocprim17ROCPRIM_400000_NS6detail17trampoline_kernelINS0_14default_configENS1_27lower_bound_config_selectorItlEEZNS1_14transform_implILb0ES3_S5_N6thrust23THRUST_200600_302600_NS6detail15normal_iteratorINS8_7pointerItNS8_11hip_rocprim5par_tENS8_11use_defaultESE_EEEENSA_INSB_IlSD_SE_SE_EEEEZNS1_13binary_searchIS3_S5_PtSG_SI_NS1_21lower_bound_search_opENS9_16wrapped_functionI11custom_lessbEEEE10hipError_tPvRmT1_T2_T3_mmT4_T5_P12ihipStream_tbEUlRKtE_EESP_ST_SU_mSV_SY_bEUlT_E_NS1_11comp_targetILNS1_3genE5ELNS1_11target_archE942ELNS1_3gpuE9ELNS1_3repE0EEENS1_30default_config_static_selectorELNS0_4arch9wavefront6targetE0EEEvSS_.uses_vcc, 0
	.set _ZN7rocprim17ROCPRIM_400000_NS6detail17trampoline_kernelINS0_14default_configENS1_27lower_bound_config_selectorItlEEZNS1_14transform_implILb0ES3_S5_N6thrust23THRUST_200600_302600_NS6detail15normal_iteratorINS8_7pointerItNS8_11hip_rocprim5par_tENS8_11use_defaultESE_EEEENSA_INSB_IlSD_SE_SE_EEEEZNS1_13binary_searchIS3_S5_PtSG_SI_NS1_21lower_bound_search_opENS9_16wrapped_functionI11custom_lessbEEEE10hipError_tPvRmT1_T2_T3_mmT4_T5_P12ihipStream_tbEUlRKtE_EESP_ST_SU_mSV_SY_bEUlT_E_NS1_11comp_targetILNS1_3genE5ELNS1_11target_archE942ELNS1_3gpuE9ELNS1_3repE0EEENS1_30default_config_static_selectorELNS0_4arch9wavefront6targetE0EEEvSS_.uses_flat_scratch, 0
	.set _ZN7rocprim17ROCPRIM_400000_NS6detail17trampoline_kernelINS0_14default_configENS1_27lower_bound_config_selectorItlEEZNS1_14transform_implILb0ES3_S5_N6thrust23THRUST_200600_302600_NS6detail15normal_iteratorINS8_7pointerItNS8_11hip_rocprim5par_tENS8_11use_defaultESE_EEEENSA_INSB_IlSD_SE_SE_EEEEZNS1_13binary_searchIS3_S5_PtSG_SI_NS1_21lower_bound_search_opENS9_16wrapped_functionI11custom_lessbEEEE10hipError_tPvRmT1_T2_T3_mmT4_T5_P12ihipStream_tbEUlRKtE_EESP_ST_SU_mSV_SY_bEUlT_E_NS1_11comp_targetILNS1_3genE5ELNS1_11target_archE942ELNS1_3gpuE9ELNS1_3repE0EEENS1_30default_config_static_selectorELNS0_4arch9wavefront6targetE0EEEvSS_.has_dyn_sized_stack, 0
	.set _ZN7rocprim17ROCPRIM_400000_NS6detail17trampoline_kernelINS0_14default_configENS1_27lower_bound_config_selectorItlEEZNS1_14transform_implILb0ES3_S5_N6thrust23THRUST_200600_302600_NS6detail15normal_iteratorINS8_7pointerItNS8_11hip_rocprim5par_tENS8_11use_defaultESE_EEEENSA_INSB_IlSD_SE_SE_EEEEZNS1_13binary_searchIS3_S5_PtSG_SI_NS1_21lower_bound_search_opENS9_16wrapped_functionI11custom_lessbEEEE10hipError_tPvRmT1_T2_T3_mmT4_T5_P12ihipStream_tbEUlRKtE_EESP_ST_SU_mSV_SY_bEUlT_E_NS1_11comp_targetILNS1_3genE5ELNS1_11target_archE942ELNS1_3gpuE9ELNS1_3repE0EEENS1_30default_config_static_selectorELNS0_4arch9wavefront6targetE0EEEvSS_.has_recursion, 0
	.set _ZN7rocprim17ROCPRIM_400000_NS6detail17trampoline_kernelINS0_14default_configENS1_27lower_bound_config_selectorItlEEZNS1_14transform_implILb0ES3_S5_N6thrust23THRUST_200600_302600_NS6detail15normal_iteratorINS8_7pointerItNS8_11hip_rocprim5par_tENS8_11use_defaultESE_EEEENSA_INSB_IlSD_SE_SE_EEEEZNS1_13binary_searchIS3_S5_PtSG_SI_NS1_21lower_bound_search_opENS9_16wrapped_functionI11custom_lessbEEEE10hipError_tPvRmT1_T2_T3_mmT4_T5_P12ihipStream_tbEUlRKtE_EESP_ST_SU_mSV_SY_bEUlT_E_NS1_11comp_targetILNS1_3genE5ELNS1_11target_archE942ELNS1_3gpuE9ELNS1_3repE0EEENS1_30default_config_static_selectorELNS0_4arch9wavefront6targetE0EEEvSS_.has_indirect_call, 0
	.section	.AMDGPU.csdata,"",@progbits
; Kernel info:
; codeLenInByte = 0
; TotalNumSgprs: 0
; NumVgprs: 0
; ScratchSize: 0
; MemoryBound: 0
; FloatMode: 240
; IeeeMode: 1
; LDSByteSize: 0 bytes/workgroup (compile time only)
; SGPRBlocks: 0
; VGPRBlocks: 0
; NumSGPRsForWavesPerEU: 1
; NumVGPRsForWavesPerEU: 1
; Occupancy: 16
; WaveLimiterHint : 0
; COMPUTE_PGM_RSRC2:SCRATCH_EN: 0
; COMPUTE_PGM_RSRC2:USER_SGPR: 6
; COMPUTE_PGM_RSRC2:TRAP_HANDLER: 0
; COMPUTE_PGM_RSRC2:TGID_X_EN: 1
; COMPUTE_PGM_RSRC2:TGID_Y_EN: 0
; COMPUTE_PGM_RSRC2:TGID_Z_EN: 0
; COMPUTE_PGM_RSRC2:TIDIG_COMP_CNT: 0
	.section	.text._ZN7rocprim17ROCPRIM_400000_NS6detail17trampoline_kernelINS0_14default_configENS1_27lower_bound_config_selectorItlEEZNS1_14transform_implILb0ES3_S5_N6thrust23THRUST_200600_302600_NS6detail15normal_iteratorINS8_7pointerItNS8_11hip_rocprim5par_tENS8_11use_defaultESE_EEEENSA_INSB_IlSD_SE_SE_EEEEZNS1_13binary_searchIS3_S5_PtSG_SI_NS1_21lower_bound_search_opENS9_16wrapped_functionI11custom_lessbEEEE10hipError_tPvRmT1_T2_T3_mmT4_T5_P12ihipStream_tbEUlRKtE_EESP_ST_SU_mSV_SY_bEUlT_E_NS1_11comp_targetILNS1_3genE4ELNS1_11target_archE910ELNS1_3gpuE8ELNS1_3repE0EEENS1_30default_config_static_selectorELNS0_4arch9wavefront6targetE0EEEvSS_,"axG",@progbits,_ZN7rocprim17ROCPRIM_400000_NS6detail17trampoline_kernelINS0_14default_configENS1_27lower_bound_config_selectorItlEEZNS1_14transform_implILb0ES3_S5_N6thrust23THRUST_200600_302600_NS6detail15normal_iteratorINS8_7pointerItNS8_11hip_rocprim5par_tENS8_11use_defaultESE_EEEENSA_INSB_IlSD_SE_SE_EEEEZNS1_13binary_searchIS3_S5_PtSG_SI_NS1_21lower_bound_search_opENS9_16wrapped_functionI11custom_lessbEEEE10hipError_tPvRmT1_T2_T3_mmT4_T5_P12ihipStream_tbEUlRKtE_EESP_ST_SU_mSV_SY_bEUlT_E_NS1_11comp_targetILNS1_3genE4ELNS1_11target_archE910ELNS1_3gpuE8ELNS1_3repE0EEENS1_30default_config_static_selectorELNS0_4arch9wavefront6targetE0EEEvSS_,comdat
	.protected	_ZN7rocprim17ROCPRIM_400000_NS6detail17trampoline_kernelINS0_14default_configENS1_27lower_bound_config_selectorItlEEZNS1_14transform_implILb0ES3_S5_N6thrust23THRUST_200600_302600_NS6detail15normal_iteratorINS8_7pointerItNS8_11hip_rocprim5par_tENS8_11use_defaultESE_EEEENSA_INSB_IlSD_SE_SE_EEEEZNS1_13binary_searchIS3_S5_PtSG_SI_NS1_21lower_bound_search_opENS9_16wrapped_functionI11custom_lessbEEEE10hipError_tPvRmT1_T2_T3_mmT4_T5_P12ihipStream_tbEUlRKtE_EESP_ST_SU_mSV_SY_bEUlT_E_NS1_11comp_targetILNS1_3genE4ELNS1_11target_archE910ELNS1_3gpuE8ELNS1_3repE0EEENS1_30default_config_static_selectorELNS0_4arch9wavefront6targetE0EEEvSS_ ; -- Begin function _ZN7rocprim17ROCPRIM_400000_NS6detail17trampoline_kernelINS0_14default_configENS1_27lower_bound_config_selectorItlEEZNS1_14transform_implILb0ES3_S5_N6thrust23THRUST_200600_302600_NS6detail15normal_iteratorINS8_7pointerItNS8_11hip_rocprim5par_tENS8_11use_defaultESE_EEEENSA_INSB_IlSD_SE_SE_EEEEZNS1_13binary_searchIS3_S5_PtSG_SI_NS1_21lower_bound_search_opENS9_16wrapped_functionI11custom_lessbEEEE10hipError_tPvRmT1_T2_T3_mmT4_T5_P12ihipStream_tbEUlRKtE_EESP_ST_SU_mSV_SY_bEUlT_E_NS1_11comp_targetILNS1_3genE4ELNS1_11target_archE910ELNS1_3gpuE8ELNS1_3repE0EEENS1_30default_config_static_selectorELNS0_4arch9wavefront6targetE0EEEvSS_
	.globl	_ZN7rocprim17ROCPRIM_400000_NS6detail17trampoline_kernelINS0_14default_configENS1_27lower_bound_config_selectorItlEEZNS1_14transform_implILb0ES3_S5_N6thrust23THRUST_200600_302600_NS6detail15normal_iteratorINS8_7pointerItNS8_11hip_rocprim5par_tENS8_11use_defaultESE_EEEENSA_INSB_IlSD_SE_SE_EEEEZNS1_13binary_searchIS3_S5_PtSG_SI_NS1_21lower_bound_search_opENS9_16wrapped_functionI11custom_lessbEEEE10hipError_tPvRmT1_T2_T3_mmT4_T5_P12ihipStream_tbEUlRKtE_EESP_ST_SU_mSV_SY_bEUlT_E_NS1_11comp_targetILNS1_3genE4ELNS1_11target_archE910ELNS1_3gpuE8ELNS1_3repE0EEENS1_30default_config_static_selectorELNS0_4arch9wavefront6targetE0EEEvSS_
	.p2align	8
	.type	_ZN7rocprim17ROCPRIM_400000_NS6detail17trampoline_kernelINS0_14default_configENS1_27lower_bound_config_selectorItlEEZNS1_14transform_implILb0ES3_S5_N6thrust23THRUST_200600_302600_NS6detail15normal_iteratorINS8_7pointerItNS8_11hip_rocprim5par_tENS8_11use_defaultESE_EEEENSA_INSB_IlSD_SE_SE_EEEEZNS1_13binary_searchIS3_S5_PtSG_SI_NS1_21lower_bound_search_opENS9_16wrapped_functionI11custom_lessbEEEE10hipError_tPvRmT1_T2_T3_mmT4_T5_P12ihipStream_tbEUlRKtE_EESP_ST_SU_mSV_SY_bEUlT_E_NS1_11comp_targetILNS1_3genE4ELNS1_11target_archE910ELNS1_3gpuE8ELNS1_3repE0EEENS1_30default_config_static_selectorELNS0_4arch9wavefront6targetE0EEEvSS_,@function
_ZN7rocprim17ROCPRIM_400000_NS6detail17trampoline_kernelINS0_14default_configENS1_27lower_bound_config_selectorItlEEZNS1_14transform_implILb0ES3_S5_N6thrust23THRUST_200600_302600_NS6detail15normal_iteratorINS8_7pointerItNS8_11hip_rocprim5par_tENS8_11use_defaultESE_EEEENSA_INSB_IlSD_SE_SE_EEEEZNS1_13binary_searchIS3_S5_PtSG_SI_NS1_21lower_bound_search_opENS9_16wrapped_functionI11custom_lessbEEEE10hipError_tPvRmT1_T2_T3_mmT4_T5_P12ihipStream_tbEUlRKtE_EESP_ST_SU_mSV_SY_bEUlT_E_NS1_11comp_targetILNS1_3genE4ELNS1_11target_archE910ELNS1_3gpuE8ELNS1_3repE0EEENS1_30default_config_static_selectorELNS0_4arch9wavefront6targetE0EEEvSS_: ; @_ZN7rocprim17ROCPRIM_400000_NS6detail17trampoline_kernelINS0_14default_configENS1_27lower_bound_config_selectorItlEEZNS1_14transform_implILb0ES3_S5_N6thrust23THRUST_200600_302600_NS6detail15normal_iteratorINS8_7pointerItNS8_11hip_rocprim5par_tENS8_11use_defaultESE_EEEENSA_INSB_IlSD_SE_SE_EEEEZNS1_13binary_searchIS3_S5_PtSG_SI_NS1_21lower_bound_search_opENS9_16wrapped_functionI11custom_lessbEEEE10hipError_tPvRmT1_T2_T3_mmT4_T5_P12ihipStream_tbEUlRKtE_EESP_ST_SU_mSV_SY_bEUlT_E_NS1_11comp_targetILNS1_3genE4ELNS1_11target_archE910ELNS1_3gpuE8ELNS1_3repE0EEENS1_30default_config_static_selectorELNS0_4arch9wavefront6targetE0EEEvSS_
; %bb.0:
	.section	.rodata,"a",@progbits
	.p2align	6, 0x0
	.amdhsa_kernel _ZN7rocprim17ROCPRIM_400000_NS6detail17trampoline_kernelINS0_14default_configENS1_27lower_bound_config_selectorItlEEZNS1_14transform_implILb0ES3_S5_N6thrust23THRUST_200600_302600_NS6detail15normal_iteratorINS8_7pointerItNS8_11hip_rocprim5par_tENS8_11use_defaultESE_EEEENSA_INSB_IlSD_SE_SE_EEEEZNS1_13binary_searchIS3_S5_PtSG_SI_NS1_21lower_bound_search_opENS9_16wrapped_functionI11custom_lessbEEEE10hipError_tPvRmT1_T2_T3_mmT4_T5_P12ihipStream_tbEUlRKtE_EESP_ST_SU_mSV_SY_bEUlT_E_NS1_11comp_targetILNS1_3genE4ELNS1_11target_archE910ELNS1_3gpuE8ELNS1_3repE0EEENS1_30default_config_static_selectorELNS0_4arch9wavefront6targetE0EEEvSS_
		.amdhsa_group_segment_fixed_size 0
		.amdhsa_private_segment_fixed_size 0
		.amdhsa_kernarg_size 56
		.amdhsa_user_sgpr_count 6
		.amdhsa_user_sgpr_private_segment_buffer 1
		.amdhsa_user_sgpr_dispatch_ptr 0
		.amdhsa_user_sgpr_queue_ptr 0
		.amdhsa_user_sgpr_kernarg_segment_ptr 1
		.amdhsa_user_sgpr_dispatch_id 0
		.amdhsa_user_sgpr_flat_scratch_init 0
		.amdhsa_user_sgpr_private_segment_size 0
		.amdhsa_wavefront_size32 1
		.amdhsa_uses_dynamic_stack 0
		.amdhsa_system_sgpr_private_segment_wavefront_offset 0
		.amdhsa_system_sgpr_workgroup_id_x 1
		.amdhsa_system_sgpr_workgroup_id_y 0
		.amdhsa_system_sgpr_workgroup_id_z 0
		.amdhsa_system_sgpr_workgroup_info 0
		.amdhsa_system_vgpr_workitem_id 0
		.amdhsa_next_free_vgpr 1
		.amdhsa_next_free_sgpr 1
		.amdhsa_reserve_vcc 0
		.amdhsa_reserve_flat_scratch 0
		.amdhsa_float_round_mode_32 0
		.amdhsa_float_round_mode_16_64 0
		.amdhsa_float_denorm_mode_32 3
		.amdhsa_float_denorm_mode_16_64 3
		.amdhsa_dx10_clamp 1
		.amdhsa_ieee_mode 1
		.amdhsa_fp16_overflow 0
		.amdhsa_workgroup_processor_mode 1
		.amdhsa_memory_ordered 1
		.amdhsa_forward_progress 1
		.amdhsa_shared_vgpr_count 0
		.amdhsa_exception_fp_ieee_invalid_op 0
		.amdhsa_exception_fp_denorm_src 0
		.amdhsa_exception_fp_ieee_div_zero 0
		.amdhsa_exception_fp_ieee_overflow 0
		.amdhsa_exception_fp_ieee_underflow 0
		.amdhsa_exception_fp_ieee_inexact 0
		.amdhsa_exception_int_div_zero 0
	.end_amdhsa_kernel
	.section	.text._ZN7rocprim17ROCPRIM_400000_NS6detail17trampoline_kernelINS0_14default_configENS1_27lower_bound_config_selectorItlEEZNS1_14transform_implILb0ES3_S5_N6thrust23THRUST_200600_302600_NS6detail15normal_iteratorINS8_7pointerItNS8_11hip_rocprim5par_tENS8_11use_defaultESE_EEEENSA_INSB_IlSD_SE_SE_EEEEZNS1_13binary_searchIS3_S5_PtSG_SI_NS1_21lower_bound_search_opENS9_16wrapped_functionI11custom_lessbEEEE10hipError_tPvRmT1_T2_T3_mmT4_T5_P12ihipStream_tbEUlRKtE_EESP_ST_SU_mSV_SY_bEUlT_E_NS1_11comp_targetILNS1_3genE4ELNS1_11target_archE910ELNS1_3gpuE8ELNS1_3repE0EEENS1_30default_config_static_selectorELNS0_4arch9wavefront6targetE0EEEvSS_,"axG",@progbits,_ZN7rocprim17ROCPRIM_400000_NS6detail17trampoline_kernelINS0_14default_configENS1_27lower_bound_config_selectorItlEEZNS1_14transform_implILb0ES3_S5_N6thrust23THRUST_200600_302600_NS6detail15normal_iteratorINS8_7pointerItNS8_11hip_rocprim5par_tENS8_11use_defaultESE_EEEENSA_INSB_IlSD_SE_SE_EEEEZNS1_13binary_searchIS3_S5_PtSG_SI_NS1_21lower_bound_search_opENS9_16wrapped_functionI11custom_lessbEEEE10hipError_tPvRmT1_T2_T3_mmT4_T5_P12ihipStream_tbEUlRKtE_EESP_ST_SU_mSV_SY_bEUlT_E_NS1_11comp_targetILNS1_3genE4ELNS1_11target_archE910ELNS1_3gpuE8ELNS1_3repE0EEENS1_30default_config_static_selectorELNS0_4arch9wavefront6targetE0EEEvSS_,comdat
.Lfunc_end86:
	.size	_ZN7rocprim17ROCPRIM_400000_NS6detail17trampoline_kernelINS0_14default_configENS1_27lower_bound_config_selectorItlEEZNS1_14transform_implILb0ES3_S5_N6thrust23THRUST_200600_302600_NS6detail15normal_iteratorINS8_7pointerItNS8_11hip_rocprim5par_tENS8_11use_defaultESE_EEEENSA_INSB_IlSD_SE_SE_EEEEZNS1_13binary_searchIS3_S5_PtSG_SI_NS1_21lower_bound_search_opENS9_16wrapped_functionI11custom_lessbEEEE10hipError_tPvRmT1_T2_T3_mmT4_T5_P12ihipStream_tbEUlRKtE_EESP_ST_SU_mSV_SY_bEUlT_E_NS1_11comp_targetILNS1_3genE4ELNS1_11target_archE910ELNS1_3gpuE8ELNS1_3repE0EEENS1_30default_config_static_selectorELNS0_4arch9wavefront6targetE0EEEvSS_, .Lfunc_end86-_ZN7rocprim17ROCPRIM_400000_NS6detail17trampoline_kernelINS0_14default_configENS1_27lower_bound_config_selectorItlEEZNS1_14transform_implILb0ES3_S5_N6thrust23THRUST_200600_302600_NS6detail15normal_iteratorINS8_7pointerItNS8_11hip_rocprim5par_tENS8_11use_defaultESE_EEEENSA_INSB_IlSD_SE_SE_EEEEZNS1_13binary_searchIS3_S5_PtSG_SI_NS1_21lower_bound_search_opENS9_16wrapped_functionI11custom_lessbEEEE10hipError_tPvRmT1_T2_T3_mmT4_T5_P12ihipStream_tbEUlRKtE_EESP_ST_SU_mSV_SY_bEUlT_E_NS1_11comp_targetILNS1_3genE4ELNS1_11target_archE910ELNS1_3gpuE8ELNS1_3repE0EEENS1_30default_config_static_selectorELNS0_4arch9wavefront6targetE0EEEvSS_
                                        ; -- End function
	.set _ZN7rocprim17ROCPRIM_400000_NS6detail17trampoline_kernelINS0_14default_configENS1_27lower_bound_config_selectorItlEEZNS1_14transform_implILb0ES3_S5_N6thrust23THRUST_200600_302600_NS6detail15normal_iteratorINS8_7pointerItNS8_11hip_rocprim5par_tENS8_11use_defaultESE_EEEENSA_INSB_IlSD_SE_SE_EEEEZNS1_13binary_searchIS3_S5_PtSG_SI_NS1_21lower_bound_search_opENS9_16wrapped_functionI11custom_lessbEEEE10hipError_tPvRmT1_T2_T3_mmT4_T5_P12ihipStream_tbEUlRKtE_EESP_ST_SU_mSV_SY_bEUlT_E_NS1_11comp_targetILNS1_3genE4ELNS1_11target_archE910ELNS1_3gpuE8ELNS1_3repE0EEENS1_30default_config_static_selectorELNS0_4arch9wavefront6targetE0EEEvSS_.num_vgpr, 0
	.set _ZN7rocprim17ROCPRIM_400000_NS6detail17trampoline_kernelINS0_14default_configENS1_27lower_bound_config_selectorItlEEZNS1_14transform_implILb0ES3_S5_N6thrust23THRUST_200600_302600_NS6detail15normal_iteratorINS8_7pointerItNS8_11hip_rocprim5par_tENS8_11use_defaultESE_EEEENSA_INSB_IlSD_SE_SE_EEEEZNS1_13binary_searchIS3_S5_PtSG_SI_NS1_21lower_bound_search_opENS9_16wrapped_functionI11custom_lessbEEEE10hipError_tPvRmT1_T2_T3_mmT4_T5_P12ihipStream_tbEUlRKtE_EESP_ST_SU_mSV_SY_bEUlT_E_NS1_11comp_targetILNS1_3genE4ELNS1_11target_archE910ELNS1_3gpuE8ELNS1_3repE0EEENS1_30default_config_static_selectorELNS0_4arch9wavefront6targetE0EEEvSS_.num_agpr, 0
	.set _ZN7rocprim17ROCPRIM_400000_NS6detail17trampoline_kernelINS0_14default_configENS1_27lower_bound_config_selectorItlEEZNS1_14transform_implILb0ES3_S5_N6thrust23THRUST_200600_302600_NS6detail15normal_iteratorINS8_7pointerItNS8_11hip_rocprim5par_tENS8_11use_defaultESE_EEEENSA_INSB_IlSD_SE_SE_EEEEZNS1_13binary_searchIS3_S5_PtSG_SI_NS1_21lower_bound_search_opENS9_16wrapped_functionI11custom_lessbEEEE10hipError_tPvRmT1_T2_T3_mmT4_T5_P12ihipStream_tbEUlRKtE_EESP_ST_SU_mSV_SY_bEUlT_E_NS1_11comp_targetILNS1_3genE4ELNS1_11target_archE910ELNS1_3gpuE8ELNS1_3repE0EEENS1_30default_config_static_selectorELNS0_4arch9wavefront6targetE0EEEvSS_.numbered_sgpr, 0
	.set _ZN7rocprim17ROCPRIM_400000_NS6detail17trampoline_kernelINS0_14default_configENS1_27lower_bound_config_selectorItlEEZNS1_14transform_implILb0ES3_S5_N6thrust23THRUST_200600_302600_NS6detail15normal_iteratorINS8_7pointerItNS8_11hip_rocprim5par_tENS8_11use_defaultESE_EEEENSA_INSB_IlSD_SE_SE_EEEEZNS1_13binary_searchIS3_S5_PtSG_SI_NS1_21lower_bound_search_opENS9_16wrapped_functionI11custom_lessbEEEE10hipError_tPvRmT1_T2_T3_mmT4_T5_P12ihipStream_tbEUlRKtE_EESP_ST_SU_mSV_SY_bEUlT_E_NS1_11comp_targetILNS1_3genE4ELNS1_11target_archE910ELNS1_3gpuE8ELNS1_3repE0EEENS1_30default_config_static_selectorELNS0_4arch9wavefront6targetE0EEEvSS_.num_named_barrier, 0
	.set _ZN7rocprim17ROCPRIM_400000_NS6detail17trampoline_kernelINS0_14default_configENS1_27lower_bound_config_selectorItlEEZNS1_14transform_implILb0ES3_S5_N6thrust23THRUST_200600_302600_NS6detail15normal_iteratorINS8_7pointerItNS8_11hip_rocprim5par_tENS8_11use_defaultESE_EEEENSA_INSB_IlSD_SE_SE_EEEEZNS1_13binary_searchIS3_S5_PtSG_SI_NS1_21lower_bound_search_opENS9_16wrapped_functionI11custom_lessbEEEE10hipError_tPvRmT1_T2_T3_mmT4_T5_P12ihipStream_tbEUlRKtE_EESP_ST_SU_mSV_SY_bEUlT_E_NS1_11comp_targetILNS1_3genE4ELNS1_11target_archE910ELNS1_3gpuE8ELNS1_3repE0EEENS1_30default_config_static_selectorELNS0_4arch9wavefront6targetE0EEEvSS_.private_seg_size, 0
	.set _ZN7rocprim17ROCPRIM_400000_NS6detail17trampoline_kernelINS0_14default_configENS1_27lower_bound_config_selectorItlEEZNS1_14transform_implILb0ES3_S5_N6thrust23THRUST_200600_302600_NS6detail15normal_iteratorINS8_7pointerItNS8_11hip_rocprim5par_tENS8_11use_defaultESE_EEEENSA_INSB_IlSD_SE_SE_EEEEZNS1_13binary_searchIS3_S5_PtSG_SI_NS1_21lower_bound_search_opENS9_16wrapped_functionI11custom_lessbEEEE10hipError_tPvRmT1_T2_T3_mmT4_T5_P12ihipStream_tbEUlRKtE_EESP_ST_SU_mSV_SY_bEUlT_E_NS1_11comp_targetILNS1_3genE4ELNS1_11target_archE910ELNS1_3gpuE8ELNS1_3repE0EEENS1_30default_config_static_selectorELNS0_4arch9wavefront6targetE0EEEvSS_.uses_vcc, 0
	.set _ZN7rocprim17ROCPRIM_400000_NS6detail17trampoline_kernelINS0_14default_configENS1_27lower_bound_config_selectorItlEEZNS1_14transform_implILb0ES3_S5_N6thrust23THRUST_200600_302600_NS6detail15normal_iteratorINS8_7pointerItNS8_11hip_rocprim5par_tENS8_11use_defaultESE_EEEENSA_INSB_IlSD_SE_SE_EEEEZNS1_13binary_searchIS3_S5_PtSG_SI_NS1_21lower_bound_search_opENS9_16wrapped_functionI11custom_lessbEEEE10hipError_tPvRmT1_T2_T3_mmT4_T5_P12ihipStream_tbEUlRKtE_EESP_ST_SU_mSV_SY_bEUlT_E_NS1_11comp_targetILNS1_3genE4ELNS1_11target_archE910ELNS1_3gpuE8ELNS1_3repE0EEENS1_30default_config_static_selectorELNS0_4arch9wavefront6targetE0EEEvSS_.uses_flat_scratch, 0
	.set _ZN7rocprim17ROCPRIM_400000_NS6detail17trampoline_kernelINS0_14default_configENS1_27lower_bound_config_selectorItlEEZNS1_14transform_implILb0ES3_S5_N6thrust23THRUST_200600_302600_NS6detail15normal_iteratorINS8_7pointerItNS8_11hip_rocprim5par_tENS8_11use_defaultESE_EEEENSA_INSB_IlSD_SE_SE_EEEEZNS1_13binary_searchIS3_S5_PtSG_SI_NS1_21lower_bound_search_opENS9_16wrapped_functionI11custom_lessbEEEE10hipError_tPvRmT1_T2_T3_mmT4_T5_P12ihipStream_tbEUlRKtE_EESP_ST_SU_mSV_SY_bEUlT_E_NS1_11comp_targetILNS1_3genE4ELNS1_11target_archE910ELNS1_3gpuE8ELNS1_3repE0EEENS1_30default_config_static_selectorELNS0_4arch9wavefront6targetE0EEEvSS_.has_dyn_sized_stack, 0
	.set _ZN7rocprim17ROCPRIM_400000_NS6detail17trampoline_kernelINS0_14default_configENS1_27lower_bound_config_selectorItlEEZNS1_14transform_implILb0ES3_S5_N6thrust23THRUST_200600_302600_NS6detail15normal_iteratorINS8_7pointerItNS8_11hip_rocprim5par_tENS8_11use_defaultESE_EEEENSA_INSB_IlSD_SE_SE_EEEEZNS1_13binary_searchIS3_S5_PtSG_SI_NS1_21lower_bound_search_opENS9_16wrapped_functionI11custom_lessbEEEE10hipError_tPvRmT1_T2_T3_mmT4_T5_P12ihipStream_tbEUlRKtE_EESP_ST_SU_mSV_SY_bEUlT_E_NS1_11comp_targetILNS1_3genE4ELNS1_11target_archE910ELNS1_3gpuE8ELNS1_3repE0EEENS1_30default_config_static_selectorELNS0_4arch9wavefront6targetE0EEEvSS_.has_recursion, 0
	.set _ZN7rocprim17ROCPRIM_400000_NS6detail17trampoline_kernelINS0_14default_configENS1_27lower_bound_config_selectorItlEEZNS1_14transform_implILb0ES3_S5_N6thrust23THRUST_200600_302600_NS6detail15normal_iteratorINS8_7pointerItNS8_11hip_rocprim5par_tENS8_11use_defaultESE_EEEENSA_INSB_IlSD_SE_SE_EEEEZNS1_13binary_searchIS3_S5_PtSG_SI_NS1_21lower_bound_search_opENS9_16wrapped_functionI11custom_lessbEEEE10hipError_tPvRmT1_T2_T3_mmT4_T5_P12ihipStream_tbEUlRKtE_EESP_ST_SU_mSV_SY_bEUlT_E_NS1_11comp_targetILNS1_3genE4ELNS1_11target_archE910ELNS1_3gpuE8ELNS1_3repE0EEENS1_30default_config_static_selectorELNS0_4arch9wavefront6targetE0EEEvSS_.has_indirect_call, 0
	.section	.AMDGPU.csdata,"",@progbits
; Kernel info:
; codeLenInByte = 0
; TotalNumSgprs: 0
; NumVgprs: 0
; ScratchSize: 0
; MemoryBound: 0
; FloatMode: 240
; IeeeMode: 1
; LDSByteSize: 0 bytes/workgroup (compile time only)
; SGPRBlocks: 0
; VGPRBlocks: 0
; NumSGPRsForWavesPerEU: 1
; NumVGPRsForWavesPerEU: 1
; Occupancy: 16
; WaveLimiterHint : 0
; COMPUTE_PGM_RSRC2:SCRATCH_EN: 0
; COMPUTE_PGM_RSRC2:USER_SGPR: 6
; COMPUTE_PGM_RSRC2:TRAP_HANDLER: 0
; COMPUTE_PGM_RSRC2:TGID_X_EN: 1
; COMPUTE_PGM_RSRC2:TGID_Y_EN: 0
; COMPUTE_PGM_RSRC2:TGID_Z_EN: 0
; COMPUTE_PGM_RSRC2:TIDIG_COMP_CNT: 0
	.section	.text._ZN7rocprim17ROCPRIM_400000_NS6detail17trampoline_kernelINS0_14default_configENS1_27lower_bound_config_selectorItlEEZNS1_14transform_implILb0ES3_S5_N6thrust23THRUST_200600_302600_NS6detail15normal_iteratorINS8_7pointerItNS8_11hip_rocprim5par_tENS8_11use_defaultESE_EEEENSA_INSB_IlSD_SE_SE_EEEEZNS1_13binary_searchIS3_S5_PtSG_SI_NS1_21lower_bound_search_opENS9_16wrapped_functionI11custom_lessbEEEE10hipError_tPvRmT1_T2_T3_mmT4_T5_P12ihipStream_tbEUlRKtE_EESP_ST_SU_mSV_SY_bEUlT_E_NS1_11comp_targetILNS1_3genE3ELNS1_11target_archE908ELNS1_3gpuE7ELNS1_3repE0EEENS1_30default_config_static_selectorELNS0_4arch9wavefront6targetE0EEEvSS_,"axG",@progbits,_ZN7rocprim17ROCPRIM_400000_NS6detail17trampoline_kernelINS0_14default_configENS1_27lower_bound_config_selectorItlEEZNS1_14transform_implILb0ES3_S5_N6thrust23THRUST_200600_302600_NS6detail15normal_iteratorINS8_7pointerItNS8_11hip_rocprim5par_tENS8_11use_defaultESE_EEEENSA_INSB_IlSD_SE_SE_EEEEZNS1_13binary_searchIS3_S5_PtSG_SI_NS1_21lower_bound_search_opENS9_16wrapped_functionI11custom_lessbEEEE10hipError_tPvRmT1_T2_T3_mmT4_T5_P12ihipStream_tbEUlRKtE_EESP_ST_SU_mSV_SY_bEUlT_E_NS1_11comp_targetILNS1_3genE3ELNS1_11target_archE908ELNS1_3gpuE7ELNS1_3repE0EEENS1_30default_config_static_selectorELNS0_4arch9wavefront6targetE0EEEvSS_,comdat
	.protected	_ZN7rocprim17ROCPRIM_400000_NS6detail17trampoline_kernelINS0_14default_configENS1_27lower_bound_config_selectorItlEEZNS1_14transform_implILb0ES3_S5_N6thrust23THRUST_200600_302600_NS6detail15normal_iteratorINS8_7pointerItNS8_11hip_rocprim5par_tENS8_11use_defaultESE_EEEENSA_INSB_IlSD_SE_SE_EEEEZNS1_13binary_searchIS3_S5_PtSG_SI_NS1_21lower_bound_search_opENS9_16wrapped_functionI11custom_lessbEEEE10hipError_tPvRmT1_T2_T3_mmT4_T5_P12ihipStream_tbEUlRKtE_EESP_ST_SU_mSV_SY_bEUlT_E_NS1_11comp_targetILNS1_3genE3ELNS1_11target_archE908ELNS1_3gpuE7ELNS1_3repE0EEENS1_30default_config_static_selectorELNS0_4arch9wavefront6targetE0EEEvSS_ ; -- Begin function _ZN7rocprim17ROCPRIM_400000_NS6detail17trampoline_kernelINS0_14default_configENS1_27lower_bound_config_selectorItlEEZNS1_14transform_implILb0ES3_S5_N6thrust23THRUST_200600_302600_NS6detail15normal_iteratorINS8_7pointerItNS8_11hip_rocprim5par_tENS8_11use_defaultESE_EEEENSA_INSB_IlSD_SE_SE_EEEEZNS1_13binary_searchIS3_S5_PtSG_SI_NS1_21lower_bound_search_opENS9_16wrapped_functionI11custom_lessbEEEE10hipError_tPvRmT1_T2_T3_mmT4_T5_P12ihipStream_tbEUlRKtE_EESP_ST_SU_mSV_SY_bEUlT_E_NS1_11comp_targetILNS1_3genE3ELNS1_11target_archE908ELNS1_3gpuE7ELNS1_3repE0EEENS1_30default_config_static_selectorELNS0_4arch9wavefront6targetE0EEEvSS_
	.globl	_ZN7rocprim17ROCPRIM_400000_NS6detail17trampoline_kernelINS0_14default_configENS1_27lower_bound_config_selectorItlEEZNS1_14transform_implILb0ES3_S5_N6thrust23THRUST_200600_302600_NS6detail15normal_iteratorINS8_7pointerItNS8_11hip_rocprim5par_tENS8_11use_defaultESE_EEEENSA_INSB_IlSD_SE_SE_EEEEZNS1_13binary_searchIS3_S5_PtSG_SI_NS1_21lower_bound_search_opENS9_16wrapped_functionI11custom_lessbEEEE10hipError_tPvRmT1_T2_T3_mmT4_T5_P12ihipStream_tbEUlRKtE_EESP_ST_SU_mSV_SY_bEUlT_E_NS1_11comp_targetILNS1_3genE3ELNS1_11target_archE908ELNS1_3gpuE7ELNS1_3repE0EEENS1_30default_config_static_selectorELNS0_4arch9wavefront6targetE0EEEvSS_
	.p2align	8
	.type	_ZN7rocprim17ROCPRIM_400000_NS6detail17trampoline_kernelINS0_14default_configENS1_27lower_bound_config_selectorItlEEZNS1_14transform_implILb0ES3_S5_N6thrust23THRUST_200600_302600_NS6detail15normal_iteratorINS8_7pointerItNS8_11hip_rocprim5par_tENS8_11use_defaultESE_EEEENSA_INSB_IlSD_SE_SE_EEEEZNS1_13binary_searchIS3_S5_PtSG_SI_NS1_21lower_bound_search_opENS9_16wrapped_functionI11custom_lessbEEEE10hipError_tPvRmT1_T2_T3_mmT4_T5_P12ihipStream_tbEUlRKtE_EESP_ST_SU_mSV_SY_bEUlT_E_NS1_11comp_targetILNS1_3genE3ELNS1_11target_archE908ELNS1_3gpuE7ELNS1_3repE0EEENS1_30default_config_static_selectorELNS0_4arch9wavefront6targetE0EEEvSS_,@function
_ZN7rocprim17ROCPRIM_400000_NS6detail17trampoline_kernelINS0_14default_configENS1_27lower_bound_config_selectorItlEEZNS1_14transform_implILb0ES3_S5_N6thrust23THRUST_200600_302600_NS6detail15normal_iteratorINS8_7pointerItNS8_11hip_rocprim5par_tENS8_11use_defaultESE_EEEENSA_INSB_IlSD_SE_SE_EEEEZNS1_13binary_searchIS3_S5_PtSG_SI_NS1_21lower_bound_search_opENS9_16wrapped_functionI11custom_lessbEEEE10hipError_tPvRmT1_T2_T3_mmT4_T5_P12ihipStream_tbEUlRKtE_EESP_ST_SU_mSV_SY_bEUlT_E_NS1_11comp_targetILNS1_3genE3ELNS1_11target_archE908ELNS1_3gpuE7ELNS1_3repE0EEENS1_30default_config_static_selectorELNS0_4arch9wavefront6targetE0EEEvSS_: ; @_ZN7rocprim17ROCPRIM_400000_NS6detail17trampoline_kernelINS0_14default_configENS1_27lower_bound_config_selectorItlEEZNS1_14transform_implILb0ES3_S5_N6thrust23THRUST_200600_302600_NS6detail15normal_iteratorINS8_7pointerItNS8_11hip_rocprim5par_tENS8_11use_defaultESE_EEEENSA_INSB_IlSD_SE_SE_EEEEZNS1_13binary_searchIS3_S5_PtSG_SI_NS1_21lower_bound_search_opENS9_16wrapped_functionI11custom_lessbEEEE10hipError_tPvRmT1_T2_T3_mmT4_T5_P12ihipStream_tbEUlRKtE_EESP_ST_SU_mSV_SY_bEUlT_E_NS1_11comp_targetILNS1_3genE3ELNS1_11target_archE908ELNS1_3gpuE7ELNS1_3repE0EEENS1_30default_config_static_selectorELNS0_4arch9wavefront6targetE0EEEvSS_
; %bb.0:
	.section	.rodata,"a",@progbits
	.p2align	6, 0x0
	.amdhsa_kernel _ZN7rocprim17ROCPRIM_400000_NS6detail17trampoline_kernelINS0_14default_configENS1_27lower_bound_config_selectorItlEEZNS1_14transform_implILb0ES3_S5_N6thrust23THRUST_200600_302600_NS6detail15normal_iteratorINS8_7pointerItNS8_11hip_rocprim5par_tENS8_11use_defaultESE_EEEENSA_INSB_IlSD_SE_SE_EEEEZNS1_13binary_searchIS3_S5_PtSG_SI_NS1_21lower_bound_search_opENS9_16wrapped_functionI11custom_lessbEEEE10hipError_tPvRmT1_T2_T3_mmT4_T5_P12ihipStream_tbEUlRKtE_EESP_ST_SU_mSV_SY_bEUlT_E_NS1_11comp_targetILNS1_3genE3ELNS1_11target_archE908ELNS1_3gpuE7ELNS1_3repE0EEENS1_30default_config_static_selectorELNS0_4arch9wavefront6targetE0EEEvSS_
		.amdhsa_group_segment_fixed_size 0
		.amdhsa_private_segment_fixed_size 0
		.amdhsa_kernarg_size 56
		.amdhsa_user_sgpr_count 6
		.amdhsa_user_sgpr_private_segment_buffer 1
		.amdhsa_user_sgpr_dispatch_ptr 0
		.amdhsa_user_sgpr_queue_ptr 0
		.amdhsa_user_sgpr_kernarg_segment_ptr 1
		.amdhsa_user_sgpr_dispatch_id 0
		.amdhsa_user_sgpr_flat_scratch_init 0
		.amdhsa_user_sgpr_private_segment_size 0
		.amdhsa_wavefront_size32 1
		.amdhsa_uses_dynamic_stack 0
		.amdhsa_system_sgpr_private_segment_wavefront_offset 0
		.amdhsa_system_sgpr_workgroup_id_x 1
		.amdhsa_system_sgpr_workgroup_id_y 0
		.amdhsa_system_sgpr_workgroup_id_z 0
		.amdhsa_system_sgpr_workgroup_info 0
		.amdhsa_system_vgpr_workitem_id 0
		.amdhsa_next_free_vgpr 1
		.amdhsa_next_free_sgpr 1
		.amdhsa_reserve_vcc 0
		.amdhsa_reserve_flat_scratch 0
		.amdhsa_float_round_mode_32 0
		.amdhsa_float_round_mode_16_64 0
		.amdhsa_float_denorm_mode_32 3
		.amdhsa_float_denorm_mode_16_64 3
		.amdhsa_dx10_clamp 1
		.amdhsa_ieee_mode 1
		.amdhsa_fp16_overflow 0
		.amdhsa_workgroup_processor_mode 1
		.amdhsa_memory_ordered 1
		.amdhsa_forward_progress 1
		.amdhsa_shared_vgpr_count 0
		.amdhsa_exception_fp_ieee_invalid_op 0
		.amdhsa_exception_fp_denorm_src 0
		.amdhsa_exception_fp_ieee_div_zero 0
		.amdhsa_exception_fp_ieee_overflow 0
		.amdhsa_exception_fp_ieee_underflow 0
		.amdhsa_exception_fp_ieee_inexact 0
		.amdhsa_exception_int_div_zero 0
	.end_amdhsa_kernel
	.section	.text._ZN7rocprim17ROCPRIM_400000_NS6detail17trampoline_kernelINS0_14default_configENS1_27lower_bound_config_selectorItlEEZNS1_14transform_implILb0ES3_S5_N6thrust23THRUST_200600_302600_NS6detail15normal_iteratorINS8_7pointerItNS8_11hip_rocprim5par_tENS8_11use_defaultESE_EEEENSA_INSB_IlSD_SE_SE_EEEEZNS1_13binary_searchIS3_S5_PtSG_SI_NS1_21lower_bound_search_opENS9_16wrapped_functionI11custom_lessbEEEE10hipError_tPvRmT1_T2_T3_mmT4_T5_P12ihipStream_tbEUlRKtE_EESP_ST_SU_mSV_SY_bEUlT_E_NS1_11comp_targetILNS1_3genE3ELNS1_11target_archE908ELNS1_3gpuE7ELNS1_3repE0EEENS1_30default_config_static_selectorELNS0_4arch9wavefront6targetE0EEEvSS_,"axG",@progbits,_ZN7rocprim17ROCPRIM_400000_NS6detail17trampoline_kernelINS0_14default_configENS1_27lower_bound_config_selectorItlEEZNS1_14transform_implILb0ES3_S5_N6thrust23THRUST_200600_302600_NS6detail15normal_iteratorINS8_7pointerItNS8_11hip_rocprim5par_tENS8_11use_defaultESE_EEEENSA_INSB_IlSD_SE_SE_EEEEZNS1_13binary_searchIS3_S5_PtSG_SI_NS1_21lower_bound_search_opENS9_16wrapped_functionI11custom_lessbEEEE10hipError_tPvRmT1_T2_T3_mmT4_T5_P12ihipStream_tbEUlRKtE_EESP_ST_SU_mSV_SY_bEUlT_E_NS1_11comp_targetILNS1_3genE3ELNS1_11target_archE908ELNS1_3gpuE7ELNS1_3repE0EEENS1_30default_config_static_selectorELNS0_4arch9wavefront6targetE0EEEvSS_,comdat
.Lfunc_end87:
	.size	_ZN7rocprim17ROCPRIM_400000_NS6detail17trampoline_kernelINS0_14default_configENS1_27lower_bound_config_selectorItlEEZNS1_14transform_implILb0ES3_S5_N6thrust23THRUST_200600_302600_NS6detail15normal_iteratorINS8_7pointerItNS8_11hip_rocprim5par_tENS8_11use_defaultESE_EEEENSA_INSB_IlSD_SE_SE_EEEEZNS1_13binary_searchIS3_S5_PtSG_SI_NS1_21lower_bound_search_opENS9_16wrapped_functionI11custom_lessbEEEE10hipError_tPvRmT1_T2_T3_mmT4_T5_P12ihipStream_tbEUlRKtE_EESP_ST_SU_mSV_SY_bEUlT_E_NS1_11comp_targetILNS1_3genE3ELNS1_11target_archE908ELNS1_3gpuE7ELNS1_3repE0EEENS1_30default_config_static_selectorELNS0_4arch9wavefront6targetE0EEEvSS_, .Lfunc_end87-_ZN7rocprim17ROCPRIM_400000_NS6detail17trampoline_kernelINS0_14default_configENS1_27lower_bound_config_selectorItlEEZNS1_14transform_implILb0ES3_S5_N6thrust23THRUST_200600_302600_NS6detail15normal_iteratorINS8_7pointerItNS8_11hip_rocprim5par_tENS8_11use_defaultESE_EEEENSA_INSB_IlSD_SE_SE_EEEEZNS1_13binary_searchIS3_S5_PtSG_SI_NS1_21lower_bound_search_opENS9_16wrapped_functionI11custom_lessbEEEE10hipError_tPvRmT1_T2_T3_mmT4_T5_P12ihipStream_tbEUlRKtE_EESP_ST_SU_mSV_SY_bEUlT_E_NS1_11comp_targetILNS1_3genE3ELNS1_11target_archE908ELNS1_3gpuE7ELNS1_3repE0EEENS1_30default_config_static_selectorELNS0_4arch9wavefront6targetE0EEEvSS_
                                        ; -- End function
	.set _ZN7rocprim17ROCPRIM_400000_NS6detail17trampoline_kernelINS0_14default_configENS1_27lower_bound_config_selectorItlEEZNS1_14transform_implILb0ES3_S5_N6thrust23THRUST_200600_302600_NS6detail15normal_iteratorINS8_7pointerItNS8_11hip_rocprim5par_tENS8_11use_defaultESE_EEEENSA_INSB_IlSD_SE_SE_EEEEZNS1_13binary_searchIS3_S5_PtSG_SI_NS1_21lower_bound_search_opENS9_16wrapped_functionI11custom_lessbEEEE10hipError_tPvRmT1_T2_T3_mmT4_T5_P12ihipStream_tbEUlRKtE_EESP_ST_SU_mSV_SY_bEUlT_E_NS1_11comp_targetILNS1_3genE3ELNS1_11target_archE908ELNS1_3gpuE7ELNS1_3repE0EEENS1_30default_config_static_selectorELNS0_4arch9wavefront6targetE0EEEvSS_.num_vgpr, 0
	.set _ZN7rocprim17ROCPRIM_400000_NS6detail17trampoline_kernelINS0_14default_configENS1_27lower_bound_config_selectorItlEEZNS1_14transform_implILb0ES3_S5_N6thrust23THRUST_200600_302600_NS6detail15normal_iteratorINS8_7pointerItNS8_11hip_rocprim5par_tENS8_11use_defaultESE_EEEENSA_INSB_IlSD_SE_SE_EEEEZNS1_13binary_searchIS3_S5_PtSG_SI_NS1_21lower_bound_search_opENS9_16wrapped_functionI11custom_lessbEEEE10hipError_tPvRmT1_T2_T3_mmT4_T5_P12ihipStream_tbEUlRKtE_EESP_ST_SU_mSV_SY_bEUlT_E_NS1_11comp_targetILNS1_3genE3ELNS1_11target_archE908ELNS1_3gpuE7ELNS1_3repE0EEENS1_30default_config_static_selectorELNS0_4arch9wavefront6targetE0EEEvSS_.num_agpr, 0
	.set _ZN7rocprim17ROCPRIM_400000_NS6detail17trampoline_kernelINS0_14default_configENS1_27lower_bound_config_selectorItlEEZNS1_14transform_implILb0ES3_S5_N6thrust23THRUST_200600_302600_NS6detail15normal_iteratorINS8_7pointerItNS8_11hip_rocprim5par_tENS8_11use_defaultESE_EEEENSA_INSB_IlSD_SE_SE_EEEEZNS1_13binary_searchIS3_S5_PtSG_SI_NS1_21lower_bound_search_opENS9_16wrapped_functionI11custom_lessbEEEE10hipError_tPvRmT1_T2_T3_mmT4_T5_P12ihipStream_tbEUlRKtE_EESP_ST_SU_mSV_SY_bEUlT_E_NS1_11comp_targetILNS1_3genE3ELNS1_11target_archE908ELNS1_3gpuE7ELNS1_3repE0EEENS1_30default_config_static_selectorELNS0_4arch9wavefront6targetE0EEEvSS_.numbered_sgpr, 0
	.set _ZN7rocprim17ROCPRIM_400000_NS6detail17trampoline_kernelINS0_14default_configENS1_27lower_bound_config_selectorItlEEZNS1_14transform_implILb0ES3_S5_N6thrust23THRUST_200600_302600_NS6detail15normal_iteratorINS8_7pointerItNS8_11hip_rocprim5par_tENS8_11use_defaultESE_EEEENSA_INSB_IlSD_SE_SE_EEEEZNS1_13binary_searchIS3_S5_PtSG_SI_NS1_21lower_bound_search_opENS9_16wrapped_functionI11custom_lessbEEEE10hipError_tPvRmT1_T2_T3_mmT4_T5_P12ihipStream_tbEUlRKtE_EESP_ST_SU_mSV_SY_bEUlT_E_NS1_11comp_targetILNS1_3genE3ELNS1_11target_archE908ELNS1_3gpuE7ELNS1_3repE0EEENS1_30default_config_static_selectorELNS0_4arch9wavefront6targetE0EEEvSS_.num_named_barrier, 0
	.set _ZN7rocprim17ROCPRIM_400000_NS6detail17trampoline_kernelINS0_14default_configENS1_27lower_bound_config_selectorItlEEZNS1_14transform_implILb0ES3_S5_N6thrust23THRUST_200600_302600_NS6detail15normal_iteratorINS8_7pointerItNS8_11hip_rocprim5par_tENS8_11use_defaultESE_EEEENSA_INSB_IlSD_SE_SE_EEEEZNS1_13binary_searchIS3_S5_PtSG_SI_NS1_21lower_bound_search_opENS9_16wrapped_functionI11custom_lessbEEEE10hipError_tPvRmT1_T2_T3_mmT4_T5_P12ihipStream_tbEUlRKtE_EESP_ST_SU_mSV_SY_bEUlT_E_NS1_11comp_targetILNS1_3genE3ELNS1_11target_archE908ELNS1_3gpuE7ELNS1_3repE0EEENS1_30default_config_static_selectorELNS0_4arch9wavefront6targetE0EEEvSS_.private_seg_size, 0
	.set _ZN7rocprim17ROCPRIM_400000_NS6detail17trampoline_kernelINS0_14default_configENS1_27lower_bound_config_selectorItlEEZNS1_14transform_implILb0ES3_S5_N6thrust23THRUST_200600_302600_NS6detail15normal_iteratorINS8_7pointerItNS8_11hip_rocprim5par_tENS8_11use_defaultESE_EEEENSA_INSB_IlSD_SE_SE_EEEEZNS1_13binary_searchIS3_S5_PtSG_SI_NS1_21lower_bound_search_opENS9_16wrapped_functionI11custom_lessbEEEE10hipError_tPvRmT1_T2_T3_mmT4_T5_P12ihipStream_tbEUlRKtE_EESP_ST_SU_mSV_SY_bEUlT_E_NS1_11comp_targetILNS1_3genE3ELNS1_11target_archE908ELNS1_3gpuE7ELNS1_3repE0EEENS1_30default_config_static_selectorELNS0_4arch9wavefront6targetE0EEEvSS_.uses_vcc, 0
	.set _ZN7rocprim17ROCPRIM_400000_NS6detail17trampoline_kernelINS0_14default_configENS1_27lower_bound_config_selectorItlEEZNS1_14transform_implILb0ES3_S5_N6thrust23THRUST_200600_302600_NS6detail15normal_iteratorINS8_7pointerItNS8_11hip_rocprim5par_tENS8_11use_defaultESE_EEEENSA_INSB_IlSD_SE_SE_EEEEZNS1_13binary_searchIS3_S5_PtSG_SI_NS1_21lower_bound_search_opENS9_16wrapped_functionI11custom_lessbEEEE10hipError_tPvRmT1_T2_T3_mmT4_T5_P12ihipStream_tbEUlRKtE_EESP_ST_SU_mSV_SY_bEUlT_E_NS1_11comp_targetILNS1_3genE3ELNS1_11target_archE908ELNS1_3gpuE7ELNS1_3repE0EEENS1_30default_config_static_selectorELNS0_4arch9wavefront6targetE0EEEvSS_.uses_flat_scratch, 0
	.set _ZN7rocprim17ROCPRIM_400000_NS6detail17trampoline_kernelINS0_14default_configENS1_27lower_bound_config_selectorItlEEZNS1_14transform_implILb0ES3_S5_N6thrust23THRUST_200600_302600_NS6detail15normal_iteratorINS8_7pointerItNS8_11hip_rocprim5par_tENS8_11use_defaultESE_EEEENSA_INSB_IlSD_SE_SE_EEEEZNS1_13binary_searchIS3_S5_PtSG_SI_NS1_21lower_bound_search_opENS9_16wrapped_functionI11custom_lessbEEEE10hipError_tPvRmT1_T2_T3_mmT4_T5_P12ihipStream_tbEUlRKtE_EESP_ST_SU_mSV_SY_bEUlT_E_NS1_11comp_targetILNS1_3genE3ELNS1_11target_archE908ELNS1_3gpuE7ELNS1_3repE0EEENS1_30default_config_static_selectorELNS0_4arch9wavefront6targetE0EEEvSS_.has_dyn_sized_stack, 0
	.set _ZN7rocprim17ROCPRIM_400000_NS6detail17trampoline_kernelINS0_14default_configENS1_27lower_bound_config_selectorItlEEZNS1_14transform_implILb0ES3_S5_N6thrust23THRUST_200600_302600_NS6detail15normal_iteratorINS8_7pointerItNS8_11hip_rocprim5par_tENS8_11use_defaultESE_EEEENSA_INSB_IlSD_SE_SE_EEEEZNS1_13binary_searchIS3_S5_PtSG_SI_NS1_21lower_bound_search_opENS9_16wrapped_functionI11custom_lessbEEEE10hipError_tPvRmT1_T2_T3_mmT4_T5_P12ihipStream_tbEUlRKtE_EESP_ST_SU_mSV_SY_bEUlT_E_NS1_11comp_targetILNS1_3genE3ELNS1_11target_archE908ELNS1_3gpuE7ELNS1_3repE0EEENS1_30default_config_static_selectorELNS0_4arch9wavefront6targetE0EEEvSS_.has_recursion, 0
	.set _ZN7rocprim17ROCPRIM_400000_NS6detail17trampoline_kernelINS0_14default_configENS1_27lower_bound_config_selectorItlEEZNS1_14transform_implILb0ES3_S5_N6thrust23THRUST_200600_302600_NS6detail15normal_iteratorINS8_7pointerItNS8_11hip_rocprim5par_tENS8_11use_defaultESE_EEEENSA_INSB_IlSD_SE_SE_EEEEZNS1_13binary_searchIS3_S5_PtSG_SI_NS1_21lower_bound_search_opENS9_16wrapped_functionI11custom_lessbEEEE10hipError_tPvRmT1_T2_T3_mmT4_T5_P12ihipStream_tbEUlRKtE_EESP_ST_SU_mSV_SY_bEUlT_E_NS1_11comp_targetILNS1_3genE3ELNS1_11target_archE908ELNS1_3gpuE7ELNS1_3repE0EEENS1_30default_config_static_selectorELNS0_4arch9wavefront6targetE0EEEvSS_.has_indirect_call, 0
	.section	.AMDGPU.csdata,"",@progbits
; Kernel info:
; codeLenInByte = 0
; TotalNumSgprs: 0
; NumVgprs: 0
; ScratchSize: 0
; MemoryBound: 0
; FloatMode: 240
; IeeeMode: 1
; LDSByteSize: 0 bytes/workgroup (compile time only)
; SGPRBlocks: 0
; VGPRBlocks: 0
; NumSGPRsForWavesPerEU: 1
; NumVGPRsForWavesPerEU: 1
; Occupancy: 16
; WaveLimiterHint : 0
; COMPUTE_PGM_RSRC2:SCRATCH_EN: 0
; COMPUTE_PGM_RSRC2:USER_SGPR: 6
; COMPUTE_PGM_RSRC2:TRAP_HANDLER: 0
; COMPUTE_PGM_RSRC2:TGID_X_EN: 1
; COMPUTE_PGM_RSRC2:TGID_Y_EN: 0
; COMPUTE_PGM_RSRC2:TGID_Z_EN: 0
; COMPUTE_PGM_RSRC2:TIDIG_COMP_CNT: 0
	.section	.text._ZN7rocprim17ROCPRIM_400000_NS6detail17trampoline_kernelINS0_14default_configENS1_27lower_bound_config_selectorItlEEZNS1_14transform_implILb0ES3_S5_N6thrust23THRUST_200600_302600_NS6detail15normal_iteratorINS8_7pointerItNS8_11hip_rocprim5par_tENS8_11use_defaultESE_EEEENSA_INSB_IlSD_SE_SE_EEEEZNS1_13binary_searchIS3_S5_PtSG_SI_NS1_21lower_bound_search_opENS9_16wrapped_functionI11custom_lessbEEEE10hipError_tPvRmT1_T2_T3_mmT4_T5_P12ihipStream_tbEUlRKtE_EESP_ST_SU_mSV_SY_bEUlT_E_NS1_11comp_targetILNS1_3genE2ELNS1_11target_archE906ELNS1_3gpuE6ELNS1_3repE0EEENS1_30default_config_static_selectorELNS0_4arch9wavefront6targetE0EEEvSS_,"axG",@progbits,_ZN7rocprim17ROCPRIM_400000_NS6detail17trampoline_kernelINS0_14default_configENS1_27lower_bound_config_selectorItlEEZNS1_14transform_implILb0ES3_S5_N6thrust23THRUST_200600_302600_NS6detail15normal_iteratorINS8_7pointerItNS8_11hip_rocprim5par_tENS8_11use_defaultESE_EEEENSA_INSB_IlSD_SE_SE_EEEEZNS1_13binary_searchIS3_S5_PtSG_SI_NS1_21lower_bound_search_opENS9_16wrapped_functionI11custom_lessbEEEE10hipError_tPvRmT1_T2_T3_mmT4_T5_P12ihipStream_tbEUlRKtE_EESP_ST_SU_mSV_SY_bEUlT_E_NS1_11comp_targetILNS1_3genE2ELNS1_11target_archE906ELNS1_3gpuE6ELNS1_3repE0EEENS1_30default_config_static_selectorELNS0_4arch9wavefront6targetE0EEEvSS_,comdat
	.protected	_ZN7rocprim17ROCPRIM_400000_NS6detail17trampoline_kernelINS0_14default_configENS1_27lower_bound_config_selectorItlEEZNS1_14transform_implILb0ES3_S5_N6thrust23THRUST_200600_302600_NS6detail15normal_iteratorINS8_7pointerItNS8_11hip_rocprim5par_tENS8_11use_defaultESE_EEEENSA_INSB_IlSD_SE_SE_EEEEZNS1_13binary_searchIS3_S5_PtSG_SI_NS1_21lower_bound_search_opENS9_16wrapped_functionI11custom_lessbEEEE10hipError_tPvRmT1_T2_T3_mmT4_T5_P12ihipStream_tbEUlRKtE_EESP_ST_SU_mSV_SY_bEUlT_E_NS1_11comp_targetILNS1_3genE2ELNS1_11target_archE906ELNS1_3gpuE6ELNS1_3repE0EEENS1_30default_config_static_selectorELNS0_4arch9wavefront6targetE0EEEvSS_ ; -- Begin function _ZN7rocprim17ROCPRIM_400000_NS6detail17trampoline_kernelINS0_14default_configENS1_27lower_bound_config_selectorItlEEZNS1_14transform_implILb0ES3_S5_N6thrust23THRUST_200600_302600_NS6detail15normal_iteratorINS8_7pointerItNS8_11hip_rocprim5par_tENS8_11use_defaultESE_EEEENSA_INSB_IlSD_SE_SE_EEEEZNS1_13binary_searchIS3_S5_PtSG_SI_NS1_21lower_bound_search_opENS9_16wrapped_functionI11custom_lessbEEEE10hipError_tPvRmT1_T2_T3_mmT4_T5_P12ihipStream_tbEUlRKtE_EESP_ST_SU_mSV_SY_bEUlT_E_NS1_11comp_targetILNS1_3genE2ELNS1_11target_archE906ELNS1_3gpuE6ELNS1_3repE0EEENS1_30default_config_static_selectorELNS0_4arch9wavefront6targetE0EEEvSS_
	.globl	_ZN7rocprim17ROCPRIM_400000_NS6detail17trampoline_kernelINS0_14default_configENS1_27lower_bound_config_selectorItlEEZNS1_14transform_implILb0ES3_S5_N6thrust23THRUST_200600_302600_NS6detail15normal_iteratorINS8_7pointerItNS8_11hip_rocprim5par_tENS8_11use_defaultESE_EEEENSA_INSB_IlSD_SE_SE_EEEEZNS1_13binary_searchIS3_S5_PtSG_SI_NS1_21lower_bound_search_opENS9_16wrapped_functionI11custom_lessbEEEE10hipError_tPvRmT1_T2_T3_mmT4_T5_P12ihipStream_tbEUlRKtE_EESP_ST_SU_mSV_SY_bEUlT_E_NS1_11comp_targetILNS1_3genE2ELNS1_11target_archE906ELNS1_3gpuE6ELNS1_3repE0EEENS1_30default_config_static_selectorELNS0_4arch9wavefront6targetE0EEEvSS_
	.p2align	8
	.type	_ZN7rocprim17ROCPRIM_400000_NS6detail17trampoline_kernelINS0_14default_configENS1_27lower_bound_config_selectorItlEEZNS1_14transform_implILb0ES3_S5_N6thrust23THRUST_200600_302600_NS6detail15normal_iteratorINS8_7pointerItNS8_11hip_rocprim5par_tENS8_11use_defaultESE_EEEENSA_INSB_IlSD_SE_SE_EEEEZNS1_13binary_searchIS3_S5_PtSG_SI_NS1_21lower_bound_search_opENS9_16wrapped_functionI11custom_lessbEEEE10hipError_tPvRmT1_T2_T3_mmT4_T5_P12ihipStream_tbEUlRKtE_EESP_ST_SU_mSV_SY_bEUlT_E_NS1_11comp_targetILNS1_3genE2ELNS1_11target_archE906ELNS1_3gpuE6ELNS1_3repE0EEENS1_30default_config_static_selectorELNS0_4arch9wavefront6targetE0EEEvSS_,@function
_ZN7rocprim17ROCPRIM_400000_NS6detail17trampoline_kernelINS0_14default_configENS1_27lower_bound_config_selectorItlEEZNS1_14transform_implILb0ES3_S5_N6thrust23THRUST_200600_302600_NS6detail15normal_iteratorINS8_7pointerItNS8_11hip_rocprim5par_tENS8_11use_defaultESE_EEEENSA_INSB_IlSD_SE_SE_EEEEZNS1_13binary_searchIS3_S5_PtSG_SI_NS1_21lower_bound_search_opENS9_16wrapped_functionI11custom_lessbEEEE10hipError_tPvRmT1_T2_T3_mmT4_T5_P12ihipStream_tbEUlRKtE_EESP_ST_SU_mSV_SY_bEUlT_E_NS1_11comp_targetILNS1_3genE2ELNS1_11target_archE906ELNS1_3gpuE6ELNS1_3repE0EEENS1_30default_config_static_selectorELNS0_4arch9wavefront6targetE0EEEvSS_: ; @_ZN7rocprim17ROCPRIM_400000_NS6detail17trampoline_kernelINS0_14default_configENS1_27lower_bound_config_selectorItlEEZNS1_14transform_implILb0ES3_S5_N6thrust23THRUST_200600_302600_NS6detail15normal_iteratorINS8_7pointerItNS8_11hip_rocprim5par_tENS8_11use_defaultESE_EEEENSA_INSB_IlSD_SE_SE_EEEEZNS1_13binary_searchIS3_S5_PtSG_SI_NS1_21lower_bound_search_opENS9_16wrapped_functionI11custom_lessbEEEE10hipError_tPvRmT1_T2_T3_mmT4_T5_P12ihipStream_tbEUlRKtE_EESP_ST_SU_mSV_SY_bEUlT_E_NS1_11comp_targetILNS1_3genE2ELNS1_11target_archE906ELNS1_3gpuE6ELNS1_3repE0EEENS1_30default_config_static_selectorELNS0_4arch9wavefront6targetE0EEEvSS_
; %bb.0:
	.section	.rodata,"a",@progbits
	.p2align	6, 0x0
	.amdhsa_kernel _ZN7rocprim17ROCPRIM_400000_NS6detail17trampoline_kernelINS0_14default_configENS1_27lower_bound_config_selectorItlEEZNS1_14transform_implILb0ES3_S5_N6thrust23THRUST_200600_302600_NS6detail15normal_iteratorINS8_7pointerItNS8_11hip_rocprim5par_tENS8_11use_defaultESE_EEEENSA_INSB_IlSD_SE_SE_EEEEZNS1_13binary_searchIS3_S5_PtSG_SI_NS1_21lower_bound_search_opENS9_16wrapped_functionI11custom_lessbEEEE10hipError_tPvRmT1_T2_T3_mmT4_T5_P12ihipStream_tbEUlRKtE_EESP_ST_SU_mSV_SY_bEUlT_E_NS1_11comp_targetILNS1_3genE2ELNS1_11target_archE906ELNS1_3gpuE6ELNS1_3repE0EEENS1_30default_config_static_selectorELNS0_4arch9wavefront6targetE0EEEvSS_
		.amdhsa_group_segment_fixed_size 0
		.amdhsa_private_segment_fixed_size 0
		.amdhsa_kernarg_size 56
		.amdhsa_user_sgpr_count 6
		.amdhsa_user_sgpr_private_segment_buffer 1
		.amdhsa_user_sgpr_dispatch_ptr 0
		.amdhsa_user_sgpr_queue_ptr 0
		.amdhsa_user_sgpr_kernarg_segment_ptr 1
		.amdhsa_user_sgpr_dispatch_id 0
		.amdhsa_user_sgpr_flat_scratch_init 0
		.amdhsa_user_sgpr_private_segment_size 0
		.amdhsa_wavefront_size32 1
		.amdhsa_uses_dynamic_stack 0
		.amdhsa_system_sgpr_private_segment_wavefront_offset 0
		.amdhsa_system_sgpr_workgroup_id_x 1
		.amdhsa_system_sgpr_workgroup_id_y 0
		.amdhsa_system_sgpr_workgroup_id_z 0
		.amdhsa_system_sgpr_workgroup_info 0
		.amdhsa_system_vgpr_workitem_id 0
		.amdhsa_next_free_vgpr 1
		.amdhsa_next_free_sgpr 1
		.amdhsa_reserve_vcc 0
		.amdhsa_reserve_flat_scratch 0
		.amdhsa_float_round_mode_32 0
		.amdhsa_float_round_mode_16_64 0
		.amdhsa_float_denorm_mode_32 3
		.amdhsa_float_denorm_mode_16_64 3
		.amdhsa_dx10_clamp 1
		.amdhsa_ieee_mode 1
		.amdhsa_fp16_overflow 0
		.amdhsa_workgroup_processor_mode 1
		.amdhsa_memory_ordered 1
		.amdhsa_forward_progress 1
		.amdhsa_shared_vgpr_count 0
		.amdhsa_exception_fp_ieee_invalid_op 0
		.amdhsa_exception_fp_denorm_src 0
		.amdhsa_exception_fp_ieee_div_zero 0
		.amdhsa_exception_fp_ieee_overflow 0
		.amdhsa_exception_fp_ieee_underflow 0
		.amdhsa_exception_fp_ieee_inexact 0
		.amdhsa_exception_int_div_zero 0
	.end_amdhsa_kernel
	.section	.text._ZN7rocprim17ROCPRIM_400000_NS6detail17trampoline_kernelINS0_14default_configENS1_27lower_bound_config_selectorItlEEZNS1_14transform_implILb0ES3_S5_N6thrust23THRUST_200600_302600_NS6detail15normal_iteratorINS8_7pointerItNS8_11hip_rocprim5par_tENS8_11use_defaultESE_EEEENSA_INSB_IlSD_SE_SE_EEEEZNS1_13binary_searchIS3_S5_PtSG_SI_NS1_21lower_bound_search_opENS9_16wrapped_functionI11custom_lessbEEEE10hipError_tPvRmT1_T2_T3_mmT4_T5_P12ihipStream_tbEUlRKtE_EESP_ST_SU_mSV_SY_bEUlT_E_NS1_11comp_targetILNS1_3genE2ELNS1_11target_archE906ELNS1_3gpuE6ELNS1_3repE0EEENS1_30default_config_static_selectorELNS0_4arch9wavefront6targetE0EEEvSS_,"axG",@progbits,_ZN7rocprim17ROCPRIM_400000_NS6detail17trampoline_kernelINS0_14default_configENS1_27lower_bound_config_selectorItlEEZNS1_14transform_implILb0ES3_S5_N6thrust23THRUST_200600_302600_NS6detail15normal_iteratorINS8_7pointerItNS8_11hip_rocprim5par_tENS8_11use_defaultESE_EEEENSA_INSB_IlSD_SE_SE_EEEEZNS1_13binary_searchIS3_S5_PtSG_SI_NS1_21lower_bound_search_opENS9_16wrapped_functionI11custom_lessbEEEE10hipError_tPvRmT1_T2_T3_mmT4_T5_P12ihipStream_tbEUlRKtE_EESP_ST_SU_mSV_SY_bEUlT_E_NS1_11comp_targetILNS1_3genE2ELNS1_11target_archE906ELNS1_3gpuE6ELNS1_3repE0EEENS1_30default_config_static_selectorELNS0_4arch9wavefront6targetE0EEEvSS_,comdat
.Lfunc_end88:
	.size	_ZN7rocprim17ROCPRIM_400000_NS6detail17trampoline_kernelINS0_14default_configENS1_27lower_bound_config_selectorItlEEZNS1_14transform_implILb0ES3_S5_N6thrust23THRUST_200600_302600_NS6detail15normal_iteratorINS8_7pointerItNS8_11hip_rocprim5par_tENS8_11use_defaultESE_EEEENSA_INSB_IlSD_SE_SE_EEEEZNS1_13binary_searchIS3_S5_PtSG_SI_NS1_21lower_bound_search_opENS9_16wrapped_functionI11custom_lessbEEEE10hipError_tPvRmT1_T2_T3_mmT4_T5_P12ihipStream_tbEUlRKtE_EESP_ST_SU_mSV_SY_bEUlT_E_NS1_11comp_targetILNS1_3genE2ELNS1_11target_archE906ELNS1_3gpuE6ELNS1_3repE0EEENS1_30default_config_static_selectorELNS0_4arch9wavefront6targetE0EEEvSS_, .Lfunc_end88-_ZN7rocprim17ROCPRIM_400000_NS6detail17trampoline_kernelINS0_14default_configENS1_27lower_bound_config_selectorItlEEZNS1_14transform_implILb0ES3_S5_N6thrust23THRUST_200600_302600_NS6detail15normal_iteratorINS8_7pointerItNS8_11hip_rocprim5par_tENS8_11use_defaultESE_EEEENSA_INSB_IlSD_SE_SE_EEEEZNS1_13binary_searchIS3_S5_PtSG_SI_NS1_21lower_bound_search_opENS9_16wrapped_functionI11custom_lessbEEEE10hipError_tPvRmT1_T2_T3_mmT4_T5_P12ihipStream_tbEUlRKtE_EESP_ST_SU_mSV_SY_bEUlT_E_NS1_11comp_targetILNS1_3genE2ELNS1_11target_archE906ELNS1_3gpuE6ELNS1_3repE0EEENS1_30default_config_static_selectorELNS0_4arch9wavefront6targetE0EEEvSS_
                                        ; -- End function
	.set _ZN7rocprim17ROCPRIM_400000_NS6detail17trampoline_kernelINS0_14default_configENS1_27lower_bound_config_selectorItlEEZNS1_14transform_implILb0ES3_S5_N6thrust23THRUST_200600_302600_NS6detail15normal_iteratorINS8_7pointerItNS8_11hip_rocprim5par_tENS8_11use_defaultESE_EEEENSA_INSB_IlSD_SE_SE_EEEEZNS1_13binary_searchIS3_S5_PtSG_SI_NS1_21lower_bound_search_opENS9_16wrapped_functionI11custom_lessbEEEE10hipError_tPvRmT1_T2_T3_mmT4_T5_P12ihipStream_tbEUlRKtE_EESP_ST_SU_mSV_SY_bEUlT_E_NS1_11comp_targetILNS1_3genE2ELNS1_11target_archE906ELNS1_3gpuE6ELNS1_3repE0EEENS1_30default_config_static_selectorELNS0_4arch9wavefront6targetE0EEEvSS_.num_vgpr, 0
	.set _ZN7rocprim17ROCPRIM_400000_NS6detail17trampoline_kernelINS0_14default_configENS1_27lower_bound_config_selectorItlEEZNS1_14transform_implILb0ES3_S5_N6thrust23THRUST_200600_302600_NS6detail15normal_iteratorINS8_7pointerItNS8_11hip_rocprim5par_tENS8_11use_defaultESE_EEEENSA_INSB_IlSD_SE_SE_EEEEZNS1_13binary_searchIS3_S5_PtSG_SI_NS1_21lower_bound_search_opENS9_16wrapped_functionI11custom_lessbEEEE10hipError_tPvRmT1_T2_T3_mmT4_T5_P12ihipStream_tbEUlRKtE_EESP_ST_SU_mSV_SY_bEUlT_E_NS1_11comp_targetILNS1_3genE2ELNS1_11target_archE906ELNS1_3gpuE6ELNS1_3repE0EEENS1_30default_config_static_selectorELNS0_4arch9wavefront6targetE0EEEvSS_.num_agpr, 0
	.set _ZN7rocprim17ROCPRIM_400000_NS6detail17trampoline_kernelINS0_14default_configENS1_27lower_bound_config_selectorItlEEZNS1_14transform_implILb0ES3_S5_N6thrust23THRUST_200600_302600_NS6detail15normal_iteratorINS8_7pointerItNS8_11hip_rocprim5par_tENS8_11use_defaultESE_EEEENSA_INSB_IlSD_SE_SE_EEEEZNS1_13binary_searchIS3_S5_PtSG_SI_NS1_21lower_bound_search_opENS9_16wrapped_functionI11custom_lessbEEEE10hipError_tPvRmT1_T2_T3_mmT4_T5_P12ihipStream_tbEUlRKtE_EESP_ST_SU_mSV_SY_bEUlT_E_NS1_11comp_targetILNS1_3genE2ELNS1_11target_archE906ELNS1_3gpuE6ELNS1_3repE0EEENS1_30default_config_static_selectorELNS0_4arch9wavefront6targetE0EEEvSS_.numbered_sgpr, 0
	.set _ZN7rocprim17ROCPRIM_400000_NS6detail17trampoline_kernelINS0_14default_configENS1_27lower_bound_config_selectorItlEEZNS1_14transform_implILb0ES3_S5_N6thrust23THRUST_200600_302600_NS6detail15normal_iteratorINS8_7pointerItNS8_11hip_rocprim5par_tENS8_11use_defaultESE_EEEENSA_INSB_IlSD_SE_SE_EEEEZNS1_13binary_searchIS3_S5_PtSG_SI_NS1_21lower_bound_search_opENS9_16wrapped_functionI11custom_lessbEEEE10hipError_tPvRmT1_T2_T3_mmT4_T5_P12ihipStream_tbEUlRKtE_EESP_ST_SU_mSV_SY_bEUlT_E_NS1_11comp_targetILNS1_3genE2ELNS1_11target_archE906ELNS1_3gpuE6ELNS1_3repE0EEENS1_30default_config_static_selectorELNS0_4arch9wavefront6targetE0EEEvSS_.num_named_barrier, 0
	.set _ZN7rocprim17ROCPRIM_400000_NS6detail17trampoline_kernelINS0_14default_configENS1_27lower_bound_config_selectorItlEEZNS1_14transform_implILb0ES3_S5_N6thrust23THRUST_200600_302600_NS6detail15normal_iteratorINS8_7pointerItNS8_11hip_rocprim5par_tENS8_11use_defaultESE_EEEENSA_INSB_IlSD_SE_SE_EEEEZNS1_13binary_searchIS3_S5_PtSG_SI_NS1_21lower_bound_search_opENS9_16wrapped_functionI11custom_lessbEEEE10hipError_tPvRmT1_T2_T3_mmT4_T5_P12ihipStream_tbEUlRKtE_EESP_ST_SU_mSV_SY_bEUlT_E_NS1_11comp_targetILNS1_3genE2ELNS1_11target_archE906ELNS1_3gpuE6ELNS1_3repE0EEENS1_30default_config_static_selectorELNS0_4arch9wavefront6targetE0EEEvSS_.private_seg_size, 0
	.set _ZN7rocprim17ROCPRIM_400000_NS6detail17trampoline_kernelINS0_14default_configENS1_27lower_bound_config_selectorItlEEZNS1_14transform_implILb0ES3_S5_N6thrust23THRUST_200600_302600_NS6detail15normal_iteratorINS8_7pointerItNS8_11hip_rocprim5par_tENS8_11use_defaultESE_EEEENSA_INSB_IlSD_SE_SE_EEEEZNS1_13binary_searchIS3_S5_PtSG_SI_NS1_21lower_bound_search_opENS9_16wrapped_functionI11custom_lessbEEEE10hipError_tPvRmT1_T2_T3_mmT4_T5_P12ihipStream_tbEUlRKtE_EESP_ST_SU_mSV_SY_bEUlT_E_NS1_11comp_targetILNS1_3genE2ELNS1_11target_archE906ELNS1_3gpuE6ELNS1_3repE0EEENS1_30default_config_static_selectorELNS0_4arch9wavefront6targetE0EEEvSS_.uses_vcc, 0
	.set _ZN7rocprim17ROCPRIM_400000_NS6detail17trampoline_kernelINS0_14default_configENS1_27lower_bound_config_selectorItlEEZNS1_14transform_implILb0ES3_S5_N6thrust23THRUST_200600_302600_NS6detail15normal_iteratorINS8_7pointerItNS8_11hip_rocprim5par_tENS8_11use_defaultESE_EEEENSA_INSB_IlSD_SE_SE_EEEEZNS1_13binary_searchIS3_S5_PtSG_SI_NS1_21lower_bound_search_opENS9_16wrapped_functionI11custom_lessbEEEE10hipError_tPvRmT1_T2_T3_mmT4_T5_P12ihipStream_tbEUlRKtE_EESP_ST_SU_mSV_SY_bEUlT_E_NS1_11comp_targetILNS1_3genE2ELNS1_11target_archE906ELNS1_3gpuE6ELNS1_3repE0EEENS1_30default_config_static_selectorELNS0_4arch9wavefront6targetE0EEEvSS_.uses_flat_scratch, 0
	.set _ZN7rocprim17ROCPRIM_400000_NS6detail17trampoline_kernelINS0_14default_configENS1_27lower_bound_config_selectorItlEEZNS1_14transform_implILb0ES3_S5_N6thrust23THRUST_200600_302600_NS6detail15normal_iteratorINS8_7pointerItNS8_11hip_rocprim5par_tENS8_11use_defaultESE_EEEENSA_INSB_IlSD_SE_SE_EEEEZNS1_13binary_searchIS3_S5_PtSG_SI_NS1_21lower_bound_search_opENS9_16wrapped_functionI11custom_lessbEEEE10hipError_tPvRmT1_T2_T3_mmT4_T5_P12ihipStream_tbEUlRKtE_EESP_ST_SU_mSV_SY_bEUlT_E_NS1_11comp_targetILNS1_3genE2ELNS1_11target_archE906ELNS1_3gpuE6ELNS1_3repE0EEENS1_30default_config_static_selectorELNS0_4arch9wavefront6targetE0EEEvSS_.has_dyn_sized_stack, 0
	.set _ZN7rocprim17ROCPRIM_400000_NS6detail17trampoline_kernelINS0_14default_configENS1_27lower_bound_config_selectorItlEEZNS1_14transform_implILb0ES3_S5_N6thrust23THRUST_200600_302600_NS6detail15normal_iteratorINS8_7pointerItNS8_11hip_rocprim5par_tENS8_11use_defaultESE_EEEENSA_INSB_IlSD_SE_SE_EEEEZNS1_13binary_searchIS3_S5_PtSG_SI_NS1_21lower_bound_search_opENS9_16wrapped_functionI11custom_lessbEEEE10hipError_tPvRmT1_T2_T3_mmT4_T5_P12ihipStream_tbEUlRKtE_EESP_ST_SU_mSV_SY_bEUlT_E_NS1_11comp_targetILNS1_3genE2ELNS1_11target_archE906ELNS1_3gpuE6ELNS1_3repE0EEENS1_30default_config_static_selectorELNS0_4arch9wavefront6targetE0EEEvSS_.has_recursion, 0
	.set _ZN7rocprim17ROCPRIM_400000_NS6detail17trampoline_kernelINS0_14default_configENS1_27lower_bound_config_selectorItlEEZNS1_14transform_implILb0ES3_S5_N6thrust23THRUST_200600_302600_NS6detail15normal_iteratorINS8_7pointerItNS8_11hip_rocprim5par_tENS8_11use_defaultESE_EEEENSA_INSB_IlSD_SE_SE_EEEEZNS1_13binary_searchIS3_S5_PtSG_SI_NS1_21lower_bound_search_opENS9_16wrapped_functionI11custom_lessbEEEE10hipError_tPvRmT1_T2_T3_mmT4_T5_P12ihipStream_tbEUlRKtE_EESP_ST_SU_mSV_SY_bEUlT_E_NS1_11comp_targetILNS1_3genE2ELNS1_11target_archE906ELNS1_3gpuE6ELNS1_3repE0EEENS1_30default_config_static_selectorELNS0_4arch9wavefront6targetE0EEEvSS_.has_indirect_call, 0
	.section	.AMDGPU.csdata,"",@progbits
; Kernel info:
; codeLenInByte = 0
; TotalNumSgprs: 0
; NumVgprs: 0
; ScratchSize: 0
; MemoryBound: 0
; FloatMode: 240
; IeeeMode: 1
; LDSByteSize: 0 bytes/workgroup (compile time only)
; SGPRBlocks: 0
; VGPRBlocks: 0
; NumSGPRsForWavesPerEU: 1
; NumVGPRsForWavesPerEU: 1
; Occupancy: 16
; WaveLimiterHint : 0
; COMPUTE_PGM_RSRC2:SCRATCH_EN: 0
; COMPUTE_PGM_RSRC2:USER_SGPR: 6
; COMPUTE_PGM_RSRC2:TRAP_HANDLER: 0
; COMPUTE_PGM_RSRC2:TGID_X_EN: 1
; COMPUTE_PGM_RSRC2:TGID_Y_EN: 0
; COMPUTE_PGM_RSRC2:TGID_Z_EN: 0
; COMPUTE_PGM_RSRC2:TIDIG_COMP_CNT: 0
	.section	.text._ZN7rocprim17ROCPRIM_400000_NS6detail17trampoline_kernelINS0_14default_configENS1_27lower_bound_config_selectorItlEEZNS1_14transform_implILb0ES3_S5_N6thrust23THRUST_200600_302600_NS6detail15normal_iteratorINS8_7pointerItNS8_11hip_rocprim5par_tENS8_11use_defaultESE_EEEENSA_INSB_IlSD_SE_SE_EEEEZNS1_13binary_searchIS3_S5_PtSG_SI_NS1_21lower_bound_search_opENS9_16wrapped_functionI11custom_lessbEEEE10hipError_tPvRmT1_T2_T3_mmT4_T5_P12ihipStream_tbEUlRKtE_EESP_ST_SU_mSV_SY_bEUlT_E_NS1_11comp_targetILNS1_3genE10ELNS1_11target_archE1201ELNS1_3gpuE5ELNS1_3repE0EEENS1_30default_config_static_selectorELNS0_4arch9wavefront6targetE0EEEvSS_,"axG",@progbits,_ZN7rocprim17ROCPRIM_400000_NS6detail17trampoline_kernelINS0_14default_configENS1_27lower_bound_config_selectorItlEEZNS1_14transform_implILb0ES3_S5_N6thrust23THRUST_200600_302600_NS6detail15normal_iteratorINS8_7pointerItNS8_11hip_rocprim5par_tENS8_11use_defaultESE_EEEENSA_INSB_IlSD_SE_SE_EEEEZNS1_13binary_searchIS3_S5_PtSG_SI_NS1_21lower_bound_search_opENS9_16wrapped_functionI11custom_lessbEEEE10hipError_tPvRmT1_T2_T3_mmT4_T5_P12ihipStream_tbEUlRKtE_EESP_ST_SU_mSV_SY_bEUlT_E_NS1_11comp_targetILNS1_3genE10ELNS1_11target_archE1201ELNS1_3gpuE5ELNS1_3repE0EEENS1_30default_config_static_selectorELNS0_4arch9wavefront6targetE0EEEvSS_,comdat
	.protected	_ZN7rocprim17ROCPRIM_400000_NS6detail17trampoline_kernelINS0_14default_configENS1_27lower_bound_config_selectorItlEEZNS1_14transform_implILb0ES3_S5_N6thrust23THRUST_200600_302600_NS6detail15normal_iteratorINS8_7pointerItNS8_11hip_rocprim5par_tENS8_11use_defaultESE_EEEENSA_INSB_IlSD_SE_SE_EEEEZNS1_13binary_searchIS3_S5_PtSG_SI_NS1_21lower_bound_search_opENS9_16wrapped_functionI11custom_lessbEEEE10hipError_tPvRmT1_T2_T3_mmT4_T5_P12ihipStream_tbEUlRKtE_EESP_ST_SU_mSV_SY_bEUlT_E_NS1_11comp_targetILNS1_3genE10ELNS1_11target_archE1201ELNS1_3gpuE5ELNS1_3repE0EEENS1_30default_config_static_selectorELNS0_4arch9wavefront6targetE0EEEvSS_ ; -- Begin function _ZN7rocprim17ROCPRIM_400000_NS6detail17trampoline_kernelINS0_14default_configENS1_27lower_bound_config_selectorItlEEZNS1_14transform_implILb0ES3_S5_N6thrust23THRUST_200600_302600_NS6detail15normal_iteratorINS8_7pointerItNS8_11hip_rocprim5par_tENS8_11use_defaultESE_EEEENSA_INSB_IlSD_SE_SE_EEEEZNS1_13binary_searchIS3_S5_PtSG_SI_NS1_21lower_bound_search_opENS9_16wrapped_functionI11custom_lessbEEEE10hipError_tPvRmT1_T2_T3_mmT4_T5_P12ihipStream_tbEUlRKtE_EESP_ST_SU_mSV_SY_bEUlT_E_NS1_11comp_targetILNS1_3genE10ELNS1_11target_archE1201ELNS1_3gpuE5ELNS1_3repE0EEENS1_30default_config_static_selectorELNS0_4arch9wavefront6targetE0EEEvSS_
	.globl	_ZN7rocprim17ROCPRIM_400000_NS6detail17trampoline_kernelINS0_14default_configENS1_27lower_bound_config_selectorItlEEZNS1_14transform_implILb0ES3_S5_N6thrust23THRUST_200600_302600_NS6detail15normal_iteratorINS8_7pointerItNS8_11hip_rocprim5par_tENS8_11use_defaultESE_EEEENSA_INSB_IlSD_SE_SE_EEEEZNS1_13binary_searchIS3_S5_PtSG_SI_NS1_21lower_bound_search_opENS9_16wrapped_functionI11custom_lessbEEEE10hipError_tPvRmT1_T2_T3_mmT4_T5_P12ihipStream_tbEUlRKtE_EESP_ST_SU_mSV_SY_bEUlT_E_NS1_11comp_targetILNS1_3genE10ELNS1_11target_archE1201ELNS1_3gpuE5ELNS1_3repE0EEENS1_30default_config_static_selectorELNS0_4arch9wavefront6targetE0EEEvSS_
	.p2align	8
	.type	_ZN7rocprim17ROCPRIM_400000_NS6detail17trampoline_kernelINS0_14default_configENS1_27lower_bound_config_selectorItlEEZNS1_14transform_implILb0ES3_S5_N6thrust23THRUST_200600_302600_NS6detail15normal_iteratorINS8_7pointerItNS8_11hip_rocprim5par_tENS8_11use_defaultESE_EEEENSA_INSB_IlSD_SE_SE_EEEEZNS1_13binary_searchIS3_S5_PtSG_SI_NS1_21lower_bound_search_opENS9_16wrapped_functionI11custom_lessbEEEE10hipError_tPvRmT1_T2_T3_mmT4_T5_P12ihipStream_tbEUlRKtE_EESP_ST_SU_mSV_SY_bEUlT_E_NS1_11comp_targetILNS1_3genE10ELNS1_11target_archE1201ELNS1_3gpuE5ELNS1_3repE0EEENS1_30default_config_static_selectorELNS0_4arch9wavefront6targetE0EEEvSS_,@function
_ZN7rocprim17ROCPRIM_400000_NS6detail17trampoline_kernelINS0_14default_configENS1_27lower_bound_config_selectorItlEEZNS1_14transform_implILb0ES3_S5_N6thrust23THRUST_200600_302600_NS6detail15normal_iteratorINS8_7pointerItNS8_11hip_rocprim5par_tENS8_11use_defaultESE_EEEENSA_INSB_IlSD_SE_SE_EEEEZNS1_13binary_searchIS3_S5_PtSG_SI_NS1_21lower_bound_search_opENS9_16wrapped_functionI11custom_lessbEEEE10hipError_tPvRmT1_T2_T3_mmT4_T5_P12ihipStream_tbEUlRKtE_EESP_ST_SU_mSV_SY_bEUlT_E_NS1_11comp_targetILNS1_3genE10ELNS1_11target_archE1201ELNS1_3gpuE5ELNS1_3repE0EEENS1_30default_config_static_selectorELNS0_4arch9wavefront6targetE0EEEvSS_: ; @_ZN7rocprim17ROCPRIM_400000_NS6detail17trampoline_kernelINS0_14default_configENS1_27lower_bound_config_selectorItlEEZNS1_14transform_implILb0ES3_S5_N6thrust23THRUST_200600_302600_NS6detail15normal_iteratorINS8_7pointerItNS8_11hip_rocprim5par_tENS8_11use_defaultESE_EEEENSA_INSB_IlSD_SE_SE_EEEEZNS1_13binary_searchIS3_S5_PtSG_SI_NS1_21lower_bound_search_opENS9_16wrapped_functionI11custom_lessbEEEE10hipError_tPvRmT1_T2_T3_mmT4_T5_P12ihipStream_tbEUlRKtE_EESP_ST_SU_mSV_SY_bEUlT_E_NS1_11comp_targetILNS1_3genE10ELNS1_11target_archE1201ELNS1_3gpuE5ELNS1_3repE0EEENS1_30default_config_static_selectorELNS0_4arch9wavefront6targetE0EEEvSS_
; %bb.0:
	.section	.rodata,"a",@progbits
	.p2align	6, 0x0
	.amdhsa_kernel _ZN7rocprim17ROCPRIM_400000_NS6detail17trampoline_kernelINS0_14default_configENS1_27lower_bound_config_selectorItlEEZNS1_14transform_implILb0ES3_S5_N6thrust23THRUST_200600_302600_NS6detail15normal_iteratorINS8_7pointerItNS8_11hip_rocprim5par_tENS8_11use_defaultESE_EEEENSA_INSB_IlSD_SE_SE_EEEEZNS1_13binary_searchIS3_S5_PtSG_SI_NS1_21lower_bound_search_opENS9_16wrapped_functionI11custom_lessbEEEE10hipError_tPvRmT1_T2_T3_mmT4_T5_P12ihipStream_tbEUlRKtE_EESP_ST_SU_mSV_SY_bEUlT_E_NS1_11comp_targetILNS1_3genE10ELNS1_11target_archE1201ELNS1_3gpuE5ELNS1_3repE0EEENS1_30default_config_static_selectorELNS0_4arch9wavefront6targetE0EEEvSS_
		.amdhsa_group_segment_fixed_size 0
		.amdhsa_private_segment_fixed_size 0
		.amdhsa_kernarg_size 56
		.amdhsa_user_sgpr_count 6
		.amdhsa_user_sgpr_private_segment_buffer 1
		.amdhsa_user_sgpr_dispatch_ptr 0
		.amdhsa_user_sgpr_queue_ptr 0
		.amdhsa_user_sgpr_kernarg_segment_ptr 1
		.amdhsa_user_sgpr_dispatch_id 0
		.amdhsa_user_sgpr_flat_scratch_init 0
		.amdhsa_user_sgpr_private_segment_size 0
		.amdhsa_wavefront_size32 1
		.amdhsa_uses_dynamic_stack 0
		.amdhsa_system_sgpr_private_segment_wavefront_offset 0
		.amdhsa_system_sgpr_workgroup_id_x 1
		.amdhsa_system_sgpr_workgroup_id_y 0
		.amdhsa_system_sgpr_workgroup_id_z 0
		.amdhsa_system_sgpr_workgroup_info 0
		.amdhsa_system_vgpr_workitem_id 0
		.amdhsa_next_free_vgpr 1
		.amdhsa_next_free_sgpr 1
		.amdhsa_reserve_vcc 0
		.amdhsa_reserve_flat_scratch 0
		.amdhsa_float_round_mode_32 0
		.amdhsa_float_round_mode_16_64 0
		.amdhsa_float_denorm_mode_32 3
		.amdhsa_float_denorm_mode_16_64 3
		.amdhsa_dx10_clamp 1
		.amdhsa_ieee_mode 1
		.amdhsa_fp16_overflow 0
		.amdhsa_workgroup_processor_mode 1
		.amdhsa_memory_ordered 1
		.amdhsa_forward_progress 1
		.amdhsa_shared_vgpr_count 0
		.amdhsa_exception_fp_ieee_invalid_op 0
		.amdhsa_exception_fp_denorm_src 0
		.amdhsa_exception_fp_ieee_div_zero 0
		.amdhsa_exception_fp_ieee_overflow 0
		.amdhsa_exception_fp_ieee_underflow 0
		.amdhsa_exception_fp_ieee_inexact 0
		.amdhsa_exception_int_div_zero 0
	.end_amdhsa_kernel
	.section	.text._ZN7rocprim17ROCPRIM_400000_NS6detail17trampoline_kernelINS0_14default_configENS1_27lower_bound_config_selectorItlEEZNS1_14transform_implILb0ES3_S5_N6thrust23THRUST_200600_302600_NS6detail15normal_iteratorINS8_7pointerItNS8_11hip_rocprim5par_tENS8_11use_defaultESE_EEEENSA_INSB_IlSD_SE_SE_EEEEZNS1_13binary_searchIS3_S5_PtSG_SI_NS1_21lower_bound_search_opENS9_16wrapped_functionI11custom_lessbEEEE10hipError_tPvRmT1_T2_T3_mmT4_T5_P12ihipStream_tbEUlRKtE_EESP_ST_SU_mSV_SY_bEUlT_E_NS1_11comp_targetILNS1_3genE10ELNS1_11target_archE1201ELNS1_3gpuE5ELNS1_3repE0EEENS1_30default_config_static_selectorELNS0_4arch9wavefront6targetE0EEEvSS_,"axG",@progbits,_ZN7rocprim17ROCPRIM_400000_NS6detail17trampoline_kernelINS0_14default_configENS1_27lower_bound_config_selectorItlEEZNS1_14transform_implILb0ES3_S5_N6thrust23THRUST_200600_302600_NS6detail15normal_iteratorINS8_7pointerItNS8_11hip_rocprim5par_tENS8_11use_defaultESE_EEEENSA_INSB_IlSD_SE_SE_EEEEZNS1_13binary_searchIS3_S5_PtSG_SI_NS1_21lower_bound_search_opENS9_16wrapped_functionI11custom_lessbEEEE10hipError_tPvRmT1_T2_T3_mmT4_T5_P12ihipStream_tbEUlRKtE_EESP_ST_SU_mSV_SY_bEUlT_E_NS1_11comp_targetILNS1_3genE10ELNS1_11target_archE1201ELNS1_3gpuE5ELNS1_3repE0EEENS1_30default_config_static_selectorELNS0_4arch9wavefront6targetE0EEEvSS_,comdat
.Lfunc_end89:
	.size	_ZN7rocprim17ROCPRIM_400000_NS6detail17trampoline_kernelINS0_14default_configENS1_27lower_bound_config_selectorItlEEZNS1_14transform_implILb0ES3_S5_N6thrust23THRUST_200600_302600_NS6detail15normal_iteratorINS8_7pointerItNS8_11hip_rocprim5par_tENS8_11use_defaultESE_EEEENSA_INSB_IlSD_SE_SE_EEEEZNS1_13binary_searchIS3_S5_PtSG_SI_NS1_21lower_bound_search_opENS9_16wrapped_functionI11custom_lessbEEEE10hipError_tPvRmT1_T2_T3_mmT4_T5_P12ihipStream_tbEUlRKtE_EESP_ST_SU_mSV_SY_bEUlT_E_NS1_11comp_targetILNS1_3genE10ELNS1_11target_archE1201ELNS1_3gpuE5ELNS1_3repE0EEENS1_30default_config_static_selectorELNS0_4arch9wavefront6targetE0EEEvSS_, .Lfunc_end89-_ZN7rocprim17ROCPRIM_400000_NS6detail17trampoline_kernelINS0_14default_configENS1_27lower_bound_config_selectorItlEEZNS1_14transform_implILb0ES3_S5_N6thrust23THRUST_200600_302600_NS6detail15normal_iteratorINS8_7pointerItNS8_11hip_rocprim5par_tENS8_11use_defaultESE_EEEENSA_INSB_IlSD_SE_SE_EEEEZNS1_13binary_searchIS3_S5_PtSG_SI_NS1_21lower_bound_search_opENS9_16wrapped_functionI11custom_lessbEEEE10hipError_tPvRmT1_T2_T3_mmT4_T5_P12ihipStream_tbEUlRKtE_EESP_ST_SU_mSV_SY_bEUlT_E_NS1_11comp_targetILNS1_3genE10ELNS1_11target_archE1201ELNS1_3gpuE5ELNS1_3repE0EEENS1_30default_config_static_selectorELNS0_4arch9wavefront6targetE0EEEvSS_
                                        ; -- End function
	.set _ZN7rocprim17ROCPRIM_400000_NS6detail17trampoline_kernelINS0_14default_configENS1_27lower_bound_config_selectorItlEEZNS1_14transform_implILb0ES3_S5_N6thrust23THRUST_200600_302600_NS6detail15normal_iteratorINS8_7pointerItNS8_11hip_rocprim5par_tENS8_11use_defaultESE_EEEENSA_INSB_IlSD_SE_SE_EEEEZNS1_13binary_searchIS3_S5_PtSG_SI_NS1_21lower_bound_search_opENS9_16wrapped_functionI11custom_lessbEEEE10hipError_tPvRmT1_T2_T3_mmT4_T5_P12ihipStream_tbEUlRKtE_EESP_ST_SU_mSV_SY_bEUlT_E_NS1_11comp_targetILNS1_3genE10ELNS1_11target_archE1201ELNS1_3gpuE5ELNS1_3repE0EEENS1_30default_config_static_selectorELNS0_4arch9wavefront6targetE0EEEvSS_.num_vgpr, 0
	.set _ZN7rocprim17ROCPRIM_400000_NS6detail17trampoline_kernelINS0_14default_configENS1_27lower_bound_config_selectorItlEEZNS1_14transform_implILb0ES3_S5_N6thrust23THRUST_200600_302600_NS6detail15normal_iteratorINS8_7pointerItNS8_11hip_rocprim5par_tENS8_11use_defaultESE_EEEENSA_INSB_IlSD_SE_SE_EEEEZNS1_13binary_searchIS3_S5_PtSG_SI_NS1_21lower_bound_search_opENS9_16wrapped_functionI11custom_lessbEEEE10hipError_tPvRmT1_T2_T3_mmT4_T5_P12ihipStream_tbEUlRKtE_EESP_ST_SU_mSV_SY_bEUlT_E_NS1_11comp_targetILNS1_3genE10ELNS1_11target_archE1201ELNS1_3gpuE5ELNS1_3repE0EEENS1_30default_config_static_selectorELNS0_4arch9wavefront6targetE0EEEvSS_.num_agpr, 0
	.set _ZN7rocprim17ROCPRIM_400000_NS6detail17trampoline_kernelINS0_14default_configENS1_27lower_bound_config_selectorItlEEZNS1_14transform_implILb0ES3_S5_N6thrust23THRUST_200600_302600_NS6detail15normal_iteratorINS8_7pointerItNS8_11hip_rocprim5par_tENS8_11use_defaultESE_EEEENSA_INSB_IlSD_SE_SE_EEEEZNS1_13binary_searchIS3_S5_PtSG_SI_NS1_21lower_bound_search_opENS9_16wrapped_functionI11custom_lessbEEEE10hipError_tPvRmT1_T2_T3_mmT4_T5_P12ihipStream_tbEUlRKtE_EESP_ST_SU_mSV_SY_bEUlT_E_NS1_11comp_targetILNS1_3genE10ELNS1_11target_archE1201ELNS1_3gpuE5ELNS1_3repE0EEENS1_30default_config_static_selectorELNS0_4arch9wavefront6targetE0EEEvSS_.numbered_sgpr, 0
	.set _ZN7rocprim17ROCPRIM_400000_NS6detail17trampoline_kernelINS0_14default_configENS1_27lower_bound_config_selectorItlEEZNS1_14transform_implILb0ES3_S5_N6thrust23THRUST_200600_302600_NS6detail15normal_iteratorINS8_7pointerItNS8_11hip_rocprim5par_tENS8_11use_defaultESE_EEEENSA_INSB_IlSD_SE_SE_EEEEZNS1_13binary_searchIS3_S5_PtSG_SI_NS1_21lower_bound_search_opENS9_16wrapped_functionI11custom_lessbEEEE10hipError_tPvRmT1_T2_T3_mmT4_T5_P12ihipStream_tbEUlRKtE_EESP_ST_SU_mSV_SY_bEUlT_E_NS1_11comp_targetILNS1_3genE10ELNS1_11target_archE1201ELNS1_3gpuE5ELNS1_3repE0EEENS1_30default_config_static_selectorELNS0_4arch9wavefront6targetE0EEEvSS_.num_named_barrier, 0
	.set _ZN7rocprim17ROCPRIM_400000_NS6detail17trampoline_kernelINS0_14default_configENS1_27lower_bound_config_selectorItlEEZNS1_14transform_implILb0ES3_S5_N6thrust23THRUST_200600_302600_NS6detail15normal_iteratorINS8_7pointerItNS8_11hip_rocprim5par_tENS8_11use_defaultESE_EEEENSA_INSB_IlSD_SE_SE_EEEEZNS1_13binary_searchIS3_S5_PtSG_SI_NS1_21lower_bound_search_opENS9_16wrapped_functionI11custom_lessbEEEE10hipError_tPvRmT1_T2_T3_mmT4_T5_P12ihipStream_tbEUlRKtE_EESP_ST_SU_mSV_SY_bEUlT_E_NS1_11comp_targetILNS1_3genE10ELNS1_11target_archE1201ELNS1_3gpuE5ELNS1_3repE0EEENS1_30default_config_static_selectorELNS0_4arch9wavefront6targetE0EEEvSS_.private_seg_size, 0
	.set _ZN7rocprim17ROCPRIM_400000_NS6detail17trampoline_kernelINS0_14default_configENS1_27lower_bound_config_selectorItlEEZNS1_14transform_implILb0ES3_S5_N6thrust23THRUST_200600_302600_NS6detail15normal_iteratorINS8_7pointerItNS8_11hip_rocprim5par_tENS8_11use_defaultESE_EEEENSA_INSB_IlSD_SE_SE_EEEEZNS1_13binary_searchIS3_S5_PtSG_SI_NS1_21lower_bound_search_opENS9_16wrapped_functionI11custom_lessbEEEE10hipError_tPvRmT1_T2_T3_mmT4_T5_P12ihipStream_tbEUlRKtE_EESP_ST_SU_mSV_SY_bEUlT_E_NS1_11comp_targetILNS1_3genE10ELNS1_11target_archE1201ELNS1_3gpuE5ELNS1_3repE0EEENS1_30default_config_static_selectorELNS0_4arch9wavefront6targetE0EEEvSS_.uses_vcc, 0
	.set _ZN7rocprim17ROCPRIM_400000_NS6detail17trampoline_kernelINS0_14default_configENS1_27lower_bound_config_selectorItlEEZNS1_14transform_implILb0ES3_S5_N6thrust23THRUST_200600_302600_NS6detail15normal_iteratorINS8_7pointerItNS8_11hip_rocprim5par_tENS8_11use_defaultESE_EEEENSA_INSB_IlSD_SE_SE_EEEEZNS1_13binary_searchIS3_S5_PtSG_SI_NS1_21lower_bound_search_opENS9_16wrapped_functionI11custom_lessbEEEE10hipError_tPvRmT1_T2_T3_mmT4_T5_P12ihipStream_tbEUlRKtE_EESP_ST_SU_mSV_SY_bEUlT_E_NS1_11comp_targetILNS1_3genE10ELNS1_11target_archE1201ELNS1_3gpuE5ELNS1_3repE0EEENS1_30default_config_static_selectorELNS0_4arch9wavefront6targetE0EEEvSS_.uses_flat_scratch, 0
	.set _ZN7rocprim17ROCPRIM_400000_NS6detail17trampoline_kernelINS0_14default_configENS1_27lower_bound_config_selectorItlEEZNS1_14transform_implILb0ES3_S5_N6thrust23THRUST_200600_302600_NS6detail15normal_iteratorINS8_7pointerItNS8_11hip_rocprim5par_tENS8_11use_defaultESE_EEEENSA_INSB_IlSD_SE_SE_EEEEZNS1_13binary_searchIS3_S5_PtSG_SI_NS1_21lower_bound_search_opENS9_16wrapped_functionI11custom_lessbEEEE10hipError_tPvRmT1_T2_T3_mmT4_T5_P12ihipStream_tbEUlRKtE_EESP_ST_SU_mSV_SY_bEUlT_E_NS1_11comp_targetILNS1_3genE10ELNS1_11target_archE1201ELNS1_3gpuE5ELNS1_3repE0EEENS1_30default_config_static_selectorELNS0_4arch9wavefront6targetE0EEEvSS_.has_dyn_sized_stack, 0
	.set _ZN7rocprim17ROCPRIM_400000_NS6detail17trampoline_kernelINS0_14default_configENS1_27lower_bound_config_selectorItlEEZNS1_14transform_implILb0ES3_S5_N6thrust23THRUST_200600_302600_NS6detail15normal_iteratorINS8_7pointerItNS8_11hip_rocprim5par_tENS8_11use_defaultESE_EEEENSA_INSB_IlSD_SE_SE_EEEEZNS1_13binary_searchIS3_S5_PtSG_SI_NS1_21lower_bound_search_opENS9_16wrapped_functionI11custom_lessbEEEE10hipError_tPvRmT1_T2_T3_mmT4_T5_P12ihipStream_tbEUlRKtE_EESP_ST_SU_mSV_SY_bEUlT_E_NS1_11comp_targetILNS1_3genE10ELNS1_11target_archE1201ELNS1_3gpuE5ELNS1_3repE0EEENS1_30default_config_static_selectorELNS0_4arch9wavefront6targetE0EEEvSS_.has_recursion, 0
	.set _ZN7rocprim17ROCPRIM_400000_NS6detail17trampoline_kernelINS0_14default_configENS1_27lower_bound_config_selectorItlEEZNS1_14transform_implILb0ES3_S5_N6thrust23THRUST_200600_302600_NS6detail15normal_iteratorINS8_7pointerItNS8_11hip_rocprim5par_tENS8_11use_defaultESE_EEEENSA_INSB_IlSD_SE_SE_EEEEZNS1_13binary_searchIS3_S5_PtSG_SI_NS1_21lower_bound_search_opENS9_16wrapped_functionI11custom_lessbEEEE10hipError_tPvRmT1_T2_T3_mmT4_T5_P12ihipStream_tbEUlRKtE_EESP_ST_SU_mSV_SY_bEUlT_E_NS1_11comp_targetILNS1_3genE10ELNS1_11target_archE1201ELNS1_3gpuE5ELNS1_3repE0EEENS1_30default_config_static_selectorELNS0_4arch9wavefront6targetE0EEEvSS_.has_indirect_call, 0
	.section	.AMDGPU.csdata,"",@progbits
; Kernel info:
; codeLenInByte = 0
; TotalNumSgprs: 0
; NumVgprs: 0
; ScratchSize: 0
; MemoryBound: 0
; FloatMode: 240
; IeeeMode: 1
; LDSByteSize: 0 bytes/workgroup (compile time only)
; SGPRBlocks: 0
; VGPRBlocks: 0
; NumSGPRsForWavesPerEU: 1
; NumVGPRsForWavesPerEU: 1
; Occupancy: 16
; WaveLimiterHint : 0
; COMPUTE_PGM_RSRC2:SCRATCH_EN: 0
; COMPUTE_PGM_RSRC2:USER_SGPR: 6
; COMPUTE_PGM_RSRC2:TRAP_HANDLER: 0
; COMPUTE_PGM_RSRC2:TGID_X_EN: 1
; COMPUTE_PGM_RSRC2:TGID_Y_EN: 0
; COMPUTE_PGM_RSRC2:TGID_Z_EN: 0
; COMPUTE_PGM_RSRC2:TIDIG_COMP_CNT: 0
	.section	.text._ZN7rocprim17ROCPRIM_400000_NS6detail17trampoline_kernelINS0_14default_configENS1_27lower_bound_config_selectorItlEEZNS1_14transform_implILb0ES3_S5_N6thrust23THRUST_200600_302600_NS6detail15normal_iteratorINS8_7pointerItNS8_11hip_rocprim5par_tENS8_11use_defaultESE_EEEENSA_INSB_IlSD_SE_SE_EEEEZNS1_13binary_searchIS3_S5_PtSG_SI_NS1_21lower_bound_search_opENS9_16wrapped_functionI11custom_lessbEEEE10hipError_tPvRmT1_T2_T3_mmT4_T5_P12ihipStream_tbEUlRKtE_EESP_ST_SU_mSV_SY_bEUlT_E_NS1_11comp_targetILNS1_3genE10ELNS1_11target_archE1200ELNS1_3gpuE4ELNS1_3repE0EEENS1_30default_config_static_selectorELNS0_4arch9wavefront6targetE0EEEvSS_,"axG",@progbits,_ZN7rocprim17ROCPRIM_400000_NS6detail17trampoline_kernelINS0_14default_configENS1_27lower_bound_config_selectorItlEEZNS1_14transform_implILb0ES3_S5_N6thrust23THRUST_200600_302600_NS6detail15normal_iteratorINS8_7pointerItNS8_11hip_rocprim5par_tENS8_11use_defaultESE_EEEENSA_INSB_IlSD_SE_SE_EEEEZNS1_13binary_searchIS3_S5_PtSG_SI_NS1_21lower_bound_search_opENS9_16wrapped_functionI11custom_lessbEEEE10hipError_tPvRmT1_T2_T3_mmT4_T5_P12ihipStream_tbEUlRKtE_EESP_ST_SU_mSV_SY_bEUlT_E_NS1_11comp_targetILNS1_3genE10ELNS1_11target_archE1200ELNS1_3gpuE4ELNS1_3repE0EEENS1_30default_config_static_selectorELNS0_4arch9wavefront6targetE0EEEvSS_,comdat
	.protected	_ZN7rocprim17ROCPRIM_400000_NS6detail17trampoline_kernelINS0_14default_configENS1_27lower_bound_config_selectorItlEEZNS1_14transform_implILb0ES3_S5_N6thrust23THRUST_200600_302600_NS6detail15normal_iteratorINS8_7pointerItNS8_11hip_rocprim5par_tENS8_11use_defaultESE_EEEENSA_INSB_IlSD_SE_SE_EEEEZNS1_13binary_searchIS3_S5_PtSG_SI_NS1_21lower_bound_search_opENS9_16wrapped_functionI11custom_lessbEEEE10hipError_tPvRmT1_T2_T3_mmT4_T5_P12ihipStream_tbEUlRKtE_EESP_ST_SU_mSV_SY_bEUlT_E_NS1_11comp_targetILNS1_3genE10ELNS1_11target_archE1200ELNS1_3gpuE4ELNS1_3repE0EEENS1_30default_config_static_selectorELNS0_4arch9wavefront6targetE0EEEvSS_ ; -- Begin function _ZN7rocprim17ROCPRIM_400000_NS6detail17trampoline_kernelINS0_14default_configENS1_27lower_bound_config_selectorItlEEZNS1_14transform_implILb0ES3_S5_N6thrust23THRUST_200600_302600_NS6detail15normal_iteratorINS8_7pointerItNS8_11hip_rocprim5par_tENS8_11use_defaultESE_EEEENSA_INSB_IlSD_SE_SE_EEEEZNS1_13binary_searchIS3_S5_PtSG_SI_NS1_21lower_bound_search_opENS9_16wrapped_functionI11custom_lessbEEEE10hipError_tPvRmT1_T2_T3_mmT4_T5_P12ihipStream_tbEUlRKtE_EESP_ST_SU_mSV_SY_bEUlT_E_NS1_11comp_targetILNS1_3genE10ELNS1_11target_archE1200ELNS1_3gpuE4ELNS1_3repE0EEENS1_30default_config_static_selectorELNS0_4arch9wavefront6targetE0EEEvSS_
	.globl	_ZN7rocprim17ROCPRIM_400000_NS6detail17trampoline_kernelINS0_14default_configENS1_27lower_bound_config_selectorItlEEZNS1_14transform_implILb0ES3_S5_N6thrust23THRUST_200600_302600_NS6detail15normal_iteratorINS8_7pointerItNS8_11hip_rocprim5par_tENS8_11use_defaultESE_EEEENSA_INSB_IlSD_SE_SE_EEEEZNS1_13binary_searchIS3_S5_PtSG_SI_NS1_21lower_bound_search_opENS9_16wrapped_functionI11custom_lessbEEEE10hipError_tPvRmT1_T2_T3_mmT4_T5_P12ihipStream_tbEUlRKtE_EESP_ST_SU_mSV_SY_bEUlT_E_NS1_11comp_targetILNS1_3genE10ELNS1_11target_archE1200ELNS1_3gpuE4ELNS1_3repE0EEENS1_30default_config_static_selectorELNS0_4arch9wavefront6targetE0EEEvSS_
	.p2align	8
	.type	_ZN7rocprim17ROCPRIM_400000_NS6detail17trampoline_kernelINS0_14default_configENS1_27lower_bound_config_selectorItlEEZNS1_14transform_implILb0ES3_S5_N6thrust23THRUST_200600_302600_NS6detail15normal_iteratorINS8_7pointerItNS8_11hip_rocprim5par_tENS8_11use_defaultESE_EEEENSA_INSB_IlSD_SE_SE_EEEEZNS1_13binary_searchIS3_S5_PtSG_SI_NS1_21lower_bound_search_opENS9_16wrapped_functionI11custom_lessbEEEE10hipError_tPvRmT1_T2_T3_mmT4_T5_P12ihipStream_tbEUlRKtE_EESP_ST_SU_mSV_SY_bEUlT_E_NS1_11comp_targetILNS1_3genE10ELNS1_11target_archE1200ELNS1_3gpuE4ELNS1_3repE0EEENS1_30default_config_static_selectorELNS0_4arch9wavefront6targetE0EEEvSS_,@function
_ZN7rocprim17ROCPRIM_400000_NS6detail17trampoline_kernelINS0_14default_configENS1_27lower_bound_config_selectorItlEEZNS1_14transform_implILb0ES3_S5_N6thrust23THRUST_200600_302600_NS6detail15normal_iteratorINS8_7pointerItNS8_11hip_rocprim5par_tENS8_11use_defaultESE_EEEENSA_INSB_IlSD_SE_SE_EEEEZNS1_13binary_searchIS3_S5_PtSG_SI_NS1_21lower_bound_search_opENS9_16wrapped_functionI11custom_lessbEEEE10hipError_tPvRmT1_T2_T3_mmT4_T5_P12ihipStream_tbEUlRKtE_EESP_ST_SU_mSV_SY_bEUlT_E_NS1_11comp_targetILNS1_3genE10ELNS1_11target_archE1200ELNS1_3gpuE4ELNS1_3repE0EEENS1_30default_config_static_selectorELNS0_4arch9wavefront6targetE0EEEvSS_: ; @_ZN7rocprim17ROCPRIM_400000_NS6detail17trampoline_kernelINS0_14default_configENS1_27lower_bound_config_selectorItlEEZNS1_14transform_implILb0ES3_S5_N6thrust23THRUST_200600_302600_NS6detail15normal_iteratorINS8_7pointerItNS8_11hip_rocprim5par_tENS8_11use_defaultESE_EEEENSA_INSB_IlSD_SE_SE_EEEEZNS1_13binary_searchIS3_S5_PtSG_SI_NS1_21lower_bound_search_opENS9_16wrapped_functionI11custom_lessbEEEE10hipError_tPvRmT1_T2_T3_mmT4_T5_P12ihipStream_tbEUlRKtE_EESP_ST_SU_mSV_SY_bEUlT_E_NS1_11comp_targetILNS1_3genE10ELNS1_11target_archE1200ELNS1_3gpuE4ELNS1_3repE0EEENS1_30default_config_static_selectorELNS0_4arch9wavefront6targetE0EEEvSS_
; %bb.0:
	.section	.rodata,"a",@progbits
	.p2align	6, 0x0
	.amdhsa_kernel _ZN7rocprim17ROCPRIM_400000_NS6detail17trampoline_kernelINS0_14default_configENS1_27lower_bound_config_selectorItlEEZNS1_14transform_implILb0ES3_S5_N6thrust23THRUST_200600_302600_NS6detail15normal_iteratorINS8_7pointerItNS8_11hip_rocprim5par_tENS8_11use_defaultESE_EEEENSA_INSB_IlSD_SE_SE_EEEEZNS1_13binary_searchIS3_S5_PtSG_SI_NS1_21lower_bound_search_opENS9_16wrapped_functionI11custom_lessbEEEE10hipError_tPvRmT1_T2_T3_mmT4_T5_P12ihipStream_tbEUlRKtE_EESP_ST_SU_mSV_SY_bEUlT_E_NS1_11comp_targetILNS1_3genE10ELNS1_11target_archE1200ELNS1_3gpuE4ELNS1_3repE0EEENS1_30default_config_static_selectorELNS0_4arch9wavefront6targetE0EEEvSS_
		.amdhsa_group_segment_fixed_size 0
		.amdhsa_private_segment_fixed_size 0
		.amdhsa_kernarg_size 56
		.amdhsa_user_sgpr_count 6
		.amdhsa_user_sgpr_private_segment_buffer 1
		.amdhsa_user_sgpr_dispatch_ptr 0
		.amdhsa_user_sgpr_queue_ptr 0
		.amdhsa_user_sgpr_kernarg_segment_ptr 1
		.amdhsa_user_sgpr_dispatch_id 0
		.amdhsa_user_sgpr_flat_scratch_init 0
		.amdhsa_user_sgpr_private_segment_size 0
		.amdhsa_wavefront_size32 1
		.amdhsa_uses_dynamic_stack 0
		.amdhsa_system_sgpr_private_segment_wavefront_offset 0
		.amdhsa_system_sgpr_workgroup_id_x 1
		.amdhsa_system_sgpr_workgroup_id_y 0
		.amdhsa_system_sgpr_workgroup_id_z 0
		.amdhsa_system_sgpr_workgroup_info 0
		.amdhsa_system_vgpr_workitem_id 0
		.amdhsa_next_free_vgpr 1
		.amdhsa_next_free_sgpr 1
		.amdhsa_reserve_vcc 0
		.amdhsa_reserve_flat_scratch 0
		.amdhsa_float_round_mode_32 0
		.amdhsa_float_round_mode_16_64 0
		.amdhsa_float_denorm_mode_32 3
		.amdhsa_float_denorm_mode_16_64 3
		.amdhsa_dx10_clamp 1
		.amdhsa_ieee_mode 1
		.amdhsa_fp16_overflow 0
		.amdhsa_workgroup_processor_mode 1
		.amdhsa_memory_ordered 1
		.amdhsa_forward_progress 1
		.amdhsa_shared_vgpr_count 0
		.amdhsa_exception_fp_ieee_invalid_op 0
		.amdhsa_exception_fp_denorm_src 0
		.amdhsa_exception_fp_ieee_div_zero 0
		.amdhsa_exception_fp_ieee_overflow 0
		.amdhsa_exception_fp_ieee_underflow 0
		.amdhsa_exception_fp_ieee_inexact 0
		.amdhsa_exception_int_div_zero 0
	.end_amdhsa_kernel
	.section	.text._ZN7rocprim17ROCPRIM_400000_NS6detail17trampoline_kernelINS0_14default_configENS1_27lower_bound_config_selectorItlEEZNS1_14transform_implILb0ES3_S5_N6thrust23THRUST_200600_302600_NS6detail15normal_iteratorINS8_7pointerItNS8_11hip_rocprim5par_tENS8_11use_defaultESE_EEEENSA_INSB_IlSD_SE_SE_EEEEZNS1_13binary_searchIS3_S5_PtSG_SI_NS1_21lower_bound_search_opENS9_16wrapped_functionI11custom_lessbEEEE10hipError_tPvRmT1_T2_T3_mmT4_T5_P12ihipStream_tbEUlRKtE_EESP_ST_SU_mSV_SY_bEUlT_E_NS1_11comp_targetILNS1_3genE10ELNS1_11target_archE1200ELNS1_3gpuE4ELNS1_3repE0EEENS1_30default_config_static_selectorELNS0_4arch9wavefront6targetE0EEEvSS_,"axG",@progbits,_ZN7rocprim17ROCPRIM_400000_NS6detail17trampoline_kernelINS0_14default_configENS1_27lower_bound_config_selectorItlEEZNS1_14transform_implILb0ES3_S5_N6thrust23THRUST_200600_302600_NS6detail15normal_iteratorINS8_7pointerItNS8_11hip_rocprim5par_tENS8_11use_defaultESE_EEEENSA_INSB_IlSD_SE_SE_EEEEZNS1_13binary_searchIS3_S5_PtSG_SI_NS1_21lower_bound_search_opENS9_16wrapped_functionI11custom_lessbEEEE10hipError_tPvRmT1_T2_T3_mmT4_T5_P12ihipStream_tbEUlRKtE_EESP_ST_SU_mSV_SY_bEUlT_E_NS1_11comp_targetILNS1_3genE10ELNS1_11target_archE1200ELNS1_3gpuE4ELNS1_3repE0EEENS1_30default_config_static_selectorELNS0_4arch9wavefront6targetE0EEEvSS_,comdat
.Lfunc_end90:
	.size	_ZN7rocprim17ROCPRIM_400000_NS6detail17trampoline_kernelINS0_14default_configENS1_27lower_bound_config_selectorItlEEZNS1_14transform_implILb0ES3_S5_N6thrust23THRUST_200600_302600_NS6detail15normal_iteratorINS8_7pointerItNS8_11hip_rocprim5par_tENS8_11use_defaultESE_EEEENSA_INSB_IlSD_SE_SE_EEEEZNS1_13binary_searchIS3_S5_PtSG_SI_NS1_21lower_bound_search_opENS9_16wrapped_functionI11custom_lessbEEEE10hipError_tPvRmT1_T2_T3_mmT4_T5_P12ihipStream_tbEUlRKtE_EESP_ST_SU_mSV_SY_bEUlT_E_NS1_11comp_targetILNS1_3genE10ELNS1_11target_archE1200ELNS1_3gpuE4ELNS1_3repE0EEENS1_30default_config_static_selectorELNS0_4arch9wavefront6targetE0EEEvSS_, .Lfunc_end90-_ZN7rocprim17ROCPRIM_400000_NS6detail17trampoline_kernelINS0_14default_configENS1_27lower_bound_config_selectorItlEEZNS1_14transform_implILb0ES3_S5_N6thrust23THRUST_200600_302600_NS6detail15normal_iteratorINS8_7pointerItNS8_11hip_rocprim5par_tENS8_11use_defaultESE_EEEENSA_INSB_IlSD_SE_SE_EEEEZNS1_13binary_searchIS3_S5_PtSG_SI_NS1_21lower_bound_search_opENS9_16wrapped_functionI11custom_lessbEEEE10hipError_tPvRmT1_T2_T3_mmT4_T5_P12ihipStream_tbEUlRKtE_EESP_ST_SU_mSV_SY_bEUlT_E_NS1_11comp_targetILNS1_3genE10ELNS1_11target_archE1200ELNS1_3gpuE4ELNS1_3repE0EEENS1_30default_config_static_selectorELNS0_4arch9wavefront6targetE0EEEvSS_
                                        ; -- End function
	.set _ZN7rocprim17ROCPRIM_400000_NS6detail17trampoline_kernelINS0_14default_configENS1_27lower_bound_config_selectorItlEEZNS1_14transform_implILb0ES3_S5_N6thrust23THRUST_200600_302600_NS6detail15normal_iteratorINS8_7pointerItNS8_11hip_rocprim5par_tENS8_11use_defaultESE_EEEENSA_INSB_IlSD_SE_SE_EEEEZNS1_13binary_searchIS3_S5_PtSG_SI_NS1_21lower_bound_search_opENS9_16wrapped_functionI11custom_lessbEEEE10hipError_tPvRmT1_T2_T3_mmT4_T5_P12ihipStream_tbEUlRKtE_EESP_ST_SU_mSV_SY_bEUlT_E_NS1_11comp_targetILNS1_3genE10ELNS1_11target_archE1200ELNS1_3gpuE4ELNS1_3repE0EEENS1_30default_config_static_selectorELNS0_4arch9wavefront6targetE0EEEvSS_.num_vgpr, 0
	.set _ZN7rocprim17ROCPRIM_400000_NS6detail17trampoline_kernelINS0_14default_configENS1_27lower_bound_config_selectorItlEEZNS1_14transform_implILb0ES3_S5_N6thrust23THRUST_200600_302600_NS6detail15normal_iteratorINS8_7pointerItNS8_11hip_rocprim5par_tENS8_11use_defaultESE_EEEENSA_INSB_IlSD_SE_SE_EEEEZNS1_13binary_searchIS3_S5_PtSG_SI_NS1_21lower_bound_search_opENS9_16wrapped_functionI11custom_lessbEEEE10hipError_tPvRmT1_T2_T3_mmT4_T5_P12ihipStream_tbEUlRKtE_EESP_ST_SU_mSV_SY_bEUlT_E_NS1_11comp_targetILNS1_3genE10ELNS1_11target_archE1200ELNS1_3gpuE4ELNS1_3repE0EEENS1_30default_config_static_selectorELNS0_4arch9wavefront6targetE0EEEvSS_.num_agpr, 0
	.set _ZN7rocprim17ROCPRIM_400000_NS6detail17trampoline_kernelINS0_14default_configENS1_27lower_bound_config_selectorItlEEZNS1_14transform_implILb0ES3_S5_N6thrust23THRUST_200600_302600_NS6detail15normal_iteratorINS8_7pointerItNS8_11hip_rocprim5par_tENS8_11use_defaultESE_EEEENSA_INSB_IlSD_SE_SE_EEEEZNS1_13binary_searchIS3_S5_PtSG_SI_NS1_21lower_bound_search_opENS9_16wrapped_functionI11custom_lessbEEEE10hipError_tPvRmT1_T2_T3_mmT4_T5_P12ihipStream_tbEUlRKtE_EESP_ST_SU_mSV_SY_bEUlT_E_NS1_11comp_targetILNS1_3genE10ELNS1_11target_archE1200ELNS1_3gpuE4ELNS1_3repE0EEENS1_30default_config_static_selectorELNS0_4arch9wavefront6targetE0EEEvSS_.numbered_sgpr, 0
	.set _ZN7rocprim17ROCPRIM_400000_NS6detail17trampoline_kernelINS0_14default_configENS1_27lower_bound_config_selectorItlEEZNS1_14transform_implILb0ES3_S5_N6thrust23THRUST_200600_302600_NS6detail15normal_iteratorINS8_7pointerItNS8_11hip_rocprim5par_tENS8_11use_defaultESE_EEEENSA_INSB_IlSD_SE_SE_EEEEZNS1_13binary_searchIS3_S5_PtSG_SI_NS1_21lower_bound_search_opENS9_16wrapped_functionI11custom_lessbEEEE10hipError_tPvRmT1_T2_T3_mmT4_T5_P12ihipStream_tbEUlRKtE_EESP_ST_SU_mSV_SY_bEUlT_E_NS1_11comp_targetILNS1_3genE10ELNS1_11target_archE1200ELNS1_3gpuE4ELNS1_3repE0EEENS1_30default_config_static_selectorELNS0_4arch9wavefront6targetE0EEEvSS_.num_named_barrier, 0
	.set _ZN7rocprim17ROCPRIM_400000_NS6detail17trampoline_kernelINS0_14default_configENS1_27lower_bound_config_selectorItlEEZNS1_14transform_implILb0ES3_S5_N6thrust23THRUST_200600_302600_NS6detail15normal_iteratorINS8_7pointerItNS8_11hip_rocprim5par_tENS8_11use_defaultESE_EEEENSA_INSB_IlSD_SE_SE_EEEEZNS1_13binary_searchIS3_S5_PtSG_SI_NS1_21lower_bound_search_opENS9_16wrapped_functionI11custom_lessbEEEE10hipError_tPvRmT1_T2_T3_mmT4_T5_P12ihipStream_tbEUlRKtE_EESP_ST_SU_mSV_SY_bEUlT_E_NS1_11comp_targetILNS1_3genE10ELNS1_11target_archE1200ELNS1_3gpuE4ELNS1_3repE0EEENS1_30default_config_static_selectorELNS0_4arch9wavefront6targetE0EEEvSS_.private_seg_size, 0
	.set _ZN7rocprim17ROCPRIM_400000_NS6detail17trampoline_kernelINS0_14default_configENS1_27lower_bound_config_selectorItlEEZNS1_14transform_implILb0ES3_S5_N6thrust23THRUST_200600_302600_NS6detail15normal_iteratorINS8_7pointerItNS8_11hip_rocprim5par_tENS8_11use_defaultESE_EEEENSA_INSB_IlSD_SE_SE_EEEEZNS1_13binary_searchIS3_S5_PtSG_SI_NS1_21lower_bound_search_opENS9_16wrapped_functionI11custom_lessbEEEE10hipError_tPvRmT1_T2_T3_mmT4_T5_P12ihipStream_tbEUlRKtE_EESP_ST_SU_mSV_SY_bEUlT_E_NS1_11comp_targetILNS1_3genE10ELNS1_11target_archE1200ELNS1_3gpuE4ELNS1_3repE0EEENS1_30default_config_static_selectorELNS0_4arch9wavefront6targetE0EEEvSS_.uses_vcc, 0
	.set _ZN7rocprim17ROCPRIM_400000_NS6detail17trampoline_kernelINS0_14default_configENS1_27lower_bound_config_selectorItlEEZNS1_14transform_implILb0ES3_S5_N6thrust23THRUST_200600_302600_NS6detail15normal_iteratorINS8_7pointerItNS8_11hip_rocprim5par_tENS8_11use_defaultESE_EEEENSA_INSB_IlSD_SE_SE_EEEEZNS1_13binary_searchIS3_S5_PtSG_SI_NS1_21lower_bound_search_opENS9_16wrapped_functionI11custom_lessbEEEE10hipError_tPvRmT1_T2_T3_mmT4_T5_P12ihipStream_tbEUlRKtE_EESP_ST_SU_mSV_SY_bEUlT_E_NS1_11comp_targetILNS1_3genE10ELNS1_11target_archE1200ELNS1_3gpuE4ELNS1_3repE0EEENS1_30default_config_static_selectorELNS0_4arch9wavefront6targetE0EEEvSS_.uses_flat_scratch, 0
	.set _ZN7rocprim17ROCPRIM_400000_NS6detail17trampoline_kernelINS0_14default_configENS1_27lower_bound_config_selectorItlEEZNS1_14transform_implILb0ES3_S5_N6thrust23THRUST_200600_302600_NS6detail15normal_iteratorINS8_7pointerItNS8_11hip_rocprim5par_tENS8_11use_defaultESE_EEEENSA_INSB_IlSD_SE_SE_EEEEZNS1_13binary_searchIS3_S5_PtSG_SI_NS1_21lower_bound_search_opENS9_16wrapped_functionI11custom_lessbEEEE10hipError_tPvRmT1_T2_T3_mmT4_T5_P12ihipStream_tbEUlRKtE_EESP_ST_SU_mSV_SY_bEUlT_E_NS1_11comp_targetILNS1_3genE10ELNS1_11target_archE1200ELNS1_3gpuE4ELNS1_3repE0EEENS1_30default_config_static_selectorELNS0_4arch9wavefront6targetE0EEEvSS_.has_dyn_sized_stack, 0
	.set _ZN7rocprim17ROCPRIM_400000_NS6detail17trampoline_kernelINS0_14default_configENS1_27lower_bound_config_selectorItlEEZNS1_14transform_implILb0ES3_S5_N6thrust23THRUST_200600_302600_NS6detail15normal_iteratorINS8_7pointerItNS8_11hip_rocprim5par_tENS8_11use_defaultESE_EEEENSA_INSB_IlSD_SE_SE_EEEEZNS1_13binary_searchIS3_S5_PtSG_SI_NS1_21lower_bound_search_opENS9_16wrapped_functionI11custom_lessbEEEE10hipError_tPvRmT1_T2_T3_mmT4_T5_P12ihipStream_tbEUlRKtE_EESP_ST_SU_mSV_SY_bEUlT_E_NS1_11comp_targetILNS1_3genE10ELNS1_11target_archE1200ELNS1_3gpuE4ELNS1_3repE0EEENS1_30default_config_static_selectorELNS0_4arch9wavefront6targetE0EEEvSS_.has_recursion, 0
	.set _ZN7rocprim17ROCPRIM_400000_NS6detail17trampoline_kernelINS0_14default_configENS1_27lower_bound_config_selectorItlEEZNS1_14transform_implILb0ES3_S5_N6thrust23THRUST_200600_302600_NS6detail15normal_iteratorINS8_7pointerItNS8_11hip_rocprim5par_tENS8_11use_defaultESE_EEEENSA_INSB_IlSD_SE_SE_EEEEZNS1_13binary_searchIS3_S5_PtSG_SI_NS1_21lower_bound_search_opENS9_16wrapped_functionI11custom_lessbEEEE10hipError_tPvRmT1_T2_T3_mmT4_T5_P12ihipStream_tbEUlRKtE_EESP_ST_SU_mSV_SY_bEUlT_E_NS1_11comp_targetILNS1_3genE10ELNS1_11target_archE1200ELNS1_3gpuE4ELNS1_3repE0EEENS1_30default_config_static_selectorELNS0_4arch9wavefront6targetE0EEEvSS_.has_indirect_call, 0
	.section	.AMDGPU.csdata,"",@progbits
; Kernel info:
; codeLenInByte = 0
; TotalNumSgprs: 0
; NumVgprs: 0
; ScratchSize: 0
; MemoryBound: 0
; FloatMode: 240
; IeeeMode: 1
; LDSByteSize: 0 bytes/workgroup (compile time only)
; SGPRBlocks: 0
; VGPRBlocks: 0
; NumSGPRsForWavesPerEU: 1
; NumVGPRsForWavesPerEU: 1
; Occupancy: 16
; WaveLimiterHint : 0
; COMPUTE_PGM_RSRC2:SCRATCH_EN: 0
; COMPUTE_PGM_RSRC2:USER_SGPR: 6
; COMPUTE_PGM_RSRC2:TRAP_HANDLER: 0
; COMPUTE_PGM_RSRC2:TGID_X_EN: 1
; COMPUTE_PGM_RSRC2:TGID_Y_EN: 0
; COMPUTE_PGM_RSRC2:TGID_Z_EN: 0
; COMPUTE_PGM_RSRC2:TIDIG_COMP_CNT: 0
	.section	.text._ZN7rocprim17ROCPRIM_400000_NS6detail17trampoline_kernelINS0_14default_configENS1_27lower_bound_config_selectorItlEEZNS1_14transform_implILb0ES3_S5_N6thrust23THRUST_200600_302600_NS6detail15normal_iteratorINS8_7pointerItNS8_11hip_rocprim5par_tENS8_11use_defaultESE_EEEENSA_INSB_IlSD_SE_SE_EEEEZNS1_13binary_searchIS3_S5_PtSG_SI_NS1_21lower_bound_search_opENS9_16wrapped_functionI11custom_lessbEEEE10hipError_tPvRmT1_T2_T3_mmT4_T5_P12ihipStream_tbEUlRKtE_EESP_ST_SU_mSV_SY_bEUlT_E_NS1_11comp_targetILNS1_3genE9ELNS1_11target_archE1100ELNS1_3gpuE3ELNS1_3repE0EEENS1_30default_config_static_selectorELNS0_4arch9wavefront6targetE0EEEvSS_,"axG",@progbits,_ZN7rocprim17ROCPRIM_400000_NS6detail17trampoline_kernelINS0_14default_configENS1_27lower_bound_config_selectorItlEEZNS1_14transform_implILb0ES3_S5_N6thrust23THRUST_200600_302600_NS6detail15normal_iteratorINS8_7pointerItNS8_11hip_rocprim5par_tENS8_11use_defaultESE_EEEENSA_INSB_IlSD_SE_SE_EEEEZNS1_13binary_searchIS3_S5_PtSG_SI_NS1_21lower_bound_search_opENS9_16wrapped_functionI11custom_lessbEEEE10hipError_tPvRmT1_T2_T3_mmT4_T5_P12ihipStream_tbEUlRKtE_EESP_ST_SU_mSV_SY_bEUlT_E_NS1_11comp_targetILNS1_3genE9ELNS1_11target_archE1100ELNS1_3gpuE3ELNS1_3repE0EEENS1_30default_config_static_selectorELNS0_4arch9wavefront6targetE0EEEvSS_,comdat
	.protected	_ZN7rocprim17ROCPRIM_400000_NS6detail17trampoline_kernelINS0_14default_configENS1_27lower_bound_config_selectorItlEEZNS1_14transform_implILb0ES3_S5_N6thrust23THRUST_200600_302600_NS6detail15normal_iteratorINS8_7pointerItNS8_11hip_rocprim5par_tENS8_11use_defaultESE_EEEENSA_INSB_IlSD_SE_SE_EEEEZNS1_13binary_searchIS3_S5_PtSG_SI_NS1_21lower_bound_search_opENS9_16wrapped_functionI11custom_lessbEEEE10hipError_tPvRmT1_T2_T3_mmT4_T5_P12ihipStream_tbEUlRKtE_EESP_ST_SU_mSV_SY_bEUlT_E_NS1_11comp_targetILNS1_3genE9ELNS1_11target_archE1100ELNS1_3gpuE3ELNS1_3repE0EEENS1_30default_config_static_selectorELNS0_4arch9wavefront6targetE0EEEvSS_ ; -- Begin function _ZN7rocprim17ROCPRIM_400000_NS6detail17trampoline_kernelINS0_14default_configENS1_27lower_bound_config_selectorItlEEZNS1_14transform_implILb0ES3_S5_N6thrust23THRUST_200600_302600_NS6detail15normal_iteratorINS8_7pointerItNS8_11hip_rocprim5par_tENS8_11use_defaultESE_EEEENSA_INSB_IlSD_SE_SE_EEEEZNS1_13binary_searchIS3_S5_PtSG_SI_NS1_21lower_bound_search_opENS9_16wrapped_functionI11custom_lessbEEEE10hipError_tPvRmT1_T2_T3_mmT4_T5_P12ihipStream_tbEUlRKtE_EESP_ST_SU_mSV_SY_bEUlT_E_NS1_11comp_targetILNS1_3genE9ELNS1_11target_archE1100ELNS1_3gpuE3ELNS1_3repE0EEENS1_30default_config_static_selectorELNS0_4arch9wavefront6targetE0EEEvSS_
	.globl	_ZN7rocprim17ROCPRIM_400000_NS6detail17trampoline_kernelINS0_14default_configENS1_27lower_bound_config_selectorItlEEZNS1_14transform_implILb0ES3_S5_N6thrust23THRUST_200600_302600_NS6detail15normal_iteratorINS8_7pointerItNS8_11hip_rocprim5par_tENS8_11use_defaultESE_EEEENSA_INSB_IlSD_SE_SE_EEEEZNS1_13binary_searchIS3_S5_PtSG_SI_NS1_21lower_bound_search_opENS9_16wrapped_functionI11custom_lessbEEEE10hipError_tPvRmT1_T2_T3_mmT4_T5_P12ihipStream_tbEUlRKtE_EESP_ST_SU_mSV_SY_bEUlT_E_NS1_11comp_targetILNS1_3genE9ELNS1_11target_archE1100ELNS1_3gpuE3ELNS1_3repE0EEENS1_30default_config_static_selectorELNS0_4arch9wavefront6targetE0EEEvSS_
	.p2align	8
	.type	_ZN7rocprim17ROCPRIM_400000_NS6detail17trampoline_kernelINS0_14default_configENS1_27lower_bound_config_selectorItlEEZNS1_14transform_implILb0ES3_S5_N6thrust23THRUST_200600_302600_NS6detail15normal_iteratorINS8_7pointerItNS8_11hip_rocprim5par_tENS8_11use_defaultESE_EEEENSA_INSB_IlSD_SE_SE_EEEEZNS1_13binary_searchIS3_S5_PtSG_SI_NS1_21lower_bound_search_opENS9_16wrapped_functionI11custom_lessbEEEE10hipError_tPvRmT1_T2_T3_mmT4_T5_P12ihipStream_tbEUlRKtE_EESP_ST_SU_mSV_SY_bEUlT_E_NS1_11comp_targetILNS1_3genE9ELNS1_11target_archE1100ELNS1_3gpuE3ELNS1_3repE0EEENS1_30default_config_static_selectorELNS0_4arch9wavefront6targetE0EEEvSS_,@function
_ZN7rocprim17ROCPRIM_400000_NS6detail17trampoline_kernelINS0_14default_configENS1_27lower_bound_config_selectorItlEEZNS1_14transform_implILb0ES3_S5_N6thrust23THRUST_200600_302600_NS6detail15normal_iteratorINS8_7pointerItNS8_11hip_rocprim5par_tENS8_11use_defaultESE_EEEENSA_INSB_IlSD_SE_SE_EEEEZNS1_13binary_searchIS3_S5_PtSG_SI_NS1_21lower_bound_search_opENS9_16wrapped_functionI11custom_lessbEEEE10hipError_tPvRmT1_T2_T3_mmT4_T5_P12ihipStream_tbEUlRKtE_EESP_ST_SU_mSV_SY_bEUlT_E_NS1_11comp_targetILNS1_3genE9ELNS1_11target_archE1100ELNS1_3gpuE3ELNS1_3repE0EEENS1_30default_config_static_selectorELNS0_4arch9wavefront6targetE0EEEvSS_: ; @_ZN7rocprim17ROCPRIM_400000_NS6detail17trampoline_kernelINS0_14default_configENS1_27lower_bound_config_selectorItlEEZNS1_14transform_implILb0ES3_S5_N6thrust23THRUST_200600_302600_NS6detail15normal_iteratorINS8_7pointerItNS8_11hip_rocprim5par_tENS8_11use_defaultESE_EEEENSA_INSB_IlSD_SE_SE_EEEEZNS1_13binary_searchIS3_S5_PtSG_SI_NS1_21lower_bound_search_opENS9_16wrapped_functionI11custom_lessbEEEE10hipError_tPvRmT1_T2_T3_mmT4_T5_P12ihipStream_tbEUlRKtE_EESP_ST_SU_mSV_SY_bEUlT_E_NS1_11comp_targetILNS1_3genE9ELNS1_11target_archE1100ELNS1_3gpuE3ELNS1_3repE0EEENS1_30default_config_static_selectorELNS0_4arch9wavefront6targetE0EEEvSS_
; %bb.0:
	.section	.rodata,"a",@progbits
	.p2align	6, 0x0
	.amdhsa_kernel _ZN7rocprim17ROCPRIM_400000_NS6detail17trampoline_kernelINS0_14default_configENS1_27lower_bound_config_selectorItlEEZNS1_14transform_implILb0ES3_S5_N6thrust23THRUST_200600_302600_NS6detail15normal_iteratorINS8_7pointerItNS8_11hip_rocprim5par_tENS8_11use_defaultESE_EEEENSA_INSB_IlSD_SE_SE_EEEEZNS1_13binary_searchIS3_S5_PtSG_SI_NS1_21lower_bound_search_opENS9_16wrapped_functionI11custom_lessbEEEE10hipError_tPvRmT1_T2_T3_mmT4_T5_P12ihipStream_tbEUlRKtE_EESP_ST_SU_mSV_SY_bEUlT_E_NS1_11comp_targetILNS1_3genE9ELNS1_11target_archE1100ELNS1_3gpuE3ELNS1_3repE0EEENS1_30default_config_static_selectorELNS0_4arch9wavefront6targetE0EEEvSS_
		.amdhsa_group_segment_fixed_size 0
		.amdhsa_private_segment_fixed_size 0
		.amdhsa_kernarg_size 56
		.amdhsa_user_sgpr_count 6
		.amdhsa_user_sgpr_private_segment_buffer 1
		.amdhsa_user_sgpr_dispatch_ptr 0
		.amdhsa_user_sgpr_queue_ptr 0
		.amdhsa_user_sgpr_kernarg_segment_ptr 1
		.amdhsa_user_sgpr_dispatch_id 0
		.amdhsa_user_sgpr_flat_scratch_init 0
		.amdhsa_user_sgpr_private_segment_size 0
		.amdhsa_wavefront_size32 1
		.amdhsa_uses_dynamic_stack 0
		.amdhsa_system_sgpr_private_segment_wavefront_offset 0
		.amdhsa_system_sgpr_workgroup_id_x 1
		.amdhsa_system_sgpr_workgroup_id_y 0
		.amdhsa_system_sgpr_workgroup_id_z 0
		.amdhsa_system_sgpr_workgroup_info 0
		.amdhsa_system_vgpr_workitem_id 0
		.amdhsa_next_free_vgpr 1
		.amdhsa_next_free_sgpr 1
		.amdhsa_reserve_vcc 0
		.amdhsa_reserve_flat_scratch 0
		.amdhsa_float_round_mode_32 0
		.amdhsa_float_round_mode_16_64 0
		.amdhsa_float_denorm_mode_32 3
		.amdhsa_float_denorm_mode_16_64 3
		.amdhsa_dx10_clamp 1
		.amdhsa_ieee_mode 1
		.amdhsa_fp16_overflow 0
		.amdhsa_workgroup_processor_mode 1
		.amdhsa_memory_ordered 1
		.amdhsa_forward_progress 1
		.amdhsa_shared_vgpr_count 0
		.amdhsa_exception_fp_ieee_invalid_op 0
		.amdhsa_exception_fp_denorm_src 0
		.amdhsa_exception_fp_ieee_div_zero 0
		.amdhsa_exception_fp_ieee_overflow 0
		.amdhsa_exception_fp_ieee_underflow 0
		.amdhsa_exception_fp_ieee_inexact 0
		.amdhsa_exception_int_div_zero 0
	.end_amdhsa_kernel
	.section	.text._ZN7rocprim17ROCPRIM_400000_NS6detail17trampoline_kernelINS0_14default_configENS1_27lower_bound_config_selectorItlEEZNS1_14transform_implILb0ES3_S5_N6thrust23THRUST_200600_302600_NS6detail15normal_iteratorINS8_7pointerItNS8_11hip_rocprim5par_tENS8_11use_defaultESE_EEEENSA_INSB_IlSD_SE_SE_EEEEZNS1_13binary_searchIS3_S5_PtSG_SI_NS1_21lower_bound_search_opENS9_16wrapped_functionI11custom_lessbEEEE10hipError_tPvRmT1_T2_T3_mmT4_T5_P12ihipStream_tbEUlRKtE_EESP_ST_SU_mSV_SY_bEUlT_E_NS1_11comp_targetILNS1_3genE9ELNS1_11target_archE1100ELNS1_3gpuE3ELNS1_3repE0EEENS1_30default_config_static_selectorELNS0_4arch9wavefront6targetE0EEEvSS_,"axG",@progbits,_ZN7rocprim17ROCPRIM_400000_NS6detail17trampoline_kernelINS0_14default_configENS1_27lower_bound_config_selectorItlEEZNS1_14transform_implILb0ES3_S5_N6thrust23THRUST_200600_302600_NS6detail15normal_iteratorINS8_7pointerItNS8_11hip_rocprim5par_tENS8_11use_defaultESE_EEEENSA_INSB_IlSD_SE_SE_EEEEZNS1_13binary_searchIS3_S5_PtSG_SI_NS1_21lower_bound_search_opENS9_16wrapped_functionI11custom_lessbEEEE10hipError_tPvRmT1_T2_T3_mmT4_T5_P12ihipStream_tbEUlRKtE_EESP_ST_SU_mSV_SY_bEUlT_E_NS1_11comp_targetILNS1_3genE9ELNS1_11target_archE1100ELNS1_3gpuE3ELNS1_3repE0EEENS1_30default_config_static_selectorELNS0_4arch9wavefront6targetE0EEEvSS_,comdat
.Lfunc_end91:
	.size	_ZN7rocprim17ROCPRIM_400000_NS6detail17trampoline_kernelINS0_14default_configENS1_27lower_bound_config_selectorItlEEZNS1_14transform_implILb0ES3_S5_N6thrust23THRUST_200600_302600_NS6detail15normal_iteratorINS8_7pointerItNS8_11hip_rocprim5par_tENS8_11use_defaultESE_EEEENSA_INSB_IlSD_SE_SE_EEEEZNS1_13binary_searchIS3_S5_PtSG_SI_NS1_21lower_bound_search_opENS9_16wrapped_functionI11custom_lessbEEEE10hipError_tPvRmT1_T2_T3_mmT4_T5_P12ihipStream_tbEUlRKtE_EESP_ST_SU_mSV_SY_bEUlT_E_NS1_11comp_targetILNS1_3genE9ELNS1_11target_archE1100ELNS1_3gpuE3ELNS1_3repE0EEENS1_30default_config_static_selectorELNS0_4arch9wavefront6targetE0EEEvSS_, .Lfunc_end91-_ZN7rocprim17ROCPRIM_400000_NS6detail17trampoline_kernelINS0_14default_configENS1_27lower_bound_config_selectorItlEEZNS1_14transform_implILb0ES3_S5_N6thrust23THRUST_200600_302600_NS6detail15normal_iteratorINS8_7pointerItNS8_11hip_rocprim5par_tENS8_11use_defaultESE_EEEENSA_INSB_IlSD_SE_SE_EEEEZNS1_13binary_searchIS3_S5_PtSG_SI_NS1_21lower_bound_search_opENS9_16wrapped_functionI11custom_lessbEEEE10hipError_tPvRmT1_T2_T3_mmT4_T5_P12ihipStream_tbEUlRKtE_EESP_ST_SU_mSV_SY_bEUlT_E_NS1_11comp_targetILNS1_3genE9ELNS1_11target_archE1100ELNS1_3gpuE3ELNS1_3repE0EEENS1_30default_config_static_selectorELNS0_4arch9wavefront6targetE0EEEvSS_
                                        ; -- End function
	.set _ZN7rocprim17ROCPRIM_400000_NS6detail17trampoline_kernelINS0_14default_configENS1_27lower_bound_config_selectorItlEEZNS1_14transform_implILb0ES3_S5_N6thrust23THRUST_200600_302600_NS6detail15normal_iteratorINS8_7pointerItNS8_11hip_rocprim5par_tENS8_11use_defaultESE_EEEENSA_INSB_IlSD_SE_SE_EEEEZNS1_13binary_searchIS3_S5_PtSG_SI_NS1_21lower_bound_search_opENS9_16wrapped_functionI11custom_lessbEEEE10hipError_tPvRmT1_T2_T3_mmT4_T5_P12ihipStream_tbEUlRKtE_EESP_ST_SU_mSV_SY_bEUlT_E_NS1_11comp_targetILNS1_3genE9ELNS1_11target_archE1100ELNS1_3gpuE3ELNS1_3repE0EEENS1_30default_config_static_selectorELNS0_4arch9wavefront6targetE0EEEvSS_.num_vgpr, 0
	.set _ZN7rocprim17ROCPRIM_400000_NS6detail17trampoline_kernelINS0_14default_configENS1_27lower_bound_config_selectorItlEEZNS1_14transform_implILb0ES3_S5_N6thrust23THRUST_200600_302600_NS6detail15normal_iteratorINS8_7pointerItNS8_11hip_rocprim5par_tENS8_11use_defaultESE_EEEENSA_INSB_IlSD_SE_SE_EEEEZNS1_13binary_searchIS3_S5_PtSG_SI_NS1_21lower_bound_search_opENS9_16wrapped_functionI11custom_lessbEEEE10hipError_tPvRmT1_T2_T3_mmT4_T5_P12ihipStream_tbEUlRKtE_EESP_ST_SU_mSV_SY_bEUlT_E_NS1_11comp_targetILNS1_3genE9ELNS1_11target_archE1100ELNS1_3gpuE3ELNS1_3repE0EEENS1_30default_config_static_selectorELNS0_4arch9wavefront6targetE0EEEvSS_.num_agpr, 0
	.set _ZN7rocprim17ROCPRIM_400000_NS6detail17trampoline_kernelINS0_14default_configENS1_27lower_bound_config_selectorItlEEZNS1_14transform_implILb0ES3_S5_N6thrust23THRUST_200600_302600_NS6detail15normal_iteratorINS8_7pointerItNS8_11hip_rocprim5par_tENS8_11use_defaultESE_EEEENSA_INSB_IlSD_SE_SE_EEEEZNS1_13binary_searchIS3_S5_PtSG_SI_NS1_21lower_bound_search_opENS9_16wrapped_functionI11custom_lessbEEEE10hipError_tPvRmT1_T2_T3_mmT4_T5_P12ihipStream_tbEUlRKtE_EESP_ST_SU_mSV_SY_bEUlT_E_NS1_11comp_targetILNS1_3genE9ELNS1_11target_archE1100ELNS1_3gpuE3ELNS1_3repE0EEENS1_30default_config_static_selectorELNS0_4arch9wavefront6targetE0EEEvSS_.numbered_sgpr, 0
	.set _ZN7rocprim17ROCPRIM_400000_NS6detail17trampoline_kernelINS0_14default_configENS1_27lower_bound_config_selectorItlEEZNS1_14transform_implILb0ES3_S5_N6thrust23THRUST_200600_302600_NS6detail15normal_iteratorINS8_7pointerItNS8_11hip_rocprim5par_tENS8_11use_defaultESE_EEEENSA_INSB_IlSD_SE_SE_EEEEZNS1_13binary_searchIS3_S5_PtSG_SI_NS1_21lower_bound_search_opENS9_16wrapped_functionI11custom_lessbEEEE10hipError_tPvRmT1_T2_T3_mmT4_T5_P12ihipStream_tbEUlRKtE_EESP_ST_SU_mSV_SY_bEUlT_E_NS1_11comp_targetILNS1_3genE9ELNS1_11target_archE1100ELNS1_3gpuE3ELNS1_3repE0EEENS1_30default_config_static_selectorELNS0_4arch9wavefront6targetE0EEEvSS_.num_named_barrier, 0
	.set _ZN7rocprim17ROCPRIM_400000_NS6detail17trampoline_kernelINS0_14default_configENS1_27lower_bound_config_selectorItlEEZNS1_14transform_implILb0ES3_S5_N6thrust23THRUST_200600_302600_NS6detail15normal_iteratorINS8_7pointerItNS8_11hip_rocprim5par_tENS8_11use_defaultESE_EEEENSA_INSB_IlSD_SE_SE_EEEEZNS1_13binary_searchIS3_S5_PtSG_SI_NS1_21lower_bound_search_opENS9_16wrapped_functionI11custom_lessbEEEE10hipError_tPvRmT1_T2_T3_mmT4_T5_P12ihipStream_tbEUlRKtE_EESP_ST_SU_mSV_SY_bEUlT_E_NS1_11comp_targetILNS1_3genE9ELNS1_11target_archE1100ELNS1_3gpuE3ELNS1_3repE0EEENS1_30default_config_static_selectorELNS0_4arch9wavefront6targetE0EEEvSS_.private_seg_size, 0
	.set _ZN7rocprim17ROCPRIM_400000_NS6detail17trampoline_kernelINS0_14default_configENS1_27lower_bound_config_selectorItlEEZNS1_14transform_implILb0ES3_S5_N6thrust23THRUST_200600_302600_NS6detail15normal_iteratorINS8_7pointerItNS8_11hip_rocprim5par_tENS8_11use_defaultESE_EEEENSA_INSB_IlSD_SE_SE_EEEEZNS1_13binary_searchIS3_S5_PtSG_SI_NS1_21lower_bound_search_opENS9_16wrapped_functionI11custom_lessbEEEE10hipError_tPvRmT1_T2_T3_mmT4_T5_P12ihipStream_tbEUlRKtE_EESP_ST_SU_mSV_SY_bEUlT_E_NS1_11comp_targetILNS1_3genE9ELNS1_11target_archE1100ELNS1_3gpuE3ELNS1_3repE0EEENS1_30default_config_static_selectorELNS0_4arch9wavefront6targetE0EEEvSS_.uses_vcc, 0
	.set _ZN7rocprim17ROCPRIM_400000_NS6detail17trampoline_kernelINS0_14default_configENS1_27lower_bound_config_selectorItlEEZNS1_14transform_implILb0ES3_S5_N6thrust23THRUST_200600_302600_NS6detail15normal_iteratorINS8_7pointerItNS8_11hip_rocprim5par_tENS8_11use_defaultESE_EEEENSA_INSB_IlSD_SE_SE_EEEEZNS1_13binary_searchIS3_S5_PtSG_SI_NS1_21lower_bound_search_opENS9_16wrapped_functionI11custom_lessbEEEE10hipError_tPvRmT1_T2_T3_mmT4_T5_P12ihipStream_tbEUlRKtE_EESP_ST_SU_mSV_SY_bEUlT_E_NS1_11comp_targetILNS1_3genE9ELNS1_11target_archE1100ELNS1_3gpuE3ELNS1_3repE0EEENS1_30default_config_static_selectorELNS0_4arch9wavefront6targetE0EEEvSS_.uses_flat_scratch, 0
	.set _ZN7rocprim17ROCPRIM_400000_NS6detail17trampoline_kernelINS0_14default_configENS1_27lower_bound_config_selectorItlEEZNS1_14transform_implILb0ES3_S5_N6thrust23THRUST_200600_302600_NS6detail15normal_iteratorINS8_7pointerItNS8_11hip_rocprim5par_tENS8_11use_defaultESE_EEEENSA_INSB_IlSD_SE_SE_EEEEZNS1_13binary_searchIS3_S5_PtSG_SI_NS1_21lower_bound_search_opENS9_16wrapped_functionI11custom_lessbEEEE10hipError_tPvRmT1_T2_T3_mmT4_T5_P12ihipStream_tbEUlRKtE_EESP_ST_SU_mSV_SY_bEUlT_E_NS1_11comp_targetILNS1_3genE9ELNS1_11target_archE1100ELNS1_3gpuE3ELNS1_3repE0EEENS1_30default_config_static_selectorELNS0_4arch9wavefront6targetE0EEEvSS_.has_dyn_sized_stack, 0
	.set _ZN7rocprim17ROCPRIM_400000_NS6detail17trampoline_kernelINS0_14default_configENS1_27lower_bound_config_selectorItlEEZNS1_14transform_implILb0ES3_S5_N6thrust23THRUST_200600_302600_NS6detail15normal_iteratorINS8_7pointerItNS8_11hip_rocprim5par_tENS8_11use_defaultESE_EEEENSA_INSB_IlSD_SE_SE_EEEEZNS1_13binary_searchIS3_S5_PtSG_SI_NS1_21lower_bound_search_opENS9_16wrapped_functionI11custom_lessbEEEE10hipError_tPvRmT1_T2_T3_mmT4_T5_P12ihipStream_tbEUlRKtE_EESP_ST_SU_mSV_SY_bEUlT_E_NS1_11comp_targetILNS1_3genE9ELNS1_11target_archE1100ELNS1_3gpuE3ELNS1_3repE0EEENS1_30default_config_static_selectorELNS0_4arch9wavefront6targetE0EEEvSS_.has_recursion, 0
	.set _ZN7rocprim17ROCPRIM_400000_NS6detail17trampoline_kernelINS0_14default_configENS1_27lower_bound_config_selectorItlEEZNS1_14transform_implILb0ES3_S5_N6thrust23THRUST_200600_302600_NS6detail15normal_iteratorINS8_7pointerItNS8_11hip_rocprim5par_tENS8_11use_defaultESE_EEEENSA_INSB_IlSD_SE_SE_EEEEZNS1_13binary_searchIS3_S5_PtSG_SI_NS1_21lower_bound_search_opENS9_16wrapped_functionI11custom_lessbEEEE10hipError_tPvRmT1_T2_T3_mmT4_T5_P12ihipStream_tbEUlRKtE_EESP_ST_SU_mSV_SY_bEUlT_E_NS1_11comp_targetILNS1_3genE9ELNS1_11target_archE1100ELNS1_3gpuE3ELNS1_3repE0EEENS1_30default_config_static_selectorELNS0_4arch9wavefront6targetE0EEEvSS_.has_indirect_call, 0
	.section	.AMDGPU.csdata,"",@progbits
; Kernel info:
; codeLenInByte = 0
; TotalNumSgprs: 0
; NumVgprs: 0
; ScratchSize: 0
; MemoryBound: 0
; FloatMode: 240
; IeeeMode: 1
; LDSByteSize: 0 bytes/workgroup (compile time only)
; SGPRBlocks: 0
; VGPRBlocks: 0
; NumSGPRsForWavesPerEU: 1
; NumVGPRsForWavesPerEU: 1
; Occupancy: 16
; WaveLimiterHint : 0
; COMPUTE_PGM_RSRC2:SCRATCH_EN: 0
; COMPUTE_PGM_RSRC2:USER_SGPR: 6
; COMPUTE_PGM_RSRC2:TRAP_HANDLER: 0
; COMPUTE_PGM_RSRC2:TGID_X_EN: 1
; COMPUTE_PGM_RSRC2:TGID_Y_EN: 0
; COMPUTE_PGM_RSRC2:TGID_Z_EN: 0
; COMPUTE_PGM_RSRC2:TIDIG_COMP_CNT: 0
	.section	.text._ZN7rocprim17ROCPRIM_400000_NS6detail17trampoline_kernelINS0_14default_configENS1_27lower_bound_config_selectorItlEEZNS1_14transform_implILb0ES3_S5_N6thrust23THRUST_200600_302600_NS6detail15normal_iteratorINS8_7pointerItNS8_11hip_rocprim5par_tENS8_11use_defaultESE_EEEENSA_INSB_IlSD_SE_SE_EEEEZNS1_13binary_searchIS3_S5_PtSG_SI_NS1_21lower_bound_search_opENS9_16wrapped_functionI11custom_lessbEEEE10hipError_tPvRmT1_T2_T3_mmT4_T5_P12ihipStream_tbEUlRKtE_EESP_ST_SU_mSV_SY_bEUlT_E_NS1_11comp_targetILNS1_3genE8ELNS1_11target_archE1030ELNS1_3gpuE2ELNS1_3repE0EEENS1_30default_config_static_selectorELNS0_4arch9wavefront6targetE0EEEvSS_,"axG",@progbits,_ZN7rocprim17ROCPRIM_400000_NS6detail17trampoline_kernelINS0_14default_configENS1_27lower_bound_config_selectorItlEEZNS1_14transform_implILb0ES3_S5_N6thrust23THRUST_200600_302600_NS6detail15normal_iteratorINS8_7pointerItNS8_11hip_rocprim5par_tENS8_11use_defaultESE_EEEENSA_INSB_IlSD_SE_SE_EEEEZNS1_13binary_searchIS3_S5_PtSG_SI_NS1_21lower_bound_search_opENS9_16wrapped_functionI11custom_lessbEEEE10hipError_tPvRmT1_T2_T3_mmT4_T5_P12ihipStream_tbEUlRKtE_EESP_ST_SU_mSV_SY_bEUlT_E_NS1_11comp_targetILNS1_3genE8ELNS1_11target_archE1030ELNS1_3gpuE2ELNS1_3repE0EEENS1_30default_config_static_selectorELNS0_4arch9wavefront6targetE0EEEvSS_,comdat
	.protected	_ZN7rocprim17ROCPRIM_400000_NS6detail17trampoline_kernelINS0_14default_configENS1_27lower_bound_config_selectorItlEEZNS1_14transform_implILb0ES3_S5_N6thrust23THRUST_200600_302600_NS6detail15normal_iteratorINS8_7pointerItNS8_11hip_rocprim5par_tENS8_11use_defaultESE_EEEENSA_INSB_IlSD_SE_SE_EEEEZNS1_13binary_searchIS3_S5_PtSG_SI_NS1_21lower_bound_search_opENS9_16wrapped_functionI11custom_lessbEEEE10hipError_tPvRmT1_T2_T3_mmT4_T5_P12ihipStream_tbEUlRKtE_EESP_ST_SU_mSV_SY_bEUlT_E_NS1_11comp_targetILNS1_3genE8ELNS1_11target_archE1030ELNS1_3gpuE2ELNS1_3repE0EEENS1_30default_config_static_selectorELNS0_4arch9wavefront6targetE0EEEvSS_ ; -- Begin function _ZN7rocprim17ROCPRIM_400000_NS6detail17trampoline_kernelINS0_14default_configENS1_27lower_bound_config_selectorItlEEZNS1_14transform_implILb0ES3_S5_N6thrust23THRUST_200600_302600_NS6detail15normal_iteratorINS8_7pointerItNS8_11hip_rocprim5par_tENS8_11use_defaultESE_EEEENSA_INSB_IlSD_SE_SE_EEEEZNS1_13binary_searchIS3_S5_PtSG_SI_NS1_21lower_bound_search_opENS9_16wrapped_functionI11custom_lessbEEEE10hipError_tPvRmT1_T2_T3_mmT4_T5_P12ihipStream_tbEUlRKtE_EESP_ST_SU_mSV_SY_bEUlT_E_NS1_11comp_targetILNS1_3genE8ELNS1_11target_archE1030ELNS1_3gpuE2ELNS1_3repE0EEENS1_30default_config_static_selectorELNS0_4arch9wavefront6targetE0EEEvSS_
	.globl	_ZN7rocprim17ROCPRIM_400000_NS6detail17trampoline_kernelINS0_14default_configENS1_27lower_bound_config_selectorItlEEZNS1_14transform_implILb0ES3_S5_N6thrust23THRUST_200600_302600_NS6detail15normal_iteratorINS8_7pointerItNS8_11hip_rocprim5par_tENS8_11use_defaultESE_EEEENSA_INSB_IlSD_SE_SE_EEEEZNS1_13binary_searchIS3_S5_PtSG_SI_NS1_21lower_bound_search_opENS9_16wrapped_functionI11custom_lessbEEEE10hipError_tPvRmT1_T2_T3_mmT4_T5_P12ihipStream_tbEUlRKtE_EESP_ST_SU_mSV_SY_bEUlT_E_NS1_11comp_targetILNS1_3genE8ELNS1_11target_archE1030ELNS1_3gpuE2ELNS1_3repE0EEENS1_30default_config_static_selectorELNS0_4arch9wavefront6targetE0EEEvSS_
	.p2align	8
	.type	_ZN7rocprim17ROCPRIM_400000_NS6detail17trampoline_kernelINS0_14default_configENS1_27lower_bound_config_selectorItlEEZNS1_14transform_implILb0ES3_S5_N6thrust23THRUST_200600_302600_NS6detail15normal_iteratorINS8_7pointerItNS8_11hip_rocprim5par_tENS8_11use_defaultESE_EEEENSA_INSB_IlSD_SE_SE_EEEEZNS1_13binary_searchIS3_S5_PtSG_SI_NS1_21lower_bound_search_opENS9_16wrapped_functionI11custom_lessbEEEE10hipError_tPvRmT1_T2_T3_mmT4_T5_P12ihipStream_tbEUlRKtE_EESP_ST_SU_mSV_SY_bEUlT_E_NS1_11comp_targetILNS1_3genE8ELNS1_11target_archE1030ELNS1_3gpuE2ELNS1_3repE0EEENS1_30default_config_static_selectorELNS0_4arch9wavefront6targetE0EEEvSS_,@function
_ZN7rocprim17ROCPRIM_400000_NS6detail17trampoline_kernelINS0_14default_configENS1_27lower_bound_config_selectorItlEEZNS1_14transform_implILb0ES3_S5_N6thrust23THRUST_200600_302600_NS6detail15normal_iteratorINS8_7pointerItNS8_11hip_rocprim5par_tENS8_11use_defaultESE_EEEENSA_INSB_IlSD_SE_SE_EEEEZNS1_13binary_searchIS3_S5_PtSG_SI_NS1_21lower_bound_search_opENS9_16wrapped_functionI11custom_lessbEEEE10hipError_tPvRmT1_T2_T3_mmT4_T5_P12ihipStream_tbEUlRKtE_EESP_ST_SU_mSV_SY_bEUlT_E_NS1_11comp_targetILNS1_3genE8ELNS1_11target_archE1030ELNS1_3gpuE2ELNS1_3repE0EEENS1_30default_config_static_selectorELNS0_4arch9wavefront6targetE0EEEvSS_: ; @_ZN7rocprim17ROCPRIM_400000_NS6detail17trampoline_kernelINS0_14default_configENS1_27lower_bound_config_selectorItlEEZNS1_14transform_implILb0ES3_S5_N6thrust23THRUST_200600_302600_NS6detail15normal_iteratorINS8_7pointerItNS8_11hip_rocprim5par_tENS8_11use_defaultESE_EEEENSA_INSB_IlSD_SE_SE_EEEEZNS1_13binary_searchIS3_S5_PtSG_SI_NS1_21lower_bound_search_opENS9_16wrapped_functionI11custom_lessbEEEE10hipError_tPvRmT1_T2_T3_mmT4_T5_P12ihipStream_tbEUlRKtE_EESP_ST_SU_mSV_SY_bEUlT_E_NS1_11comp_targetILNS1_3genE8ELNS1_11target_archE1030ELNS1_3gpuE2ELNS1_3repE0EEENS1_30default_config_static_selectorELNS0_4arch9wavefront6targetE0EEEvSS_
; %bb.0:
	s_clause 0x2
	s_load_dwordx8 s[8:15], s[4:5], 0x0
	s_load_dword s2, s[4:5], 0x38
	s_load_dwordx4 s[16:19], s[4:5], 0x20
	s_mov_b32 s5, 0
	s_waitcnt lgkmcnt(0)
	s_lshl_b64 s[0:1], s[10:11], 1
	s_add_u32 s8, s8, s0
	s_addc_u32 s9, s9, s1
	s_lshl_b64 s[0:1], s[10:11], 3
	s_add_u32 s3, s14, s0
	s_addc_u32 s7, s15, s1
	s_lshl_b32 s4, s6, 9
	s_add_i32 s2, s2, -1
	s_lshl_b64 s[0:1], s[4:5], 1
	s_add_u32 s8, s8, s0
	s_addc_u32 s9, s9, s1
	s_cmp_lg_u32 s6, s2
	s_mov_b32 s0, -1
	s_cbranch_scc0 .LBB92_5
; %bb.1:
	v_lshlrev_b32_e32 v1, 1, v0
	s_cmp_lg_u64 s[18:19], 0
	v_add_co_u32 v1, s0, s8, v1
	v_add_co_ci_u32_e64 v2, null, s9, 0, s0
	s_cselect_b32 s0, -1, 0
	s_cmp_eq_u64 s[18:19], 0
	s_clause 0x2
	flat_load_ushort v7, v[1:2] offset:256
	flat_load_ushort v9, v[1:2] offset:512
	;; [unrolled: 1-line block ×3, first 2 shown]
	s_cbranch_scc1 .LBB92_6
; %bb.2:
	flat_load_ushort v5, v[1:2]
	v_mov_b32_e32 v1, 0
	v_mov_b32_e32 v3, s18
	;; [unrolled: 1-line block ×4, first 2 shown]
	s_mov_b32 s1, 0
	s_inst_prefetch 0x1
	.p2align	6
.LBB92_3:                               ; =>This Inner Loop Header: Depth=1
	v_sub_co_u32 v12, vcc_lo, v3, v1
	v_sub_co_ci_u32_e64 v13, null, v4, v2, vcc_lo
	v_lshrrev_b64 v[14:15], 1, v[12:13]
	v_lshrrev_b64 v[12:13], 6, v[12:13]
	v_add_co_u32 v6, vcc_lo, v14, v1
	v_add_co_ci_u32_e64 v8, null, v15, v2, vcc_lo
	v_add_co_u32 v12, vcc_lo, v6, v12
	v_add_co_ci_u32_e64 v13, null, v8, v13, vcc_lo
	v_lshlrev_b64 v[14:15], 1, v[12:13]
	v_add_co_u32 v14, vcc_lo, s16, v14
	v_add_co_ci_u32_e64 v15, null, s17, v15, vcc_lo
	v_add_co_u32 v8, vcc_lo, v12, 1
	v_add_co_ci_u32_e64 v10, null, 0, v13, vcc_lo
	global_load_ushort v6, v[14:15], off
	s_waitcnt vmcnt(0) lgkmcnt(0)
	v_cmp_lt_u16_e32 vcc_lo, v6, v5
	v_cndmask_b32_e32 v4, v13, v4, vcc_lo
	v_cndmask_b32_e32 v3, v12, v3, vcc_lo
	v_cndmask_b32_e32 v2, v2, v10, vcc_lo
	v_cndmask_b32_e32 v1, v1, v8, vcc_lo
	v_cmp_ge_u64_e32 vcc_lo, v[1:2], v[3:4]
	s_or_b32 s1, vcc_lo, s1
	s_andn2_b32 exec_lo, exec_lo, s1
	s_cbranch_execnz .LBB92_3
; %bb.4:
	s_inst_prefetch 0x2
	s_or_b32 exec_lo, exec_lo, s1
	s_branch .LBB92_7
.LBB92_5:
	s_mov_b32 s6, s5
                                        ; implicit-def: $vgpr7_vgpr8
                                        ; implicit-def: $vgpr11_vgpr12
	s_and_b32 vcc_lo, exec_lo, s0
	s_cbranch_vccnz .LBB92_20
	s_branch .LBB92_53
.LBB92_6:
	v_mov_b32_e32 v1, 0
	v_mov_b32_e32 v2, 0
.LBB92_7:
	v_mov_b32_e32 v3, 0
	v_cndmask_b32_e64 v10, 0, 1, s0
	v_mov_b32_e32 v4, 0
	s_andn2_b32 vcc_lo, exec_lo, s0
	s_cbranch_vccnz .LBB92_11
; %bb.8:
	v_mov_b32_e32 v5, s18
	v_mov_b32_e32 v6, s19
	s_mov_b32 s0, 0
	s_inst_prefetch 0x1
	.p2align	6
.LBB92_9:                               ; =>This Inner Loop Header: Depth=1
	v_sub_co_u32 v12, vcc_lo, v5, v3
	v_sub_co_ci_u32_e64 v13, null, v6, v4, vcc_lo
	v_lshrrev_b64 v[14:15], 1, v[12:13]
	v_lshrrev_b64 v[12:13], 6, v[12:13]
	v_add_co_u32 v8, vcc_lo, v14, v3
	v_add_co_ci_u32_e64 v14, null, v15, v4, vcc_lo
	v_add_co_u32 v12, vcc_lo, v8, v12
	v_add_co_ci_u32_e64 v13, null, v14, v13, vcc_lo
	v_lshlrev_b64 v[14:15], 1, v[12:13]
	v_add_co_u32 v14, vcc_lo, s16, v14
	v_add_co_ci_u32_e64 v15, null, s17, v15, vcc_lo
	global_load_ushort v8, v[14:15], off
	v_add_co_u32 v14, vcc_lo, v12, 1
	v_add_co_ci_u32_e64 v15, null, 0, v13, vcc_lo
	s_waitcnt vmcnt(0) lgkmcnt(2)
	v_cmp_lt_u16_e32 vcc_lo, v8, v7
	v_cndmask_b32_e32 v6, v13, v6, vcc_lo
	v_cndmask_b32_e32 v5, v12, v5, vcc_lo
	;; [unrolled: 1-line block ×4, first 2 shown]
	v_cmp_ge_u64_e32 vcc_lo, v[3:4], v[5:6]
	s_or_b32 s0, vcc_lo, s0
	s_andn2_b32 exec_lo, exec_lo, s0
	s_cbranch_execnz .LBB92_9
; %bb.10:
	s_inst_prefetch 0x2
	s_or_b32 exec_lo, exec_lo, s0
.LBB92_11:
	v_cmp_ne_u32_e32 vcc_lo, 1, v10
	v_mov_b32_e32 v5, 0
	v_mov_b32_e32 v6, 0
	s_cbranch_vccnz .LBB92_15
; %bb.12:
	s_waitcnt vmcnt(2) lgkmcnt(2)
	v_mov_b32_e32 v7, s18
	v_mov_b32_e32 v8, s19
	s_mov_b32 s0, 0
	s_inst_prefetch 0x1
	.p2align	6
.LBB92_13:                              ; =>This Inner Loop Header: Depth=1
	v_sub_co_u32 v12, vcc_lo, v7, v5
	v_sub_co_ci_u32_e64 v13, null, v8, v6, vcc_lo
	v_lshrrev_b64 v[14:15], 1, v[12:13]
	v_lshrrev_b64 v[12:13], 6, v[12:13]
	v_add_co_u32 v14, vcc_lo, v14, v5
	v_add_co_ci_u32_e64 v15, null, v15, v6, vcc_lo
	v_add_co_u32 v12, vcc_lo, v14, v12
	v_add_co_ci_u32_e64 v13, null, v15, v13, vcc_lo
	v_lshlrev_b64 v[14:15], 1, v[12:13]
	v_add_co_u32 v14, vcc_lo, s16, v14
	v_add_co_ci_u32_e64 v15, null, s17, v15, vcc_lo
	global_load_ushort v14, v[14:15], off
	v_add_co_u32 v15, vcc_lo, v12, 1
	v_add_co_ci_u32_e64 v16, null, 0, v13, vcc_lo
	s_waitcnt vmcnt(0) lgkmcnt(1)
	v_cmp_lt_u16_e32 vcc_lo, v14, v9
	v_cndmask_b32_e32 v8, v13, v8, vcc_lo
	v_cndmask_b32_e32 v7, v12, v7, vcc_lo
	;; [unrolled: 1-line block ×4, first 2 shown]
	v_cmp_ge_u64_e32 vcc_lo, v[5:6], v[7:8]
	s_or_b32 s0, vcc_lo, s0
	s_andn2_b32 exec_lo, exec_lo, s0
	s_cbranch_execnz .LBB92_13
; %bb.14:
	s_inst_prefetch 0x2
	s_or_b32 exec_lo, exec_lo, s0
.LBB92_15:
	v_cmp_ne_u32_e32 vcc_lo, 1, v10
	s_waitcnt vmcnt(2) lgkmcnt(2)
	v_mov_b32_e32 v7, 0
	v_mov_b32_e32 v8, 0
	s_cbranch_vccnz .LBB92_19
; %bb.16:
	s_waitcnt vmcnt(1) lgkmcnt(1)
	v_mov_b32_e32 v9, s18
	v_mov_b32_e32 v10, s19
	s_mov_b32 s0, 0
	s_inst_prefetch 0x1
	.p2align	6
.LBB92_17:                              ; =>This Inner Loop Header: Depth=1
	v_sub_co_u32 v12, vcc_lo, v9, v7
	v_sub_co_ci_u32_e64 v13, null, v10, v8, vcc_lo
	v_lshrrev_b64 v[14:15], 1, v[12:13]
	v_lshrrev_b64 v[12:13], 6, v[12:13]
	v_add_co_u32 v14, vcc_lo, v14, v7
	v_add_co_ci_u32_e64 v15, null, v15, v8, vcc_lo
	v_add_co_u32 v12, vcc_lo, v14, v12
	v_add_co_ci_u32_e64 v13, null, v15, v13, vcc_lo
	v_lshlrev_b64 v[14:15], 1, v[12:13]
	v_add_co_u32 v14, vcc_lo, s16, v14
	v_add_co_ci_u32_e64 v15, null, s17, v15, vcc_lo
	global_load_ushort v14, v[14:15], off
	v_add_co_u32 v15, vcc_lo, v12, 1
	v_add_co_ci_u32_e64 v16, null, 0, v13, vcc_lo
	s_waitcnt vmcnt(0) lgkmcnt(0)
	v_cmp_lt_u16_e32 vcc_lo, v14, v11
	v_cndmask_b32_e32 v10, v13, v10, vcc_lo
	v_cndmask_b32_e32 v9, v12, v9, vcc_lo
	v_cndmask_b32_e32 v8, v8, v16, vcc_lo
	v_cndmask_b32_e32 v7, v7, v15, vcc_lo
	v_cmp_ge_u64_e32 vcc_lo, v[7:8], v[9:10]
	s_or_b32 s0, vcc_lo, s0
	s_andn2_b32 exec_lo, exec_lo, s0
	s_cbranch_execnz .LBB92_17
; %bb.18:
	s_inst_prefetch 0x2
	s_or_b32 exec_lo, exec_lo, s0
.LBB92_19:
	s_waitcnt vmcnt(1) lgkmcnt(1)
	v_lshlrev_b32_e32 v9, 3, v0
	s_lshl_b64 s[0:1], s[4:5], 3
	s_mov_b32 s6, -1
	s_add_u32 s0, s3, s0
	s_addc_u32 s1, s7, s1
	s_waitcnt vmcnt(0) lgkmcnt(0)
	v_add_co_u32 v11, s0, s0, v9
	v_add_co_ci_u32_e64 v12, null, s1, 0, s0
	v_add_co_u32 v9, vcc_lo, 0x800, v11
	v_add_co_ci_u32_e64 v10, null, 0, v12, vcc_lo
	flat_store_dwordx2 v[11:12], v[1:2]
	flat_store_dwordx2 v[11:12], v[3:4] offset:1024
	flat_store_dwordx2 v[9:10], v[5:6]
	s_branch .LBB92_53
.LBB92_20:
	v_mov_b32_e32 v1, 0
	s_sub_i32 s6, s12, s4
	v_cmp_gt_u32_e64 s0, s6, v0
	v_mov_b32_e32 v2, v1
	s_and_saveexec_b32 s1, s0
	s_cbranch_execz .LBB92_22
; %bb.21:
	v_lshlrev_b32_e32 v2, 1, v0
	v_mov_b32_e32 v4, v1
	v_mov_b32_e32 v5, v1
	v_add_co_u32 v2, s2, s8, v2
	v_add_co_ci_u32_e64 v3, null, s9, 0, s2
	flat_load_short_d16 v4, v[2:3]
	s_waitcnt vmcnt(0) lgkmcnt(0)
	v_mov_b32_e32 v1, v4
	v_mov_b32_e32 v2, v5
.LBB92_22:
	s_or_b32 exec_lo, exec_lo, s1
	v_or_b32_e32 v3, 0x80, v0
	v_cmp_gt_u32_e64 s1, s6, v3
	s_and_saveexec_b32 s2, s1
	s_cbranch_execz .LBB92_24
; %bb.23:
	v_lshlrev_b32_e32 v3, 1, v0
	v_add_co_u32 v3, s10, s8, v3
	v_add_co_ci_u32_e64 v4, null, s9, 0, s10
	flat_load_short_d16_hi v1, v[3:4] offset:256
.LBB92_24:
	s_or_b32 exec_lo, exec_lo, s2
	v_or_b32_e32 v3, 0x100, v0
	v_cmp_gt_u32_e64 s2, s6, v3
	s_and_saveexec_b32 s10, s2
	s_cbranch_execz .LBB92_26
; %bb.25:
	v_lshlrev_b32_e32 v3, 1, v0
	v_add_co_u32 v3, s11, s8, v3
	v_add_co_ci_u32_e64 v4, null, s9, 0, s11
	flat_load_short_d16 v2, v[3:4] offset:512
.LBB92_26:
	s_or_b32 exec_lo, exec_lo, s10
	v_or_b32_e32 v3, 0x180, v0
	v_cmp_gt_u32_e64 s6, s6, v3
	s_and_saveexec_b32 s10, s6
	s_cbranch_execz .LBB92_28
; %bb.27:
	v_lshlrev_b32_e32 v3, 1, v0
	v_add_co_u32 v3, s8, s8, v3
	v_add_co_ci_u32_e64 v4, null, s9, 0, s8
	s_waitcnt vmcnt(0) lgkmcnt(0)
	flat_load_short_d16_hi v2, v[3:4] offset:768
.LBB92_28:
	s_or_b32 exec_lo, exec_lo, s10
	s_cmp_lg_u64 s[18:19], 0
                                        ; implicit-def: $vgpr3_vgpr4
	s_cselect_b32 s8, -1, 0
	s_and_saveexec_b32 s9, s0
	s_cbranch_execz .LBB92_33
; %bb.29:
	v_mov_b32_e32 v3, 0
	v_mov_b32_e32 v4, 0
	s_andn2_b32 vcc_lo, exec_lo, s8
	s_cbranch_vccnz .LBB92_33
; %bb.30:
	v_mov_b32_e32 v5, s18
	v_mov_b32_e32 v6, s19
	s_mov_b32 s10, 0
	s_inst_prefetch 0x1
	.p2align	6
.LBB92_31:                              ; =>This Inner Loop Header: Depth=1
	v_sub_co_u32 v7, vcc_lo, v5, v3
	v_sub_co_ci_u32_e64 v8, null, v6, v4, vcc_lo
	v_lshrrev_b64 v[9:10], 1, v[7:8]
	v_lshrrev_b64 v[7:8], 6, v[7:8]
	v_add_co_u32 v9, vcc_lo, v9, v3
	v_add_co_ci_u32_e64 v10, null, v10, v4, vcc_lo
	v_add_co_u32 v7, vcc_lo, v9, v7
	v_add_co_ci_u32_e64 v8, null, v10, v8, vcc_lo
	v_lshlrev_b64 v[9:10], 1, v[7:8]
	v_add_co_u32 v9, vcc_lo, s16, v9
	v_add_co_ci_u32_e64 v10, null, s17, v10, vcc_lo
	global_load_ushort v9, v[9:10], off
	v_add_co_u32 v10, vcc_lo, v7, 1
	v_add_co_ci_u32_e64 v11, null, 0, v8, vcc_lo
	s_waitcnt vmcnt(0) lgkmcnt(0)
	v_cmp_lt_u16_e32 vcc_lo, v9, v1
	v_cndmask_b32_e32 v6, v8, v6, vcc_lo
	v_cndmask_b32_e32 v5, v7, v5, vcc_lo
	;; [unrolled: 1-line block ×4, first 2 shown]
	v_cmp_ge_u64_e32 vcc_lo, v[3:4], v[5:6]
	s_or_b32 s10, vcc_lo, s10
	s_andn2_b32 exec_lo, exec_lo, s10
	s_cbranch_execnz .LBB92_31
; %bb.32:
	s_inst_prefetch 0x2
	s_or_b32 exec_lo, exec_lo, s10
.LBB92_33:
	s_or_b32 exec_lo, exec_lo, s9
                                        ; implicit-def: $vgpr5_vgpr6
	s_and_saveexec_b32 s9, s1
	s_cbranch_execz .LBB92_38
; %bb.34:
	v_mov_b32_e32 v5, 0
	v_mov_b32_e32 v6, 0
	s_andn2_b32 vcc_lo, exec_lo, s8
	s_cbranch_vccnz .LBB92_38
; %bb.35:
	v_mov_b32_e32 v7, s18
	v_mov_b32_e32 v8, s19
	s_mov_b32 s10, 0
	s_inst_prefetch 0x1
	.p2align	6
.LBB92_36:                              ; =>This Inner Loop Header: Depth=1
	v_sub_co_u32 v9, vcc_lo, v7, v5
	v_sub_co_ci_u32_e64 v10, null, v8, v6, vcc_lo
	v_lshrrev_b64 v[11:12], 1, v[9:10]
	v_lshrrev_b64 v[9:10], 6, v[9:10]
	v_add_co_u32 v11, vcc_lo, v11, v5
	v_add_co_ci_u32_e64 v12, null, v12, v6, vcc_lo
	v_add_co_u32 v9, vcc_lo, v11, v9
	v_add_co_ci_u32_e64 v10, null, v12, v10, vcc_lo
	v_lshlrev_b64 v[11:12], 1, v[9:10]
	v_add_co_u32 v11, vcc_lo, s16, v11
	v_add_co_ci_u32_e64 v12, null, s17, v12, vcc_lo
	global_load_ushort v11, v[11:12], off
	v_add_co_u32 v12, vcc_lo, v9, 1
	v_add_co_ci_u32_e64 v13, null, 0, v10, vcc_lo
	s_waitcnt vmcnt(0) lgkmcnt(0)
	v_cmp_lt_u16_sdwa vcc_lo, v11, v1 src0_sel:DWORD src1_sel:WORD_1
	v_cndmask_b32_e32 v8, v10, v8, vcc_lo
	v_cndmask_b32_e32 v7, v9, v7, vcc_lo
	v_cndmask_b32_e32 v6, v6, v13, vcc_lo
	v_cndmask_b32_e32 v5, v5, v12, vcc_lo
	v_cmp_ge_u64_e32 vcc_lo, v[5:6], v[7:8]
	s_or_b32 s10, vcc_lo, s10
	s_andn2_b32 exec_lo, exec_lo, s10
	s_cbranch_execnz .LBB92_36
; %bb.37:
	s_inst_prefetch 0x2
	s_or_b32 exec_lo, exec_lo, s10
.LBB92_38:
	s_or_b32 exec_lo, exec_lo, s9
                                        ; implicit-def: $vgpr9_vgpr10
	s_and_saveexec_b32 s9, s2
	s_cbranch_execz .LBB92_43
; %bb.39:
	v_mov_b32_e32 v9, 0
	v_mov_b32_e32 v10, 0
	s_andn2_b32 vcc_lo, exec_lo, s8
	s_cbranch_vccnz .LBB92_43
; %bb.40:
	v_mov_b32_e32 v7, s18
	v_mov_b32_e32 v8, s19
	s_mov_b32 s10, 0
	s_inst_prefetch 0x1
	.p2align	6
.LBB92_41:                              ; =>This Inner Loop Header: Depth=1
	v_sub_co_u32 v11, vcc_lo, v7, v9
	v_sub_co_ci_u32_e64 v12, null, v8, v10, vcc_lo
	v_lshrrev_b64 v[13:14], 1, v[11:12]
	v_lshrrev_b64 v[11:12], 6, v[11:12]
	s_waitcnt vmcnt(0) lgkmcnt(0)
	v_add_co_u32 v1, vcc_lo, v13, v9
	v_add_co_ci_u32_e64 v13, null, v14, v10, vcc_lo
	v_add_co_u32 v11, vcc_lo, v1, v11
	v_add_co_ci_u32_e64 v12, null, v13, v12, vcc_lo
	v_lshlrev_b64 v[13:14], 1, v[11:12]
	v_add_co_u32 v13, vcc_lo, s16, v13
	v_add_co_ci_u32_e64 v14, null, s17, v14, vcc_lo
	global_load_ushort v1, v[13:14], off
	v_add_co_u32 v13, vcc_lo, v11, 1
	v_add_co_ci_u32_e64 v14, null, 0, v12, vcc_lo
	s_waitcnt vmcnt(0)
	v_cmp_lt_u16_e32 vcc_lo, v1, v2
	v_cndmask_b32_e32 v8, v12, v8, vcc_lo
	v_cndmask_b32_e32 v7, v11, v7, vcc_lo
	v_cndmask_b32_e32 v10, v10, v14, vcc_lo
	v_cndmask_b32_e32 v9, v9, v13, vcc_lo
	v_cmp_ge_u64_e32 vcc_lo, v[9:10], v[7:8]
	s_or_b32 s10, vcc_lo, s10
	s_andn2_b32 exec_lo, exec_lo, s10
	s_cbranch_execnz .LBB92_41
; %bb.42:
	s_inst_prefetch 0x2
	s_or_b32 exec_lo, exec_lo, s10
.LBB92_43:
	s_or_b32 exec_lo, exec_lo, s9
                                        ; implicit-def: $vgpr7_vgpr8
	s_and_saveexec_b32 s9, s6
	s_cbranch_execz .LBB92_48
; %bb.44:
	v_mov_b32_e32 v7, 0
	v_mov_b32_e32 v8, 0
	s_andn2_b32 vcc_lo, exec_lo, s8
	s_cbranch_vccnz .LBB92_48
; %bb.45:
	v_mov_b32_e32 v11, s18
	v_mov_b32_e32 v12, s19
	s_mov_b32 s8, 0
	s_inst_prefetch 0x1
	.p2align	6
.LBB92_46:                              ; =>This Inner Loop Header: Depth=1
	v_sub_co_u32 v13, vcc_lo, v11, v7
	v_sub_co_ci_u32_e64 v14, null, v12, v8, vcc_lo
	v_lshrrev_b64 v[15:16], 1, v[13:14]
	v_lshrrev_b64 v[13:14], 6, v[13:14]
	s_waitcnt vmcnt(0) lgkmcnt(0)
	v_add_co_u32 v1, vcc_lo, v15, v7
	v_add_co_ci_u32_e64 v15, null, v16, v8, vcc_lo
	v_add_co_u32 v13, vcc_lo, v1, v13
	v_add_co_ci_u32_e64 v14, null, v15, v14, vcc_lo
	v_lshlrev_b64 v[15:16], 1, v[13:14]
	v_add_co_u32 v15, vcc_lo, s16, v15
	v_add_co_ci_u32_e64 v16, null, s17, v16, vcc_lo
	global_load_ushort v1, v[15:16], off
	v_add_co_u32 v15, vcc_lo, v13, 1
	v_add_co_ci_u32_e64 v16, null, 0, v14, vcc_lo
	s_waitcnt vmcnt(0)
	v_cmp_lt_u16_sdwa vcc_lo, v1, v2 src0_sel:DWORD src1_sel:WORD_1
	v_cndmask_b32_e32 v12, v14, v12, vcc_lo
	v_cndmask_b32_e32 v11, v13, v11, vcc_lo
	v_cndmask_b32_e32 v8, v8, v16, vcc_lo
	v_cndmask_b32_e32 v7, v7, v15, vcc_lo
	v_cmp_ge_u64_e32 vcc_lo, v[7:8], v[11:12]
	s_or_b32 s8, vcc_lo, s8
	s_andn2_b32 exec_lo, exec_lo, s8
	s_cbranch_execnz .LBB92_46
; %bb.47:
	s_inst_prefetch 0x2
	s_or_b32 exec_lo, exec_lo, s8
.LBB92_48:
	s_or_b32 exec_lo, exec_lo, s9
	v_lshlrev_b32_e32 v0, 3, v0
	s_lshl_b64 s[4:5], s[4:5], 3
	s_add_u32 s3, s3, s4
	s_addc_u32 s4, s7, s5
	v_add_co_u32 v11, s3, s3, v0
	v_add_co_ci_u32_e64 v12, null, s4, 0, s3
	s_and_saveexec_b32 s3, s0
	s_xor_b32 s0, exec_lo, s3
	s_cbranch_execnz .LBB92_56
; %bb.49:
	s_or_b32 exec_lo, exec_lo, s0
	s_and_saveexec_b32 s0, s1
	s_cbranch_execnz .LBB92_57
.LBB92_50:
	s_or_b32 exec_lo, exec_lo, s0
	s_and_saveexec_b32 s0, s2
	s_cbranch_execz .LBB92_52
.LBB92_51:
	v_add_co_u32 v0, vcc_lo, 0x800, v11
	s_waitcnt vmcnt(0) lgkmcnt(0)
	v_add_co_ci_u32_e64 v1, null, 0, v12, vcc_lo
	flat_store_dwordx2 v[0:1], v[9:10]
.LBB92_52:
	s_or_b32 exec_lo, exec_lo, s0
.LBB92_53:
	s_and_saveexec_b32 s0, s6
	s_cbranch_execnz .LBB92_55
; %bb.54:
	s_endpgm
.LBB92_55:
	v_add_co_u32 v0, vcc_lo, 0x800, v11
	s_waitcnt vmcnt(0) lgkmcnt(0)
	v_add_co_ci_u32_e64 v1, null, 0, v12, vcc_lo
	flat_store_dwordx2 v[0:1], v[7:8] offset:1024
	s_endpgm
.LBB92_56:
	flat_store_dwordx2 v[11:12], v[3:4]
	s_or_b32 exec_lo, exec_lo, s0
	s_and_saveexec_b32 s0, s1
	s_cbranch_execz .LBB92_50
.LBB92_57:
	flat_store_dwordx2 v[11:12], v[5:6] offset:1024
	s_or_b32 exec_lo, exec_lo, s0
	s_and_saveexec_b32 s0, s2
	s_cbranch_execnz .LBB92_51
	s_branch .LBB92_52
	.section	.rodata,"a",@progbits
	.p2align	6, 0x0
	.amdhsa_kernel _ZN7rocprim17ROCPRIM_400000_NS6detail17trampoline_kernelINS0_14default_configENS1_27lower_bound_config_selectorItlEEZNS1_14transform_implILb0ES3_S5_N6thrust23THRUST_200600_302600_NS6detail15normal_iteratorINS8_7pointerItNS8_11hip_rocprim5par_tENS8_11use_defaultESE_EEEENSA_INSB_IlSD_SE_SE_EEEEZNS1_13binary_searchIS3_S5_PtSG_SI_NS1_21lower_bound_search_opENS9_16wrapped_functionI11custom_lessbEEEE10hipError_tPvRmT1_T2_T3_mmT4_T5_P12ihipStream_tbEUlRKtE_EESP_ST_SU_mSV_SY_bEUlT_E_NS1_11comp_targetILNS1_3genE8ELNS1_11target_archE1030ELNS1_3gpuE2ELNS1_3repE0EEENS1_30default_config_static_selectorELNS0_4arch9wavefront6targetE0EEEvSS_
		.amdhsa_group_segment_fixed_size 0
		.amdhsa_private_segment_fixed_size 0
		.amdhsa_kernarg_size 312
		.amdhsa_user_sgpr_count 6
		.amdhsa_user_sgpr_private_segment_buffer 1
		.amdhsa_user_sgpr_dispatch_ptr 0
		.amdhsa_user_sgpr_queue_ptr 0
		.amdhsa_user_sgpr_kernarg_segment_ptr 1
		.amdhsa_user_sgpr_dispatch_id 0
		.amdhsa_user_sgpr_flat_scratch_init 0
		.amdhsa_user_sgpr_private_segment_size 0
		.amdhsa_wavefront_size32 1
		.amdhsa_uses_dynamic_stack 0
		.amdhsa_system_sgpr_private_segment_wavefront_offset 0
		.amdhsa_system_sgpr_workgroup_id_x 1
		.amdhsa_system_sgpr_workgroup_id_y 0
		.amdhsa_system_sgpr_workgroup_id_z 0
		.amdhsa_system_sgpr_workgroup_info 0
		.amdhsa_system_vgpr_workitem_id 0
		.amdhsa_next_free_vgpr 17
		.amdhsa_next_free_sgpr 20
		.amdhsa_reserve_vcc 1
		.amdhsa_reserve_flat_scratch 1
		.amdhsa_float_round_mode_32 0
		.amdhsa_float_round_mode_16_64 0
		.amdhsa_float_denorm_mode_32 3
		.amdhsa_float_denorm_mode_16_64 3
		.amdhsa_dx10_clamp 1
		.amdhsa_ieee_mode 1
		.amdhsa_fp16_overflow 0
		.amdhsa_workgroup_processor_mode 1
		.amdhsa_memory_ordered 1
		.amdhsa_forward_progress 1
		.amdhsa_shared_vgpr_count 0
		.amdhsa_exception_fp_ieee_invalid_op 0
		.amdhsa_exception_fp_denorm_src 0
		.amdhsa_exception_fp_ieee_div_zero 0
		.amdhsa_exception_fp_ieee_overflow 0
		.amdhsa_exception_fp_ieee_underflow 0
		.amdhsa_exception_fp_ieee_inexact 0
		.amdhsa_exception_int_div_zero 0
	.end_amdhsa_kernel
	.section	.text._ZN7rocprim17ROCPRIM_400000_NS6detail17trampoline_kernelINS0_14default_configENS1_27lower_bound_config_selectorItlEEZNS1_14transform_implILb0ES3_S5_N6thrust23THRUST_200600_302600_NS6detail15normal_iteratorINS8_7pointerItNS8_11hip_rocprim5par_tENS8_11use_defaultESE_EEEENSA_INSB_IlSD_SE_SE_EEEEZNS1_13binary_searchIS3_S5_PtSG_SI_NS1_21lower_bound_search_opENS9_16wrapped_functionI11custom_lessbEEEE10hipError_tPvRmT1_T2_T3_mmT4_T5_P12ihipStream_tbEUlRKtE_EESP_ST_SU_mSV_SY_bEUlT_E_NS1_11comp_targetILNS1_3genE8ELNS1_11target_archE1030ELNS1_3gpuE2ELNS1_3repE0EEENS1_30default_config_static_selectorELNS0_4arch9wavefront6targetE0EEEvSS_,"axG",@progbits,_ZN7rocprim17ROCPRIM_400000_NS6detail17trampoline_kernelINS0_14default_configENS1_27lower_bound_config_selectorItlEEZNS1_14transform_implILb0ES3_S5_N6thrust23THRUST_200600_302600_NS6detail15normal_iteratorINS8_7pointerItNS8_11hip_rocprim5par_tENS8_11use_defaultESE_EEEENSA_INSB_IlSD_SE_SE_EEEEZNS1_13binary_searchIS3_S5_PtSG_SI_NS1_21lower_bound_search_opENS9_16wrapped_functionI11custom_lessbEEEE10hipError_tPvRmT1_T2_T3_mmT4_T5_P12ihipStream_tbEUlRKtE_EESP_ST_SU_mSV_SY_bEUlT_E_NS1_11comp_targetILNS1_3genE8ELNS1_11target_archE1030ELNS1_3gpuE2ELNS1_3repE0EEENS1_30default_config_static_selectorELNS0_4arch9wavefront6targetE0EEEvSS_,comdat
.Lfunc_end92:
	.size	_ZN7rocprim17ROCPRIM_400000_NS6detail17trampoline_kernelINS0_14default_configENS1_27lower_bound_config_selectorItlEEZNS1_14transform_implILb0ES3_S5_N6thrust23THRUST_200600_302600_NS6detail15normal_iteratorINS8_7pointerItNS8_11hip_rocprim5par_tENS8_11use_defaultESE_EEEENSA_INSB_IlSD_SE_SE_EEEEZNS1_13binary_searchIS3_S5_PtSG_SI_NS1_21lower_bound_search_opENS9_16wrapped_functionI11custom_lessbEEEE10hipError_tPvRmT1_T2_T3_mmT4_T5_P12ihipStream_tbEUlRKtE_EESP_ST_SU_mSV_SY_bEUlT_E_NS1_11comp_targetILNS1_3genE8ELNS1_11target_archE1030ELNS1_3gpuE2ELNS1_3repE0EEENS1_30default_config_static_selectorELNS0_4arch9wavefront6targetE0EEEvSS_, .Lfunc_end92-_ZN7rocprim17ROCPRIM_400000_NS6detail17trampoline_kernelINS0_14default_configENS1_27lower_bound_config_selectorItlEEZNS1_14transform_implILb0ES3_S5_N6thrust23THRUST_200600_302600_NS6detail15normal_iteratorINS8_7pointerItNS8_11hip_rocprim5par_tENS8_11use_defaultESE_EEEENSA_INSB_IlSD_SE_SE_EEEEZNS1_13binary_searchIS3_S5_PtSG_SI_NS1_21lower_bound_search_opENS9_16wrapped_functionI11custom_lessbEEEE10hipError_tPvRmT1_T2_T3_mmT4_T5_P12ihipStream_tbEUlRKtE_EESP_ST_SU_mSV_SY_bEUlT_E_NS1_11comp_targetILNS1_3genE8ELNS1_11target_archE1030ELNS1_3gpuE2ELNS1_3repE0EEENS1_30default_config_static_selectorELNS0_4arch9wavefront6targetE0EEEvSS_
                                        ; -- End function
	.set _ZN7rocprim17ROCPRIM_400000_NS6detail17trampoline_kernelINS0_14default_configENS1_27lower_bound_config_selectorItlEEZNS1_14transform_implILb0ES3_S5_N6thrust23THRUST_200600_302600_NS6detail15normal_iteratorINS8_7pointerItNS8_11hip_rocprim5par_tENS8_11use_defaultESE_EEEENSA_INSB_IlSD_SE_SE_EEEEZNS1_13binary_searchIS3_S5_PtSG_SI_NS1_21lower_bound_search_opENS9_16wrapped_functionI11custom_lessbEEEE10hipError_tPvRmT1_T2_T3_mmT4_T5_P12ihipStream_tbEUlRKtE_EESP_ST_SU_mSV_SY_bEUlT_E_NS1_11comp_targetILNS1_3genE8ELNS1_11target_archE1030ELNS1_3gpuE2ELNS1_3repE0EEENS1_30default_config_static_selectorELNS0_4arch9wavefront6targetE0EEEvSS_.num_vgpr, 17
	.set _ZN7rocprim17ROCPRIM_400000_NS6detail17trampoline_kernelINS0_14default_configENS1_27lower_bound_config_selectorItlEEZNS1_14transform_implILb0ES3_S5_N6thrust23THRUST_200600_302600_NS6detail15normal_iteratorINS8_7pointerItNS8_11hip_rocprim5par_tENS8_11use_defaultESE_EEEENSA_INSB_IlSD_SE_SE_EEEEZNS1_13binary_searchIS3_S5_PtSG_SI_NS1_21lower_bound_search_opENS9_16wrapped_functionI11custom_lessbEEEE10hipError_tPvRmT1_T2_T3_mmT4_T5_P12ihipStream_tbEUlRKtE_EESP_ST_SU_mSV_SY_bEUlT_E_NS1_11comp_targetILNS1_3genE8ELNS1_11target_archE1030ELNS1_3gpuE2ELNS1_3repE0EEENS1_30default_config_static_selectorELNS0_4arch9wavefront6targetE0EEEvSS_.num_agpr, 0
	.set _ZN7rocprim17ROCPRIM_400000_NS6detail17trampoline_kernelINS0_14default_configENS1_27lower_bound_config_selectorItlEEZNS1_14transform_implILb0ES3_S5_N6thrust23THRUST_200600_302600_NS6detail15normal_iteratorINS8_7pointerItNS8_11hip_rocprim5par_tENS8_11use_defaultESE_EEEENSA_INSB_IlSD_SE_SE_EEEEZNS1_13binary_searchIS3_S5_PtSG_SI_NS1_21lower_bound_search_opENS9_16wrapped_functionI11custom_lessbEEEE10hipError_tPvRmT1_T2_T3_mmT4_T5_P12ihipStream_tbEUlRKtE_EESP_ST_SU_mSV_SY_bEUlT_E_NS1_11comp_targetILNS1_3genE8ELNS1_11target_archE1030ELNS1_3gpuE2ELNS1_3repE0EEENS1_30default_config_static_selectorELNS0_4arch9wavefront6targetE0EEEvSS_.numbered_sgpr, 20
	.set _ZN7rocprim17ROCPRIM_400000_NS6detail17trampoline_kernelINS0_14default_configENS1_27lower_bound_config_selectorItlEEZNS1_14transform_implILb0ES3_S5_N6thrust23THRUST_200600_302600_NS6detail15normal_iteratorINS8_7pointerItNS8_11hip_rocprim5par_tENS8_11use_defaultESE_EEEENSA_INSB_IlSD_SE_SE_EEEEZNS1_13binary_searchIS3_S5_PtSG_SI_NS1_21lower_bound_search_opENS9_16wrapped_functionI11custom_lessbEEEE10hipError_tPvRmT1_T2_T3_mmT4_T5_P12ihipStream_tbEUlRKtE_EESP_ST_SU_mSV_SY_bEUlT_E_NS1_11comp_targetILNS1_3genE8ELNS1_11target_archE1030ELNS1_3gpuE2ELNS1_3repE0EEENS1_30default_config_static_selectorELNS0_4arch9wavefront6targetE0EEEvSS_.num_named_barrier, 0
	.set _ZN7rocprim17ROCPRIM_400000_NS6detail17trampoline_kernelINS0_14default_configENS1_27lower_bound_config_selectorItlEEZNS1_14transform_implILb0ES3_S5_N6thrust23THRUST_200600_302600_NS6detail15normal_iteratorINS8_7pointerItNS8_11hip_rocprim5par_tENS8_11use_defaultESE_EEEENSA_INSB_IlSD_SE_SE_EEEEZNS1_13binary_searchIS3_S5_PtSG_SI_NS1_21lower_bound_search_opENS9_16wrapped_functionI11custom_lessbEEEE10hipError_tPvRmT1_T2_T3_mmT4_T5_P12ihipStream_tbEUlRKtE_EESP_ST_SU_mSV_SY_bEUlT_E_NS1_11comp_targetILNS1_3genE8ELNS1_11target_archE1030ELNS1_3gpuE2ELNS1_3repE0EEENS1_30default_config_static_selectorELNS0_4arch9wavefront6targetE0EEEvSS_.private_seg_size, 0
	.set _ZN7rocprim17ROCPRIM_400000_NS6detail17trampoline_kernelINS0_14default_configENS1_27lower_bound_config_selectorItlEEZNS1_14transform_implILb0ES3_S5_N6thrust23THRUST_200600_302600_NS6detail15normal_iteratorINS8_7pointerItNS8_11hip_rocprim5par_tENS8_11use_defaultESE_EEEENSA_INSB_IlSD_SE_SE_EEEEZNS1_13binary_searchIS3_S5_PtSG_SI_NS1_21lower_bound_search_opENS9_16wrapped_functionI11custom_lessbEEEE10hipError_tPvRmT1_T2_T3_mmT4_T5_P12ihipStream_tbEUlRKtE_EESP_ST_SU_mSV_SY_bEUlT_E_NS1_11comp_targetILNS1_3genE8ELNS1_11target_archE1030ELNS1_3gpuE2ELNS1_3repE0EEENS1_30default_config_static_selectorELNS0_4arch9wavefront6targetE0EEEvSS_.uses_vcc, 1
	.set _ZN7rocprim17ROCPRIM_400000_NS6detail17trampoline_kernelINS0_14default_configENS1_27lower_bound_config_selectorItlEEZNS1_14transform_implILb0ES3_S5_N6thrust23THRUST_200600_302600_NS6detail15normal_iteratorINS8_7pointerItNS8_11hip_rocprim5par_tENS8_11use_defaultESE_EEEENSA_INSB_IlSD_SE_SE_EEEEZNS1_13binary_searchIS3_S5_PtSG_SI_NS1_21lower_bound_search_opENS9_16wrapped_functionI11custom_lessbEEEE10hipError_tPvRmT1_T2_T3_mmT4_T5_P12ihipStream_tbEUlRKtE_EESP_ST_SU_mSV_SY_bEUlT_E_NS1_11comp_targetILNS1_3genE8ELNS1_11target_archE1030ELNS1_3gpuE2ELNS1_3repE0EEENS1_30default_config_static_selectorELNS0_4arch9wavefront6targetE0EEEvSS_.uses_flat_scratch, 1
	.set _ZN7rocprim17ROCPRIM_400000_NS6detail17trampoline_kernelINS0_14default_configENS1_27lower_bound_config_selectorItlEEZNS1_14transform_implILb0ES3_S5_N6thrust23THRUST_200600_302600_NS6detail15normal_iteratorINS8_7pointerItNS8_11hip_rocprim5par_tENS8_11use_defaultESE_EEEENSA_INSB_IlSD_SE_SE_EEEEZNS1_13binary_searchIS3_S5_PtSG_SI_NS1_21lower_bound_search_opENS9_16wrapped_functionI11custom_lessbEEEE10hipError_tPvRmT1_T2_T3_mmT4_T5_P12ihipStream_tbEUlRKtE_EESP_ST_SU_mSV_SY_bEUlT_E_NS1_11comp_targetILNS1_3genE8ELNS1_11target_archE1030ELNS1_3gpuE2ELNS1_3repE0EEENS1_30default_config_static_selectorELNS0_4arch9wavefront6targetE0EEEvSS_.has_dyn_sized_stack, 0
	.set _ZN7rocprim17ROCPRIM_400000_NS6detail17trampoline_kernelINS0_14default_configENS1_27lower_bound_config_selectorItlEEZNS1_14transform_implILb0ES3_S5_N6thrust23THRUST_200600_302600_NS6detail15normal_iteratorINS8_7pointerItNS8_11hip_rocprim5par_tENS8_11use_defaultESE_EEEENSA_INSB_IlSD_SE_SE_EEEEZNS1_13binary_searchIS3_S5_PtSG_SI_NS1_21lower_bound_search_opENS9_16wrapped_functionI11custom_lessbEEEE10hipError_tPvRmT1_T2_T3_mmT4_T5_P12ihipStream_tbEUlRKtE_EESP_ST_SU_mSV_SY_bEUlT_E_NS1_11comp_targetILNS1_3genE8ELNS1_11target_archE1030ELNS1_3gpuE2ELNS1_3repE0EEENS1_30default_config_static_selectorELNS0_4arch9wavefront6targetE0EEEvSS_.has_recursion, 0
	.set _ZN7rocprim17ROCPRIM_400000_NS6detail17trampoline_kernelINS0_14default_configENS1_27lower_bound_config_selectorItlEEZNS1_14transform_implILb0ES3_S5_N6thrust23THRUST_200600_302600_NS6detail15normal_iteratorINS8_7pointerItNS8_11hip_rocprim5par_tENS8_11use_defaultESE_EEEENSA_INSB_IlSD_SE_SE_EEEEZNS1_13binary_searchIS3_S5_PtSG_SI_NS1_21lower_bound_search_opENS9_16wrapped_functionI11custom_lessbEEEE10hipError_tPvRmT1_T2_T3_mmT4_T5_P12ihipStream_tbEUlRKtE_EESP_ST_SU_mSV_SY_bEUlT_E_NS1_11comp_targetILNS1_3genE8ELNS1_11target_archE1030ELNS1_3gpuE2ELNS1_3repE0EEENS1_30default_config_static_selectorELNS0_4arch9wavefront6targetE0EEEvSS_.has_indirect_call, 0
	.section	.AMDGPU.csdata,"",@progbits
; Kernel info:
; codeLenInByte = 2672
; TotalNumSgprs: 22
; NumVgprs: 17
; ScratchSize: 0
; MemoryBound: 0
; FloatMode: 240
; IeeeMode: 1
; LDSByteSize: 0 bytes/workgroup (compile time only)
; SGPRBlocks: 0
; VGPRBlocks: 2
; NumSGPRsForWavesPerEU: 22
; NumVGPRsForWavesPerEU: 17
; Occupancy: 16
; WaveLimiterHint : 1
; COMPUTE_PGM_RSRC2:SCRATCH_EN: 0
; COMPUTE_PGM_RSRC2:USER_SGPR: 6
; COMPUTE_PGM_RSRC2:TRAP_HANDLER: 0
; COMPUTE_PGM_RSRC2:TGID_X_EN: 1
; COMPUTE_PGM_RSRC2:TGID_Y_EN: 0
; COMPUTE_PGM_RSRC2:TGID_Z_EN: 0
; COMPUTE_PGM_RSRC2:TIDIG_COMP_CNT: 0
	.section	.text._ZN7rocprim17ROCPRIM_400000_NS6detail17trampoline_kernelINS0_14default_configENS1_27lower_bound_config_selectorItlEEZNS1_14transform_implILb0ES3_S5_N6thrust23THRUST_200600_302600_NS6detail15normal_iteratorINS8_7pointerItNS8_11hip_rocprim5par_tENS8_11use_defaultESE_EEEENSA_INSB_IlSD_SE_SE_EEEEZNS1_13binary_searchIS3_S5_PtSG_SI_NS1_21lower_bound_search_opENS9_16wrapped_functionINS8_6system6detail7generic6detail18binary_search_lessEbEEEE10hipError_tPvRmT1_T2_T3_mmT4_T5_P12ihipStream_tbEUlRKtE_EEST_SX_SY_mSZ_S12_bEUlT_E_NS1_11comp_targetILNS1_3genE0ELNS1_11target_archE4294967295ELNS1_3gpuE0ELNS1_3repE0EEENS1_30default_config_static_selectorELNS0_4arch9wavefront6targetE0EEEvSW_,"axG",@progbits,_ZN7rocprim17ROCPRIM_400000_NS6detail17trampoline_kernelINS0_14default_configENS1_27lower_bound_config_selectorItlEEZNS1_14transform_implILb0ES3_S5_N6thrust23THRUST_200600_302600_NS6detail15normal_iteratorINS8_7pointerItNS8_11hip_rocprim5par_tENS8_11use_defaultESE_EEEENSA_INSB_IlSD_SE_SE_EEEEZNS1_13binary_searchIS3_S5_PtSG_SI_NS1_21lower_bound_search_opENS9_16wrapped_functionINS8_6system6detail7generic6detail18binary_search_lessEbEEEE10hipError_tPvRmT1_T2_T3_mmT4_T5_P12ihipStream_tbEUlRKtE_EEST_SX_SY_mSZ_S12_bEUlT_E_NS1_11comp_targetILNS1_3genE0ELNS1_11target_archE4294967295ELNS1_3gpuE0ELNS1_3repE0EEENS1_30default_config_static_selectorELNS0_4arch9wavefront6targetE0EEEvSW_,comdat
	.protected	_ZN7rocprim17ROCPRIM_400000_NS6detail17trampoline_kernelINS0_14default_configENS1_27lower_bound_config_selectorItlEEZNS1_14transform_implILb0ES3_S5_N6thrust23THRUST_200600_302600_NS6detail15normal_iteratorINS8_7pointerItNS8_11hip_rocprim5par_tENS8_11use_defaultESE_EEEENSA_INSB_IlSD_SE_SE_EEEEZNS1_13binary_searchIS3_S5_PtSG_SI_NS1_21lower_bound_search_opENS9_16wrapped_functionINS8_6system6detail7generic6detail18binary_search_lessEbEEEE10hipError_tPvRmT1_T2_T3_mmT4_T5_P12ihipStream_tbEUlRKtE_EEST_SX_SY_mSZ_S12_bEUlT_E_NS1_11comp_targetILNS1_3genE0ELNS1_11target_archE4294967295ELNS1_3gpuE0ELNS1_3repE0EEENS1_30default_config_static_selectorELNS0_4arch9wavefront6targetE0EEEvSW_ ; -- Begin function _ZN7rocprim17ROCPRIM_400000_NS6detail17trampoline_kernelINS0_14default_configENS1_27lower_bound_config_selectorItlEEZNS1_14transform_implILb0ES3_S5_N6thrust23THRUST_200600_302600_NS6detail15normal_iteratorINS8_7pointerItNS8_11hip_rocprim5par_tENS8_11use_defaultESE_EEEENSA_INSB_IlSD_SE_SE_EEEEZNS1_13binary_searchIS3_S5_PtSG_SI_NS1_21lower_bound_search_opENS9_16wrapped_functionINS8_6system6detail7generic6detail18binary_search_lessEbEEEE10hipError_tPvRmT1_T2_T3_mmT4_T5_P12ihipStream_tbEUlRKtE_EEST_SX_SY_mSZ_S12_bEUlT_E_NS1_11comp_targetILNS1_3genE0ELNS1_11target_archE4294967295ELNS1_3gpuE0ELNS1_3repE0EEENS1_30default_config_static_selectorELNS0_4arch9wavefront6targetE0EEEvSW_
	.globl	_ZN7rocprim17ROCPRIM_400000_NS6detail17trampoline_kernelINS0_14default_configENS1_27lower_bound_config_selectorItlEEZNS1_14transform_implILb0ES3_S5_N6thrust23THRUST_200600_302600_NS6detail15normal_iteratorINS8_7pointerItNS8_11hip_rocprim5par_tENS8_11use_defaultESE_EEEENSA_INSB_IlSD_SE_SE_EEEEZNS1_13binary_searchIS3_S5_PtSG_SI_NS1_21lower_bound_search_opENS9_16wrapped_functionINS8_6system6detail7generic6detail18binary_search_lessEbEEEE10hipError_tPvRmT1_T2_T3_mmT4_T5_P12ihipStream_tbEUlRKtE_EEST_SX_SY_mSZ_S12_bEUlT_E_NS1_11comp_targetILNS1_3genE0ELNS1_11target_archE4294967295ELNS1_3gpuE0ELNS1_3repE0EEENS1_30default_config_static_selectorELNS0_4arch9wavefront6targetE0EEEvSW_
	.p2align	8
	.type	_ZN7rocprim17ROCPRIM_400000_NS6detail17trampoline_kernelINS0_14default_configENS1_27lower_bound_config_selectorItlEEZNS1_14transform_implILb0ES3_S5_N6thrust23THRUST_200600_302600_NS6detail15normal_iteratorINS8_7pointerItNS8_11hip_rocprim5par_tENS8_11use_defaultESE_EEEENSA_INSB_IlSD_SE_SE_EEEEZNS1_13binary_searchIS3_S5_PtSG_SI_NS1_21lower_bound_search_opENS9_16wrapped_functionINS8_6system6detail7generic6detail18binary_search_lessEbEEEE10hipError_tPvRmT1_T2_T3_mmT4_T5_P12ihipStream_tbEUlRKtE_EEST_SX_SY_mSZ_S12_bEUlT_E_NS1_11comp_targetILNS1_3genE0ELNS1_11target_archE4294967295ELNS1_3gpuE0ELNS1_3repE0EEENS1_30default_config_static_selectorELNS0_4arch9wavefront6targetE0EEEvSW_,@function
_ZN7rocprim17ROCPRIM_400000_NS6detail17trampoline_kernelINS0_14default_configENS1_27lower_bound_config_selectorItlEEZNS1_14transform_implILb0ES3_S5_N6thrust23THRUST_200600_302600_NS6detail15normal_iteratorINS8_7pointerItNS8_11hip_rocprim5par_tENS8_11use_defaultESE_EEEENSA_INSB_IlSD_SE_SE_EEEEZNS1_13binary_searchIS3_S5_PtSG_SI_NS1_21lower_bound_search_opENS9_16wrapped_functionINS8_6system6detail7generic6detail18binary_search_lessEbEEEE10hipError_tPvRmT1_T2_T3_mmT4_T5_P12ihipStream_tbEUlRKtE_EEST_SX_SY_mSZ_S12_bEUlT_E_NS1_11comp_targetILNS1_3genE0ELNS1_11target_archE4294967295ELNS1_3gpuE0ELNS1_3repE0EEENS1_30default_config_static_selectorELNS0_4arch9wavefront6targetE0EEEvSW_: ; @_ZN7rocprim17ROCPRIM_400000_NS6detail17trampoline_kernelINS0_14default_configENS1_27lower_bound_config_selectorItlEEZNS1_14transform_implILb0ES3_S5_N6thrust23THRUST_200600_302600_NS6detail15normal_iteratorINS8_7pointerItNS8_11hip_rocprim5par_tENS8_11use_defaultESE_EEEENSA_INSB_IlSD_SE_SE_EEEEZNS1_13binary_searchIS3_S5_PtSG_SI_NS1_21lower_bound_search_opENS9_16wrapped_functionINS8_6system6detail7generic6detail18binary_search_lessEbEEEE10hipError_tPvRmT1_T2_T3_mmT4_T5_P12ihipStream_tbEUlRKtE_EEST_SX_SY_mSZ_S12_bEUlT_E_NS1_11comp_targetILNS1_3genE0ELNS1_11target_archE4294967295ELNS1_3gpuE0ELNS1_3repE0EEENS1_30default_config_static_selectorELNS0_4arch9wavefront6targetE0EEEvSW_
; %bb.0:
	.section	.rodata,"a",@progbits
	.p2align	6, 0x0
	.amdhsa_kernel _ZN7rocprim17ROCPRIM_400000_NS6detail17trampoline_kernelINS0_14default_configENS1_27lower_bound_config_selectorItlEEZNS1_14transform_implILb0ES3_S5_N6thrust23THRUST_200600_302600_NS6detail15normal_iteratorINS8_7pointerItNS8_11hip_rocprim5par_tENS8_11use_defaultESE_EEEENSA_INSB_IlSD_SE_SE_EEEEZNS1_13binary_searchIS3_S5_PtSG_SI_NS1_21lower_bound_search_opENS9_16wrapped_functionINS8_6system6detail7generic6detail18binary_search_lessEbEEEE10hipError_tPvRmT1_T2_T3_mmT4_T5_P12ihipStream_tbEUlRKtE_EEST_SX_SY_mSZ_S12_bEUlT_E_NS1_11comp_targetILNS1_3genE0ELNS1_11target_archE4294967295ELNS1_3gpuE0ELNS1_3repE0EEENS1_30default_config_static_selectorELNS0_4arch9wavefront6targetE0EEEvSW_
		.amdhsa_group_segment_fixed_size 0
		.amdhsa_private_segment_fixed_size 0
		.amdhsa_kernarg_size 56
		.amdhsa_user_sgpr_count 6
		.amdhsa_user_sgpr_private_segment_buffer 1
		.amdhsa_user_sgpr_dispatch_ptr 0
		.amdhsa_user_sgpr_queue_ptr 0
		.amdhsa_user_sgpr_kernarg_segment_ptr 1
		.amdhsa_user_sgpr_dispatch_id 0
		.amdhsa_user_sgpr_flat_scratch_init 0
		.amdhsa_user_sgpr_private_segment_size 0
		.amdhsa_wavefront_size32 1
		.amdhsa_uses_dynamic_stack 0
		.amdhsa_system_sgpr_private_segment_wavefront_offset 0
		.amdhsa_system_sgpr_workgroup_id_x 1
		.amdhsa_system_sgpr_workgroup_id_y 0
		.amdhsa_system_sgpr_workgroup_id_z 0
		.amdhsa_system_sgpr_workgroup_info 0
		.amdhsa_system_vgpr_workitem_id 0
		.amdhsa_next_free_vgpr 1
		.amdhsa_next_free_sgpr 1
		.amdhsa_reserve_vcc 0
		.amdhsa_reserve_flat_scratch 0
		.amdhsa_float_round_mode_32 0
		.amdhsa_float_round_mode_16_64 0
		.amdhsa_float_denorm_mode_32 3
		.amdhsa_float_denorm_mode_16_64 3
		.amdhsa_dx10_clamp 1
		.amdhsa_ieee_mode 1
		.amdhsa_fp16_overflow 0
		.amdhsa_workgroup_processor_mode 1
		.amdhsa_memory_ordered 1
		.amdhsa_forward_progress 1
		.amdhsa_shared_vgpr_count 0
		.amdhsa_exception_fp_ieee_invalid_op 0
		.amdhsa_exception_fp_denorm_src 0
		.amdhsa_exception_fp_ieee_div_zero 0
		.amdhsa_exception_fp_ieee_overflow 0
		.amdhsa_exception_fp_ieee_underflow 0
		.amdhsa_exception_fp_ieee_inexact 0
		.amdhsa_exception_int_div_zero 0
	.end_amdhsa_kernel
	.section	.text._ZN7rocprim17ROCPRIM_400000_NS6detail17trampoline_kernelINS0_14default_configENS1_27lower_bound_config_selectorItlEEZNS1_14transform_implILb0ES3_S5_N6thrust23THRUST_200600_302600_NS6detail15normal_iteratorINS8_7pointerItNS8_11hip_rocprim5par_tENS8_11use_defaultESE_EEEENSA_INSB_IlSD_SE_SE_EEEEZNS1_13binary_searchIS3_S5_PtSG_SI_NS1_21lower_bound_search_opENS9_16wrapped_functionINS8_6system6detail7generic6detail18binary_search_lessEbEEEE10hipError_tPvRmT1_T2_T3_mmT4_T5_P12ihipStream_tbEUlRKtE_EEST_SX_SY_mSZ_S12_bEUlT_E_NS1_11comp_targetILNS1_3genE0ELNS1_11target_archE4294967295ELNS1_3gpuE0ELNS1_3repE0EEENS1_30default_config_static_selectorELNS0_4arch9wavefront6targetE0EEEvSW_,"axG",@progbits,_ZN7rocprim17ROCPRIM_400000_NS6detail17trampoline_kernelINS0_14default_configENS1_27lower_bound_config_selectorItlEEZNS1_14transform_implILb0ES3_S5_N6thrust23THRUST_200600_302600_NS6detail15normal_iteratorINS8_7pointerItNS8_11hip_rocprim5par_tENS8_11use_defaultESE_EEEENSA_INSB_IlSD_SE_SE_EEEEZNS1_13binary_searchIS3_S5_PtSG_SI_NS1_21lower_bound_search_opENS9_16wrapped_functionINS8_6system6detail7generic6detail18binary_search_lessEbEEEE10hipError_tPvRmT1_T2_T3_mmT4_T5_P12ihipStream_tbEUlRKtE_EEST_SX_SY_mSZ_S12_bEUlT_E_NS1_11comp_targetILNS1_3genE0ELNS1_11target_archE4294967295ELNS1_3gpuE0ELNS1_3repE0EEENS1_30default_config_static_selectorELNS0_4arch9wavefront6targetE0EEEvSW_,comdat
.Lfunc_end93:
	.size	_ZN7rocprim17ROCPRIM_400000_NS6detail17trampoline_kernelINS0_14default_configENS1_27lower_bound_config_selectorItlEEZNS1_14transform_implILb0ES3_S5_N6thrust23THRUST_200600_302600_NS6detail15normal_iteratorINS8_7pointerItNS8_11hip_rocprim5par_tENS8_11use_defaultESE_EEEENSA_INSB_IlSD_SE_SE_EEEEZNS1_13binary_searchIS3_S5_PtSG_SI_NS1_21lower_bound_search_opENS9_16wrapped_functionINS8_6system6detail7generic6detail18binary_search_lessEbEEEE10hipError_tPvRmT1_T2_T3_mmT4_T5_P12ihipStream_tbEUlRKtE_EEST_SX_SY_mSZ_S12_bEUlT_E_NS1_11comp_targetILNS1_3genE0ELNS1_11target_archE4294967295ELNS1_3gpuE0ELNS1_3repE0EEENS1_30default_config_static_selectorELNS0_4arch9wavefront6targetE0EEEvSW_, .Lfunc_end93-_ZN7rocprim17ROCPRIM_400000_NS6detail17trampoline_kernelINS0_14default_configENS1_27lower_bound_config_selectorItlEEZNS1_14transform_implILb0ES3_S5_N6thrust23THRUST_200600_302600_NS6detail15normal_iteratorINS8_7pointerItNS8_11hip_rocprim5par_tENS8_11use_defaultESE_EEEENSA_INSB_IlSD_SE_SE_EEEEZNS1_13binary_searchIS3_S5_PtSG_SI_NS1_21lower_bound_search_opENS9_16wrapped_functionINS8_6system6detail7generic6detail18binary_search_lessEbEEEE10hipError_tPvRmT1_T2_T3_mmT4_T5_P12ihipStream_tbEUlRKtE_EEST_SX_SY_mSZ_S12_bEUlT_E_NS1_11comp_targetILNS1_3genE0ELNS1_11target_archE4294967295ELNS1_3gpuE0ELNS1_3repE0EEENS1_30default_config_static_selectorELNS0_4arch9wavefront6targetE0EEEvSW_
                                        ; -- End function
	.set _ZN7rocprim17ROCPRIM_400000_NS6detail17trampoline_kernelINS0_14default_configENS1_27lower_bound_config_selectorItlEEZNS1_14transform_implILb0ES3_S5_N6thrust23THRUST_200600_302600_NS6detail15normal_iteratorINS8_7pointerItNS8_11hip_rocprim5par_tENS8_11use_defaultESE_EEEENSA_INSB_IlSD_SE_SE_EEEEZNS1_13binary_searchIS3_S5_PtSG_SI_NS1_21lower_bound_search_opENS9_16wrapped_functionINS8_6system6detail7generic6detail18binary_search_lessEbEEEE10hipError_tPvRmT1_T2_T3_mmT4_T5_P12ihipStream_tbEUlRKtE_EEST_SX_SY_mSZ_S12_bEUlT_E_NS1_11comp_targetILNS1_3genE0ELNS1_11target_archE4294967295ELNS1_3gpuE0ELNS1_3repE0EEENS1_30default_config_static_selectorELNS0_4arch9wavefront6targetE0EEEvSW_.num_vgpr, 0
	.set _ZN7rocprim17ROCPRIM_400000_NS6detail17trampoline_kernelINS0_14default_configENS1_27lower_bound_config_selectorItlEEZNS1_14transform_implILb0ES3_S5_N6thrust23THRUST_200600_302600_NS6detail15normal_iteratorINS8_7pointerItNS8_11hip_rocprim5par_tENS8_11use_defaultESE_EEEENSA_INSB_IlSD_SE_SE_EEEEZNS1_13binary_searchIS3_S5_PtSG_SI_NS1_21lower_bound_search_opENS9_16wrapped_functionINS8_6system6detail7generic6detail18binary_search_lessEbEEEE10hipError_tPvRmT1_T2_T3_mmT4_T5_P12ihipStream_tbEUlRKtE_EEST_SX_SY_mSZ_S12_bEUlT_E_NS1_11comp_targetILNS1_3genE0ELNS1_11target_archE4294967295ELNS1_3gpuE0ELNS1_3repE0EEENS1_30default_config_static_selectorELNS0_4arch9wavefront6targetE0EEEvSW_.num_agpr, 0
	.set _ZN7rocprim17ROCPRIM_400000_NS6detail17trampoline_kernelINS0_14default_configENS1_27lower_bound_config_selectorItlEEZNS1_14transform_implILb0ES3_S5_N6thrust23THRUST_200600_302600_NS6detail15normal_iteratorINS8_7pointerItNS8_11hip_rocprim5par_tENS8_11use_defaultESE_EEEENSA_INSB_IlSD_SE_SE_EEEEZNS1_13binary_searchIS3_S5_PtSG_SI_NS1_21lower_bound_search_opENS9_16wrapped_functionINS8_6system6detail7generic6detail18binary_search_lessEbEEEE10hipError_tPvRmT1_T2_T3_mmT4_T5_P12ihipStream_tbEUlRKtE_EEST_SX_SY_mSZ_S12_bEUlT_E_NS1_11comp_targetILNS1_3genE0ELNS1_11target_archE4294967295ELNS1_3gpuE0ELNS1_3repE0EEENS1_30default_config_static_selectorELNS0_4arch9wavefront6targetE0EEEvSW_.numbered_sgpr, 0
	.set _ZN7rocprim17ROCPRIM_400000_NS6detail17trampoline_kernelINS0_14default_configENS1_27lower_bound_config_selectorItlEEZNS1_14transform_implILb0ES3_S5_N6thrust23THRUST_200600_302600_NS6detail15normal_iteratorINS8_7pointerItNS8_11hip_rocprim5par_tENS8_11use_defaultESE_EEEENSA_INSB_IlSD_SE_SE_EEEEZNS1_13binary_searchIS3_S5_PtSG_SI_NS1_21lower_bound_search_opENS9_16wrapped_functionINS8_6system6detail7generic6detail18binary_search_lessEbEEEE10hipError_tPvRmT1_T2_T3_mmT4_T5_P12ihipStream_tbEUlRKtE_EEST_SX_SY_mSZ_S12_bEUlT_E_NS1_11comp_targetILNS1_3genE0ELNS1_11target_archE4294967295ELNS1_3gpuE0ELNS1_3repE0EEENS1_30default_config_static_selectorELNS0_4arch9wavefront6targetE0EEEvSW_.num_named_barrier, 0
	.set _ZN7rocprim17ROCPRIM_400000_NS6detail17trampoline_kernelINS0_14default_configENS1_27lower_bound_config_selectorItlEEZNS1_14transform_implILb0ES3_S5_N6thrust23THRUST_200600_302600_NS6detail15normal_iteratorINS8_7pointerItNS8_11hip_rocprim5par_tENS8_11use_defaultESE_EEEENSA_INSB_IlSD_SE_SE_EEEEZNS1_13binary_searchIS3_S5_PtSG_SI_NS1_21lower_bound_search_opENS9_16wrapped_functionINS8_6system6detail7generic6detail18binary_search_lessEbEEEE10hipError_tPvRmT1_T2_T3_mmT4_T5_P12ihipStream_tbEUlRKtE_EEST_SX_SY_mSZ_S12_bEUlT_E_NS1_11comp_targetILNS1_3genE0ELNS1_11target_archE4294967295ELNS1_3gpuE0ELNS1_3repE0EEENS1_30default_config_static_selectorELNS0_4arch9wavefront6targetE0EEEvSW_.private_seg_size, 0
	.set _ZN7rocprim17ROCPRIM_400000_NS6detail17trampoline_kernelINS0_14default_configENS1_27lower_bound_config_selectorItlEEZNS1_14transform_implILb0ES3_S5_N6thrust23THRUST_200600_302600_NS6detail15normal_iteratorINS8_7pointerItNS8_11hip_rocprim5par_tENS8_11use_defaultESE_EEEENSA_INSB_IlSD_SE_SE_EEEEZNS1_13binary_searchIS3_S5_PtSG_SI_NS1_21lower_bound_search_opENS9_16wrapped_functionINS8_6system6detail7generic6detail18binary_search_lessEbEEEE10hipError_tPvRmT1_T2_T3_mmT4_T5_P12ihipStream_tbEUlRKtE_EEST_SX_SY_mSZ_S12_bEUlT_E_NS1_11comp_targetILNS1_3genE0ELNS1_11target_archE4294967295ELNS1_3gpuE0ELNS1_3repE0EEENS1_30default_config_static_selectorELNS0_4arch9wavefront6targetE0EEEvSW_.uses_vcc, 0
	.set _ZN7rocprim17ROCPRIM_400000_NS6detail17trampoline_kernelINS0_14default_configENS1_27lower_bound_config_selectorItlEEZNS1_14transform_implILb0ES3_S5_N6thrust23THRUST_200600_302600_NS6detail15normal_iteratorINS8_7pointerItNS8_11hip_rocprim5par_tENS8_11use_defaultESE_EEEENSA_INSB_IlSD_SE_SE_EEEEZNS1_13binary_searchIS3_S5_PtSG_SI_NS1_21lower_bound_search_opENS9_16wrapped_functionINS8_6system6detail7generic6detail18binary_search_lessEbEEEE10hipError_tPvRmT1_T2_T3_mmT4_T5_P12ihipStream_tbEUlRKtE_EEST_SX_SY_mSZ_S12_bEUlT_E_NS1_11comp_targetILNS1_3genE0ELNS1_11target_archE4294967295ELNS1_3gpuE0ELNS1_3repE0EEENS1_30default_config_static_selectorELNS0_4arch9wavefront6targetE0EEEvSW_.uses_flat_scratch, 0
	.set _ZN7rocprim17ROCPRIM_400000_NS6detail17trampoline_kernelINS0_14default_configENS1_27lower_bound_config_selectorItlEEZNS1_14transform_implILb0ES3_S5_N6thrust23THRUST_200600_302600_NS6detail15normal_iteratorINS8_7pointerItNS8_11hip_rocprim5par_tENS8_11use_defaultESE_EEEENSA_INSB_IlSD_SE_SE_EEEEZNS1_13binary_searchIS3_S5_PtSG_SI_NS1_21lower_bound_search_opENS9_16wrapped_functionINS8_6system6detail7generic6detail18binary_search_lessEbEEEE10hipError_tPvRmT1_T2_T3_mmT4_T5_P12ihipStream_tbEUlRKtE_EEST_SX_SY_mSZ_S12_bEUlT_E_NS1_11comp_targetILNS1_3genE0ELNS1_11target_archE4294967295ELNS1_3gpuE0ELNS1_3repE0EEENS1_30default_config_static_selectorELNS0_4arch9wavefront6targetE0EEEvSW_.has_dyn_sized_stack, 0
	.set _ZN7rocprim17ROCPRIM_400000_NS6detail17trampoline_kernelINS0_14default_configENS1_27lower_bound_config_selectorItlEEZNS1_14transform_implILb0ES3_S5_N6thrust23THRUST_200600_302600_NS6detail15normal_iteratorINS8_7pointerItNS8_11hip_rocprim5par_tENS8_11use_defaultESE_EEEENSA_INSB_IlSD_SE_SE_EEEEZNS1_13binary_searchIS3_S5_PtSG_SI_NS1_21lower_bound_search_opENS9_16wrapped_functionINS8_6system6detail7generic6detail18binary_search_lessEbEEEE10hipError_tPvRmT1_T2_T3_mmT4_T5_P12ihipStream_tbEUlRKtE_EEST_SX_SY_mSZ_S12_bEUlT_E_NS1_11comp_targetILNS1_3genE0ELNS1_11target_archE4294967295ELNS1_3gpuE0ELNS1_3repE0EEENS1_30default_config_static_selectorELNS0_4arch9wavefront6targetE0EEEvSW_.has_recursion, 0
	.set _ZN7rocprim17ROCPRIM_400000_NS6detail17trampoline_kernelINS0_14default_configENS1_27lower_bound_config_selectorItlEEZNS1_14transform_implILb0ES3_S5_N6thrust23THRUST_200600_302600_NS6detail15normal_iteratorINS8_7pointerItNS8_11hip_rocprim5par_tENS8_11use_defaultESE_EEEENSA_INSB_IlSD_SE_SE_EEEEZNS1_13binary_searchIS3_S5_PtSG_SI_NS1_21lower_bound_search_opENS9_16wrapped_functionINS8_6system6detail7generic6detail18binary_search_lessEbEEEE10hipError_tPvRmT1_T2_T3_mmT4_T5_P12ihipStream_tbEUlRKtE_EEST_SX_SY_mSZ_S12_bEUlT_E_NS1_11comp_targetILNS1_3genE0ELNS1_11target_archE4294967295ELNS1_3gpuE0ELNS1_3repE0EEENS1_30default_config_static_selectorELNS0_4arch9wavefront6targetE0EEEvSW_.has_indirect_call, 0
	.section	.AMDGPU.csdata,"",@progbits
; Kernel info:
; codeLenInByte = 0
; TotalNumSgprs: 0
; NumVgprs: 0
; ScratchSize: 0
; MemoryBound: 0
; FloatMode: 240
; IeeeMode: 1
; LDSByteSize: 0 bytes/workgroup (compile time only)
; SGPRBlocks: 0
; VGPRBlocks: 0
; NumSGPRsForWavesPerEU: 1
; NumVGPRsForWavesPerEU: 1
; Occupancy: 16
; WaveLimiterHint : 0
; COMPUTE_PGM_RSRC2:SCRATCH_EN: 0
; COMPUTE_PGM_RSRC2:USER_SGPR: 6
; COMPUTE_PGM_RSRC2:TRAP_HANDLER: 0
; COMPUTE_PGM_RSRC2:TGID_X_EN: 1
; COMPUTE_PGM_RSRC2:TGID_Y_EN: 0
; COMPUTE_PGM_RSRC2:TGID_Z_EN: 0
; COMPUTE_PGM_RSRC2:TIDIG_COMP_CNT: 0
	.section	.text._ZN7rocprim17ROCPRIM_400000_NS6detail17trampoline_kernelINS0_14default_configENS1_27lower_bound_config_selectorItlEEZNS1_14transform_implILb0ES3_S5_N6thrust23THRUST_200600_302600_NS6detail15normal_iteratorINS8_7pointerItNS8_11hip_rocprim5par_tENS8_11use_defaultESE_EEEENSA_INSB_IlSD_SE_SE_EEEEZNS1_13binary_searchIS3_S5_PtSG_SI_NS1_21lower_bound_search_opENS9_16wrapped_functionINS8_6system6detail7generic6detail18binary_search_lessEbEEEE10hipError_tPvRmT1_T2_T3_mmT4_T5_P12ihipStream_tbEUlRKtE_EEST_SX_SY_mSZ_S12_bEUlT_E_NS1_11comp_targetILNS1_3genE5ELNS1_11target_archE942ELNS1_3gpuE9ELNS1_3repE0EEENS1_30default_config_static_selectorELNS0_4arch9wavefront6targetE0EEEvSW_,"axG",@progbits,_ZN7rocprim17ROCPRIM_400000_NS6detail17trampoline_kernelINS0_14default_configENS1_27lower_bound_config_selectorItlEEZNS1_14transform_implILb0ES3_S5_N6thrust23THRUST_200600_302600_NS6detail15normal_iteratorINS8_7pointerItNS8_11hip_rocprim5par_tENS8_11use_defaultESE_EEEENSA_INSB_IlSD_SE_SE_EEEEZNS1_13binary_searchIS3_S5_PtSG_SI_NS1_21lower_bound_search_opENS9_16wrapped_functionINS8_6system6detail7generic6detail18binary_search_lessEbEEEE10hipError_tPvRmT1_T2_T3_mmT4_T5_P12ihipStream_tbEUlRKtE_EEST_SX_SY_mSZ_S12_bEUlT_E_NS1_11comp_targetILNS1_3genE5ELNS1_11target_archE942ELNS1_3gpuE9ELNS1_3repE0EEENS1_30default_config_static_selectorELNS0_4arch9wavefront6targetE0EEEvSW_,comdat
	.protected	_ZN7rocprim17ROCPRIM_400000_NS6detail17trampoline_kernelINS0_14default_configENS1_27lower_bound_config_selectorItlEEZNS1_14transform_implILb0ES3_S5_N6thrust23THRUST_200600_302600_NS6detail15normal_iteratorINS8_7pointerItNS8_11hip_rocprim5par_tENS8_11use_defaultESE_EEEENSA_INSB_IlSD_SE_SE_EEEEZNS1_13binary_searchIS3_S5_PtSG_SI_NS1_21lower_bound_search_opENS9_16wrapped_functionINS8_6system6detail7generic6detail18binary_search_lessEbEEEE10hipError_tPvRmT1_T2_T3_mmT4_T5_P12ihipStream_tbEUlRKtE_EEST_SX_SY_mSZ_S12_bEUlT_E_NS1_11comp_targetILNS1_3genE5ELNS1_11target_archE942ELNS1_3gpuE9ELNS1_3repE0EEENS1_30default_config_static_selectorELNS0_4arch9wavefront6targetE0EEEvSW_ ; -- Begin function _ZN7rocprim17ROCPRIM_400000_NS6detail17trampoline_kernelINS0_14default_configENS1_27lower_bound_config_selectorItlEEZNS1_14transform_implILb0ES3_S5_N6thrust23THRUST_200600_302600_NS6detail15normal_iteratorINS8_7pointerItNS8_11hip_rocprim5par_tENS8_11use_defaultESE_EEEENSA_INSB_IlSD_SE_SE_EEEEZNS1_13binary_searchIS3_S5_PtSG_SI_NS1_21lower_bound_search_opENS9_16wrapped_functionINS8_6system6detail7generic6detail18binary_search_lessEbEEEE10hipError_tPvRmT1_T2_T3_mmT4_T5_P12ihipStream_tbEUlRKtE_EEST_SX_SY_mSZ_S12_bEUlT_E_NS1_11comp_targetILNS1_3genE5ELNS1_11target_archE942ELNS1_3gpuE9ELNS1_3repE0EEENS1_30default_config_static_selectorELNS0_4arch9wavefront6targetE0EEEvSW_
	.globl	_ZN7rocprim17ROCPRIM_400000_NS6detail17trampoline_kernelINS0_14default_configENS1_27lower_bound_config_selectorItlEEZNS1_14transform_implILb0ES3_S5_N6thrust23THRUST_200600_302600_NS6detail15normal_iteratorINS8_7pointerItNS8_11hip_rocprim5par_tENS8_11use_defaultESE_EEEENSA_INSB_IlSD_SE_SE_EEEEZNS1_13binary_searchIS3_S5_PtSG_SI_NS1_21lower_bound_search_opENS9_16wrapped_functionINS8_6system6detail7generic6detail18binary_search_lessEbEEEE10hipError_tPvRmT1_T2_T3_mmT4_T5_P12ihipStream_tbEUlRKtE_EEST_SX_SY_mSZ_S12_bEUlT_E_NS1_11comp_targetILNS1_3genE5ELNS1_11target_archE942ELNS1_3gpuE9ELNS1_3repE0EEENS1_30default_config_static_selectorELNS0_4arch9wavefront6targetE0EEEvSW_
	.p2align	8
	.type	_ZN7rocprim17ROCPRIM_400000_NS6detail17trampoline_kernelINS0_14default_configENS1_27lower_bound_config_selectorItlEEZNS1_14transform_implILb0ES3_S5_N6thrust23THRUST_200600_302600_NS6detail15normal_iteratorINS8_7pointerItNS8_11hip_rocprim5par_tENS8_11use_defaultESE_EEEENSA_INSB_IlSD_SE_SE_EEEEZNS1_13binary_searchIS3_S5_PtSG_SI_NS1_21lower_bound_search_opENS9_16wrapped_functionINS8_6system6detail7generic6detail18binary_search_lessEbEEEE10hipError_tPvRmT1_T2_T3_mmT4_T5_P12ihipStream_tbEUlRKtE_EEST_SX_SY_mSZ_S12_bEUlT_E_NS1_11comp_targetILNS1_3genE5ELNS1_11target_archE942ELNS1_3gpuE9ELNS1_3repE0EEENS1_30default_config_static_selectorELNS0_4arch9wavefront6targetE0EEEvSW_,@function
_ZN7rocprim17ROCPRIM_400000_NS6detail17trampoline_kernelINS0_14default_configENS1_27lower_bound_config_selectorItlEEZNS1_14transform_implILb0ES3_S5_N6thrust23THRUST_200600_302600_NS6detail15normal_iteratorINS8_7pointerItNS8_11hip_rocprim5par_tENS8_11use_defaultESE_EEEENSA_INSB_IlSD_SE_SE_EEEEZNS1_13binary_searchIS3_S5_PtSG_SI_NS1_21lower_bound_search_opENS9_16wrapped_functionINS8_6system6detail7generic6detail18binary_search_lessEbEEEE10hipError_tPvRmT1_T2_T3_mmT4_T5_P12ihipStream_tbEUlRKtE_EEST_SX_SY_mSZ_S12_bEUlT_E_NS1_11comp_targetILNS1_3genE5ELNS1_11target_archE942ELNS1_3gpuE9ELNS1_3repE0EEENS1_30default_config_static_selectorELNS0_4arch9wavefront6targetE0EEEvSW_: ; @_ZN7rocprim17ROCPRIM_400000_NS6detail17trampoline_kernelINS0_14default_configENS1_27lower_bound_config_selectorItlEEZNS1_14transform_implILb0ES3_S5_N6thrust23THRUST_200600_302600_NS6detail15normal_iteratorINS8_7pointerItNS8_11hip_rocprim5par_tENS8_11use_defaultESE_EEEENSA_INSB_IlSD_SE_SE_EEEEZNS1_13binary_searchIS3_S5_PtSG_SI_NS1_21lower_bound_search_opENS9_16wrapped_functionINS8_6system6detail7generic6detail18binary_search_lessEbEEEE10hipError_tPvRmT1_T2_T3_mmT4_T5_P12ihipStream_tbEUlRKtE_EEST_SX_SY_mSZ_S12_bEUlT_E_NS1_11comp_targetILNS1_3genE5ELNS1_11target_archE942ELNS1_3gpuE9ELNS1_3repE0EEENS1_30default_config_static_selectorELNS0_4arch9wavefront6targetE0EEEvSW_
; %bb.0:
	.section	.rodata,"a",@progbits
	.p2align	6, 0x0
	.amdhsa_kernel _ZN7rocprim17ROCPRIM_400000_NS6detail17trampoline_kernelINS0_14default_configENS1_27lower_bound_config_selectorItlEEZNS1_14transform_implILb0ES3_S5_N6thrust23THRUST_200600_302600_NS6detail15normal_iteratorINS8_7pointerItNS8_11hip_rocprim5par_tENS8_11use_defaultESE_EEEENSA_INSB_IlSD_SE_SE_EEEEZNS1_13binary_searchIS3_S5_PtSG_SI_NS1_21lower_bound_search_opENS9_16wrapped_functionINS8_6system6detail7generic6detail18binary_search_lessEbEEEE10hipError_tPvRmT1_T2_T3_mmT4_T5_P12ihipStream_tbEUlRKtE_EEST_SX_SY_mSZ_S12_bEUlT_E_NS1_11comp_targetILNS1_3genE5ELNS1_11target_archE942ELNS1_3gpuE9ELNS1_3repE0EEENS1_30default_config_static_selectorELNS0_4arch9wavefront6targetE0EEEvSW_
		.amdhsa_group_segment_fixed_size 0
		.amdhsa_private_segment_fixed_size 0
		.amdhsa_kernarg_size 56
		.amdhsa_user_sgpr_count 6
		.amdhsa_user_sgpr_private_segment_buffer 1
		.amdhsa_user_sgpr_dispatch_ptr 0
		.amdhsa_user_sgpr_queue_ptr 0
		.amdhsa_user_sgpr_kernarg_segment_ptr 1
		.amdhsa_user_sgpr_dispatch_id 0
		.amdhsa_user_sgpr_flat_scratch_init 0
		.amdhsa_user_sgpr_private_segment_size 0
		.amdhsa_wavefront_size32 1
		.amdhsa_uses_dynamic_stack 0
		.amdhsa_system_sgpr_private_segment_wavefront_offset 0
		.amdhsa_system_sgpr_workgroup_id_x 1
		.amdhsa_system_sgpr_workgroup_id_y 0
		.amdhsa_system_sgpr_workgroup_id_z 0
		.amdhsa_system_sgpr_workgroup_info 0
		.amdhsa_system_vgpr_workitem_id 0
		.amdhsa_next_free_vgpr 1
		.amdhsa_next_free_sgpr 1
		.amdhsa_reserve_vcc 0
		.amdhsa_reserve_flat_scratch 0
		.amdhsa_float_round_mode_32 0
		.amdhsa_float_round_mode_16_64 0
		.amdhsa_float_denorm_mode_32 3
		.amdhsa_float_denorm_mode_16_64 3
		.amdhsa_dx10_clamp 1
		.amdhsa_ieee_mode 1
		.amdhsa_fp16_overflow 0
		.amdhsa_workgroup_processor_mode 1
		.amdhsa_memory_ordered 1
		.amdhsa_forward_progress 1
		.amdhsa_shared_vgpr_count 0
		.amdhsa_exception_fp_ieee_invalid_op 0
		.amdhsa_exception_fp_denorm_src 0
		.amdhsa_exception_fp_ieee_div_zero 0
		.amdhsa_exception_fp_ieee_overflow 0
		.amdhsa_exception_fp_ieee_underflow 0
		.amdhsa_exception_fp_ieee_inexact 0
		.amdhsa_exception_int_div_zero 0
	.end_amdhsa_kernel
	.section	.text._ZN7rocprim17ROCPRIM_400000_NS6detail17trampoline_kernelINS0_14default_configENS1_27lower_bound_config_selectorItlEEZNS1_14transform_implILb0ES3_S5_N6thrust23THRUST_200600_302600_NS6detail15normal_iteratorINS8_7pointerItNS8_11hip_rocprim5par_tENS8_11use_defaultESE_EEEENSA_INSB_IlSD_SE_SE_EEEEZNS1_13binary_searchIS3_S5_PtSG_SI_NS1_21lower_bound_search_opENS9_16wrapped_functionINS8_6system6detail7generic6detail18binary_search_lessEbEEEE10hipError_tPvRmT1_T2_T3_mmT4_T5_P12ihipStream_tbEUlRKtE_EEST_SX_SY_mSZ_S12_bEUlT_E_NS1_11comp_targetILNS1_3genE5ELNS1_11target_archE942ELNS1_3gpuE9ELNS1_3repE0EEENS1_30default_config_static_selectorELNS0_4arch9wavefront6targetE0EEEvSW_,"axG",@progbits,_ZN7rocprim17ROCPRIM_400000_NS6detail17trampoline_kernelINS0_14default_configENS1_27lower_bound_config_selectorItlEEZNS1_14transform_implILb0ES3_S5_N6thrust23THRUST_200600_302600_NS6detail15normal_iteratorINS8_7pointerItNS8_11hip_rocprim5par_tENS8_11use_defaultESE_EEEENSA_INSB_IlSD_SE_SE_EEEEZNS1_13binary_searchIS3_S5_PtSG_SI_NS1_21lower_bound_search_opENS9_16wrapped_functionINS8_6system6detail7generic6detail18binary_search_lessEbEEEE10hipError_tPvRmT1_T2_T3_mmT4_T5_P12ihipStream_tbEUlRKtE_EEST_SX_SY_mSZ_S12_bEUlT_E_NS1_11comp_targetILNS1_3genE5ELNS1_11target_archE942ELNS1_3gpuE9ELNS1_3repE0EEENS1_30default_config_static_selectorELNS0_4arch9wavefront6targetE0EEEvSW_,comdat
.Lfunc_end94:
	.size	_ZN7rocprim17ROCPRIM_400000_NS6detail17trampoline_kernelINS0_14default_configENS1_27lower_bound_config_selectorItlEEZNS1_14transform_implILb0ES3_S5_N6thrust23THRUST_200600_302600_NS6detail15normal_iteratorINS8_7pointerItNS8_11hip_rocprim5par_tENS8_11use_defaultESE_EEEENSA_INSB_IlSD_SE_SE_EEEEZNS1_13binary_searchIS3_S5_PtSG_SI_NS1_21lower_bound_search_opENS9_16wrapped_functionINS8_6system6detail7generic6detail18binary_search_lessEbEEEE10hipError_tPvRmT1_T2_T3_mmT4_T5_P12ihipStream_tbEUlRKtE_EEST_SX_SY_mSZ_S12_bEUlT_E_NS1_11comp_targetILNS1_3genE5ELNS1_11target_archE942ELNS1_3gpuE9ELNS1_3repE0EEENS1_30default_config_static_selectorELNS0_4arch9wavefront6targetE0EEEvSW_, .Lfunc_end94-_ZN7rocprim17ROCPRIM_400000_NS6detail17trampoline_kernelINS0_14default_configENS1_27lower_bound_config_selectorItlEEZNS1_14transform_implILb0ES3_S5_N6thrust23THRUST_200600_302600_NS6detail15normal_iteratorINS8_7pointerItNS8_11hip_rocprim5par_tENS8_11use_defaultESE_EEEENSA_INSB_IlSD_SE_SE_EEEEZNS1_13binary_searchIS3_S5_PtSG_SI_NS1_21lower_bound_search_opENS9_16wrapped_functionINS8_6system6detail7generic6detail18binary_search_lessEbEEEE10hipError_tPvRmT1_T2_T3_mmT4_T5_P12ihipStream_tbEUlRKtE_EEST_SX_SY_mSZ_S12_bEUlT_E_NS1_11comp_targetILNS1_3genE5ELNS1_11target_archE942ELNS1_3gpuE9ELNS1_3repE0EEENS1_30default_config_static_selectorELNS0_4arch9wavefront6targetE0EEEvSW_
                                        ; -- End function
	.set _ZN7rocprim17ROCPRIM_400000_NS6detail17trampoline_kernelINS0_14default_configENS1_27lower_bound_config_selectorItlEEZNS1_14transform_implILb0ES3_S5_N6thrust23THRUST_200600_302600_NS6detail15normal_iteratorINS8_7pointerItNS8_11hip_rocprim5par_tENS8_11use_defaultESE_EEEENSA_INSB_IlSD_SE_SE_EEEEZNS1_13binary_searchIS3_S5_PtSG_SI_NS1_21lower_bound_search_opENS9_16wrapped_functionINS8_6system6detail7generic6detail18binary_search_lessEbEEEE10hipError_tPvRmT1_T2_T3_mmT4_T5_P12ihipStream_tbEUlRKtE_EEST_SX_SY_mSZ_S12_bEUlT_E_NS1_11comp_targetILNS1_3genE5ELNS1_11target_archE942ELNS1_3gpuE9ELNS1_3repE0EEENS1_30default_config_static_selectorELNS0_4arch9wavefront6targetE0EEEvSW_.num_vgpr, 0
	.set _ZN7rocprim17ROCPRIM_400000_NS6detail17trampoline_kernelINS0_14default_configENS1_27lower_bound_config_selectorItlEEZNS1_14transform_implILb0ES3_S5_N6thrust23THRUST_200600_302600_NS6detail15normal_iteratorINS8_7pointerItNS8_11hip_rocprim5par_tENS8_11use_defaultESE_EEEENSA_INSB_IlSD_SE_SE_EEEEZNS1_13binary_searchIS3_S5_PtSG_SI_NS1_21lower_bound_search_opENS9_16wrapped_functionINS8_6system6detail7generic6detail18binary_search_lessEbEEEE10hipError_tPvRmT1_T2_T3_mmT4_T5_P12ihipStream_tbEUlRKtE_EEST_SX_SY_mSZ_S12_bEUlT_E_NS1_11comp_targetILNS1_3genE5ELNS1_11target_archE942ELNS1_3gpuE9ELNS1_3repE0EEENS1_30default_config_static_selectorELNS0_4arch9wavefront6targetE0EEEvSW_.num_agpr, 0
	.set _ZN7rocprim17ROCPRIM_400000_NS6detail17trampoline_kernelINS0_14default_configENS1_27lower_bound_config_selectorItlEEZNS1_14transform_implILb0ES3_S5_N6thrust23THRUST_200600_302600_NS6detail15normal_iteratorINS8_7pointerItNS8_11hip_rocprim5par_tENS8_11use_defaultESE_EEEENSA_INSB_IlSD_SE_SE_EEEEZNS1_13binary_searchIS3_S5_PtSG_SI_NS1_21lower_bound_search_opENS9_16wrapped_functionINS8_6system6detail7generic6detail18binary_search_lessEbEEEE10hipError_tPvRmT1_T2_T3_mmT4_T5_P12ihipStream_tbEUlRKtE_EEST_SX_SY_mSZ_S12_bEUlT_E_NS1_11comp_targetILNS1_3genE5ELNS1_11target_archE942ELNS1_3gpuE9ELNS1_3repE0EEENS1_30default_config_static_selectorELNS0_4arch9wavefront6targetE0EEEvSW_.numbered_sgpr, 0
	.set _ZN7rocprim17ROCPRIM_400000_NS6detail17trampoline_kernelINS0_14default_configENS1_27lower_bound_config_selectorItlEEZNS1_14transform_implILb0ES3_S5_N6thrust23THRUST_200600_302600_NS6detail15normal_iteratorINS8_7pointerItNS8_11hip_rocprim5par_tENS8_11use_defaultESE_EEEENSA_INSB_IlSD_SE_SE_EEEEZNS1_13binary_searchIS3_S5_PtSG_SI_NS1_21lower_bound_search_opENS9_16wrapped_functionINS8_6system6detail7generic6detail18binary_search_lessEbEEEE10hipError_tPvRmT1_T2_T3_mmT4_T5_P12ihipStream_tbEUlRKtE_EEST_SX_SY_mSZ_S12_bEUlT_E_NS1_11comp_targetILNS1_3genE5ELNS1_11target_archE942ELNS1_3gpuE9ELNS1_3repE0EEENS1_30default_config_static_selectorELNS0_4arch9wavefront6targetE0EEEvSW_.num_named_barrier, 0
	.set _ZN7rocprim17ROCPRIM_400000_NS6detail17trampoline_kernelINS0_14default_configENS1_27lower_bound_config_selectorItlEEZNS1_14transform_implILb0ES3_S5_N6thrust23THRUST_200600_302600_NS6detail15normal_iteratorINS8_7pointerItNS8_11hip_rocprim5par_tENS8_11use_defaultESE_EEEENSA_INSB_IlSD_SE_SE_EEEEZNS1_13binary_searchIS3_S5_PtSG_SI_NS1_21lower_bound_search_opENS9_16wrapped_functionINS8_6system6detail7generic6detail18binary_search_lessEbEEEE10hipError_tPvRmT1_T2_T3_mmT4_T5_P12ihipStream_tbEUlRKtE_EEST_SX_SY_mSZ_S12_bEUlT_E_NS1_11comp_targetILNS1_3genE5ELNS1_11target_archE942ELNS1_3gpuE9ELNS1_3repE0EEENS1_30default_config_static_selectorELNS0_4arch9wavefront6targetE0EEEvSW_.private_seg_size, 0
	.set _ZN7rocprim17ROCPRIM_400000_NS6detail17trampoline_kernelINS0_14default_configENS1_27lower_bound_config_selectorItlEEZNS1_14transform_implILb0ES3_S5_N6thrust23THRUST_200600_302600_NS6detail15normal_iteratorINS8_7pointerItNS8_11hip_rocprim5par_tENS8_11use_defaultESE_EEEENSA_INSB_IlSD_SE_SE_EEEEZNS1_13binary_searchIS3_S5_PtSG_SI_NS1_21lower_bound_search_opENS9_16wrapped_functionINS8_6system6detail7generic6detail18binary_search_lessEbEEEE10hipError_tPvRmT1_T2_T3_mmT4_T5_P12ihipStream_tbEUlRKtE_EEST_SX_SY_mSZ_S12_bEUlT_E_NS1_11comp_targetILNS1_3genE5ELNS1_11target_archE942ELNS1_3gpuE9ELNS1_3repE0EEENS1_30default_config_static_selectorELNS0_4arch9wavefront6targetE0EEEvSW_.uses_vcc, 0
	.set _ZN7rocprim17ROCPRIM_400000_NS6detail17trampoline_kernelINS0_14default_configENS1_27lower_bound_config_selectorItlEEZNS1_14transform_implILb0ES3_S5_N6thrust23THRUST_200600_302600_NS6detail15normal_iteratorINS8_7pointerItNS8_11hip_rocprim5par_tENS8_11use_defaultESE_EEEENSA_INSB_IlSD_SE_SE_EEEEZNS1_13binary_searchIS3_S5_PtSG_SI_NS1_21lower_bound_search_opENS9_16wrapped_functionINS8_6system6detail7generic6detail18binary_search_lessEbEEEE10hipError_tPvRmT1_T2_T3_mmT4_T5_P12ihipStream_tbEUlRKtE_EEST_SX_SY_mSZ_S12_bEUlT_E_NS1_11comp_targetILNS1_3genE5ELNS1_11target_archE942ELNS1_3gpuE9ELNS1_3repE0EEENS1_30default_config_static_selectorELNS0_4arch9wavefront6targetE0EEEvSW_.uses_flat_scratch, 0
	.set _ZN7rocprim17ROCPRIM_400000_NS6detail17trampoline_kernelINS0_14default_configENS1_27lower_bound_config_selectorItlEEZNS1_14transform_implILb0ES3_S5_N6thrust23THRUST_200600_302600_NS6detail15normal_iteratorINS8_7pointerItNS8_11hip_rocprim5par_tENS8_11use_defaultESE_EEEENSA_INSB_IlSD_SE_SE_EEEEZNS1_13binary_searchIS3_S5_PtSG_SI_NS1_21lower_bound_search_opENS9_16wrapped_functionINS8_6system6detail7generic6detail18binary_search_lessEbEEEE10hipError_tPvRmT1_T2_T3_mmT4_T5_P12ihipStream_tbEUlRKtE_EEST_SX_SY_mSZ_S12_bEUlT_E_NS1_11comp_targetILNS1_3genE5ELNS1_11target_archE942ELNS1_3gpuE9ELNS1_3repE0EEENS1_30default_config_static_selectorELNS0_4arch9wavefront6targetE0EEEvSW_.has_dyn_sized_stack, 0
	.set _ZN7rocprim17ROCPRIM_400000_NS6detail17trampoline_kernelINS0_14default_configENS1_27lower_bound_config_selectorItlEEZNS1_14transform_implILb0ES3_S5_N6thrust23THRUST_200600_302600_NS6detail15normal_iteratorINS8_7pointerItNS8_11hip_rocprim5par_tENS8_11use_defaultESE_EEEENSA_INSB_IlSD_SE_SE_EEEEZNS1_13binary_searchIS3_S5_PtSG_SI_NS1_21lower_bound_search_opENS9_16wrapped_functionINS8_6system6detail7generic6detail18binary_search_lessEbEEEE10hipError_tPvRmT1_T2_T3_mmT4_T5_P12ihipStream_tbEUlRKtE_EEST_SX_SY_mSZ_S12_bEUlT_E_NS1_11comp_targetILNS1_3genE5ELNS1_11target_archE942ELNS1_3gpuE9ELNS1_3repE0EEENS1_30default_config_static_selectorELNS0_4arch9wavefront6targetE0EEEvSW_.has_recursion, 0
	.set _ZN7rocprim17ROCPRIM_400000_NS6detail17trampoline_kernelINS0_14default_configENS1_27lower_bound_config_selectorItlEEZNS1_14transform_implILb0ES3_S5_N6thrust23THRUST_200600_302600_NS6detail15normal_iteratorINS8_7pointerItNS8_11hip_rocprim5par_tENS8_11use_defaultESE_EEEENSA_INSB_IlSD_SE_SE_EEEEZNS1_13binary_searchIS3_S5_PtSG_SI_NS1_21lower_bound_search_opENS9_16wrapped_functionINS8_6system6detail7generic6detail18binary_search_lessEbEEEE10hipError_tPvRmT1_T2_T3_mmT4_T5_P12ihipStream_tbEUlRKtE_EEST_SX_SY_mSZ_S12_bEUlT_E_NS1_11comp_targetILNS1_3genE5ELNS1_11target_archE942ELNS1_3gpuE9ELNS1_3repE0EEENS1_30default_config_static_selectorELNS0_4arch9wavefront6targetE0EEEvSW_.has_indirect_call, 0
	.section	.AMDGPU.csdata,"",@progbits
; Kernel info:
; codeLenInByte = 0
; TotalNumSgprs: 0
; NumVgprs: 0
; ScratchSize: 0
; MemoryBound: 0
; FloatMode: 240
; IeeeMode: 1
; LDSByteSize: 0 bytes/workgroup (compile time only)
; SGPRBlocks: 0
; VGPRBlocks: 0
; NumSGPRsForWavesPerEU: 1
; NumVGPRsForWavesPerEU: 1
; Occupancy: 16
; WaveLimiterHint : 0
; COMPUTE_PGM_RSRC2:SCRATCH_EN: 0
; COMPUTE_PGM_RSRC2:USER_SGPR: 6
; COMPUTE_PGM_RSRC2:TRAP_HANDLER: 0
; COMPUTE_PGM_RSRC2:TGID_X_EN: 1
; COMPUTE_PGM_RSRC2:TGID_Y_EN: 0
; COMPUTE_PGM_RSRC2:TGID_Z_EN: 0
; COMPUTE_PGM_RSRC2:TIDIG_COMP_CNT: 0
	.section	.text._ZN7rocprim17ROCPRIM_400000_NS6detail17trampoline_kernelINS0_14default_configENS1_27lower_bound_config_selectorItlEEZNS1_14transform_implILb0ES3_S5_N6thrust23THRUST_200600_302600_NS6detail15normal_iteratorINS8_7pointerItNS8_11hip_rocprim5par_tENS8_11use_defaultESE_EEEENSA_INSB_IlSD_SE_SE_EEEEZNS1_13binary_searchIS3_S5_PtSG_SI_NS1_21lower_bound_search_opENS9_16wrapped_functionINS8_6system6detail7generic6detail18binary_search_lessEbEEEE10hipError_tPvRmT1_T2_T3_mmT4_T5_P12ihipStream_tbEUlRKtE_EEST_SX_SY_mSZ_S12_bEUlT_E_NS1_11comp_targetILNS1_3genE4ELNS1_11target_archE910ELNS1_3gpuE8ELNS1_3repE0EEENS1_30default_config_static_selectorELNS0_4arch9wavefront6targetE0EEEvSW_,"axG",@progbits,_ZN7rocprim17ROCPRIM_400000_NS6detail17trampoline_kernelINS0_14default_configENS1_27lower_bound_config_selectorItlEEZNS1_14transform_implILb0ES3_S5_N6thrust23THRUST_200600_302600_NS6detail15normal_iteratorINS8_7pointerItNS8_11hip_rocprim5par_tENS8_11use_defaultESE_EEEENSA_INSB_IlSD_SE_SE_EEEEZNS1_13binary_searchIS3_S5_PtSG_SI_NS1_21lower_bound_search_opENS9_16wrapped_functionINS8_6system6detail7generic6detail18binary_search_lessEbEEEE10hipError_tPvRmT1_T2_T3_mmT4_T5_P12ihipStream_tbEUlRKtE_EEST_SX_SY_mSZ_S12_bEUlT_E_NS1_11comp_targetILNS1_3genE4ELNS1_11target_archE910ELNS1_3gpuE8ELNS1_3repE0EEENS1_30default_config_static_selectorELNS0_4arch9wavefront6targetE0EEEvSW_,comdat
	.protected	_ZN7rocprim17ROCPRIM_400000_NS6detail17trampoline_kernelINS0_14default_configENS1_27lower_bound_config_selectorItlEEZNS1_14transform_implILb0ES3_S5_N6thrust23THRUST_200600_302600_NS6detail15normal_iteratorINS8_7pointerItNS8_11hip_rocprim5par_tENS8_11use_defaultESE_EEEENSA_INSB_IlSD_SE_SE_EEEEZNS1_13binary_searchIS3_S5_PtSG_SI_NS1_21lower_bound_search_opENS9_16wrapped_functionINS8_6system6detail7generic6detail18binary_search_lessEbEEEE10hipError_tPvRmT1_T2_T3_mmT4_T5_P12ihipStream_tbEUlRKtE_EEST_SX_SY_mSZ_S12_bEUlT_E_NS1_11comp_targetILNS1_3genE4ELNS1_11target_archE910ELNS1_3gpuE8ELNS1_3repE0EEENS1_30default_config_static_selectorELNS0_4arch9wavefront6targetE0EEEvSW_ ; -- Begin function _ZN7rocprim17ROCPRIM_400000_NS6detail17trampoline_kernelINS0_14default_configENS1_27lower_bound_config_selectorItlEEZNS1_14transform_implILb0ES3_S5_N6thrust23THRUST_200600_302600_NS6detail15normal_iteratorINS8_7pointerItNS8_11hip_rocprim5par_tENS8_11use_defaultESE_EEEENSA_INSB_IlSD_SE_SE_EEEEZNS1_13binary_searchIS3_S5_PtSG_SI_NS1_21lower_bound_search_opENS9_16wrapped_functionINS8_6system6detail7generic6detail18binary_search_lessEbEEEE10hipError_tPvRmT1_T2_T3_mmT4_T5_P12ihipStream_tbEUlRKtE_EEST_SX_SY_mSZ_S12_bEUlT_E_NS1_11comp_targetILNS1_3genE4ELNS1_11target_archE910ELNS1_3gpuE8ELNS1_3repE0EEENS1_30default_config_static_selectorELNS0_4arch9wavefront6targetE0EEEvSW_
	.globl	_ZN7rocprim17ROCPRIM_400000_NS6detail17trampoline_kernelINS0_14default_configENS1_27lower_bound_config_selectorItlEEZNS1_14transform_implILb0ES3_S5_N6thrust23THRUST_200600_302600_NS6detail15normal_iteratorINS8_7pointerItNS8_11hip_rocprim5par_tENS8_11use_defaultESE_EEEENSA_INSB_IlSD_SE_SE_EEEEZNS1_13binary_searchIS3_S5_PtSG_SI_NS1_21lower_bound_search_opENS9_16wrapped_functionINS8_6system6detail7generic6detail18binary_search_lessEbEEEE10hipError_tPvRmT1_T2_T3_mmT4_T5_P12ihipStream_tbEUlRKtE_EEST_SX_SY_mSZ_S12_bEUlT_E_NS1_11comp_targetILNS1_3genE4ELNS1_11target_archE910ELNS1_3gpuE8ELNS1_3repE0EEENS1_30default_config_static_selectorELNS0_4arch9wavefront6targetE0EEEvSW_
	.p2align	8
	.type	_ZN7rocprim17ROCPRIM_400000_NS6detail17trampoline_kernelINS0_14default_configENS1_27lower_bound_config_selectorItlEEZNS1_14transform_implILb0ES3_S5_N6thrust23THRUST_200600_302600_NS6detail15normal_iteratorINS8_7pointerItNS8_11hip_rocprim5par_tENS8_11use_defaultESE_EEEENSA_INSB_IlSD_SE_SE_EEEEZNS1_13binary_searchIS3_S5_PtSG_SI_NS1_21lower_bound_search_opENS9_16wrapped_functionINS8_6system6detail7generic6detail18binary_search_lessEbEEEE10hipError_tPvRmT1_T2_T3_mmT4_T5_P12ihipStream_tbEUlRKtE_EEST_SX_SY_mSZ_S12_bEUlT_E_NS1_11comp_targetILNS1_3genE4ELNS1_11target_archE910ELNS1_3gpuE8ELNS1_3repE0EEENS1_30default_config_static_selectorELNS0_4arch9wavefront6targetE0EEEvSW_,@function
_ZN7rocprim17ROCPRIM_400000_NS6detail17trampoline_kernelINS0_14default_configENS1_27lower_bound_config_selectorItlEEZNS1_14transform_implILb0ES3_S5_N6thrust23THRUST_200600_302600_NS6detail15normal_iteratorINS8_7pointerItNS8_11hip_rocprim5par_tENS8_11use_defaultESE_EEEENSA_INSB_IlSD_SE_SE_EEEEZNS1_13binary_searchIS3_S5_PtSG_SI_NS1_21lower_bound_search_opENS9_16wrapped_functionINS8_6system6detail7generic6detail18binary_search_lessEbEEEE10hipError_tPvRmT1_T2_T3_mmT4_T5_P12ihipStream_tbEUlRKtE_EEST_SX_SY_mSZ_S12_bEUlT_E_NS1_11comp_targetILNS1_3genE4ELNS1_11target_archE910ELNS1_3gpuE8ELNS1_3repE0EEENS1_30default_config_static_selectorELNS0_4arch9wavefront6targetE0EEEvSW_: ; @_ZN7rocprim17ROCPRIM_400000_NS6detail17trampoline_kernelINS0_14default_configENS1_27lower_bound_config_selectorItlEEZNS1_14transform_implILb0ES3_S5_N6thrust23THRUST_200600_302600_NS6detail15normal_iteratorINS8_7pointerItNS8_11hip_rocprim5par_tENS8_11use_defaultESE_EEEENSA_INSB_IlSD_SE_SE_EEEEZNS1_13binary_searchIS3_S5_PtSG_SI_NS1_21lower_bound_search_opENS9_16wrapped_functionINS8_6system6detail7generic6detail18binary_search_lessEbEEEE10hipError_tPvRmT1_T2_T3_mmT4_T5_P12ihipStream_tbEUlRKtE_EEST_SX_SY_mSZ_S12_bEUlT_E_NS1_11comp_targetILNS1_3genE4ELNS1_11target_archE910ELNS1_3gpuE8ELNS1_3repE0EEENS1_30default_config_static_selectorELNS0_4arch9wavefront6targetE0EEEvSW_
; %bb.0:
	.section	.rodata,"a",@progbits
	.p2align	6, 0x0
	.amdhsa_kernel _ZN7rocprim17ROCPRIM_400000_NS6detail17trampoline_kernelINS0_14default_configENS1_27lower_bound_config_selectorItlEEZNS1_14transform_implILb0ES3_S5_N6thrust23THRUST_200600_302600_NS6detail15normal_iteratorINS8_7pointerItNS8_11hip_rocprim5par_tENS8_11use_defaultESE_EEEENSA_INSB_IlSD_SE_SE_EEEEZNS1_13binary_searchIS3_S5_PtSG_SI_NS1_21lower_bound_search_opENS9_16wrapped_functionINS8_6system6detail7generic6detail18binary_search_lessEbEEEE10hipError_tPvRmT1_T2_T3_mmT4_T5_P12ihipStream_tbEUlRKtE_EEST_SX_SY_mSZ_S12_bEUlT_E_NS1_11comp_targetILNS1_3genE4ELNS1_11target_archE910ELNS1_3gpuE8ELNS1_3repE0EEENS1_30default_config_static_selectorELNS0_4arch9wavefront6targetE0EEEvSW_
		.amdhsa_group_segment_fixed_size 0
		.amdhsa_private_segment_fixed_size 0
		.amdhsa_kernarg_size 56
		.amdhsa_user_sgpr_count 6
		.amdhsa_user_sgpr_private_segment_buffer 1
		.amdhsa_user_sgpr_dispatch_ptr 0
		.amdhsa_user_sgpr_queue_ptr 0
		.amdhsa_user_sgpr_kernarg_segment_ptr 1
		.amdhsa_user_sgpr_dispatch_id 0
		.amdhsa_user_sgpr_flat_scratch_init 0
		.amdhsa_user_sgpr_private_segment_size 0
		.amdhsa_wavefront_size32 1
		.amdhsa_uses_dynamic_stack 0
		.amdhsa_system_sgpr_private_segment_wavefront_offset 0
		.amdhsa_system_sgpr_workgroup_id_x 1
		.amdhsa_system_sgpr_workgroup_id_y 0
		.amdhsa_system_sgpr_workgroup_id_z 0
		.amdhsa_system_sgpr_workgroup_info 0
		.amdhsa_system_vgpr_workitem_id 0
		.amdhsa_next_free_vgpr 1
		.amdhsa_next_free_sgpr 1
		.amdhsa_reserve_vcc 0
		.amdhsa_reserve_flat_scratch 0
		.amdhsa_float_round_mode_32 0
		.amdhsa_float_round_mode_16_64 0
		.amdhsa_float_denorm_mode_32 3
		.amdhsa_float_denorm_mode_16_64 3
		.amdhsa_dx10_clamp 1
		.amdhsa_ieee_mode 1
		.amdhsa_fp16_overflow 0
		.amdhsa_workgroup_processor_mode 1
		.amdhsa_memory_ordered 1
		.amdhsa_forward_progress 1
		.amdhsa_shared_vgpr_count 0
		.amdhsa_exception_fp_ieee_invalid_op 0
		.amdhsa_exception_fp_denorm_src 0
		.amdhsa_exception_fp_ieee_div_zero 0
		.amdhsa_exception_fp_ieee_overflow 0
		.amdhsa_exception_fp_ieee_underflow 0
		.amdhsa_exception_fp_ieee_inexact 0
		.amdhsa_exception_int_div_zero 0
	.end_amdhsa_kernel
	.section	.text._ZN7rocprim17ROCPRIM_400000_NS6detail17trampoline_kernelINS0_14default_configENS1_27lower_bound_config_selectorItlEEZNS1_14transform_implILb0ES3_S5_N6thrust23THRUST_200600_302600_NS6detail15normal_iteratorINS8_7pointerItNS8_11hip_rocprim5par_tENS8_11use_defaultESE_EEEENSA_INSB_IlSD_SE_SE_EEEEZNS1_13binary_searchIS3_S5_PtSG_SI_NS1_21lower_bound_search_opENS9_16wrapped_functionINS8_6system6detail7generic6detail18binary_search_lessEbEEEE10hipError_tPvRmT1_T2_T3_mmT4_T5_P12ihipStream_tbEUlRKtE_EEST_SX_SY_mSZ_S12_bEUlT_E_NS1_11comp_targetILNS1_3genE4ELNS1_11target_archE910ELNS1_3gpuE8ELNS1_3repE0EEENS1_30default_config_static_selectorELNS0_4arch9wavefront6targetE0EEEvSW_,"axG",@progbits,_ZN7rocprim17ROCPRIM_400000_NS6detail17trampoline_kernelINS0_14default_configENS1_27lower_bound_config_selectorItlEEZNS1_14transform_implILb0ES3_S5_N6thrust23THRUST_200600_302600_NS6detail15normal_iteratorINS8_7pointerItNS8_11hip_rocprim5par_tENS8_11use_defaultESE_EEEENSA_INSB_IlSD_SE_SE_EEEEZNS1_13binary_searchIS3_S5_PtSG_SI_NS1_21lower_bound_search_opENS9_16wrapped_functionINS8_6system6detail7generic6detail18binary_search_lessEbEEEE10hipError_tPvRmT1_T2_T3_mmT4_T5_P12ihipStream_tbEUlRKtE_EEST_SX_SY_mSZ_S12_bEUlT_E_NS1_11comp_targetILNS1_3genE4ELNS1_11target_archE910ELNS1_3gpuE8ELNS1_3repE0EEENS1_30default_config_static_selectorELNS0_4arch9wavefront6targetE0EEEvSW_,comdat
.Lfunc_end95:
	.size	_ZN7rocprim17ROCPRIM_400000_NS6detail17trampoline_kernelINS0_14default_configENS1_27lower_bound_config_selectorItlEEZNS1_14transform_implILb0ES3_S5_N6thrust23THRUST_200600_302600_NS6detail15normal_iteratorINS8_7pointerItNS8_11hip_rocprim5par_tENS8_11use_defaultESE_EEEENSA_INSB_IlSD_SE_SE_EEEEZNS1_13binary_searchIS3_S5_PtSG_SI_NS1_21lower_bound_search_opENS9_16wrapped_functionINS8_6system6detail7generic6detail18binary_search_lessEbEEEE10hipError_tPvRmT1_T2_T3_mmT4_T5_P12ihipStream_tbEUlRKtE_EEST_SX_SY_mSZ_S12_bEUlT_E_NS1_11comp_targetILNS1_3genE4ELNS1_11target_archE910ELNS1_3gpuE8ELNS1_3repE0EEENS1_30default_config_static_selectorELNS0_4arch9wavefront6targetE0EEEvSW_, .Lfunc_end95-_ZN7rocprim17ROCPRIM_400000_NS6detail17trampoline_kernelINS0_14default_configENS1_27lower_bound_config_selectorItlEEZNS1_14transform_implILb0ES3_S5_N6thrust23THRUST_200600_302600_NS6detail15normal_iteratorINS8_7pointerItNS8_11hip_rocprim5par_tENS8_11use_defaultESE_EEEENSA_INSB_IlSD_SE_SE_EEEEZNS1_13binary_searchIS3_S5_PtSG_SI_NS1_21lower_bound_search_opENS9_16wrapped_functionINS8_6system6detail7generic6detail18binary_search_lessEbEEEE10hipError_tPvRmT1_T2_T3_mmT4_T5_P12ihipStream_tbEUlRKtE_EEST_SX_SY_mSZ_S12_bEUlT_E_NS1_11comp_targetILNS1_3genE4ELNS1_11target_archE910ELNS1_3gpuE8ELNS1_3repE0EEENS1_30default_config_static_selectorELNS0_4arch9wavefront6targetE0EEEvSW_
                                        ; -- End function
	.set _ZN7rocprim17ROCPRIM_400000_NS6detail17trampoline_kernelINS0_14default_configENS1_27lower_bound_config_selectorItlEEZNS1_14transform_implILb0ES3_S5_N6thrust23THRUST_200600_302600_NS6detail15normal_iteratorINS8_7pointerItNS8_11hip_rocprim5par_tENS8_11use_defaultESE_EEEENSA_INSB_IlSD_SE_SE_EEEEZNS1_13binary_searchIS3_S5_PtSG_SI_NS1_21lower_bound_search_opENS9_16wrapped_functionINS8_6system6detail7generic6detail18binary_search_lessEbEEEE10hipError_tPvRmT1_T2_T3_mmT4_T5_P12ihipStream_tbEUlRKtE_EEST_SX_SY_mSZ_S12_bEUlT_E_NS1_11comp_targetILNS1_3genE4ELNS1_11target_archE910ELNS1_3gpuE8ELNS1_3repE0EEENS1_30default_config_static_selectorELNS0_4arch9wavefront6targetE0EEEvSW_.num_vgpr, 0
	.set _ZN7rocprim17ROCPRIM_400000_NS6detail17trampoline_kernelINS0_14default_configENS1_27lower_bound_config_selectorItlEEZNS1_14transform_implILb0ES3_S5_N6thrust23THRUST_200600_302600_NS6detail15normal_iteratorINS8_7pointerItNS8_11hip_rocprim5par_tENS8_11use_defaultESE_EEEENSA_INSB_IlSD_SE_SE_EEEEZNS1_13binary_searchIS3_S5_PtSG_SI_NS1_21lower_bound_search_opENS9_16wrapped_functionINS8_6system6detail7generic6detail18binary_search_lessEbEEEE10hipError_tPvRmT1_T2_T3_mmT4_T5_P12ihipStream_tbEUlRKtE_EEST_SX_SY_mSZ_S12_bEUlT_E_NS1_11comp_targetILNS1_3genE4ELNS1_11target_archE910ELNS1_3gpuE8ELNS1_3repE0EEENS1_30default_config_static_selectorELNS0_4arch9wavefront6targetE0EEEvSW_.num_agpr, 0
	.set _ZN7rocprim17ROCPRIM_400000_NS6detail17trampoline_kernelINS0_14default_configENS1_27lower_bound_config_selectorItlEEZNS1_14transform_implILb0ES3_S5_N6thrust23THRUST_200600_302600_NS6detail15normal_iteratorINS8_7pointerItNS8_11hip_rocprim5par_tENS8_11use_defaultESE_EEEENSA_INSB_IlSD_SE_SE_EEEEZNS1_13binary_searchIS3_S5_PtSG_SI_NS1_21lower_bound_search_opENS9_16wrapped_functionINS8_6system6detail7generic6detail18binary_search_lessEbEEEE10hipError_tPvRmT1_T2_T3_mmT4_T5_P12ihipStream_tbEUlRKtE_EEST_SX_SY_mSZ_S12_bEUlT_E_NS1_11comp_targetILNS1_3genE4ELNS1_11target_archE910ELNS1_3gpuE8ELNS1_3repE0EEENS1_30default_config_static_selectorELNS0_4arch9wavefront6targetE0EEEvSW_.numbered_sgpr, 0
	.set _ZN7rocprim17ROCPRIM_400000_NS6detail17trampoline_kernelINS0_14default_configENS1_27lower_bound_config_selectorItlEEZNS1_14transform_implILb0ES3_S5_N6thrust23THRUST_200600_302600_NS6detail15normal_iteratorINS8_7pointerItNS8_11hip_rocprim5par_tENS8_11use_defaultESE_EEEENSA_INSB_IlSD_SE_SE_EEEEZNS1_13binary_searchIS3_S5_PtSG_SI_NS1_21lower_bound_search_opENS9_16wrapped_functionINS8_6system6detail7generic6detail18binary_search_lessEbEEEE10hipError_tPvRmT1_T2_T3_mmT4_T5_P12ihipStream_tbEUlRKtE_EEST_SX_SY_mSZ_S12_bEUlT_E_NS1_11comp_targetILNS1_3genE4ELNS1_11target_archE910ELNS1_3gpuE8ELNS1_3repE0EEENS1_30default_config_static_selectorELNS0_4arch9wavefront6targetE0EEEvSW_.num_named_barrier, 0
	.set _ZN7rocprim17ROCPRIM_400000_NS6detail17trampoline_kernelINS0_14default_configENS1_27lower_bound_config_selectorItlEEZNS1_14transform_implILb0ES3_S5_N6thrust23THRUST_200600_302600_NS6detail15normal_iteratorINS8_7pointerItNS8_11hip_rocprim5par_tENS8_11use_defaultESE_EEEENSA_INSB_IlSD_SE_SE_EEEEZNS1_13binary_searchIS3_S5_PtSG_SI_NS1_21lower_bound_search_opENS9_16wrapped_functionINS8_6system6detail7generic6detail18binary_search_lessEbEEEE10hipError_tPvRmT1_T2_T3_mmT4_T5_P12ihipStream_tbEUlRKtE_EEST_SX_SY_mSZ_S12_bEUlT_E_NS1_11comp_targetILNS1_3genE4ELNS1_11target_archE910ELNS1_3gpuE8ELNS1_3repE0EEENS1_30default_config_static_selectorELNS0_4arch9wavefront6targetE0EEEvSW_.private_seg_size, 0
	.set _ZN7rocprim17ROCPRIM_400000_NS6detail17trampoline_kernelINS0_14default_configENS1_27lower_bound_config_selectorItlEEZNS1_14transform_implILb0ES3_S5_N6thrust23THRUST_200600_302600_NS6detail15normal_iteratorINS8_7pointerItNS8_11hip_rocprim5par_tENS8_11use_defaultESE_EEEENSA_INSB_IlSD_SE_SE_EEEEZNS1_13binary_searchIS3_S5_PtSG_SI_NS1_21lower_bound_search_opENS9_16wrapped_functionINS8_6system6detail7generic6detail18binary_search_lessEbEEEE10hipError_tPvRmT1_T2_T3_mmT4_T5_P12ihipStream_tbEUlRKtE_EEST_SX_SY_mSZ_S12_bEUlT_E_NS1_11comp_targetILNS1_3genE4ELNS1_11target_archE910ELNS1_3gpuE8ELNS1_3repE0EEENS1_30default_config_static_selectorELNS0_4arch9wavefront6targetE0EEEvSW_.uses_vcc, 0
	.set _ZN7rocprim17ROCPRIM_400000_NS6detail17trampoline_kernelINS0_14default_configENS1_27lower_bound_config_selectorItlEEZNS1_14transform_implILb0ES3_S5_N6thrust23THRUST_200600_302600_NS6detail15normal_iteratorINS8_7pointerItNS8_11hip_rocprim5par_tENS8_11use_defaultESE_EEEENSA_INSB_IlSD_SE_SE_EEEEZNS1_13binary_searchIS3_S5_PtSG_SI_NS1_21lower_bound_search_opENS9_16wrapped_functionINS8_6system6detail7generic6detail18binary_search_lessEbEEEE10hipError_tPvRmT1_T2_T3_mmT4_T5_P12ihipStream_tbEUlRKtE_EEST_SX_SY_mSZ_S12_bEUlT_E_NS1_11comp_targetILNS1_3genE4ELNS1_11target_archE910ELNS1_3gpuE8ELNS1_3repE0EEENS1_30default_config_static_selectorELNS0_4arch9wavefront6targetE0EEEvSW_.uses_flat_scratch, 0
	.set _ZN7rocprim17ROCPRIM_400000_NS6detail17trampoline_kernelINS0_14default_configENS1_27lower_bound_config_selectorItlEEZNS1_14transform_implILb0ES3_S5_N6thrust23THRUST_200600_302600_NS6detail15normal_iteratorINS8_7pointerItNS8_11hip_rocprim5par_tENS8_11use_defaultESE_EEEENSA_INSB_IlSD_SE_SE_EEEEZNS1_13binary_searchIS3_S5_PtSG_SI_NS1_21lower_bound_search_opENS9_16wrapped_functionINS8_6system6detail7generic6detail18binary_search_lessEbEEEE10hipError_tPvRmT1_T2_T3_mmT4_T5_P12ihipStream_tbEUlRKtE_EEST_SX_SY_mSZ_S12_bEUlT_E_NS1_11comp_targetILNS1_3genE4ELNS1_11target_archE910ELNS1_3gpuE8ELNS1_3repE0EEENS1_30default_config_static_selectorELNS0_4arch9wavefront6targetE0EEEvSW_.has_dyn_sized_stack, 0
	.set _ZN7rocprim17ROCPRIM_400000_NS6detail17trampoline_kernelINS0_14default_configENS1_27lower_bound_config_selectorItlEEZNS1_14transform_implILb0ES3_S5_N6thrust23THRUST_200600_302600_NS6detail15normal_iteratorINS8_7pointerItNS8_11hip_rocprim5par_tENS8_11use_defaultESE_EEEENSA_INSB_IlSD_SE_SE_EEEEZNS1_13binary_searchIS3_S5_PtSG_SI_NS1_21lower_bound_search_opENS9_16wrapped_functionINS8_6system6detail7generic6detail18binary_search_lessEbEEEE10hipError_tPvRmT1_T2_T3_mmT4_T5_P12ihipStream_tbEUlRKtE_EEST_SX_SY_mSZ_S12_bEUlT_E_NS1_11comp_targetILNS1_3genE4ELNS1_11target_archE910ELNS1_3gpuE8ELNS1_3repE0EEENS1_30default_config_static_selectorELNS0_4arch9wavefront6targetE0EEEvSW_.has_recursion, 0
	.set _ZN7rocprim17ROCPRIM_400000_NS6detail17trampoline_kernelINS0_14default_configENS1_27lower_bound_config_selectorItlEEZNS1_14transform_implILb0ES3_S5_N6thrust23THRUST_200600_302600_NS6detail15normal_iteratorINS8_7pointerItNS8_11hip_rocprim5par_tENS8_11use_defaultESE_EEEENSA_INSB_IlSD_SE_SE_EEEEZNS1_13binary_searchIS3_S5_PtSG_SI_NS1_21lower_bound_search_opENS9_16wrapped_functionINS8_6system6detail7generic6detail18binary_search_lessEbEEEE10hipError_tPvRmT1_T2_T3_mmT4_T5_P12ihipStream_tbEUlRKtE_EEST_SX_SY_mSZ_S12_bEUlT_E_NS1_11comp_targetILNS1_3genE4ELNS1_11target_archE910ELNS1_3gpuE8ELNS1_3repE0EEENS1_30default_config_static_selectorELNS0_4arch9wavefront6targetE0EEEvSW_.has_indirect_call, 0
	.section	.AMDGPU.csdata,"",@progbits
; Kernel info:
; codeLenInByte = 0
; TotalNumSgprs: 0
; NumVgprs: 0
; ScratchSize: 0
; MemoryBound: 0
; FloatMode: 240
; IeeeMode: 1
; LDSByteSize: 0 bytes/workgroup (compile time only)
; SGPRBlocks: 0
; VGPRBlocks: 0
; NumSGPRsForWavesPerEU: 1
; NumVGPRsForWavesPerEU: 1
; Occupancy: 16
; WaveLimiterHint : 0
; COMPUTE_PGM_RSRC2:SCRATCH_EN: 0
; COMPUTE_PGM_RSRC2:USER_SGPR: 6
; COMPUTE_PGM_RSRC2:TRAP_HANDLER: 0
; COMPUTE_PGM_RSRC2:TGID_X_EN: 1
; COMPUTE_PGM_RSRC2:TGID_Y_EN: 0
; COMPUTE_PGM_RSRC2:TGID_Z_EN: 0
; COMPUTE_PGM_RSRC2:TIDIG_COMP_CNT: 0
	.section	.text._ZN7rocprim17ROCPRIM_400000_NS6detail17trampoline_kernelINS0_14default_configENS1_27lower_bound_config_selectorItlEEZNS1_14transform_implILb0ES3_S5_N6thrust23THRUST_200600_302600_NS6detail15normal_iteratorINS8_7pointerItNS8_11hip_rocprim5par_tENS8_11use_defaultESE_EEEENSA_INSB_IlSD_SE_SE_EEEEZNS1_13binary_searchIS3_S5_PtSG_SI_NS1_21lower_bound_search_opENS9_16wrapped_functionINS8_6system6detail7generic6detail18binary_search_lessEbEEEE10hipError_tPvRmT1_T2_T3_mmT4_T5_P12ihipStream_tbEUlRKtE_EEST_SX_SY_mSZ_S12_bEUlT_E_NS1_11comp_targetILNS1_3genE3ELNS1_11target_archE908ELNS1_3gpuE7ELNS1_3repE0EEENS1_30default_config_static_selectorELNS0_4arch9wavefront6targetE0EEEvSW_,"axG",@progbits,_ZN7rocprim17ROCPRIM_400000_NS6detail17trampoline_kernelINS0_14default_configENS1_27lower_bound_config_selectorItlEEZNS1_14transform_implILb0ES3_S5_N6thrust23THRUST_200600_302600_NS6detail15normal_iteratorINS8_7pointerItNS8_11hip_rocprim5par_tENS8_11use_defaultESE_EEEENSA_INSB_IlSD_SE_SE_EEEEZNS1_13binary_searchIS3_S5_PtSG_SI_NS1_21lower_bound_search_opENS9_16wrapped_functionINS8_6system6detail7generic6detail18binary_search_lessEbEEEE10hipError_tPvRmT1_T2_T3_mmT4_T5_P12ihipStream_tbEUlRKtE_EEST_SX_SY_mSZ_S12_bEUlT_E_NS1_11comp_targetILNS1_3genE3ELNS1_11target_archE908ELNS1_3gpuE7ELNS1_3repE0EEENS1_30default_config_static_selectorELNS0_4arch9wavefront6targetE0EEEvSW_,comdat
	.protected	_ZN7rocprim17ROCPRIM_400000_NS6detail17trampoline_kernelINS0_14default_configENS1_27lower_bound_config_selectorItlEEZNS1_14transform_implILb0ES3_S5_N6thrust23THRUST_200600_302600_NS6detail15normal_iteratorINS8_7pointerItNS8_11hip_rocprim5par_tENS8_11use_defaultESE_EEEENSA_INSB_IlSD_SE_SE_EEEEZNS1_13binary_searchIS3_S5_PtSG_SI_NS1_21lower_bound_search_opENS9_16wrapped_functionINS8_6system6detail7generic6detail18binary_search_lessEbEEEE10hipError_tPvRmT1_T2_T3_mmT4_T5_P12ihipStream_tbEUlRKtE_EEST_SX_SY_mSZ_S12_bEUlT_E_NS1_11comp_targetILNS1_3genE3ELNS1_11target_archE908ELNS1_3gpuE7ELNS1_3repE0EEENS1_30default_config_static_selectorELNS0_4arch9wavefront6targetE0EEEvSW_ ; -- Begin function _ZN7rocprim17ROCPRIM_400000_NS6detail17trampoline_kernelINS0_14default_configENS1_27lower_bound_config_selectorItlEEZNS1_14transform_implILb0ES3_S5_N6thrust23THRUST_200600_302600_NS6detail15normal_iteratorINS8_7pointerItNS8_11hip_rocprim5par_tENS8_11use_defaultESE_EEEENSA_INSB_IlSD_SE_SE_EEEEZNS1_13binary_searchIS3_S5_PtSG_SI_NS1_21lower_bound_search_opENS9_16wrapped_functionINS8_6system6detail7generic6detail18binary_search_lessEbEEEE10hipError_tPvRmT1_T2_T3_mmT4_T5_P12ihipStream_tbEUlRKtE_EEST_SX_SY_mSZ_S12_bEUlT_E_NS1_11comp_targetILNS1_3genE3ELNS1_11target_archE908ELNS1_3gpuE7ELNS1_3repE0EEENS1_30default_config_static_selectorELNS0_4arch9wavefront6targetE0EEEvSW_
	.globl	_ZN7rocprim17ROCPRIM_400000_NS6detail17trampoline_kernelINS0_14default_configENS1_27lower_bound_config_selectorItlEEZNS1_14transform_implILb0ES3_S5_N6thrust23THRUST_200600_302600_NS6detail15normal_iteratorINS8_7pointerItNS8_11hip_rocprim5par_tENS8_11use_defaultESE_EEEENSA_INSB_IlSD_SE_SE_EEEEZNS1_13binary_searchIS3_S5_PtSG_SI_NS1_21lower_bound_search_opENS9_16wrapped_functionINS8_6system6detail7generic6detail18binary_search_lessEbEEEE10hipError_tPvRmT1_T2_T3_mmT4_T5_P12ihipStream_tbEUlRKtE_EEST_SX_SY_mSZ_S12_bEUlT_E_NS1_11comp_targetILNS1_3genE3ELNS1_11target_archE908ELNS1_3gpuE7ELNS1_3repE0EEENS1_30default_config_static_selectorELNS0_4arch9wavefront6targetE0EEEvSW_
	.p2align	8
	.type	_ZN7rocprim17ROCPRIM_400000_NS6detail17trampoline_kernelINS0_14default_configENS1_27lower_bound_config_selectorItlEEZNS1_14transform_implILb0ES3_S5_N6thrust23THRUST_200600_302600_NS6detail15normal_iteratorINS8_7pointerItNS8_11hip_rocprim5par_tENS8_11use_defaultESE_EEEENSA_INSB_IlSD_SE_SE_EEEEZNS1_13binary_searchIS3_S5_PtSG_SI_NS1_21lower_bound_search_opENS9_16wrapped_functionINS8_6system6detail7generic6detail18binary_search_lessEbEEEE10hipError_tPvRmT1_T2_T3_mmT4_T5_P12ihipStream_tbEUlRKtE_EEST_SX_SY_mSZ_S12_bEUlT_E_NS1_11comp_targetILNS1_3genE3ELNS1_11target_archE908ELNS1_3gpuE7ELNS1_3repE0EEENS1_30default_config_static_selectorELNS0_4arch9wavefront6targetE0EEEvSW_,@function
_ZN7rocprim17ROCPRIM_400000_NS6detail17trampoline_kernelINS0_14default_configENS1_27lower_bound_config_selectorItlEEZNS1_14transform_implILb0ES3_S5_N6thrust23THRUST_200600_302600_NS6detail15normal_iteratorINS8_7pointerItNS8_11hip_rocprim5par_tENS8_11use_defaultESE_EEEENSA_INSB_IlSD_SE_SE_EEEEZNS1_13binary_searchIS3_S5_PtSG_SI_NS1_21lower_bound_search_opENS9_16wrapped_functionINS8_6system6detail7generic6detail18binary_search_lessEbEEEE10hipError_tPvRmT1_T2_T3_mmT4_T5_P12ihipStream_tbEUlRKtE_EEST_SX_SY_mSZ_S12_bEUlT_E_NS1_11comp_targetILNS1_3genE3ELNS1_11target_archE908ELNS1_3gpuE7ELNS1_3repE0EEENS1_30default_config_static_selectorELNS0_4arch9wavefront6targetE0EEEvSW_: ; @_ZN7rocprim17ROCPRIM_400000_NS6detail17trampoline_kernelINS0_14default_configENS1_27lower_bound_config_selectorItlEEZNS1_14transform_implILb0ES3_S5_N6thrust23THRUST_200600_302600_NS6detail15normal_iteratorINS8_7pointerItNS8_11hip_rocprim5par_tENS8_11use_defaultESE_EEEENSA_INSB_IlSD_SE_SE_EEEEZNS1_13binary_searchIS3_S5_PtSG_SI_NS1_21lower_bound_search_opENS9_16wrapped_functionINS8_6system6detail7generic6detail18binary_search_lessEbEEEE10hipError_tPvRmT1_T2_T3_mmT4_T5_P12ihipStream_tbEUlRKtE_EEST_SX_SY_mSZ_S12_bEUlT_E_NS1_11comp_targetILNS1_3genE3ELNS1_11target_archE908ELNS1_3gpuE7ELNS1_3repE0EEENS1_30default_config_static_selectorELNS0_4arch9wavefront6targetE0EEEvSW_
; %bb.0:
	.section	.rodata,"a",@progbits
	.p2align	6, 0x0
	.amdhsa_kernel _ZN7rocprim17ROCPRIM_400000_NS6detail17trampoline_kernelINS0_14default_configENS1_27lower_bound_config_selectorItlEEZNS1_14transform_implILb0ES3_S5_N6thrust23THRUST_200600_302600_NS6detail15normal_iteratorINS8_7pointerItNS8_11hip_rocprim5par_tENS8_11use_defaultESE_EEEENSA_INSB_IlSD_SE_SE_EEEEZNS1_13binary_searchIS3_S5_PtSG_SI_NS1_21lower_bound_search_opENS9_16wrapped_functionINS8_6system6detail7generic6detail18binary_search_lessEbEEEE10hipError_tPvRmT1_T2_T3_mmT4_T5_P12ihipStream_tbEUlRKtE_EEST_SX_SY_mSZ_S12_bEUlT_E_NS1_11comp_targetILNS1_3genE3ELNS1_11target_archE908ELNS1_3gpuE7ELNS1_3repE0EEENS1_30default_config_static_selectorELNS0_4arch9wavefront6targetE0EEEvSW_
		.amdhsa_group_segment_fixed_size 0
		.amdhsa_private_segment_fixed_size 0
		.amdhsa_kernarg_size 56
		.amdhsa_user_sgpr_count 6
		.amdhsa_user_sgpr_private_segment_buffer 1
		.amdhsa_user_sgpr_dispatch_ptr 0
		.amdhsa_user_sgpr_queue_ptr 0
		.amdhsa_user_sgpr_kernarg_segment_ptr 1
		.amdhsa_user_sgpr_dispatch_id 0
		.amdhsa_user_sgpr_flat_scratch_init 0
		.amdhsa_user_sgpr_private_segment_size 0
		.amdhsa_wavefront_size32 1
		.amdhsa_uses_dynamic_stack 0
		.amdhsa_system_sgpr_private_segment_wavefront_offset 0
		.amdhsa_system_sgpr_workgroup_id_x 1
		.amdhsa_system_sgpr_workgroup_id_y 0
		.amdhsa_system_sgpr_workgroup_id_z 0
		.amdhsa_system_sgpr_workgroup_info 0
		.amdhsa_system_vgpr_workitem_id 0
		.amdhsa_next_free_vgpr 1
		.amdhsa_next_free_sgpr 1
		.amdhsa_reserve_vcc 0
		.amdhsa_reserve_flat_scratch 0
		.amdhsa_float_round_mode_32 0
		.amdhsa_float_round_mode_16_64 0
		.amdhsa_float_denorm_mode_32 3
		.amdhsa_float_denorm_mode_16_64 3
		.amdhsa_dx10_clamp 1
		.amdhsa_ieee_mode 1
		.amdhsa_fp16_overflow 0
		.amdhsa_workgroup_processor_mode 1
		.amdhsa_memory_ordered 1
		.amdhsa_forward_progress 1
		.amdhsa_shared_vgpr_count 0
		.amdhsa_exception_fp_ieee_invalid_op 0
		.amdhsa_exception_fp_denorm_src 0
		.amdhsa_exception_fp_ieee_div_zero 0
		.amdhsa_exception_fp_ieee_overflow 0
		.amdhsa_exception_fp_ieee_underflow 0
		.amdhsa_exception_fp_ieee_inexact 0
		.amdhsa_exception_int_div_zero 0
	.end_amdhsa_kernel
	.section	.text._ZN7rocprim17ROCPRIM_400000_NS6detail17trampoline_kernelINS0_14default_configENS1_27lower_bound_config_selectorItlEEZNS1_14transform_implILb0ES3_S5_N6thrust23THRUST_200600_302600_NS6detail15normal_iteratorINS8_7pointerItNS8_11hip_rocprim5par_tENS8_11use_defaultESE_EEEENSA_INSB_IlSD_SE_SE_EEEEZNS1_13binary_searchIS3_S5_PtSG_SI_NS1_21lower_bound_search_opENS9_16wrapped_functionINS8_6system6detail7generic6detail18binary_search_lessEbEEEE10hipError_tPvRmT1_T2_T3_mmT4_T5_P12ihipStream_tbEUlRKtE_EEST_SX_SY_mSZ_S12_bEUlT_E_NS1_11comp_targetILNS1_3genE3ELNS1_11target_archE908ELNS1_3gpuE7ELNS1_3repE0EEENS1_30default_config_static_selectorELNS0_4arch9wavefront6targetE0EEEvSW_,"axG",@progbits,_ZN7rocprim17ROCPRIM_400000_NS6detail17trampoline_kernelINS0_14default_configENS1_27lower_bound_config_selectorItlEEZNS1_14transform_implILb0ES3_S5_N6thrust23THRUST_200600_302600_NS6detail15normal_iteratorINS8_7pointerItNS8_11hip_rocprim5par_tENS8_11use_defaultESE_EEEENSA_INSB_IlSD_SE_SE_EEEEZNS1_13binary_searchIS3_S5_PtSG_SI_NS1_21lower_bound_search_opENS9_16wrapped_functionINS8_6system6detail7generic6detail18binary_search_lessEbEEEE10hipError_tPvRmT1_T2_T3_mmT4_T5_P12ihipStream_tbEUlRKtE_EEST_SX_SY_mSZ_S12_bEUlT_E_NS1_11comp_targetILNS1_3genE3ELNS1_11target_archE908ELNS1_3gpuE7ELNS1_3repE0EEENS1_30default_config_static_selectorELNS0_4arch9wavefront6targetE0EEEvSW_,comdat
.Lfunc_end96:
	.size	_ZN7rocprim17ROCPRIM_400000_NS6detail17trampoline_kernelINS0_14default_configENS1_27lower_bound_config_selectorItlEEZNS1_14transform_implILb0ES3_S5_N6thrust23THRUST_200600_302600_NS6detail15normal_iteratorINS8_7pointerItNS8_11hip_rocprim5par_tENS8_11use_defaultESE_EEEENSA_INSB_IlSD_SE_SE_EEEEZNS1_13binary_searchIS3_S5_PtSG_SI_NS1_21lower_bound_search_opENS9_16wrapped_functionINS8_6system6detail7generic6detail18binary_search_lessEbEEEE10hipError_tPvRmT1_T2_T3_mmT4_T5_P12ihipStream_tbEUlRKtE_EEST_SX_SY_mSZ_S12_bEUlT_E_NS1_11comp_targetILNS1_3genE3ELNS1_11target_archE908ELNS1_3gpuE7ELNS1_3repE0EEENS1_30default_config_static_selectorELNS0_4arch9wavefront6targetE0EEEvSW_, .Lfunc_end96-_ZN7rocprim17ROCPRIM_400000_NS6detail17trampoline_kernelINS0_14default_configENS1_27lower_bound_config_selectorItlEEZNS1_14transform_implILb0ES3_S5_N6thrust23THRUST_200600_302600_NS6detail15normal_iteratorINS8_7pointerItNS8_11hip_rocprim5par_tENS8_11use_defaultESE_EEEENSA_INSB_IlSD_SE_SE_EEEEZNS1_13binary_searchIS3_S5_PtSG_SI_NS1_21lower_bound_search_opENS9_16wrapped_functionINS8_6system6detail7generic6detail18binary_search_lessEbEEEE10hipError_tPvRmT1_T2_T3_mmT4_T5_P12ihipStream_tbEUlRKtE_EEST_SX_SY_mSZ_S12_bEUlT_E_NS1_11comp_targetILNS1_3genE3ELNS1_11target_archE908ELNS1_3gpuE7ELNS1_3repE0EEENS1_30default_config_static_selectorELNS0_4arch9wavefront6targetE0EEEvSW_
                                        ; -- End function
	.set _ZN7rocprim17ROCPRIM_400000_NS6detail17trampoline_kernelINS0_14default_configENS1_27lower_bound_config_selectorItlEEZNS1_14transform_implILb0ES3_S5_N6thrust23THRUST_200600_302600_NS6detail15normal_iteratorINS8_7pointerItNS8_11hip_rocprim5par_tENS8_11use_defaultESE_EEEENSA_INSB_IlSD_SE_SE_EEEEZNS1_13binary_searchIS3_S5_PtSG_SI_NS1_21lower_bound_search_opENS9_16wrapped_functionINS8_6system6detail7generic6detail18binary_search_lessEbEEEE10hipError_tPvRmT1_T2_T3_mmT4_T5_P12ihipStream_tbEUlRKtE_EEST_SX_SY_mSZ_S12_bEUlT_E_NS1_11comp_targetILNS1_3genE3ELNS1_11target_archE908ELNS1_3gpuE7ELNS1_3repE0EEENS1_30default_config_static_selectorELNS0_4arch9wavefront6targetE0EEEvSW_.num_vgpr, 0
	.set _ZN7rocprim17ROCPRIM_400000_NS6detail17trampoline_kernelINS0_14default_configENS1_27lower_bound_config_selectorItlEEZNS1_14transform_implILb0ES3_S5_N6thrust23THRUST_200600_302600_NS6detail15normal_iteratorINS8_7pointerItNS8_11hip_rocprim5par_tENS8_11use_defaultESE_EEEENSA_INSB_IlSD_SE_SE_EEEEZNS1_13binary_searchIS3_S5_PtSG_SI_NS1_21lower_bound_search_opENS9_16wrapped_functionINS8_6system6detail7generic6detail18binary_search_lessEbEEEE10hipError_tPvRmT1_T2_T3_mmT4_T5_P12ihipStream_tbEUlRKtE_EEST_SX_SY_mSZ_S12_bEUlT_E_NS1_11comp_targetILNS1_3genE3ELNS1_11target_archE908ELNS1_3gpuE7ELNS1_3repE0EEENS1_30default_config_static_selectorELNS0_4arch9wavefront6targetE0EEEvSW_.num_agpr, 0
	.set _ZN7rocprim17ROCPRIM_400000_NS6detail17trampoline_kernelINS0_14default_configENS1_27lower_bound_config_selectorItlEEZNS1_14transform_implILb0ES3_S5_N6thrust23THRUST_200600_302600_NS6detail15normal_iteratorINS8_7pointerItNS8_11hip_rocprim5par_tENS8_11use_defaultESE_EEEENSA_INSB_IlSD_SE_SE_EEEEZNS1_13binary_searchIS3_S5_PtSG_SI_NS1_21lower_bound_search_opENS9_16wrapped_functionINS8_6system6detail7generic6detail18binary_search_lessEbEEEE10hipError_tPvRmT1_T2_T3_mmT4_T5_P12ihipStream_tbEUlRKtE_EEST_SX_SY_mSZ_S12_bEUlT_E_NS1_11comp_targetILNS1_3genE3ELNS1_11target_archE908ELNS1_3gpuE7ELNS1_3repE0EEENS1_30default_config_static_selectorELNS0_4arch9wavefront6targetE0EEEvSW_.numbered_sgpr, 0
	.set _ZN7rocprim17ROCPRIM_400000_NS6detail17trampoline_kernelINS0_14default_configENS1_27lower_bound_config_selectorItlEEZNS1_14transform_implILb0ES3_S5_N6thrust23THRUST_200600_302600_NS6detail15normal_iteratorINS8_7pointerItNS8_11hip_rocprim5par_tENS8_11use_defaultESE_EEEENSA_INSB_IlSD_SE_SE_EEEEZNS1_13binary_searchIS3_S5_PtSG_SI_NS1_21lower_bound_search_opENS9_16wrapped_functionINS8_6system6detail7generic6detail18binary_search_lessEbEEEE10hipError_tPvRmT1_T2_T3_mmT4_T5_P12ihipStream_tbEUlRKtE_EEST_SX_SY_mSZ_S12_bEUlT_E_NS1_11comp_targetILNS1_3genE3ELNS1_11target_archE908ELNS1_3gpuE7ELNS1_3repE0EEENS1_30default_config_static_selectorELNS0_4arch9wavefront6targetE0EEEvSW_.num_named_barrier, 0
	.set _ZN7rocprim17ROCPRIM_400000_NS6detail17trampoline_kernelINS0_14default_configENS1_27lower_bound_config_selectorItlEEZNS1_14transform_implILb0ES3_S5_N6thrust23THRUST_200600_302600_NS6detail15normal_iteratorINS8_7pointerItNS8_11hip_rocprim5par_tENS8_11use_defaultESE_EEEENSA_INSB_IlSD_SE_SE_EEEEZNS1_13binary_searchIS3_S5_PtSG_SI_NS1_21lower_bound_search_opENS9_16wrapped_functionINS8_6system6detail7generic6detail18binary_search_lessEbEEEE10hipError_tPvRmT1_T2_T3_mmT4_T5_P12ihipStream_tbEUlRKtE_EEST_SX_SY_mSZ_S12_bEUlT_E_NS1_11comp_targetILNS1_3genE3ELNS1_11target_archE908ELNS1_3gpuE7ELNS1_3repE0EEENS1_30default_config_static_selectorELNS0_4arch9wavefront6targetE0EEEvSW_.private_seg_size, 0
	.set _ZN7rocprim17ROCPRIM_400000_NS6detail17trampoline_kernelINS0_14default_configENS1_27lower_bound_config_selectorItlEEZNS1_14transform_implILb0ES3_S5_N6thrust23THRUST_200600_302600_NS6detail15normal_iteratorINS8_7pointerItNS8_11hip_rocprim5par_tENS8_11use_defaultESE_EEEENSA_INSB_IlSD_SE_SE_EEEEZNS1_13binary_searchIS3_S5_PtSG_SI_NS1_21lower_bound_search_opENS9_16wrapped_functionINS8_6system6detail7generic6detail18binary_search_lessEbEEEE10hipError_tPvRmT1_T2_T3_mmT4_T5_P12ihipStream_tbEUlRKtE_EEST_SX_SY_mSZ_S12_bEUlT_E_NS1_11comp_targetILNS1_3genE3ELNS1_11target_archE908ELNS1_3gpuE7ELNS1_3repE0EEENS1_30default_config_static_selectorELNS0_4arch9wavefront6targetE0EEEvSW_.uses_vcc, 0
	.set _ZN7rocprim17ROCPRIM_400000_NS6detail17trampoline_kernelINS0_14default_configENS1_27lower_bound_config_selectorItlEEZNS1_14transform_implILb0ES3_S5_N6thrust23THRUST_200600_302600_NS6detail15normal_iteratorINS8_7pointerItNS8_11hip_rocprim5par_tENS8_11use_defaultESE_EEEENSA_INSB_IlSD_SE_SE_EEEEZNS1_13binary_searchIS3_S5_PtSG_SI_NS1_21lower_bound_search_opENS9_16wrapped_functionINS8_6system6detail7generic6detail18binary_search_lessEbEEEE10hipError_tPvRmT1_T2_T3_mmT4_T5_P12ihipStream_tbEUlRKtE_EEST_SX_SY_mSZ_S12_bEUlT_E_NS1_11comp_targetILNS1_3genE3ELNS1_11target_archE908ELNS1_3gpuE7ELNS1_3repE0EEENS1_30default_config_static_selectorELNS0_4arch9wavefront6targetE0EEEvSW_.uses_flat_scratch, 0
	.set _ZN7rocprim17ROCPRIM_400000_NS6detail17trampoline_kernelINS0_14default_configENS1_27lower_bound_config_selectorItlEEZNS1_14transform_implILb0ES3_S5_N6thrust23THRUST_200600_302600_NS6detail15normal_iteratorINS8_7pointerItNS8_11hip_rocprim5par_tENS8_11use_defaultESE_EEEENSA_INSB_IlSD_SE_SE_EEEEZNS1_13binary_searchIS3_S5_PtSG_SI_NS1_21lower_bound_search_opENS9_16wrapped_functionINS8_6system6detail7generic6detail18binary_search_lessEbEEEE10hipError_tPvRmT1_T2_T3_mmT4_T5_P12ihipStream_tbEUlRKtE_EEST_SX_SY_mSZ_S12_bEUlT_E_NS1_11comp_targetILNS1_3genE3ELNS1_11target_archE908ELNS1_3gpuE7ELNS1_3repE0EEENS1_30default_config_static_selectorELNS0_4arch9wavefront6targetE0EEEvSW_.has_dyn_sized_stack, 0
	.set _ZN7rocprim17ROCPRIM_400000_NS6detail17trampoline_kernelINS0_14default_configENS1_27lower_bound_config_selectorItlEEZNS1_14transform_implILb0ES3_S5_N6thrust23THRUST_200600_302600_NS6detail15normal_iteratorINS8_7pointerItNS8_11hip_rocprim5par_tENS8_11use_defaultESE_EEEENSA_INSB_IlSD_SE_SE_EEEEZNS1_13binary_searchIS3_S5_PtSG_SI_NS1_21lower_bound_search_opENS9_16wrapped_functionINS8_6system6detail7generic6detail18binary_search_lessEbEEEE10hipError_tPvRmT1_T2_T3_mmT4_T5_P12ihipStream_tbEUlRKtE_EEST_SX_SY_mSZ_S12_bEUlT_E_NS1_11comp_targetILNS1_3genE3ELNS1_11target_archE908ELNS1_3gpuE7ELNS1_3repE0EEENS1_30default_config_static_selectorELNS0_4arch9wavefront6targetE0EEEvSW_.has_recursion, 0
	.set _ZN7rocprim17ROCPRIM_400000_NS6detail17trampoline_kernelINS0_14default_configENS1_27lower_bound_config_selectorItlEEZNS1_14transform_implILb0ES3_S5_N6thrust23THRUST_200600_302600_NS6detail15normal_iteratorINS8_7pointerItNS8_11hip_rocprim5par_tENS8_11use_defaultESE_EEEENSA_INSB_IlSD_SE_SE_EEEEZNS1_13binary_searchIS3_S5_PtSG_SI_NS1_21lower_bound_search_opENS9_16wrapped_functionINS8_6system6detail7generic6detail18binary_search_lessEbEEEE10hipError_tPvRmT1_T2_T3_mmT4_T5_P12ihipStream_tbEUlRKtE_EEST_SX_SY_mSZ_S12_bEUlT_E_NS1_11comp_targetILNS1_3genE3ELNS1_11target_archE908ELNS1_3gpuE7ELNS1_3repE0EEENS1_30default_config_static_selectorELNS0_4arch9wavefront6targetE0EEEvSW_.has_indirect_call, 0
	.section	.AMDGPU.csdata,"",@progbits
; Kernel info:
; codeLenInByte = 0
; TotalNumSgprs: 0
; NumVgprs: 0
; ScratchSize: 0
; MemoryBound: 0
; FloatMode: 240
; IeeeMode: 1
; LDSByteSize: 0 bytes/workgroup (compile time only)
; SGPRBlocks: 0
; VGPRBlocks: 0
; NumSGPRsForWavesPerEU: 1
; NumVGPRsForWavesPerEU: 1
; Occupancy: 16
; WaveLimiterHint : 0
; COMPUTE_PGM_RSRC2:SCRATCH_EN: 0
; COMPUTE_PGM_RSRC2:USER_SGPR: 6
; COMPUTE_PGM_RSRC2:TRAP_HANDLER: 0
; COMPUTE_PGM_RSRC2:TGID_X_EN: 1
; COMPUTE_PGM_RSRC2:TGID_Y_EN: 0
; COMPUTE_PGM_RSRC2:TGID_Z_EN: 0
; COMPUTE_PGM_RSRC2:TIDIG_COMP_CNT: 0
	.section	.text._ZN7rocprim17ROCPRIM_400000_NS6detail17trampoline_kernelINS0_14default_configENS1_27lower_bound_config_selectorItlEEZNS1_14transform_implILb0ES3_S5_N6thrust23THRUST_200600_302600_NS6detail15normal_iteratorINS8_7pointerItNS8_11hip_rocprim5par_tENS8_11use_defaultESE_EEEENSA_INSB_IlSD_SE_SE_EEEEZNS1_13binary_searchIS3_S5_PtSG_SI_NS1_21lower_bound_search_opENS9_16wrapped_functionINS8_6system6detail7generic6detail18binary_search_lessEbEEEE10hipError_tPvRmT1_T2_T3_mmT4_T5_P12ihipStream_tbEUlRKtE_EEST_SX_SY_mSZ_S12_bEUlT_E_NS1_11comp_targetILNS1_3genE2ELNS1_11target_archE906ELNS1_3gpuE6ELNS1_3repE0EEENS1_30default_config_static_selectorELNS0_4arch9wavefront6targetE0EEEvSW_,"axG",@progbits,_ZN7rocprim17ROCPRIM_400000_NS6detail17trampoline_kernelINS0_14default_configENS1_27lower_bound_config_selectorItlEEZNS1_14transform_implILb0ES3_S5_N6thrust23THRUST_200600_302600_NS6detail15normal_iteratorINS8_7pointerItNS8_11hip_rocprim5par_tENS8_11use_defaultESE_EEEENSA_INSB_IlSD_SE_SE_EEEEZNS1_13binary_searchIS3_S5_PtSG_SI_NS1_21lower_bound_search_opENS9_16wrapped_functionINS8_6system6detail7generic6detail18binary_search_lessEbEEEE10hipError_tPvRmT1_T2_T3_mmT4_T5_P12ihipStream_tbEUlRKtE_EEST_SX_SY_mSZ_S12_bEUlT_E_NS1_11comp_targetILNS1_3genE2ELNS1_11target_archE906ELNS1_3gpuE6ELNS1_3repE0EEENS1_30default_config_static_selectorELNS0_4arch9wavefront6targetE0EEEvSW_,comdat
	.protected	_ZN7rocprim17ROCPRIM_400000_NS6detail17trampoline_kernelINS0_14default_configENS1_27lower_bound_config_selectorItlEEZNS1_14transform_implILb0ES3_S5_N6thrust23THRUST_200600_302600_NS6detail15normal_iteratorINS8_7pointerItNS8_11hip_rocprim5par_tENS8_11use_defaultESE_EEEENSA_INSB_IlSD_SE_SE_EEEEZNS1_13binary_searchIS3_S5_PtSG_SI_NS1_21lower_bound_search_opENS9_16wrapped_functionINS8_6system6detail7generic6detail18binary_search_lessEbEEEE10hipError_tPvRmT1_T2_T3_mmT4_T5_P12ihipStream_tbEUlRKtE_EEST_SX_SY_mSZ_S12_bEUlT_E_NS1_11comp_targetILNS1_3genE2ELNS1_11target_archE906ELNS1_3gpuE6ELNS1_3repE0EEENS1_30default_config_static_selectorELNS0_4arch9wavefront6targetE0EEEvSW_ ; -- Begin function _ZN7rocprim17ROCPRIM_400000_NS6detail17trampoline_kernelINS0_14default_configENS1_27lower_bound_config_selectorItlEEZNS1_14transform_implILb0ES3_S5_N6thrust23THRUST_200600_302600_NS6detail15normal_iteratorINS8_7pointerItNS8_11hip_rocprim5par_tENS8_11use_defaultESE_EEEENSA_INSB_IlSD_SE_SE_EEEEZNS1_13binary_searchIS3_S5_PtSG_SI_NS1_21lower_bound_search_opENS9_16wrapped_functionINS8_6system6detail7generic6detail18binary_search_lessEbEEEE10hipError_tPvRmT1_T2_T3_mmT4_T5_P12ihipStream_tbEUlRKtE_EEST_SX_SY_mSZ_S12_bEUlT_E_NS1_11comp_targetILNS1_3genE2ELNS1_11target_archE906ELNS1_3gpuE6ELNS1_3repE0EEENS1_30default_config_static_selectorELNS0_4arch9wavefront6targetE0EEEvSW_
	.globl	_ZN7rocprim17ROCPRIM_400000_NS6detail17trampoline_kernelINS0_14default_configENS1_27lower_bound_config_selectorItlEEZNS1_14transform_implILb0ES3_S5_N6thrust23THRUST_200600_302600_NS6detail15normal_iteratorINS8_7pointerItNS8_11hip_rocprim5par_tENS8_11use_defaultESE_EEEENSA_INSB_IlSD_SE_SE_EEEEZNS1_13binary_searchIS3_S5_PtSG_SI_NS1_21lower_bound_search_opENS9_16wrapped_functionINS8_6system6detail7generic6detail18binary_search_lessEbEEEE10hipError_tPvRmT1_T2_T3_mmT4_T5_P12ihipStream_tbEUlRKtE_EEST_SX_SY_mSZ_S12_bEUlT_E_NS1_11comp_targetILNS1_3genE2ELNS1_11target_archE906ELNS1_3gpuE6ELNS1_3repE0EEENS1_30default_config_static_selectorELNS0_4arch9wavefront6targetE0EEEvSW_
	.p2align	8
	.type	_ZN7rocprim17ROCPRIM_400000_NS6detail17trampoline_kernelINS0_14default_configENS1_27lower_bound_config_selectorItlEEZNS1_14transform_implILb0ES3_S5_N6thrust23THRUST_200600_302600_NS6detail15normal_iteratorINS8_7pointerItNS8_11hip_rocprim5par_tENS8_11use_defaultESE_EEEENSA_INSB_IlSD_SE_SE_EEEEZNS1_13binary_searchIS3_S5_PtSG_SI_NS1_21lower_bound_search_opENS9_16wrapped_functionINS8_6system6detail7generic6detail18binary_search_lessEbEEEE10hipError_tPvRmT1_T2_T3_mmT4_T5_P12ihipStream_tbEUlRKtE_EEST_SX_SY_mSZ_S12_bEUlT_E_NS1_11comp_targetILNS1_3genE2ELNS1_11target_archE906ELNS1_3gpuE6ELNS1_3repE0EEENS1_30default_config_static_selectorELNS0_4arch9wavefront6targetE0EEEvSW_,@function
_ZN7rocprim17ROCPRIM_400000_NS6detail17trampoline_kernelINS0_14default_configENS1_27lower_bound_config_selectorItlEEZNS1_14transform_implILb0ES3_S5_N6thrust23THRUST_200600_302600_NS6detail15normal_iteratorINS8_7pointerItNS8_11hip_rocprim5par_tENS8_11use_defaultESE_EEEENSA_INSB_IlSD_SE_SE_EEEEZNS1_13binary_searchIS3_S5_PtSG_SI_NS1_21lower_bound_search_opENS9_16wrapped_functionINS8_6system6detail7generic6detail18binary_search_lessEbEEEE10hipError_tPvRmT1_T2_T3_mmT4_T5_P12ihipStream_tbEUlRKtE_EEST_SX_SY_mSZ_S12_bEUlT_E_NS1_11comp_targetILNS1_3genE2ELNS1_11target_archE906ELNS1_3gpuE6ELNS1_3repE0EEENS1_30default_config_static_selectorELNS0_4arch9wavefront6targetE0EEEvSW_: ; @_ZN7rocprim17ROCPRIM_400000_NS6detail17trampoline_kernelINS0_14default_configENS1_27lower_bound_config_selectorItlEEZNS1_14transform_implILb0ES3_S5_N6thrust23THRUST_200600_302600_NS6detail15normal_iteratorINS8_7pointerItNS8_11hip_rocprim5par_tENS8_11use_defaultESE_EEEENSA_INSB_IlSD_SE_SE_EEEEZNS1_13binary_searchIS3_S5_PtSG_SI_NS1_21lower_bound_search_opENS9_16wrapped_functionINS8_6system6detail7generic6detail18binary_search_lessEbEEEE10hipError_tPvRmT1_T2_T3_mmT4_T5_P12ihipStream_tbEUlRKtE_EEST_SX_SY_mSZ_S12_bEUlT_E_NS1_11comp_targetILNS1_3genE2ELNS1_11target_archE906ELNS1_3gpuE6ELNS1_3repE0EEENS1_30default_config_static_selectorELNS0_4arch9wavefront6targetE0EEEvSW_
; %bb.0:
	.section	.rodata,"a",@progbits
	.p2align	6, 0x0
	.amdhsa_kernel _ZN7rocprim17ROCPRIM_400000_NS6detail17trampoline_kernelINS0_14default_configENS1_27lower_bound_config_selectorItlEEZNS1_14transform_implILb0ES3_S5_N6thrust23THRUST_200600_302600_NS6detail15normal_iteratorINS8_7pointerItNS8_11hip_rocprim5par_tENS8_11use_defaultESE_EEEENSA_INSB_IlSD_SE_SE_EEEEZNS1_13binary_searchIS3_S5_PtSG_SI_NS1_21lower_bound_search_opENS9_16wrapped_functionINS8_6system6detail7generic6detail18binary_search_lessEbEEEE10hipError_tPvRmT1_T2_T3_mmT4_T5_P12ihipStream_tbEUlRKtE_EEST_SX_SY_mSZ_S12_bEUlT_E_NS1_11comp_targetILNS1_3genE2ELNS1_11target_archE906ELNS1_3gpuE6ELNS1_3repE0EEENS1_30default_config_static_selectorELNS0_4arch9wavefront6targetE0EEEvSW_
		.amdhsa_group_segment_fixed_size 0
		.amdhsa_private_segment_fixed_size 0
		.amdhsa_kernarg_size 56
		.amdhsa_user_sgpr_count 6
		.amdhsa_user_sgpr_private_segment_buffer 1
		.amdhsa_user_sgpr_dispatch_ptr 0
		.amdhsa_user_sgpr_queue_ptr 0
		.amdhsa_user_sgpr_kernarg_segment_ptr 1
		.amdhsa_user_sgpr_dispatch_id 0
		.amdhsa_user_sgpr_flat_scratch_init 0
		.amdhsa_user_sgpr_private_segment_size 0
		.amdhsa_wavefront_size32 1
		.amdhsa_uses_dynamic_stack 0
		.amdhsa_system_sgpr_private_segment_wavefront_offset 0
		.amdhsa_system_sgpr_workgroup_id_x 1
		.amdhsa_system_sgpr_workgroup_id_y 0
		.amdhsa_system_sgpr_workgroup_id_z 0
		.amdhsa_system_sgpr_workgroup_info 0
		.amdhsa_system_vgpr_workitem_id 0
		.amdhsa_next_free_vgpr 1
		.amdhsa_next_free_sgpr 1
		.amdhsa_reserve_vcc 0
		.amdhsa_reserve_flat_scratch 0
		.amdhsa_float_round_mode_32 0
		.amdhsa_float_round_mode_16_64 0
		.amdhsa_float_denorm_mode_32 3
		.amdhsa_float_denorm_mode_16_64 3
		.amdhsa_dx10_clamp 1
		.amdhsa_ieee_mode 1
		.amdhsa_fp16_overflow 0
		.amdhsa_workgroup_processor_mode 1
		.amdhsa_memory_ordered 1
		.amdhsa_forward_progress 1
		.amdhsa_shared_vgpr_count 0
		.amdhsa_exception_fp_ieee_invalid_op 0
		.amdhsa_exception_fp_denorm_src 0
		.amdhsa_exception_fp_ieee_div_zero 0
		.amdhsa_exception_fp_ieee_overflow 0
		.amdhsa_exception_fp_ieee_underflow 0
		.amdhsa_exception_fp_ieee_inexact 0
		.amdhsa_exception_int_div_zero 0
	.end_amdhsa_kernel
	.section	.text._ZN7rocprim17ROCPRIM_400000_NS6detail17trampoline_kernelINS0_14default_configENS1_27lower_bound_config_selectorItlEEZNS1_14transform_implILb0ES3_S5_N6thrust23THRUST_200600_302600_NS6detail15normal_iteratorINS8_7pointerItNS8_11hip_rocprim5par_tENS8_11use_defaultESE_EEEENSA_INSB_IlSD_SE_SE_EEEEZNS1_13binary_searchIS3_S5_PtSG_SI_NS1_21lower_bound_search_opENS9_16wrapped_functionINS8_6system6detail7generic6detail18binary_search_lessEbEEEE10hipError_tPvRmT1_T2_T3_mmT4_T5_P12ihipStream_tbEUlRKtE_EEST_SX_SY_mSZ_S12_bEUlT_E_NS1_11comp_targetILNS1_3genE2ELNS1_11target_archE906ELNS1_3gpuE6ELNS1_3repE0EEENS1_30default_config_static_selectorELNS0_4arch9wavefront6targetE0EEEvSW_,"axG",@progbits,_ZN7rocprim17ROCPRIM_400000_NS6detail17trampoline_kernelINS0_14default_configENS1_27lower_bound_config_selectorItlEEZNS1_14transform_implILb0ES3_S5_N6thrust23THRUST_200600_302600_NS6detail15normal_iteratorINS8_7pointerItNS8_11hip_rocprim5par_tENS8_11use_defaultESE_EEEENSA_INSB_IlSD_SE_SE_EEEEZNS1_13binary_searchIS3_S5_PtSG_SI_NS1_21lower_bound_search_opENS9_16wrapped_functionINS8_6system6detail7generic6detail18binary_search_lessEbEEEE10hipError_tPvRmT1_T2_T3_mmT4_T5_P12ihipStream_tbEUlRKtE_EEST_SX_SY_mSZ_S12_bEUlT_E_NS1_11comp_targetILNS1_3genE2ELNS1_11target_archE906ELNS1_3gpuE6ELNS1_3repE0EEENS1_30default_config_static_selectorELNS0_4arch9wavefront6targetE0EEEvSW_,comdat
.Lfunc_end97:
	.size	_ZN7rocprim17ROCPRIM_400000_NS6detail17trampoline_kernelINS0_14default_configENS1_27lower_bound_config_selectorItlEEZNS1_14transform_implILb0ES3_S5_N6thrust23THRUST_200600_302600_NS6detail15normal_iteratorINS8_7pointerItNS8_11hip_rocprim5par_tENS8_11use_defaultESE_EEEENSA_INSB_IlSD_SE_SE_EEEEZNS1_13binary_searchIS3_S5_PtSG_SI_NS1_21lower_bound_search_opENS9_16wrapped_functionINS8_6system6detail7generic6detail18binary_search_lessEbEEEE10hipError_tPvRmT1_T2_T3_mmT4_T5_P12ihipStream_tbEUlRKtE_EEST_SX_SY_mSZ_S12_bEUlT_E_NS1_11comp_targetILNS1_3genE2ELNS1_11target_archE906ELNS1_3gpuE6ELNS1_3repE0EEENS1_30default_config_static_selectorELNS0_4arch9wavefront6targetE0EEEvSW_, .Lfunc_end97-_ZN7rocprim17ROCPRIM_400000_NS6detail17trampoline_kernelINS0_14default_configENS1_27lower_bound_config_selectorItlEEZNS1_14transform_implILb0ES3_S5_N6thrust23THRUST_200600_302600_NS6detail15normal_iteratorINS8_7pointerItNS8_11hip_rocprim5par_tENS8_11use_defaultESE_EEEENSA_INSB_IlSD_SE_SE_EEEEZNS1_13binary_searchIS3_S5_PtSG_SI_NS1_21lower_bound_search_opENS9_16wrapped_functionINS8_6system6detail7generic6detail18binary_search_lessEbEEEE10hipError_tPvRmT1_T2_T3_mmT4_T5_P12ihipStream_tbEUlRKtE_EEST_SX_SY_mSZ_S12_bEUlT_E_NS1_11comp_targetILNS1_3genE2ELNS1_11target_archE906ELNS1_3gpuE6ELNS1_3repE0EEENS1_30default_config_static_selectorELNS0_4arch9wavefront6targetE0EEEvSW_
                                        ; -- End function
	.set _ZN7rocprim17ROCPRIM_400000_NS6detail17trampoline_kernelINS0_14default_configENS1_27lower_bound_config_selectorItlEEZNS1_14transform_implILb0ES3_S5_N6thrust23THRUST_200600_302600_NS6detail15normal_iteratorINS8_7pointerItNS8_11hip_rocprim5par_tENS8_11use_defaultESE_EEEENSA_INSB_IlSD_SE_SE_EEEEZNS1_13binary_searchIS3_S5_PtSG_SI_NS1_21lower_bound_search_opENS9_16wrapped_functionINS8_6system6detail7generic6detail18binary_search_lessEbEEEE10hipError_tPvRmT1_T2_T3_mmT4_T5_P12ihipStream_tbEUlRKtE_EEST_SX_SY_mSZ_S12_bEUlT_E_NS1_11comp_targetILNS1_3genE2ELNS1_11target_archE906ELNS1_3gpuE6ELNS1_3repE0EEENS1_30default_config_static_selectorELNS0_4arch9wavefront6targetE0EEEvSW_.num_vgpr, 0
	.set _ZN7rocprim17ROCPRIM_400000_NS6detail17trampoline_kernelINS0_14default_configENS1_27lower_bound_config_selectorItlEEZNS1_14transform_implILb0ES3_S5_N6thrust23THRUST_200600_302600_NS6detail15normal_iteratorINS8_7pointerItNS8_11hip_rocprim5par_tENS8_11use_defaultESE_EEEENSA_INSB_IlSD_SE_SE_EEEEZNS1_13binary_searchIS3_S5_PtSG_SI_NS1_21lower_bound_search_opENS9_16wrapped_functionINS8_6system6detail7generic6detail18binary_search_lessEbEEEE10hipError_tPvRmT1_T2_T3_mmT4_T5_P12ihipStream_tbEUlRKtE_EEST_SX_SY_mSZ_S12_bEUlT_E_NS1_11comp_targetILNS1_3genE2ELNS1_11target_archE906ELNS1_3gpuE6ELNS1_3repE0EEENS1_30default_config_static_selectorELNS0_4arch9wavefront6targetE0EEEvSW_.num_agpr, 0
	.set _ZN7rocprim17ROCPRIM_400000_NS6detail17trampoline_kernelINS0_14default_configENS1_27lower_bound_config_selectorItlEEZNS1_14transform_implILb0ES3_S5_N6thrust23THRUST_200600_302600_NS6detail15normal_iteratorINS8_7pointerItNS8_11hip_rocprim5par_tENS8_11use_defaultESE_EEEENSA_INSB_IlSD_SE_SE_EEEEZNS1_13binary_searchIS3_S5_PtSG_SI_NS1_21lower_bound_search_opENS9_16wrapped_functionINS8_6system6detail7generic6detail18binary_search_lessEbEEEE10hipError_tPvRmT1_T2_T3_mmT4_T5_P12ihipStream_tbEUlRKtE_EEST_SX_SY_mSZ_S12_bEUlT_E_NS1_11comp_targetILNS1_3genE2ELNS1_11target_archE906ELNS1_3gpuE6ELNS1_3repE0EEENS1_30default_config_static_selectorELNS0_4arch9wavefront6targetE0EEEvSW_.numbered_sgpr, 0
	.set _ZN7rocprim17ROCPRIM_400000_NS6detail17trampoline_kernelINS0_14default_configENS1_27lower_bound_config_selectorItlEEZNS1_14transform_implILb0ES3_S5_N6thrust23THRUST_200600_302600_NS6detail15normal_iteratorINS8_7pointerItNS8_11hip_rocprim5par_tENS8_11use_defaultESE_EEEENSA_INSB_IlSD_SE_SE_EEEEZNS1_13binary_searchIS3_S5_PtSG_SI_NS1_21lower_bound_search_opENS9_16wrapped_functionINS8_6system6detail7generic6detail18binary_search_lessEbEEEE10hipError_tPvRmT1_T2_T3_mmT4_T5_P12ihipStream_tbEUlRKtE_EEST_SX_SY_mSZ_S12_bEUlT_E_NS1_11comp_targetILNS1_3genE2ELNS1_11target_archE906ELNS1_3gpuE6ELNS1_3repE0EEENS1_30default_config_static_selectorELNS0_4arch9wavefront6targetE0EEEvSW_.num_named_barrier, 0
	.set _ZN7rocprim17ROCPRIM_400000_NS6detail17trampoline_kernelINS0_14default_configENS1_27lower_bound_config_selectorItlEEZNS1_14transform_implILb0ES3_S5_N6thrust23THRUST_200600_302600_NS6detail15normal_iteratorINS8_7pointerItNS8_11hip_rocprim5par_tENS8_11use_defaultESE_EEEENSA_INSB_IlSD_SE_SE_EEEEZNS1_13binary_searchIS3_S5_PtSG_SI_NS1_21lower_bound_search_opENS9_16wrapped_functionINS8_6system6detail7generic6detail18binary_search_lessEbEEEE10hipError_tPvRmT1_T2_T3_mmT4_T5_P12ihipStream_tbEUlRKtE_EEST_SX_SY_mSZ_S12_bEUlT_E_NS1_11comp_targetILNS1_3genE2ELNS1_11target_archE906ELNS1_3gpuE6ELNS1_3repE0EEENS1_30default_config_static_selectorELNS0_4arch9wavefront6targetE0EEEvSW_.private_seg_size, 0
	.set _ZN7rocprim17ROCPRIM_400000_NS6detail17trampoline_kernelINS0_14default_configENS1_27lower_bound_config_selectorItlEEZNS1_14transform_implILb0ES3_S5_N6thrust23THRUST_200600_302600_NS6detail15normal_iteratorINS8_7pointerItNS8_11hip_rocprim5par_tENS8_11use_defaultESE_EEEENSA_INSB_IlSD_SE_SE_EEEEZNS1_13binary_searchIS3_S5_PtSG_SI_NS1_21lower_bound_search_opENS9_16wrapped_functionINS8_6system6detail7generic6detail18binary_search_lessEbEEEE10hipError_tPvRmT1_T2_T3_mmT4_T5_P12ihipStream_tbEUlRKtE_EEST_SX_SY_mSZ_S12_bEUlT_E_NS1_11comp_targetILNS1_3genE2ELNS1_11target_archE906ELNS1_3gpuE6ELNS1_3repE0EEENS1_30default_config_static_selectorELNS0_4arch9wavefront6targetE0EEEvSW_.uses_vcc, 0
	.set _ZN7rocprim17ROCPRIM_400000_NS6detail17trampoline_kernelINS0_14default_configENS1_27lower_bound_config_selectorItlEEZNS1_14transform_implILb0ES3_S5_N6thrust23THRUST_200600_302600_NS6detail15normal_iteratorINS8_7pointerItNS8_11hip_rocprim5par_tENS8_11use_defaultESE_EEEENSA_INSB_IlSD_SE_SE_EEEEZNS1_13binary_searchIS3_S5_PtSG_SI_NS1_21lower_bound_search_opENS9_16wrapped_functionINS8_6system6detail7generic6detail18binary_search_lessEbEEEE10hipError_tPvRmT1_T2_T3_mmT4_T5_P12ihipStream_tbEUlRKtE_EEST_SX_SY_mSZ_S12_bEUlT_E_NS1_11comp_targetILNS1_3genE2ELNS1_11target_archE906ELNS1_3gpuE6ELNS1_3repE0EEENS1_30default_config_static_selectorELNS0_4arch9wavefront6targetE0EEEvSW_.uses_flat_scratch, 0
	.set _ZN7rocprim17ROCPRIM_400000_NS6detail17trampoline_kernelINS0_14default_configENS1_27lower_bound_config_selectorItlEEZNS1_14transform_implILb0ES3_S5_N6thrust23THRUST_200600_302600_NS6detail15normal_iteratorINS8_7pointerItNS8_11hip_rocprim5par_tENS8_11use_defaultESE_EEEENSA_INSB_IlSD_SE_SE_EEEEZNS1_13binary_searchIS3_S5_PtSG_SI_NS1_21lower_bound_search_opENS9_16wrapped_functionINS8_6system6detail7generic6detail18binary_search_lessEbEEEE10hipError_tPvRmT1_T2_T3_mmT4_T5_P12ihipStream_tbEUlRKtE_EEST_SX_SY_mSZ_S12_bEUlT_E_NS1_11comp_targetILNS1_3genE2ELNS1_11target_archE906ELNS1_3gpuE6ELNS1_3repE0EEENS1_30default_config_static_selectorELNS0_4arch9wavefront6targetE0EEEvSW_.has_dyn_sized_stack, 0
	.set _ZN7rocprim17ROCPRIM_400000_NS6detail17trampoline_kernelINS0_14default_configENS1_27lower_bound_config_selectorItlEEZNS1_14transform_implILb0ES3_S5_N6thrust23THRUST_200600_302600_NS6detail15normal_iteratorINS8_7pointerItNS8_11hip_rocprim5par_tENS8_11use_defaultESE_EEEENSA_INSB_IlSD_SE_SE_EEEEZNS1_13binary_searchIS3_S5_PtSG_SI_NS1_21lower_bound_search_opENS9_16wrapped_functionINS8_6system6detail7generic6detail18binary_search_lessEbEEEE10hipError_tPvRmT1_T2_T3_mmT4_T5_P12ihipStream_tbEUlRKtE_EEST_SX_SY_mSZ_S12_bEUlT_E_NS1_11comp_targetILNS1_3genE2ELNS1_11target_archE906ELNS1_3gpuE6ELNS1_3repE0EEENS1_30default_config_static_selectorELNS0_4arch9wavefront6targetE0EEEvSW_.has_recursion, 0
	.set _ZN7rocprim17ROCPRIM_400000_NS6detail17trampoline_kernelINS0_14default_configENS1_27lower_bound_config_selectorItlEEZNS1_14transform_implILb0ES3_S5_N6thrust23THRUST_200600_302600_NS6detail15normal_iteratorINS8_7pointerItNS8_11hip_rocprim5par_tENS8_11use_defaultESE_EEEENSA_INSB_IlSD_SE_SE_EEEEZNS1_13binary_searchIS3_S5_PtSG_SI_NS1_21lower_bound_search_opENS9_16wrapped_functionINS8_6system6detail7generic6detail18binary_search_lessEbEEEE10hipError_tPvRmT1_T2_T3_mmT4_T5_P12ihipStream_tbEUlRKtE_EEST_SX_SY_mSZ_S12_bEUlT_E_NS1_11comp_targetILNS1_3genE2ELNS1_11target_archE906ELNS1_3gpuE6ELNS1_3repE0EEENS1_30default_config_static_selectorELNS0_4arch9wavefront6targetE0EEEvSW_.has_indirect_call, 0
	.section	.AMDGPU.csdata,"",@progbits
; Kernel info:
; codeLenInByte = 0
; TotalNumSgprs: 0
; NumVgprs: 0
; ScratchSize: 0
; MemoryBound: 0
; FloatMode: 240
; IeeeMode: 1
; LDSByteSize: 0 bytes/workgroup (compile time only)
; SGPRBlocks: 0
; VGPRBlocks: 0
; NumSGPRsForWavesPerEU: 1
; NumVGPRsForWavesPerEU: 1
; Occupancy: 16
; WaveLimiterHint : 0
; COMPUTE_PGM_RSRC2:SCRATCH_EN: 0
; COMPUTE_PGM_RSRC2:USER_SGPR: 6
; COMPUTE_PGM_RSRC2:TRAP_HANDLER: 0
; COMPUTE_PGM_RSRC2:TGID_X_EN: 1
; COMPUTE_PGM_RSRC2:TGID_Y_EN: 0
; COMPUTE_PGM_RSRC2:TGID_Z_EN: 0
; COMPUTE_PGM_RSRC2:TIDIG_COMP_CNT: 0
	.section	.text._ZN7rocprim17ROCPRIM_400000_NS6detail17trampoline_kernelINS0_14default_configENS1_27lower_bound_config_selectorItlEEZNS1_14transform_implILb0ES3_S5_N6thrust23THRUST_200600_302600_NS6detail15normal_iteratorINS8_7pointerItNS8_11hip_rocprim5par_tENS8_11use_defaultESE_EEEENSA_INSB_IlSD_SE_SE_EEEEZNS1_13binary_searchIS3_S5_PtSG_SI_NS1_21lower_bound_search_opENS9_16wrapped_functionINS8_6system6detail7generic6detail18binary_search_lessEbEEEE10hipError_tPvRmT1_T2_T3_mmT4_T5_P12ihipStream_tbEUlRKtE_EEST_SX_SY_mSZ_S12_bEUlT_E_NS1_11comp_targetILNS1_3genE10ELNS1_11target_archE1201ELNS1_3gpuE5ELNS1_3repE0EEENS1_30default_config_static_selectorELNS0_4arch9wavefront6targetE0EEEvSW_,"axG",@progbits,_ZN7rocprim17ROCPRIM_400000_NS6detail17trampoline_kernelINS0_14default_configENS1_27lower_bound_config_selectorItlEEZNS1_14transform_implILb0ES3_S5_N6thrust23THRUST_200600_302600_NS6detail15normal_iteratorINS8_7pointerItNS8_11hip_rocprim5par_tENS8_11use_defaultESE_EEEENSA_INSB_IlSD_SE_SE_EEEEZNS1_13binary_searchIS3_S5_PtSG_SI_NS1_21lower_bound_search_opENS9_16wrapped_functionINS8_6system6detail7generic6detail18binary_search_lessEbEEEE10hipError_tPvRmT1_T2_T3_mmT4_T5_P12ihipStream_tbEUlRKtE_EEST_SX_SY_mSZ_S12_bEUlT_E_NS1_11comp_targetILNS1_3genE10ELNS1_11target_archE1201ELNS1_3gpuE5ELNS1_3repE0EEENS1_30default_config_static_selectorELNS0_4arch9wavefront6targetE0EEEvSW_,comdat
	.protected	_ZN7rocprim17ROCPRIM_400000_NS6detail17trampoline_kernelINS0_14default_configENS1_27lower_bound_config_selectorItlEEZNS1_14transform_implILb0ES3_S5_N6thrust23THRUST_200600_302600_NS6detail15normal_iteratorINS8_7pointerItNS8_11hip_rocprim5par_tENS8_11use_defaultESE_EEEENSA_INSB_IlSD_SE_SE_EEEEZNS1_13binary_searchIS3_S5_PtSG_SI_NS1_21lower_bound_search_opENS9_16wrapped_functionINS8_6system6detail7generic6detail18binary_search_lessEbEEEE10hipError_tPvRmT1_T2_T3_mmT4_T5_P12ihipStream_tbEUlRKtE_EEST_SX_SY_mSZ_S12_bEUlT_E_NS1_11comp_targetILNS1_3genE10ELNS1_11target_archE1201ELNS1_3gpuE5ELNS1_3repE0EEENS1_30default_config_static_selectorELNS0_4arch9wavefront6targetE0EEEvSW_ ; -- Begin function _ZN7rocprim17ROCPRIM_400000_NS6detail17trampoline_kernelINS0_14default_configENS1_27lower_bound_config_selectorItlEEZNS1_14transform_implILb0ES3_S5_N6thrust23THRUST_200600_302600_NS6detail15normal_iteratorINS8_7pointerItNS8_11hip_rocprim5par_tENS8_11use_defaultESE_EEEENSA_INSB_IlSD_SE_SE_EEEEZNS1_13binary_searchIS3_S5_PtSG_SI_NS1_21lower_bound_search_opENS9_16wrapped_functionINS8_6system6detail7generic6detail18binary_search_lessEbEEEE10hipError_tPvRmT1_T2_T3_mmT4_T5_P12ihipStream_tbEUlRKtE_EEST_SX_SY_mSZ_S12_bEUlT_E_NS1_11comp_targetILNS1_3genE10ELNS1_11target_archE1201ELNS1_3gpuE5ELNS1_3repE0EEENS1_30default_config_static_selectorELNS0_4arch9wavefront6targetE0EEEvSW_
	.globl	_ZN7rocprim17ROCPRIM_400000_NS6detail17trampoline_kernelINS0_14default_configENS1_27lower_bound_config_selectorItlEEZNS1_14transform_implILb0ES3_S5_N6thrust23THRUST_200600_302600_NS6detail15normal_iteratorINS8_7pointerItNS8_11hip_rocprim5par_tENS8_11use_defaultESE_EEEENSA_INSB_IlSD_SE_SE_EEEEZNS1_13binary_searchIS3_S5_PtSG_SI_NS1_21lower_bound_search_opENS9_16wrapped_functionINS8_6system6detail7generic6detail18binary_search_lessEbEEEE10hipError_tPvRmT1_T2_T3_mmT4_T5_P12ihipStream_tbEUlRKtE_EEST_SX_SY_mSZ_S12_bEUlT_E_NS1_11comp_targetILNS1_3genE10ELNS1_11target_archE1201ELNS1_3gpuE5ELNS1_3repE0EEENS1_30default_config_static_selectorELNS0_4arch9wavefront6targetE0EEEvSW_
	.p2align	8
	.type	_ZN7rocprim17ROCPRIM_400000_NS6detail17trampoline_kernelINS0_14default_configENS1_27lower_bound_config_selectorItlEEZNS1_14transform_implILb0ES3_S5_N6thrust23THRUST_200600_302600_NS6detail15normal_iteratorINS8_7pointerItNS8_11hip_rocprim5par_tENS8_11use_defaultESE_EEEENSA_INSB_IlSD_SE_SE_EEEEZNS1_13binary_searchIS3_S5_PtSG_SI_NS1_21lower_bound_search_opENS9_16wrapped_functionINS8_6system6detail7generic6detail18binary_search_lessEbEEEE10hipError_tPvRmT1_T2_T3_mmT4_T5_P12ihipStream_tbEUlRKtE_EEST_SX_SY_mSZ_S12_bEUlT_E_NS1_11comp_targetILNS1_3genE10ELNS1_11target_archE1201ELNS1_3gpuE5ELNS1_3repE0EEENS1_30default_config_static_selectorELNS0_4arch9wavefront6targetE0EEEvSW_,@function
_ZN7rocprim17ROCPRIM_400000_NS6detail17trampoline_kernelINS0_14default_configENS1_27lower_bound_config_selectorItlEEZNS1_14transform_implILb0ES3_S5_N6thrust23THRUST_200600_302600_NS6detail15normal_iteratorINS8_7pointerItNS8_11hip_rocprim5par_tENS8_11use_defaultESE_EEEENSA_INSB_IlSD_SE_SE_EEEEZNS1_13binary_searchIS3_S5_PtSG_SI_NS1_21lower_bound_search_opENS9_16wrapped_functionINS8_6system6detail7generic6detail18binary_search_lessEbEEEE10hipError_tPvRmT1_T2_T3_mmT4_T5_P12ihipStream_tbEUlRKtE_EEST_SX_SY_mSZ_S12_bEUlT_E_NS1_11comp_targetILNS1_3genE10ELNS1_11target_archE1201ELNS1_3gpuE5ELNS1_3repE0EEENS1_30default_config_static_selectorELNS0_4arch9wavefront6targetE0EEEvSW_: ; @_ZN7rocprim17ROCPRIM_400000_NS6detail17trampoline_kernelINS0_14default_configENS1_27lower_bound_config_selectorItlEEZNS1_14transform_implILb0ES3_S5_N6thrust23THRUST_200600_302600_NS6detail15normal_iteratorINS8_7pointerItNS8_11hip_rocprim5par_tENS8_11use_defaultESE_EEEENSA_INSB_IlSD_SE_SE_EEEEZNS1_13binary_searchIS3_S5_PtSG_SI_NS1_21lower_bound_search_opENS9_16wrapped_functionINS8_6system6detail7generic6detail18binary_search_lessEbEEEE10hipError_tPvRmT1_T2_T3_mmT4_T5_P12ihipStream_tbEUlRKtE_EEST_SX_SY_mSZ_S12_bEUlT_E_NS1_11comp_targetILNS1_3genE10ELNS1_11target_archE1201ELNS1_3gpuE5ELNS1_3repE0EEENS1_30default_config_static_selectorELNS0_4arch9wavefront6targetE0EEEvSW_
; %bb.0:
	.section	.rodata,"a",@progbits
	.p2align	6, 0x0
	.amdhsa_kernel _ZN7rocprim17ROCPRIM_400000_NS6detail17trampoline_kernelINS0_14default_configENS1_27lower_bound_config_selectorItlEEZNS1_14transform_implILb0ES3_S5_N6thrust23THRUST_200600_302600_NS6detail15normal_iteratorINS8_7pointerItNS8_11hip_rocprim5par_tENS8_11use_defaultESE_EEEENSA_INSB_IlSD_SE_SE_EEEEZNS1_13binary_searchIS3_S5_PtSG_SI_NS1_21lower_bound_search_opENS9_16wrapped_functionINS8_6system6detail7generic6detail18binary_search_lessEbEEEE10hipError_tPvRmT1_T2_T3_mmT4_T5_P12ihipStream_tbEUlRKtE_EEST_SX_SY_mSZ_S12_bEUlT_E_NS1_11comp_targetILNS1_3genE10ELNS1_11target_archE1201ELNS1_3gpuE5ELNS1_3repE0EEENS1_30default_config_static_selectorELNS0_4arch9wavefront6targetE0EEEvSW_
		.amdhsa_group_segment_fixed_size 0
		.amdhsa_private_segment_fixed_size 0
		.amdhsa_kernarg_size 56
		.amdhsa_user_sgpr_count 6
		.amdhsa_user_sgpr_private_segment_buffer 1
		.amdhsa_user_sgpr_dispatch_ptr 0
		.amdhsa_user_sgpr_queue_ptr 0
		.amdhsa_user_sgpr_kernarg_segment_ptr 1
		.amdhsa_user_sgpr_dispatch_id 0
		.amdhsa_user_sgpr_flat_scratch_init 0
		.amdhsa_user_sgpr_private_segment_size 0
		.amdhsa_wavefront_size32 1
		.amdhsa_uses_dynamic_stack 0
		.amdhsa_system_sgpr_private_segment_wavefront_offset 0
		.amdhsa_system_sgpr_workgroup_id_x 1
		.amdhsa_system_sgpr_workgroup_id_y 0
		.amdhsa_system_sgpr_workgroup_id_z 0
		.amdhsa_system_sgpr_workgroup_info 0
		.amdhsa_system_vgpr_workitem_id 0
		.amdhsa_next_free_vgpr 1
		.amdhsa_next_free_sgpr 1
		.amdhsa_reserve_vcc 0
		.amdhsa_reserve_flat_scratch 0
		.amdhsa_float_round_mode_32 0
		.amdhsa_float_round_mode_16_64 0
		.amdhsa_float_denorm_mode_32 3
		.amdhsa_float_denorm_mode_16_64 3
		.amdhsa_dx10_clamp 1
		.amdhsa_ieee_mode 1
		.amdhsa_fp16_overflow 0
		.amdhsa_workgroup_processor_mode 1
		.amdhsa_memory_ordered 1
		.amdhsa_forward_progress 1
		.amdhsa_shared_vgpr_count 0
		.amdhsa_exception_fp_ieee_invalid_op 0
		.amdhsa_exception_fp_denorm_src 0
		.amdhsa_exception_fp_ieee_div_zero 0
		.amdhsa_exception_fp_ieee_overflow 0
		.amdhsa_exception_fp_ieee_underflow 0
		.amdhsa_exception_fp_ieee_inexact 0
		.amdhsa_exception_int_div_zero 0
	.end_amdhsa_kernel
	.section	.text._ZN7rocprim17ROCPRIM_400000_NS6detail17trampoline_kernelINS0_14default_configENS1_27lower_bound_config_selectorItlEEZNS1_14transform_implILb0ES3_S5_N6thrust23THRUST_200600_302600_NS6detail15normal_iteratorINS8_7pointerItNS8_11hip_rocprim5par_tENS8_11use_defaultESE_EEEENSA_INSB_IlSD_SE_SE_EEEEZNS1_13binary_searchIS3_S5_PtSG_SI_NS1_21lower_bound_search_opENS9_16wrapped_functionINS8_6system6detail7generic6detail18binary_search_lessEbEEEE10hipError_tPvRmT1_T2_T3_mmT4_T5_P12ihipStream_tbEUlRKtE_EEST_SX_SY_mSZ_S12_bEUlT_E_NS1_11comp_targetILNS1_3genE10ELNS1_11target_archE1201ELNS1_3gpuE5ELNS1_3repE0EEENS1_30default_config_static_selectorELNS0_4arch9wavefront6targetE0EEEvSW_,"axG",@progbits,_ZN7rocprim17ROCPRIM_400000_NS6detail17trampoline_kernelINS0_14default_configENS1_27lower_bound_config_selectorItlEEZNS1_14transform_implILb0ES3_S5_N6thrust23THRUST_200600_302600_NS6detail15normal_iteratorINS8_7pointerItNS8_11hip_rocprim5par_tENS8_11use_defaultESE_EEEENSA_INSB_IlSD_SE_SE_EEEEZNS1_13binary_searchIS3_S5_PtSG_SI_NS1_21lower_bound_search_opENS9_16wrapped_functionINS8_6system6detail7generic6detail18binary_search_lessEbEEEE10hipError_tPvRmT1_T2_T3_mmT4_T5_P12ihipStream_tbEUlRKtE_EEST_SX_SY_mSZ_S12_bEUlT_E_NS1_11comp_targetILNS1_3genE10ELNS1_11target_archE1201ELNS1_3gpuE5ELNS1_3repE0EEENS1_30default_config_static_selectorELNS0_4arch9wavefront6targetE0EEEvSW_,comdat
.Lfunc_end98:
	.size	_ZN7rocprim17ROCPRIM_400000_NS6detail17trampoline_kernelINS0_14default_configENS1_27lower_bound_config_selectorItlEEZNS1_14transform_implILb0ES3_S5_N6thrust23THRUST_200600_302600_NS6detail15normal_iteratorINS8_7pointerItNS8_11hip_rocprim5par_tENS8_11use_defaultESE_EEEENSA_INSB_IlSD_SE_SE_EEEEZNS1_13binary_searchIS3_S5_PtSG_SI_NS1_21lower_bound_search_opENS9_16wrapped_functionINS8_6system6detail7generic6detail18binary_search_lessEbEEEE10hipError_tPvRmT1_T2_T3_mmT4_T5_P12ihipStream_tbEUlRKtE_EEST_SX_SY_mSZ_S12_bEUlT_E_NS1_11comp_targetILNS1_3genE10ELNS1_11target_archE1201ELNS1_3gpuE5ELNS1_3repE0EEENS1_30default_config_static_selectorELNS0_4arch9wavefront6targetE0EEEvSW_, .Lfunc_end98-_ZN7rocprim17ROCPRIM_400000_NS6detail17trampoline_kernelINS0_14default_configENS1_27lower_bound_config_selectorItlEEZNS1_14transform_implILb0ES3_S5_N6thrust23THRUST_200600_302600_NS6detail15normal_iteratorINS8_7pointerItNS8_11hip_rocprim5par_tENS8_11use_defaultESE_EEEENSA_INSB_IlSD_SE_SE_EEEEZNS1_13binary_searchIS3_S5_PtSG_SI_NS1_21lower_bound_search_opENS9_16wrapped_functionINS8_6system6detail7generic6detail18binary_search_lessEbEEEE10hipError_tPvRmT1_T2_T3_mmT4_T5_P12ihipStream_tbEUlRKtE_EEST_SX_SY_mSZ_S12_bEUlT_E_NS1_11comp_targetILNS1_3genE10ELNS1_11target_archE1201ELNS1_3gpuE5ELNS1_3repE0EEENS1_30default_config_static_selectorELNS0_4arch9wavefront6targetE0EEEvSW_
                                        ; -- End function
	.set _ZN7rocprim17ROCPRIM_400000_NS6detail17trampoline_kernelINS0_14default_configENS1_27lower_bound_config_selectorItlEEZNS1_14transform_implILb0ES3_S5_N6thrust23THRUST_200600_302600_NS6detail15normal_iteratorINS8_7pointerItNS8_11hip_rocprim5par_tENS8_11use_defaultESE_EEEENSA_INSB_IlSD_SE_SE_EEEEZNS1_13binary_searchIS3_S5_PtSG_SI_NS1_21lower_bound_search_opENS9_16wrapped_functionINS8_6system6detail7generic6detail18binary_search_lessEbEEEE10hipError_tPvRmT1_T2_T3_mmT4_T5_P12ihipStream_tbEUlRKtE_EEST_SX_SY_mSZ_S12_bEUlT_E_NS1_11comp_targetILNS1_3genE10ELNS1_11target_archE1201ELNS1_3gpuE5ELNS1_3repE0EEENS1_30default_config_static_selectorELNS0_4arch9wavefront6targetE0EEEvSW_.num_vgpr, 0
	.set _ZN7rocprim17ROCPRIM_400000_NS6detail17trampoline_kernelINS0_14default_configENS1_27lower_bound_config_selectorItlEEZNS1_14transform_implILb0ES3_S5_N6thrust23THRUST_200600_302600_NS6detail15normal_iteratorINS8_7pointerItNS8_11hip_rocprim5par_tENS8_11use_defaultESE_EEEENSA_INSB_IlSD_SE_SE_EEEEZNS1_13binary_searchIS3_S5_PtSG_SI_NS1_21lower_bound_search_opENS9_16wrapped_functionINS8_6system6detail7generic6detail18binary_search_lessEbEEEE10hipError_tPvRmT1_T2_T3_mmT4_T5_P12ihipStream_tbEUlRKtE_EEST_SX_SY_mSZ_S12_bEUlT_E_NS1_11comp_targetILNS1_3genE10ELNS1_11target_archE1201ELNS1_3gpuE5ELNS1_3repE0EEENS1_30default_config_static_selectorELNS0_4arch9wavefront6targetE0EEEvSW_.num_agpr, 0
	.set _ZN7rocprim17ROCPRIM_400000_NS6detail17trampoline_kernelINS0_14default_configENS1_27lower_bound_config_selectorItlEEZNS1_14transform_implILb0ES3_S5_N6thrust23THRUST_200600_302600_NS6detail15normal_iteratorINS8_7pointerItNS8_11hip_rocprim5par_tENS8_11use_defaultESE_EEEENSA_INSB_IlSD_SE_SE_EEEEZNS1_13binary_searchIS3_S5_PtSG_SI_NS1_21lower_bound_search_opENS9_16wrapped_functionINS8_6system6detail7generic6detail18binary_search_lessEbEEEE10hipError_tPvRmT1_T2_T3_mmT4_T5_P12ihipStream_tbEUlRKtE_EEST_SX_SY_mSZ_S12_bEUlT_E_NS1_11comp_targetILNS1_3genE10ELNS1_11target_archE1201ELNS1_3gpuE5ELNS1_3repE0EEENS1_30default_config_static_selectorELNS0_4arch9wavefront6targetE0EEEvSW_.numbered_sgpr, 0
	.set _ZN7rocprim17ROCPRIM_400000_NS6detail17trampoline_kernelINS0_14default_configENS1_27lower_bound_config_selectorItlEEZNS1_14transform_implILb0ES3_S5_N6thrust23THRUST_200600_302600_NS6detail15normal_iteratorINS8_7pointerItNS8_11hip_rocprim5par_tENS8_11use_defaultESE_EEEENSA_INSB_IlSD_SE_SE_EEEEZNS1_13binary_searchIS3_S5_PtSG_SI_NS1_21lower_bound_search_opENS9_16wrapped_functionINS8_6system6detail7generic6detail18binary_search_lessEbEEEE10hipError_tPvRmT1_T2_T3_mmT4_T5_P12ihipStream_tbEUlRKtE_EEST_SX_SY_mSZ_S12_bEUlT_E_NS1_11comp_targetILNS1_3genE10ELNS1_11target_archE1201ELNS1_3gpuE5ELNS1_3repE0EEENS1_30default_config_static_selectorELNS0_4arch9wavefront6targetE0EEEvSW_.num_named_barrier, 0
	.set _ZN7rocprim17ROCPRIM_400000_NS6detail17trampoline_kernelINS0_14default_configENS1_27lower_bound_config_selectorItlEEZNS1_14transform_implILb0ES3_S5_N6thrust23THRUST_200600_302600_NS6detail15normal_iteratorINS8_7pointerItNS8_11hip_rocprim5par_tENS8_11use_defaultESE_EEEENSA_INSB_IlSD_SE_SE_EEEEZNS1_13binary_searchIS3_S5_PtSG_SI_NS1_21lower_bound_search_opENS9_16wrapped_functionINS8_6system6detail7generic6detail18binary_search_lessEbEEEE10hipError_tPvRmT1_T2_T3_mmT4_T5_P12ihipStream_tbEUlRKtE_EEST_SX_SY_mSZ_S12_bEUlT_E_NS1_11comp_targetILNS1_3genE10ELNS1_11target_archE1201ELNS1_3gpuE5ELNS1_3repE0EEENS1_30default_config_static_selectorELNS0_4arch9wavefront6targetE0EEEvSW_.private_seg_size, 0
	.set _ZN7rocprim17ROCPRIM_400000_NS6detail17trampoline_kernelINS0_14default_configENS1_27lower_bound_config_selectorItlEEZNS1_14transform_implILb0ES3_S5_N6thrust23THRUST_200600_302600_NS6detail15normal_iteratorINS8_7pointerItNS8_11hip_rocprim5par_tENS8_11use_defaultESE_EEEENSA_INSB_IlSD_SE_SE_EEEEZNS1_13binary_searchIS3_S5_PtSG_SI_NS1_21lower_bound_search_opENS9_16wrapped_functionINS8_6system6detail7generic6detail18binary_search_lessEbEEEE10hipError_tPvRmT1_T2_T3_mmT4_T5_P12ihipStream_tbEUlRKtE_EEST_SX_SY_mSZ_S12_bEUlT_E_NS1_11comp_targetILNS1_3genE10ELNS1_11target_archE1201ELNS1_3gpuE5ELNS1_3repE0EEENS1_30default_config_static_selectorELNS0_4arch9wavefront6targetE0EEEvSW_.uses_vcc, 0
	.set _ZN7rocprim17ROCPRIM_400000_NS6detail17trampoline_kernelINS0_14default_configENS1_27lower_bound_config_selectorItlEEZNS1_14transform_implILb0ES3_S5_N6thrust23THRUST_200600_302600_NS6detail15normal_iteratorINS8_7pointerItNS8_11hip_rocprim5par_tENS8_11use_defaultESE_EEEENSA_INSB_IlSD_SE_SE_EEEEZNS1_13binary_searchIS3_S5_PtSG_SI_NS1_21lower_bound_search_opENS9_16wrapped_functionINS8_6system6detail7generic6detail18binary_search_lessEbEEEE10hipError_tPvRmT1_T2_T3_mmT4_T5_P12ihipStream_tbEUlRKtE_EEST_SX_SY_mSZ_S12_bEUlT_E_NS1_11comp_targetILNS1_3genE10ELNS1_11target_archE1201ELNS1_3gpuE5ELNS1_3repE0EEENS1_30default_config_static_selectorELNS0_4arch9wavefront6targetE0EEEvSW_.uses_flat_scratch, 0
	.set _ZN7rocprim17ROCPRIM_400000_NS6detail17trampoline_kernelINS0_14default_configENS1_27lower_bound_config_selectorItlEEZNS1_14transform_implILb0ES3_S5_N6thrust23THRUST_200600_302600_NS6detail15normal_iteratorINS8_7pointerItNS8_11hip_rocprim5par_tENS8_11use_defaultESE_EEEENSA_INSB_IlSD_SE_SE_EEEEZNS1_13binary_searchIS3_S5_PtSG_SI_NS1_21lower_bound_search_opENS9_16wrapped_functionINS8_6system6detail7generic6detail18binary_search_lessEbEEEE10hipError_tPvRmT1_T2_T3_mmT4_T5_P12ihipStream_tbEUlRKtE_EEST_SX_SY_mSZ_S12_bEUlT_E_NS1_11comp_targetILNS1_3genE10ELNS1_11target_archE1201ELNS1_3gpuE5ELNS1_3repE0EEENS1_30default_config_static_selectorELNS0_4arch9wavefront6targetE0EEEvSW_.has_dyn_sized_stack, 0
	.set _ZN7rocprim17ROCPRIM_400000_NS6detail17trampoline_kernelINS0_14default_configENS1_27lower_bound_config_selectorItlEEZNS1_14transform_implILb0ES3_S5_N6thrust23THRUST_200600_302600_NS6detail15normal_iteratorINS8_7pointerItNS8_11hip_rocprim5par_tENS8_11use_defaultESE_EEEENSA_INSB_IlSD_SE_SE_EEEEZNS1_13binary_searchIS3_S5_PtSG_SI_NS1_21lower_bound_search_opENS9_16wrapped_functionINS8_6system6detail7generic6detail18binary_search_lessEbEEEE10hipError_tPvRmT1_T2_T3_mmT4_T5_P12ihipStream_tbEUlRKtE_EEST_SX_SY_mSZ_S12_bEUlT_E_NS1_11comp_targetILNS1_3genE10ELNS1_11target_archE1201ELNS1_3gpuE5ELNS1_3repE0EEENS1_30default_config_static_selectorELNS0_4arch9wavefront6targetE0EEEvSW_.has_recursion, 0
	.set _ZN7rocprim17ROCPRIM_400000_NS6detail17trampoline_kernelINS0_14default_configENS1_27lower_bound_config_selectorItlEEZNS1_14transform_implILb0ES3_S5_N6thrust23THRUST_200600_302600_NS6detail15normal_iteratorINS8_7pointerItNS8_11hip_rocprim5par_tENS8_11use_defaultESE_EEEENSA_INSB_IlSD_SE_SE_EEEEZNS1_13binary_searchIS3_S5_PtSG_SI_NS1_21lower_bound_search_opENS9_16wrapped_functionINS8_6system6detail7generic6detail18binary_search_lessEbEEEE10hipError_tPvRmT1_T2_T3_mmT4_T5_P12ihipStream_tbEUlRKtE_EEST_SX_SY_mSZ_S12_bEUlT_E_NS1_11comp_targetILNS1_3genE10ELNS1_11target_archE1201ELNS1_3gpuE5ELNS1_3repE0EEENS1_30default_config_static_selectorELNS0_4arch9wavefront6targetE0EEEvSW_.has_indirect_call, 0
	.section	.AMDGPU.csdata,"",@progbits
; Kernel info:
; codeLenInByte = 0
; TotalNumSgprs: 0
; NumVgprs: 0
; ScratchSize: 0
; MemoryBound: 0
; FloatMode: 240
; IeeeMode: 1
; LDSByteSize: 0 bytes/workgroup (compile time only)
; SGPRBlocks: 0
; VGPRBlocks: 0
; NumSGPRsForWavesPerEU: 1
; NumVGPRsForWavesPerEU: 1
; Occupancy: 16
; WaveLimiterHint : 0
; COMPUTE_PGM_RSRC2:SCRATCH_EN: 0
; COMPUTE_PGM_RSRC2:USER_SGPR: 6
; COMPUTE_PGM_RSRC2:TRAP_HANDLER: 0
; COMPUTE_PGM_RSRC2:TGID_X_EN: 1
; COMPUTE_PGM_RSRC2:TGID_Y_EN: 0
; COMPUTE_PGM_RSRC2:TGID_Z_EN: 0
; COMPUTE_PGM_RSRC2:TIDIG_COMP_CNT: 0
	.section	.text._ZN7rocprim17ROCPRIM_400000_NS6detail17trampoline_kernelINS0_14default_configENS1_27lower_bound_config_selectorItlEEZNS1_14transform_implILb0ES3_S5_N6thrust23THRUST_200600_302600_NS6detail15normal_iteratorINS8_7pointerItNS8_11hip_rocprim5par_tENS8_11use_defaultESE_EEEENSA_INSB_IlSD_SE_SE_EEEEZNS1_13binary_searchIS3_S5_PtSG_SI_NS1_21lower_bound_search_opENS9_16wrapped_functionINS8_6system6detail7generic6detail18binary_search_lessEbEEEE10hipError_tPvRmT1_T2_T3_mmT4_T5_P12ihipStream_tbEUlRKtE_EEST_SX_SY_mSZ_S12_bEUlT_E_NS1_11comp_targetILNS1_3genE10ELNS1_11target_archE1200ELNS1_3gpuE4ELNS1_3repE0EEENS1_30default_config_static_selectorELNS0_4arch9wavefront6targetE0EEEvSW_,"axG",@progbits,_ZN7rocprim17ROCPRIM_400000_NS6detail17trampoline_kernelINS0_14default_configENS1_27lower_bound_config_selectorItlEEZNS1_14transform_implILb0ES3_S5_N6thrust23THRUST_200600_302600_NS6detail15normal_iteratorINS8_7pointerItNS8_11hip_rocprim5par_tENS8_11use_defaultESE_EEEENSA_INSB_IlSD_SE_SE_EEEEZNS1_13binary_searchIS3_S5_PtSG_SI_NS1_21lower_bound_search_opENS9_16wrapped_functionINS8_6system6detail7generic6detail18binary_search_lessEbEEEE10hipError_tPvRmT1_T2_T3_mmT4_T5_P12ihipStream_tbEUlRKtE_EEST_SX_SY_mSZ_S12_bEUlT_E_NS1_11comp_targetILNS1_3genE10ELNS1_11target_archE1200ELNS1_3gpuE4ELNS1_3repE0EEENS1_30default_config_static_selectorELNS0_4arch9wavefront6targetE0EEEvSW_,comdat
	.protected	_ZN7rocprim17ROCPRIM_400000_NS6detail17trampoline_kernelINS0_14default_configENS1_27lower_bound_config_selectorItlEEZNS1_14transform_implILb0ES3_S5_N6thrust23THRUST_200600_302600_NS6detail15normal_iteratorINS8_7pointerItNS8_11hip_rocprim5par_tENS8_11use_defaultESE_EEEENSA_INSB_IlSD_SE_SE_EEEEZNS1_13binary_searchIS3_S5_PtSG_SI_NS1_21lower_bound_search_opENS9_16wrapped_functionINS8_6system6detail7generic6detail18binary_search_lessEbEEEE10hipError_tPvRmT1_T2_T3_mmT4_T5_P12ihipStream_tbEUlRKtE_EEST_SX_SY_mSZ_S12_bEUlT_E_NS1_11comp_targetILNS1_3genE10ELNS1_11target_archE1200ELNS1_3gpuE4ELNS1_3repE0EEENS1_30default_config_static_selectorELNS0_4arch9wavefront6targetE0EEEvSW_ ; -- Begin function _ZN7rocprim17ROCPRIM_400000_NS6detail17trampoline_kernelINS0_14default_configENS1_27lower_bound_config_selectorItlEEZNS1_14transform_implILb0ES3_S5_N6thrust23THRUST_200600_302600_NS6detail15normal_iteratorINS8_7pointerItNS8_11hip_rocprim5par_tENS8_11use_defaultESE_EEEENSA_INSB_IlSD_SE_SE_EEEEZNS1_13binary_searchIS3_S5_PtSG_SI_NS1_21lower_bound_search_opENS9_16wrapped_functionINS8_6system6detail7generic6detail18binary_search_lessEbEEEE10hipError_tPvRmT1_T2_T3_mmT4_T5_P12ihipStream_tbEUlRKtE_EEST_SX_SY_mSZ_S12_bEUlT_E_NS1_11comp_targetILNS1_3genE10ELNS1_11target_archE1200ELNS1_3gpuE4ELNS1_3repE0EEENS1_30default_config_static_selectorELNS0_4arch9wavefront6targetE0EEEvSW_
	.globl	_ZN7rocprim17ROCPRIM_400000_NS6detail17trampoline_kernelINS0_14default_configENS1_27lower_bound_config_selectorItlEEZNS1_14transform_implILb0ES3_S5_N6thrust23THRUST_200600_302600_NS6detail15normal_iteratorINS8_7pointerItNS8_11hip_rocprim5par_tENS8_11use_defaultESE_EEEENSA_INSB_IlSD_SE_SE_EEEEZNS1_13binary_searchIS3_S5_PtSG_SI_NS1_21lower_bound_search_opENS9_16wrapped_functionINS8_6system6detail7generic6detail18binary_search_lessEbEEEE10hipError_tPvRmT1_T2_T3_mmT4_T5_P12ihipStream_tbEUlRKtE_EEST_SX_SY_mSZ_S12_bEUlT_E_NS1_11comp_targetILNS1_3genE10ELNS1_11target_archE1200ELNS1_3gpuE4ELNS1_3repE0EEENS1_30default_config_static_selectorELNS0_4arch9wavefront6targetE0EEEvSW_
	.p2align	8
	.type	_ZN7rocprim17ROCPRIM_400000_NS6detail17trampoline_kernelINS0_14default_configENS1_27lower_bound_config_selectorItlEEZNS1_14transform_implILb0ES3_S5_N6thrust23THRUST_200600_302600_NS6detail15normal_iteratorINS8_7pointerItNS8_11hip_rocprim5par_tENS8_11use_defaultESE_EEEENSA_INSB_IlSD_SE_SE_EEEEZNS1_13binary_searchIS3_S5_PtSG_SI_NS1_21lower_bound_search_opENS9_16wrapped_functionINS8_6system6detail7generic6detail18binary_search_lessEbEEEE10hipError_tPvRmT1_T2_T3_mmT4_T5_P12ihipStream_tbEUlRKtE_EEST_SX_SY_mSZ_S12_bEUlT_E_NS1_11comp_targetILNS1_3genE10ELNS1_11target_archE1200ELNS1_3gpuE4ELNS1_3repE0EEENS1_30default_config_static_selectorELNS0_4arch9wavefront6targetE0EEEvSW_,@function
_ZN7rocprim17ROCPRIM_400000_NS6detail17trampoline_kernelINS0_14default_configENS1_27lower_bound_config_selectorItlEEZNS1_14transform_implILb0ES3_S5_N6thrust23THRUST_200600_302600_NS6detail15normal_iteratorINS8_7pointerItNS8_11hip_rocprim5par_tENS8_11use_defaultESE_EEEENSA_INSB_IlSD_SE_SE_EEEEZNS1_13binary_searchIS3_S5_PtSG_SI_NS1_21lower_bound_search_opENS9_16wrapped_functionINS8_6system6detail7generic6detail18binary_search_lessEbEEEE10hipError_tPvRmT1_T2_T3_mmT4_T5_P12ihipStream_tbEUlRKtE_EEST_SX_SY_mSZ_S12_bEUlT_E_NS1_11comp_targetILNS1_3genE10ELNS1_11target_archE1200ELNS1_3gpuE4ELNS1_3repE0EEENS1_30default_config_static_selectorELNS0_4arch9wavefront6targetE0EEEvSW_: ; @_ZN7rocprim17ROCPRIM_400000_NS6detail17trampoline_kernelINS0_14default_configENS1_27lower_bound_config_selectorItlEEZNS1_14transform_implILb0ES3_S5_N6thrust23THRUST_200600_302600_NS6detail15normal_iteratorINS8_7pointerItNS8_11hip_rocprim5par_tENS8_11use_defaultESE_EEEENSA_INSB_IlSD_SE_SE_EEEEZNS1_13binary_searchIS3_S5_PtSG_SI_NS1_21lower_bound_search_opENS9_16wrapped_functionINS8_6system6detail7generic6detail18binary_search_lessEbEEEE10hipError_tPvRmT1_T2_T3_mmT4_T5_P12ihipStream_tbEUlRKtE_EEST_SX_SY_mSZ_S12_bEUlT_E_NS1_11comp_targetILNS1_3genE10ELNS1_11target_archE1200ELNS1_3gpuE4ELNS1_3repE0EEENS1_30default_config_static_selectorELNS0_4arch9wavefront6targetE0EEEvSW_
; %bb.0:
	.section	.rodata,"a",@progbits
	.p2align	6, 0x0
	.amdhsa_kernel _ZN7rocprim17ROCPRIM_400000_NS6detail17trampoline_kernelINS0_14default_configENS1_27lower_bound_config_selectorItlEEZNS1_14transform_implILb0ES3_S5_N6thrust23THRUST_200600_302600_NS6detail15normal_iteratorINS8_7pointerItNS8_11hip_rocprim5par_tENS8_11use_defaultESE_EEEENSA_INSB_IlSD_SE_SE_EEEEZNS1_13binary_searchIS3_S5_PtSG_SI_NS1_21lower_bound_search_opENS9_16wrapped_functionINS8_6system6detail7generic6detail18binary_search_lessEbEEEE10hipError_tPvRmT1_T2_T3_mmT4_T5_P12ihipStream_tbEUlRKtE_EEST_SX_SY_mSZ_S12_bEUlT_E_NS1_11comp_targetILNS1_3genE10ELNS1_11target_archE1200ELNS1_3gpuE4ELNS1_3repE0EEENS1_30default_config_static_selectorELNS0_4arch9wavefront6targetE0EEEvSW_
		.amdhsa_group_segment_fixed_size 0
		.amdhsa_private_segment_fixed_size 0
		.amdhsa_kernarg_size 56
		.amdhsa_user_sgpr_count 6
		.amdhsa_user_sgpr_private_segment_buffer 1
		.amdhsa_user_sgpr_dispatch_ptr 0
		.amdhsa_user_sgpr_queue_ptr 0
		.amdhsa_user_sgpr_kernarg_segment_ptr 1
		.amdhsa_user_sgpr_dispatch_id 0
		.amdhsa_user_sgpr_flat_scratch_init 0
		.amdhsa_user_sgpr_private_segment_size 0
		.amdhsa_wavefront_size32 1
		.amdhsa_uses_dynamic_stack 0
		.amdhsa_system_sgpr_private_segment_wavefront_offset 0
		.amdhsa_system_sgpr_workgroup_id_x 1
		.amdhsa_system_sgpr_workgroup_id_y 0
		.amdhsa_system_sgpr_workgroup_id_z 0
		.amdhsa_system_sgpr_workgroup_info 0
		.amdhsa_system_vgpr_workitem_id 0
		.amdhsa_next_free_vgpr 1
		.amdhsa_next_free_sgpr 1
		.amdhsa_reserve_vcc 0
		.amdhsa_reserve_flat_scratch 0
		.amdhsa_float_round_mode_32 0
		.amdhsa_float_round_mode_16_64 0
		.amdhsa_float_denorm_mode_32 3
		.amdhsa_float_denorm_mode_16_64 3
		.amdhsa_dx10_clamp 1
		.amdhsa_ieee_mode 1
		.amdhsa_fp16_overflow 0
		.amdhsa_workgroup_processor_mode 1
		.amdhsa_memory_ordered 1
		.amdhsa_forward_progress 1
		.amdhsa_shared_vgpr_count 0
		.amdhsa_exception_fp_ieee_invalid_op 0
		.amdhsa_exception_fp_denorm_src 0
		.amdhsa_exception_fp_ieee_div_zero 0
		.amdhsa_exception_fp_ieee_overflow 0
		.amdhsa_exception_fp_ieee_underflow 0
		.amdhsa_exception_fp_ieee_inexact 0
		.amdhsa_exception_int_div_zero 0
	.end_amdhsa_kernel
	.section	.text._ZN7rocprim17ROCPRIM_400000_NS6detail17trampoline_kernelINS0_14default_configENS1_27lower_bound_config_selectorItlEEZNS1_14transform_implILb0ES3_S5_N6thrust23THRUST_200600_302600_NS6detail15normal_iteratorINS8_7pointerItNS8_11hip_rocprim5par_tENS8_11use_defaultESE_EEEENSA_INSB_IlSD_SE_SE_EEEEZNS1_13binary_searchIS3_S5_PtSG_SI_NS1_21lower_bound_search_opENS9_16wrapped_functionINS8_6system6detail7generic6detail18binary_search_lessEbEEEE10hipError_tPvRmT1_T2_T3_mmT4_T5_P12ihipStream_tbEUlRKtE_EEST_SX_SY_mSZ_S12_bEUlT_E_NS1_11comp_targetILNS1_3genE10ELNS1_11target_archE1200ELNS1_3gpuE4ELNS1_3repE0EEENS1_30default_config_static_selectorELNS0_4arch9wavefront6targetE0EEEvSW_,"axG",@progbits,_ZN7rocprim17ROCPRIM_400000_NS6detail17trampoline_kernelINS0_14default_configENS1_27lower_bound_config_selectorItlEEZNS1_14transform_implILb0ES3_S5_N6thrust23THRUST_200600_302600_NS6detail15normal_iteratorINS8_7pointerItNS8_11hip_rocprim5par_tENS8_11use_defaultESE_EEEENSA_INSB_IlSD_SE_SE_EEEEZNS1_13binary_searchIS3_S5_PtSG_SI_NS1_21lower_bound_search_opENS9_16wrapped_functionINS8_6system6detail7generic6detail18binary_search_lessEbEEEE10hipError_tPvRmT1_T2_T3_mmT4_T5_P12ihipStream_tbEUlRKtE_EEST_SX_SY_mSZ_S12_bEUlT_E_NS1_11comp_targetILNS1_3genE10ELNS1_11target_archE1200ELNS1_3gpuE4ELNS1_3repE0EEENS1_30default_config_static_selectorELNS0_4arch9wavefront6targetE0EEEvSW_,comdat
.Lfunc_end99:
	.size	_ZN7rocprim17ROCPRIM_400000_NS6detail17trampoline_kernelINS0_14default_configENS1_27lower_bound_config_selectorItlEEZNS1_14transform_implILb0ES3_S5_N6thrust23THRUST_200600_302600_NS6detail15normal_iteratorINS8_7pointerItNS8_11hip_rocprim5par_tENS8_11use_defaultESE_EEEENSA_INSB_IlSD_SE_SE_EEEEZNS1_13binary_searchIS3_S5_PtSG_SI_NS1_21lower_bound_search_opENS9_16wrapped_functionINS8_6system6detail7generic6detail18binary_search_lessEbEEEE10hipError_tPvRmT1_T2_T3_mmT4_T5_P12ihipStream_tbEUlRKtE_EEST_SX_SY_mSZ_S12_bEUlT_E_NS1_11comp_targetILNS1_3genE10ELNS1_11target_archE1200ELNS1_3gpuE4ELNS1_3repE0EEENS1_30default_config_static_selectorELNS0_4arch9wavefront6targetE0EEEvSW_, .Lfunc_end99-_ZN7rocprim17ROCPRIM_400000_NS6detail17trampoline_kernelINS0_14default_configENS1_27lower_bound_config_selectorItlEEZNS1_14transform_implILb0ES3_S5_N6thrust23THRUST_200600_302600_NS6detail15normal_iteratorINS8_7pointerItNS8_11hip_rocprim5par_tENS8_11use_defaultESE_EEEENSA_INSB_IlSD_SE_SE_EEEEZNS1_13binary_searchIS3_S5_PtSG_SI_NS1_21lower_bound_search_opENS9_16wrapped_functionINS8_6system6detail7generic6detail18binary_search_lessEbEEEE10hipError_tPvRmT1_T2_T3_mmT4_T5_P12ihipStream_tbEUlRKtE_EEST_SX_SY_mSZ_S12_bEUlT_E_NS1_11comp_targetILNS1_3genE10ELNS1_11target_archE1200ELNS1_3gpuE4ELNS1_3repE0EEENS1_30default_config_static_selectorELNS0_4arch9wavefront6targetE0EEEvSW_
                                        ; -- End function
	.set _ZN7rocprim17ROCPRIM_400000_NS6detail17trampoline_kernelINS0_14default_configENS1_27lower_bound_config_selectorItlEEZNS1_14transform_implILb0ES3_S5_N6thrust23THRUST_200600_302600_NS6detail15normal_iteratorINS8_7pointerItNS8_11hip_rocprim5par_tENS8_11use_defaultESE_EEEENSA_INSB_IlSD_SE_SE_EEEEZNS1_13binary_searchIS3_S5_PtSG_SI_NS1_21lower_bound_search_opENS9_16wrapped_functionINS8_6system6detail7generic6detail18binary_search_lessEbEEEE10hipError_tPvRmT1_T2_T3_mmT4_T5_P12ihipStream_tbEUlRKtE_EEST_SX_SY_mSZ_S12_bEUlT_E_NS1_11comp_targetILNS1_3genE10ELNS1_11target_archE1200ELNS1_3gpuE4ELNS1_3repE0EEENS1_30default_config_static_selectorELNS0_4arch9wavefront6targetE0EEEvSW_.num_vgpr, 0
	.set _ZN7rocprim17ROCPRIM_400000_NS6detail17trampoline_kernelINS0_14default_configENS1_27lower_bound_config_selectorItlEEZNS1_14transform_implILb0ES3_S5_N6thrust23THRUST_200600_302600_NS6detail15normal_iteratorINS8_7pointerItNS8_11hip_rocprim5par_tENS8_11use_defaultESE_EEEENSA_INSB_IlSD_SE_SE_EEEEZNS1_13binary_searchIS3_S5_PtSG_SI_NS1_21lower_bound_search_opENS9_16wrapped_functionINS8_6system6detail7generic6detail18binary_search_lessEbEEEE10hipError_tPvRmT1_T2_T3_mmT4_T5_P12ihipStream_tbEUlRKtE_EEST_SX_SY_mSZ_S12_bEUlT_E_NS1_11comp_targetILNS1_3genE10ELNS1_11target_archE1200ELNS1_3gpuE4ELNS1_3repE0EEENS1_30default_config_static_selectorELNS0_4arch9wavefront6targetE0EEEvSW_.num_agpr, 0
	.set _ZN7rocprim17ROCPRIM_400000_NS6detail17trampoline_kernelINS0_14default_configENS1_27lower_bound_config_selectorItlEEZNS1_14transform_implILb0ES3_S5_N6thrust23THRUST_200600_302600_NS6detail15normal_iteratorINS8_7pointerItNS8_11hip_rocprim5par_tENS8_11use_defaultESE_EEEENSA_INSB_IlSD_SE_SE_EEEEZNS1_13binary_searchIS3_S5_PtSG_SI_NS1_21lower_bound_search_opENS9_16wrapped_functionINS8_6system6detail7generic6detail18binary_search_lessEbEEEE10hipError_tPvRmT1_T2_T3_mmT4_T5_P12ihipStream_tbEUlRKtE_EEST_SX_SY_mSZ_S12_bEUlT_E_NS1_11comp_targetILNS1_3genE10ELNS1_11target_archE1200ELNS1_3gpuE4ELNS1_3repE0EEENS1_30default_config_static_selectorELNS0_4arch9wavefront6targetE0EEEvSW_.numbered_sgpr, 0
	.set _ZN7rocprim17ROCPRIM_400000_NS6detail17trampoline_kernelINS0_14default_configENS1_27lower_bound_config_selectorItlEEZNS1_14transform_implILb0ES3_S5_N6thrust23THRUST_200600_302600_NS6detail15normal_iteratorINS8_7pointerItNS8_11hip_rocprim5par_tENS8_11use_defaultESE_EEEENSA_INSB_IlSD_SE_SE_EEEEZNS1_13binary_searchIS3_S5_PtSG_SI_NS1_21lower_bound_search_opENS9_16wrapped_functionINS8_6system6detail7generic6detail18binary_search_lessEbEEEE10hipError_tPvRmT1_T2_T3_mmT4_T5_P12ihipStream_tbEUlRKtE_EEST_SX_SY_mSZ_S12_bEUlT_E_NS1_11comp_targetILNS1_3genE10ELNS1_11target_archE1200ELNS1_3gpuE4ELNS1_3repE0EEENS1_30default_config_static_selectorELNS0_4arch9wavefront6targetE0EEEvSW_.num_named_barrier, 0
	.set _ZN7rocprim17ROCPRIM_400000_NS6detail17trampoline_kernelINS0_14default_configENS1_27lower_bound_config_selectorItlEEZNS1_14transform_implILb0ES3_S5_N6thrust23THRUST_200600_302600_NS6detail15normal_iteratorINS8_7pointerItNS8_11hip_rocprim5par_tENS8_11use_defaultESE_EEEENSA_INSB_IlSD_SE_SE_EEEEZNS1_13binary_searchIS3_S5_PtSG_SI_NS1_21lower_bound_search_opENS9_16wrapped_functionINS8_6system6detail7generic6detail18binary_search_lessEbEEEE10hipError_tPvRmT1_T2_T3_mmT4_T5_P12ihipStream_tbEUlRKtE_EEST_SX_SY_mSZ_S12_bEUlT_E_NS1_11comp_targetILNS1_3genE10ELNS1_11target_archE1200ELNS1_3gpuE4ELNS1_3repE0EEENS1_30default_config_static_selectorELNS0_4arch9wavefront6targetE0EEEvSW_.private_seg_size, 0
	.set _ZN7rocprim17ROCPRIM_400000_NS6detail17trampoline_kernelINS0_14default_configENS1_27lower_bound_config_selectorItlEEZNS1_14transform_implILb0ES3_S5_N6thrust23THRUST_200600_302600_NS6detail15normal_iteratorINS8_7pointerItNS8_11hip_rocprim5par_tENS8_11use_defaultESE_EEEENSA_INSB_IlSD_SE_SE_EEEEZNS1_13binary_searchIS3_S5_PtSG_SI_NS1_21lower_bound_search_opENS9_16wrapped_functionINS8_6system6detail7generic6detail18binary_search_lessEbEEEE10hipError_tPvRmT1_T2_T3_mmT4_T5_P12ihipStream_tbEUlRKtE_EEST_SX_SY_mSZ_S12_bEUlT_E_NS1_11comp_targetILNS1_3genE10ELNS1_11target_archE1200ELNS1_3gpuE4ELNS1_3repE0EEENS1_30default_config_static_selectorELNS0_4arch9wavefront6targetE0EEEvSW_.uses_vcc, 0
	.set _ZN7rocprim17ROCPRIM_400000_NS6detail17trampoline_kernelINS0_14default_configENS1_27lower_bound_config_selectorItlEEZNS1_14transform_implILb0ES3_S5_N6thrust23THRUST_200600_302600_NS6detail15normal_iteratorINS8_7pointerItNS8_11hip_rocprim5par_tENS8_11use_defaultESE_EEEENSA_INSB_IlSD_SE_SE_EEEEZNS1_13binary_searchIS3_S5_PtSG_SI_NS1_21lower_bound_search_opENS9_16wrapped_functionINS8_6system6detail7generic6detail18binary_search_lessEbEEEE10hipError_tPvRmT1_T2_T3_mmT4_T5_P12ihipStream_tbEUlRKtE_EEST_SX_SY_mSZ_S12_bEUlT_E_NS1_11comp_targetILNS1_3genE10ELNS1_11target_archE1200ELNS1_3gpuE4ELNS1_3repE0EEENS1_30default_config_static_selectorELNS0_4arch9wavefront6targetE0EEEvSW_.uses_flat_scratch, 0
	.set _ZN7rocprim17ROCPRIM_400000_NS6detail17trampoline_kernelINS0_14default_configENS1_27lower_bound_config_selectorItlEEZNS1_14transform_implILb0ES3_S5_N6thrust23THRUST_200600_302600_NS6detail15normal_iteratorINS8_7pointerItNS8_11hip_rocprim5par_tENS8_11use_defaultESE_EEEENSA_INSB_IlSD_SE_SE_EEEEZNS1_13binary_searchIS3_S5_PtSG_SI_NS1_21lower_bound_search_opENS9_16wrapped_functionINS8_6system6detail7generic6detail18binary_search_lessEbEEEE10hipError_tPvRmT1_T2_T3_mmT4_T5_P12ihipStream_tbEUlRKtE_EEST_SX_SY_mSZ_S12_bEUlT_E_NS1_11comp_targetILNS1_3genE10ELNS1_11target_archE1200ELNS1_3gpuE4ELNS1_3repE0EEENS1_30default_config_static_selectorELNS0_4arch9wavefront6targetE0EEEvSW_.has_dyn_sized_stack, 0
	.set _ZN7rocprim17ROCPRIM_400000_NS6detail17trampoline_kernelINS0_14default_configENS1_27lower_bound_config_selectorItlEEZNS1_14transform_implILb0ES3_S5_N6thrust23THRUST_200600_302600_NS6detail15normal_iteratorINS8_7pointerItNS8_11hip_rocprim5par_tENS8_11use_defaultESE_EEEENSA_INSB_IlSD_SE_SE_EEEEZNS1_13binary_searchIS3_S5_PtSG_SI_NS1_21lower_bound_search_opENS9_16wrapped_functionINS8_6system6detail7generic6detail18binary_search_lessEbEEEE10hipError_tPvRmT1_T2_T3_mmT4_T5_P12ihipStream_tbEUlRKtE_EEST_SX_SY_mSZ_S12_bEUlT_E_NS1_11comp_targetILNS1_3genE10ELNS1_11target_archE1200ELNS1_3gpuE4ELNS1_3repE0EEENS1_30default_config_static_selectorELNS0_4arch9wavefront6targetE0EEEvSW_.has_recursion, 0
	.set _ZN7rocprim17ROCPRIM_400000_NS6detail17trampoline_kernelINS0_14default_configENS1_27lower_bound_config_selectorItlEEZNS1_14transform_implILb0ES3_S5_N6thrust23THRUST_200600_302600_NS6detail15normal_iteratorINS8_7pointerItNS8_11hip_rocprim5par_tENS8_11use_defaultESE_EEEENSA_INSB_IlSD_SE_SE_EEEEZNS1_13binary_searchIS3_S5_PtSG_SI_NS1_21lower_bound_search_opENS9_16wrapped_functionINS8_6system6detail7generic6detail18binary_search_lessEbEEEE10hipError_tPvRmT1_T2_T3_mmT4_T5_P12ihipStream_tbEUlRKtE_EEST_SX_SY_mSZ_S12_bEUlT_E_NS1_11comp_targetILNS1_3genE10ELNS1_11target_archE1200ELNS1_3gpuE4ELNS1_3repE0EEENS1_30default_config_static_selectorELNS0_4arch9wavefront6targetE0EEEvSW_.has_indirect_call, 0
	.section	.AMDGPU.csdata,"",@progbits
; Kernel info:
; codeLenInByte = 0
; TotalNumSgprs: 0
; NumVgprs: 0
; ScratchSize: 0
; MemoryBound: 0
; FloatMode: 240
; IeeeMode: 1
; LDSByteSize: 0 bytes/workgroup (compile time only)
; SGPRBlocks: 0
; VGPRBlocks: 0
; NumSGPRsForWavesPerEU: 1
; NumVGPRsForWavesPerEU: 1
; Occupancy: 16
; WaveLimiterHint : 0
; COMPUTE_PGM_RSRC2:SCRATCH_EN: 0
; COMPUTE_PGM_RSRC2:USER_SGPR: 6
; COMPUTE_PGM_RSRC2:TRAP_HANDLER: 0
; COMPUTE_PGM_RSRC2:TGID_X_EN: 1
; COMPUTE_PGM_RSRC2:TGID_Y_EN: 0
; COMPUTE_PGM_RSRC2:TGID_Z_EN: 0
; COMPUTE_PGM_RSRC2:TIDIG_COMP_CNT: 0
	.section	.text._ZN7rocprim17ROCPRIM_400000_NS6detail17trampoline_kernelINS0_14default_configENS1_27lower_bound_config_selectorItlEEZNS1_14transform_implILb0ES3_S5_N6thrust23THRUST_200600_302600_NS6detail15normal_iteratorINS8_7pointerItNS8_11hip_rocprim5par_tENS8_11use_defaultESE_EEEENSA_INSB_IlSD_SE_SE_EEEEZNS1_13binary_searchIS3_S5_PtSG_SI_NS1_21lower_bound_search_opENS9_16wrapped_functionINS8_6system6detail7generic6detail18binary_search_lessEbEEEE10hipError_tPvRmT1_T2_T3_mmT4_T5_P12ihipStream_tbEUlRKtE_EEST_SX_SY_mSZ_S12_bEUlT_E_NS1_11comp_targetILNS1_3genE9ELNS1_11target_archE1100ELNS1_3gpuE3ELNS1_3repE0EEENS1_30default_config_static_selectorELNS0_4arch9wavefront6targetE0EEEvSW_,"axG",@progbits,_ZN7rocprim17ROCPRIM_400000_NS6detail17trampoline_kernelINS0_14default_configENS1_27lower_bound_config_selectorItlEEZNS1_14transform_implILb0ES3_S5_N6thrust23THRUST_200600_302600_NS6detail15normal_iteratorINS8_7pointerItNS8_11hip_rocprim5par_tENS8_11use_defaultESE_EEEENSA_INSB_IlSD_SE_SE_EEEEZNS1_13binary_searchIS3_S5_PtSG_SI_NS1_21lower_bound_search_opENS9_16wrapped_functionINS8_6system6detail7generic6detail18binary_search_lessEbEEEE10hipError_tPvRmT1_T2_T3_mmT4_T5_P12ihipStream_tbEUlRKtE_EEST_SX_SY_mSZ_S12_bEUlT_E_NS1_11comp_targetILNS1_3genE9ELNS1_11target_archE1100ELNS1_3gpuE3ELNS1_3repE0EEENS1_30default_config_static_selectorELNS0_4arch9wavefront6targetE0EEEvSW_,comdat
	.protected	_ZN7rocprim17ROCPRIM_400000_NS6detail17trampoline_kernelINS0_14default_configENS1_27lower_bound_config_selectorItlEEZNS1_14transform_implILb0ES3_S5_N6thrust23THRUST_200600_302600_NS6detail15normal_iteratorINS8_7pointerItNS8_11hip_rocprim5par_tENS8_11use_defaultESE_EEEENSA_INSB_IlSD_SE_SE_EEEEZNS1_13binary_searchIS3_S5_PtSG_SI_NS1_21lower_bound_search_opENS9_16wrapped_functionINS8_6system6detail7generic6detail18binary_search_lessEbEEEE10hipError_tPvRmT1_T2_T3_mmT4_T5_P12ihipStream_tbEUlRKtE_EEST_SX_SY_mSZ_S12_bEUlT_E_NS1_11comp_targetILNS1_3genE9ELNS1_11target_archE1100ELNS1_3gpuE3ELNS1_3repE0EEENS1_30default_config_static_selectorELNS0_4arch9wavefront6targetE0EEEvSW_ ; -- Begin function _ZN7rocprim17ROCPRIM_400000_NS6detail17trampoline_kernelINS0_14default_configENS1_27lower_bound_config_selectorItlEEZNS1_14transform_implILb0ES3_S5_N6thrust23THRUST_200600_302600_NS6detail15normal_iteratorINS8_7pointerItNS8_11hip_rocprim5par_tENS8_11use_defaultESE_EEEENSA_INSB_IlSD_SE_SE_EEEEZNS1_13binary_searchIS3_S5_PtSG_SI_NS1_21lower_bound_search_opENS9_16wrapped_functionINS8_6system6detail7generic6detail18binary_search_lessEbEEEE10hipError_tPvRmT1_T2_T3_mmT4_T5_P12ihipStream_tbEUlRKtE_EEST_SX_SY_mSZ_S12_bEUlT_E_NS1_11comp_targetILNS1_3genE9ELNS1_11target_archE1100ELNS1_3gpuE3ELNS1_3repE0EEENS1_30default_config_static_selectorELNS0_4arch9wavefront6targetE0EEEvSW_
	.globl	_ZN7rocprim17ROCPRIM_400000_NS6detail17trampoline_kernelINS0_14default_configENS1_27lower_bound_config_selectorItlEEZNS1_14transform_implILb0ES3_S5_N6thrust23THRUST_200600_302600_NS6detail15normal_iteratorINS8_7pointerItNS8_11hip_rocprim5par_tENS8_11use_defaultESE_EEEENSA_INSB_IlSD_SE_SE_EEEEZNS1_13binary_searchIS3_S5_PtSG_SI_NS1_21lower_bound_search_opENS9_16wrapped_functionINS8_6system6detail7generic6detail18binary_search_lessEbEEEE10hipError_tPvRmT1_T2_T3_mmT4_T5_P12ihipStream_tbEUlRKtE_EEST_SX_SY_mSZ_S12_bEUlT_E_NS1_11comp_targetILNS1_3genE9ELNS1_11target_archE1100ELNS1_3gpuE3ELNS1_3repE0EEENS1_30default_config_static_selectorELNS0_4arch9wavefront6targetE0EEEvSW_
	.p2align	8
	.type	_ZN7rocprim17ROCPRIM_400000_NS6detail17trampoline_kernelINS0_14default_configENS1_27lower_bound_config_selectorItlEEZNS1_14transform_implILb0ES3_S5_N6thrust23THRUST_200600_302600_NS6detail15normal_iteratorINS8_7pointerItNS8_11hip_rocprim5par_tENS8_11use_defaultESE_EEEENSA_INSB_IlSD_SE_SE_EEEEZNS1_13binary_searchIS3_S5_PtSG_SI_NS1_21lower_bound_search_opENS9_16wrapped_functionINS8_6system6detail7generic6detail18binary_search_lessEbEEEE10hipError_tPvRmT1_T2_T3_mmT4_T5_P12ihipStream_tbEUlRKtE_EEST_SX_SY_mSZ_S12_bEUlT_E_NS1_11comp_targetILNS1_3genE9ELNS1_11target_archE1100ELNS1_3gpuE3ELNS1_3repE0EEENS1_30default_config_static_selectorELNS0_4arch9wavefront6targetE0EEEvSW_,@function
_ZN7rocprim17ROCPRIM_400000_NS6detail17trampoline_kernelINS0_14default_configENS1_27lower_bound_config_selectorItlEEZNS1_14transform_implILb0ES3_S5_N6thrust23THRUST_200600_302600_NS6detail15normal_iteratorINS8_7pointerItNS8_11hip_rocprim5par_tENS8_11use_defaultESE_EEEENSA_INSB_IlSD_SE_SE_EEEEZNS1_13binary_searchIS3_S5_PtSG_SI_NS1_21lower_bound_search_opENS9_16wrapped_functionINS8_6system6detail7generic6detail18binary_search_lessEbEEEE10hipError_tPvRmT1_T2_T3_mmT4_T5_P12ihipStream_tbEUlRKtE_EEST_SX_SY_mSZ_S12_bEUlT_E_NS1_11comp_targetILNS1_3genE9ELNS1_11target_archE1100ELNS1_3gpuE3ELNS1_3repE0EEENS1_30default_config_static_selectorELNS0_4arch9wavefront6targetE0EEEvSW_: ; @_ZN7rocprim17ROCPRIM_400000_NS6detail17trampoline_kernelINS0_14default_configENS1_27lower_bound_config_selectorItlEEZNS1_14transform_implILb0ES3_S5_N6thrust23THRUST_200600_302600_NS6detail15normal_iteratorINS8_7pointerItNS8_11hip_rocprim5par_tENS8_11use_defaultESE_EEEENSA_INSB_IlSD_SE_SE_EEEEZNS1_13binary_searchIS3_S5_PtSG_SI_NS1_21lower_bound_search_opENS9_16wrapped_functionINS8_6system6detail7generic6detail18binary_search_lessEbEEEE10hipError_tPvRmT1_T2_T3_mmT4_T5_P12ihipStream_tbEUlRKtE_EEST_SX_SY_mSZ_S12_bEUlT_E_NS1_11comp_targetILNS1_3genE9ELNS1_11target_archE1100ELNS1_3gpuE3ELNS1_3repE0EEENS1_30default_config_static_selectorELNS0_4arch9wavefront6targetE0EEEvSW_
; %bb.0:
	.section	.rodata,"a",@progbits
	.p2align	6, 0x0
	.amdhsa_kernel _ZN7rocprim17ROCPRIM_400000_NS6detail17trampoline_kernelINS0_14default_configENS1_27lower_bound_config_selectorItlEEZNS1_14transform_implILb0ES3_S5_N6thrust23THRUST_200600_302600_NS6detail15normal_iteratorINS8_7pointerItNS8_11hip_rocprim5par_tENS8_11use_defaultESE_EEEENSA_INSB_IlSD_SE_SE_EEEEZNS1_13binary_searchIS3_S5_PtSG_SI_NS1_21lower_bound_search_opENS9_16wrapped_functionINS8_6system6detail7generic6detail18binary_search_lessEbEEEE10hipError_tPvRmT1_T2_T3_mmT4_T5_P12ihipStream_tbEUlRKtE_EEST_SX_SY_mSZ_S12_bEUlT_E_NS1_11comp_targetILNS1_3genE9ELNS1_11target_archE1100ELNS1_3gpuE3ELNS1_3repE0EEENS1_30default_config_static_selectorELNS0_4arch9wavefront6targetE0EEEvSW_
		.amdhsa_group_segment_fixed_size 0
		.amdhsa_private_segment_fixed_size 0
		.amdhsa_kernarg_size 56
		.amdhsa_user_sgpr_count 6
		.amdhsa_user_sgpr_private_segment_buffer 1
		.amdhsa_user_sgpr_dispatch_ptr 0
		.amdhsa_user_sgpr_queue_ptr 0
		.amdhsa_user_sgpr_kernarg_segment_ptr 1
		.amdhsa_user_sgpr_dispatch_id 0
		.amdhsa_user_sgpr_flat_scratch_init 0
		.amdhsa_user_sgpr_private_segment_size 0
		.amdhsa_wavefront_size32 1
		.amdhsa_uses_dynamic_stack 0
		.amdhsa_system_sgpr_private_segment_wavefront_offset 0
		.amdhsa_system_sgpr_workgroup_id_x 1
		.amdhsa_system_sgpr_workgroup_id_y 0
		.amdhsa_system_sgpr_workgroup_id_z 0
		.amdhsa_system_sgpr_workgroup_info 0
		.amdhsa_system_vgpr_workitem_id 0
		.amdhsa_next_free_vgpr 1
		.amdhsa_next_free_sgpr 1
		.amdhsa_reserve_vcc 0
		.amdhsa_reserve_flat_scratch 0
		.amdhsa_float_round_mode_32 0
		.amdhsa_float_round_mode_16_64 0
		.amdhsa_float_denorm_mode_32 3
		.amdhsa_float_denorm_mode_16_64 3
		.amdhsa_dx10_clamp 1
		.amdhsa_ieee_mode 1
		.amdhsa_fp16_overflow 0
		.amdhsa_workgroup_processor_mode 1
		.amdhsa_memory_ordered 1
		.amdhsa_forward_progress 1
		.amdhsa_shared_vgpr_count 0
		.amdhsa_exception_fp_ieee_invalid_op 0
		.amdhsa_exception_fp_denorm_src 0
		.amdhsa_exception_fp_ieee_div_zero 0
		.amdhsa_exception_fp_ieee_overflow 0
		.amdhsa_exception_fp_ieee_underflow 0
		.amdhsa_exception_fp_ieee_inexact 0
		.amdhsa_exception_int_div_zero 0
	.end_amdhsa_kernel
	.section	.text._ZN7rocprim17ROCPRIM_400000_NS6detail17trampoline_kernelINS0_14default_configENS1_27lower_bound_config_selectorItlEEZNS1_14transform_implILb0ES3_S5_N6thrust23THRUST_200600_302600_NS6detail15normal_iteratorINS8_7pointerItNS8_11hip_rocprim5par_tENS8_11use_defaultESE_EEEENSA_INSB_IlSD_SE_SE_EEEEZNS1_13binary_searchIS3_S5_PtSG_SI_NS1_21lower_bound_search_opENS9_16wrapped_functionINS8_6system6detail7generic6detail18binary_search_lessEbEEEE10hipError_tPvRmT1_T2_T3_mmT4_T5_P12ihipStream_tbEUlRKtE_EEST_SX_SY_mSZ_S12_bEUlT_E_NS1_11comp_targetILNS1_3genE9ELNS1_11target_archE1100ELNS1_3gpuE3ELNS1_3repE0EEENS1_30default_config_static_selectorELNS0_4arch9wavefront6targetE0EEEvSW_,"axG",@progbits,_ZN7rocprim17ROCPRIM_400000_NS6detail17trampoline_kernelINS0_14default_configENS1_27lower_bound_config_selectorItlEEZNS1_14transform_implILb0ES3_S5_N6thrust23THRUST_200600_302600_NS6detail15normal_iteratorINS8_7pointerItNS8_11hip_rocprim5par_tENS8_11use_defaultESE_EEEENSA_INSB_IlSD_SE_SE_EEEEZNS1_13binary_searchIS3_S5_PtSG_SI_NS1_21lower_bound_search_opENS9_16wrapped_functionINS8_6system6detail7generic6detail18binary_search_lessEbEEEE10hipError_tPvRmT1_T2_T3_mmT4_T5_P12ihipStream_tbEUlRKtE_EEST_SX_SY_mSZ_S12_bEUlT_E_NS1_11comp_targetILNS1_3genE9ELNS1_11target_archE1100ELNS1_3gpuE3ELNS1_3repE0EEENS1_30default_config_static_selectorELNS0_4arch9wavefront6targetE0EEEvSW_,comdat
.Lfunc_end100:
	.size	_ZN7rocprim17ROCPRIM_400000_NS6detail17trampoline_kernelINS0_14default_configENS1_27lower_bound_config_selectorItlEEZNS1_14transform_implILb0ES3_S5_N6thrust23THRUST_200600_302600_NS6detail15normal_iteratorINS8_7pointerItNS8_11hip_rocprim5par_tENS8_11use_defaultESE_EEEENSA_INSB_IlSD_SE_SE_EEEEZNS1_13binary_searchIS3_S5_PtSG_SI_NS1_21lower_bound_search_opENS9_16wrapped_functionINS8_6system6detail7generic6detail18binary_search_lessEbEEEE10hipError_tPvRmT1_T2_T3_mmT4_T5_P12ihipStream_tbEUlRKtE_EEST_SX_SY_mSZ_S12_bEUlT_E_NS1_11comp_targetILNS1_3genE9ELNS1_11target_archE1100ELNS1_3gpuE3ELNS1_3repE0EEENS1_30default_config_static_selectorELNS0_4arch9wavefront6targetE0EEEvSW_, .Lfunc_end100-_ZN7rocprim17ROCPRIM_400000_NS6detail17trampoline_kernelINS0_14default_configENS1_27lower_bound_config_selectorItlEEZNS1_14transform_implILb0ES3_S5_N6thrust23THRUST_200600_302600_NS6detail15normal_iteratorINS8_7pointerItNS8_11hip_rocprim5par_tENS8_11use_defaultESE_EEEENSA_INSB_IlSD_SE_SE_EEEEZNS1_13binary_searchIS3_S5_PtSG_SI_NS1_21lower_bound_search_opENS9_16wrapped_functionINS8_6system6detail7generic6detail18binary_search_lessEbEEEE10hipError_tPvRmT1_T2_T3_mmT4_T5_P12ihipStream_tbEUlRKtE_EEST_SX_SY_mSZ_S12_bEUlT_E_NS1_11comp_targetILNS1_3genE9ELNS1_11target_archE1100ELNS1_3gpuE3ELNS1_3repE0EEENS1_30default_config_static_selectorELNS0_4arch9wavefront6targetE0EEEvSW_
                                        ; -- End function
	.set _ZN7rocprim17ROCPRIM_400000_NS6detail17trampoline_kernelINS0_14default_configENS1_27lower_bound_config_selectorItlEEZNS1_14transform_implILb0ES3_S5_N6thrust23THRUST_200600_302600_NS6detail15normal_iteratorINS8_7pointerItNS8_11hip_rocprim5par_tENS8_11use_defaultESE_EEEENSA_INSB_IlSD_SE_SE_EEEEZNS1_13binary_searchIS3_S5_PtSG_SI_NS1_21lower_bound_search_opENS9_16wrapped_functionINS8_6system6detail7generic6detail18binary_search_lessEbEEEE10hipError_tPvRmT1_T2_T3_mmT4_T5_P12ihipStream_tbEUlRKtE_EEST_SX_SY_mSZ_S12_bEUlT_E_NS1_11comp_targetILNS1_3genE9ELNS1_11target_archE1100ELNS1_3gpuE3ELNS1_3repE0EEENS1_30default_config_static_selectorELNS0_4arch9wavefront6targetE0EEEvSW_.num_vgpr, 0
	.set _ZN7rocprim17ROCPRIM_400000_NS6detail17trampoline_kernelINS0_14default_configENS1_27lower_bound_config_selectorItlEEZNS1_14transform_implILb0ES3_S5_N6thrust23THRUST_200600_302600_NS6detail15normal_iteratorINS8_7pointerItNS8_11hip_rocprim5par_tENS8_11use_defaultESE_EEEENSA_INSB_IlSD_SE_SE_EEEEZNS1_13binary_searchIS3_S5_PtSG_SI_NS1_21lower_bound_search_opENS9_16wrapped_functionINS8_6system6detail7generic6detail18binary_search_lessEbEEEE10hipError_tPvRmT1_T2_T3_mmT4_T5_P12ihipStream_tbEUlRKtE_EEST_SX_SY_mSZ_S12_bEUlT_E_NS1_11comp_targetILNS1_3genE9ELNS1_11target_archE1100ELNS1_3gpuE3ELNS1_3repE0EEENS1_30default_config_static_selectorELNS0_4arch9wavefront6targetE0EEEvSW_.num_agpr, 0
	.set _ZN7rocprim17ROCPRIM_400000_NS6detail17trampoline_kernelINS0_14default_configENS1_27lower_bound_config_selectorItlEEZNS1_14transform_implILb0ES3_S5_N6thrust23THRUST_200600_302600_NS6detail15normal_iteratorINS8_7pointerItNS8_11hip_rocprim5par_tENS8_11use_defaultESE_EEEENSA_INSB_IlSD_SE_SE_EEEEZNS1_13binary_searchIS3_S5_PtSG_SI_NS1_21lower_bound_search_opENS9_16wrapped_functionINS8_6system6detail7generic6detail18binary_search_lessEbEEEE10hipError_tPvRmT1_T2_T3_mmT4_T5_P12ihipStream_tbEUlRKtE_EEST_SX_SY_mSZ_S12_bEUlT_E_NS1_11comp_targetILNS1_3genE9ELNS1_11target_archE1100ELNS1_3gpuE3ELNS1_3repE0EEENS1_30default_config_static_selectorELNS0_4arch9wavefront6targetE0EEEvSW_.numbered_sgpr, 0
	.set _ZN7rocprim17ROCPRIM_400000_NS6detail17trampoline_kernelINS0_14default_configENS1_27lower_bound_config_selectorItlEEZNS1_14transform_implILb0ES3_S5_N6thrust23THRUST_200600_302600_NS6detail15normal_iteratorINS8_7pointerItNS8_11hip_rocprim5par_tENS8_11use_defaultESE_EEEENSA_INSB_IlSD_SE_SE_EEEEZNS1_13binary_searchIS3_S5_PtSG_SI_NS1_21lower_bound_search_opENS9_16wrapped_functionINS8_6system6detail7generic6detail18binary_search_lessEbEEEE10hipError_tPvRmT1_T2_T3_mmT4_T5_P12ihipStream_tbEUlRKtE_EEST_SX_SY_mSZ_S12_bEUlT_E_NS1_11comp_targetILNS1_3genE9ELNS1_11target_archE1100ELNS1_3gpuE3ELNS1_3repE0EEENS1_30default_config_static_selectorELNS0_4arch9wavefront6targetE0EEEvSW_.num_named_barrier, 0
	.set _ZN7rocprim17ROCPRIM_400000_NS6detail17trampoline_kernelINS0_14default_configENS1_27lower_bound_config_selectorItlEEZNS1_14transform_implILb0ES3_S5_N6thrust23THRUST_200600_302600_NS6detail15normal_iteratorINS8_7pointerItNS8_11hip_rocprim5par_tENS8_11use_defaultESE_EEEENSA_INSB_IlSD_SE_SE_EEEEZNS1_13binary_searchIS3_S5_PtSG_SI_NS1_21lower_bound_search_opENS9_16wrapped_functionINS8_6system6detail7generic6detail18binary_search_lessEbEEEE10hipError_tPvRmT1_T2_T3_mmT4_T5_P12ihipStream_tbEUlRKtE_EEST_SX_SY_mSZ_S12_bEUlT_E_NS1_11comp_targetILNS1_3genE9ELNS1_11target_archE1100ELNS1_3gpuE3ELNS1_3repE0EEENS1_30default_config_static_selectorELNS0_4arch9wavefront6targetE0EEEvSW_.private_seg_size, 0
	.set _ZN7rocprim17ROCPRIM_400000_NS6detail17trampoline_kernelINS0_14default_configENS1_27lower_bound_config_selectorItlEEZNS1_14transform_implILb0ES3_S5_N6thrust23THRUST_200600_302600_NS6detail15normal_iteratorINS8_7pointerItNS8_11hip_rocprim5par_tENS8_11use_defaultESE_EEEENSA_INSB_IlSD_SE_SE_EEEEZNS1_13binary_searchIS3_S5_PtSG_SI_NS1_21lower_bound_search_opENS9_16wrapped_functionINS8_6system6detail7generic6detail18binary_search_lessEbEEEE10hipError_tPvRmT1_T2_T3_mmT4_T5_P12ihipStream_tbEUlRKtE_EEST_SX_SY_mSZ_S12_bEUlT_E_NS1_11comp_targetILNS1_3genE9ELNS1_11target_archE1100ELNS1_3gpuE3ELNS1_3repE0EEENS1_30default_config_static_selectorELNS0_4arch9wavefront6targetE0EEEvSW_.uses_vcc, 0
	.set _ZN7rocprim17ROCPRIM_400000_NS6detail17trampoline_kernelINS0_14default_configENS1_27lower_bound_config_selectorItlEEZNS1_14transform_implILb0ES3_S5_N6thrust23THRUST_200600_302600_NS6detail15normal_iteratorINS8_7pointerItNS8_11hip_rocprim5par_tENS8_11use_defaultESE_EEEENSA_INSB_IlSD_SE_SE_EEEEZNS1_13binary_searchIS3_S5_PtSG_SI_NS1_21lower_bound_search_opENS9_16wrapped_functionINS8_6system6detail7generic6detail18binary_search_lessEbEEEE10hipError_tPvRmT1_T2_T3_mmT4_T5_P12ihipStream_tbEUlRKtE_EEST_SX_SY_mSZ_S12_bEUlT_E_NS1_11comp_targetILNS1_3genE9ELNS1_11target_archE1100ELNS1_3gpuE3ELNS1_3repE0EEENS1_30default_config_static_selectorELNS0_4arch9wavefront6targetE0EEEvSW_.uses_flat_scratch, 0
	.set _ZN7rocprim17ROCPRIM_400000_NS6detail17trampoline_kernelINS0_14default_configENS1_27lower_bound_config_selectorItlEEZNS1_14transform_implILb0ES3_S5_N6thrust23THRUST_200600_302600_NS6detail15normal_iteratorINS8_7pointerItNS8_11hip_rocprim5par_tENS8_11use_defaultESE_EEEENSA_INSB_IlSD_SE_SE_EEEEZNS1_13binary_searchIS3_S5_PtSG_SI_NS1_21lower_bound_search_opENS9_16wrapped_functionINS8_6system6detail7generic6detail18binary_search_lessEbEEEE10hipError_tPvRmT1_T2_T3_mmT4_T5_P12ihipStream_tbEUlRKtE_EEST_SX_SY_mSZ_S12_bEUlT_E_NS1_11comp_targetILNS1_3genE9ELNS1_11target_archE1100ELNS1_3gpuE3ELNS1_3repE0EEENS1_30default_config_static_selectorELNS0_4arch9wavefront6targetE0EEEvSW_.has_dyn_sized_stack, 0
	.set _ZN7rocprim17ROCPRIM_400000_NS6detail17trampoline_kernelINS0_14default_configENS1_27lower_bound_config_selectorItlEEZNS1_14transform_implILb0ES3_S5_N6thrust23THRUST_200600_302600_NS6detail15normal_iteratorINS8_7pointerItNS8_11hip_rocprim5par_tENS8_11use_defaultESE_EEEENSA_INSB_IlSD_SE_SE_EEEEZNS1_13binary_searchIS3_S5_PtSG_SI_NS1_21lower_bound_search_opENS9_16wrapped_functionINS8_6system6detail7generic6detail18binary_search_lessEbEEEE10hipError_tPvRmT1_T2_T3_mmT4_T5_P12ihipStream_tbEUlRKtE_EEST_SX_SY_mSZ_S12_bEUlT_E_NS1_11comp_targetILNS1_3genE9ELNS1_11target_archE1100ELNS1_3gpuE3ELNS1_3repE0EEENS1_30default_config_static_selectorELNS0_4arch9wavefront6targetE0EEEvSW_.has_recursion, 0
	.set _ZN7rocprim17ROCPRIM_400000_NS6detail17trampoline_kernelINS0_14default_configENS1_27lower_bound_config_selectorItlEEZNS1_14transform_implILb0ES3_S5_N6thrust23THRUST_200600_302600_NS6detail15normal_iteratorINS8_7pointerItNS8_11hip_rocprim5par_tENS8_11use_defaultESE_EEEENSA_INSB_IlSD_SE_SE_EEEEZNS1_13binary_searchIS3_S5_PtSG_SI_NS1_21lower_bound_search_opENS9_16wrapped_functionINS8_6system6detail7generic6detail18binary_search_lessEbEEEE10hipError_tPvRmT1_T2_T3_mmT4_T5_P12ihipStream_tbEUlRKtE_EEST_SX_SY_mSZ_S12_bEUlT_E_NS1_11comp_targetILNS1_3genE9ELNS1_11target_archE1100ELNS1_3gpuE3ELNS1_3repE0EEENS1_30default_config_static_selectorELNS0_4arch9wavefront6targetE0EEEvSW_.has_indirect_call, 0
	.section	.AMDGPU.csdata,"",@progbits
; Kernel info:
; codeLenInByte = 0
; TotalNumSgprs: 0
; NumVgprs: 0
; ScratchSize: 0
; MemoryBound: 0
; FloatMode: 240
; IeeeMode: 1
; LDSByteSize: 0 bytes/workgroup (compile time only)
; SGPRBlocks: 0
; VGPRBlocks: 0
; NumSGPRsForWavesPerEU: 1
; NumVGPRsForWavesPerEU: 1
; Occupancy: 16
; WaveLimiterHint : 0
; COMPUTE_PGM_RSRC2:SCRATCH_EN: 0
; COMPUTE_PGM_RSRC2:USER_SGPR: 6
; COMPUTE_PGM_RSRC2:TRAP_HANDLER: 0
; COMPUTE_PGM_RSRC2:TGID_X_EN: 1
; COMPUTE_PGM_RSRC2:TGID_Y_EN: 0
; COMPUTE_PGM_RSRC2:TGID_Z_EN: 0
; COMPUTE_PGM_RSRC2:TIDIG_COMP_CNT: 0
	.section	.text._ZN7rocprim17ROCPRIM_400000_NS6detail17trampoline_kernelINS0_14default_configENS1_27lower_bound_config_selectorItlEEZNS1_14transform_implILb0ES3_S5_N6thrust23THRUST_200600_302600_NS6detail15normal_iteratorINS8_7pointerItNS8_11hip_rocprim5par_tENS8_11use_defaultESE_EEEENSA_INSB_IlSD_SE_SE_EEEEZNS1_13binary_searchIS3_S5_PtSG_SI_NS1_21lower_bound_search_opENS9_16wrapped_functionINS8_6system6detail7generic6detail18binary_search_lessEbEEEE10hipError_tPvRmT1_T2_T3_mmT4_T5_P12ihipStream_tbEUlRKtE_EEST_SX_SY_mSZ_S12_bEUlT_E_NS1_11comp_targetILNS1_3genE8ELNS1_11target_archE1030ELNS1_3gpuE2ELNS1_3repE0EEENS1_30default_config_static_selectorELNS0_4arch9wavefront6targetE0EEEvSW_,"axG",@progbits,_ZN7rocprim17ROCPRIM_400000_NS6detail17trampoline_kernelINS0_14default_configENS1_27lower_bound_config_selectorItlEEZNS1_14transform_implILb0ES3_S5_N6thrust23THRUST_200600_302600_NS6detail15normal_iteratorINS8_7pointerItNS8_11hip_rocprim5par_tENS8_11use_defaultESE_EEEENSA_INSB_IlSD_SE_SE_EEEEZNS1_13binary_searchIS3_S5_PtSG_SI_NS1_21lower_bound_search_opENS9_16wrapped_functionINS8_6system6detail7generic6detail18binary_search_lessEbEEEE10hipError_tPvRmT1_T2_T3_mmT4_T5_P12ihipStream_tbEUlRKtE_EEST_SX_SY_mSZ_S12_bEUlT_E_NS1_11comp_targetILNS1_3genE8ELNS1_11target_archE1030ELNS1_3gpuE2ELNS1_3repE0EEENS1_30default_config_static_selectorELNS0_4arch9wavefront6targetE0EEEvSW_,comdat
	.protected	_ZN7rocprim17ROCPRIM_400000_NS6detail17trampoline_kernelINS0_14default_configENS1_27lower_bound_config_selectorItlEEZNS1_14transform_implILb0ES3_S5_N6thrust23THRUST_200600_302600_NS6detail15normal_iteratorINS8_7pointerItNS8_11hip_rocprim5par_tENS8_11use_defaultESE_EEEENSA_INSB_IlSD_SE_SE_EEEEZNS1_13binary_searchIS3_S5_PtSG_SI_NS1_21lower_bound_search_opENS9_16wrapped_functionINS8_6system6detail7generic6detail18binary_search_lessEbEEEE10hipError_tPvRmT1_T2_T3_mmT4_T5_P12ihipStream_tbEUlRKtE_EEST_SX_SY_mSZ_S12_bEUlT_E_NS1_11comp_targetILNS1_3genE8ELNS1_11target_archE1030ELNS1_3gpuE2ELNS1_3repE0EEENS1_30default_config_static_selectorELNS0_4arch9wavefront6targetE0EEEvSW_ ; -- Begin function _ZN7rocprim17ROCPRIM_400000_NS6detail17trampoline_kernelINS0_14default_configENS1_27lower_bound_config_selectorItlEEZNS1_14transform_implILb0ES3_S5_N6thrust23THRUST_200600_302600_NS6detail15normal_iteratorINS8_7pointerItNS8_11hip_rocprim5par_tENS8_11use_defaultESE_EEEENSA_INSB_IlSD_SE_SE_EEEEZNS1_13binary_searchIS3_S5_PtSG_SI_NS1_21lower_bound_search_opENS9_16wrapped_functionINS8_6system6detail7generic6detail18binary_search_lessEbEEEE10hipError_tPvRmT1_T2_T3_mmT4_T5_P12ihipStream_tbEUlRKtE_EEST_SX_SY_mSZ_S12_bEUlT_E_NS1_11comp_targetILNS1_3genE8ELNS1_11target_archE1030ELNS1_3gpuE2ELNS1_3repE0EEENS1_30default_config_static_selectorELNS0_4arch9wavefront6targetE0EEEvSW_
	.globl	_ZN7rocprim17ROCPRIM_400000_NS6detail17trampoline_kernelINS0_14default_configENS1_27lower_bound_config_selectorItlEEZNS1_14transform_implILb0ES3_S5_N6thrust23THRUST_200600_302600_NS6detail15normal_iteratorINS8_7pointerItNS8_11hip_rocprim5par_tENS8_11use_defaultESE_EEEENSA_INSB_IlSD_SE_SE_EEEEZNS1_13binary_searchIS3_S5_PtSG_SI_NS1_21lower_bound_search_opENS9_16wrapped_functionINS8_6system6detail7generic6detail18binary_search_lessEbEEEE10hipError_tPvRmT1_T2_T3_mmT4_T5_P12ihipStream_tbEUlRKtE_EEST_SX_SY_mSZ_S12_bEUlT_E_NS1_11comp_targetILNS1_3genE8ELNS1_11target_archE1030ELNS1_3gpuE2ELNS1_3repE0EEENS1_30default_config_static_selectorELNS0_4arch9wavefront6targetE0EEEvSW_
	.p2align	8
	.type	_ZN7rocprim17ROCPRIM_400000_NS6detail17trampoline_kernelINS0_14default_configENS1_27lower_bound_config_selectorItlEEZNS1_14transform_implILb0ES3_S5_N6thrust23THRUST_200600_302600_NS6detail15normal_iteratorINS8_7pointerItNS8_11hip_rocprim5par_tENS8_11use_defaultESE_EEEENSA_INSB_IlSD_SE_SE_EEEEZNS1_13binary_searchIS3_S5_PtSG_SI_NS1_21lower_bound_search_opENS9_16wrapped_functionINS8_6system6detail7generic6detail18binary_search_lessEbEEEE10hipError_tPvRmT1_T2_T3_mmT4_T5_P12ihipStream_tbEUlRKtE_EEST_SX_SY_mSZ_S12_bEUlT_E_NS1_11comp_targetILNS1_3genE8ELNS1_11target_archE1030ELNS1_3gpuE2ELNS1_3repE0EEENS1_30default_config_static_selectorELNS0_4arch9wavefront6targetE0EEEvSW_,@function
_ZN7rocprim17ROCPRIM_400000_NS6detail17trampoline_kernelINS0_14default_configENS1_27lower_bound_config_selectorItlEEZNS1_14transform_implILb0ES3_S5_N6thrust23THRUST_200600_302600_NS6detail15normal_iteratorINS8_7pointerItNS8_11hip_rocprim5par_tENS8_11use_defaultESE_EEEENSA_INSB_IlSD_SE_SE_EEEEZNS1_13binary_searchIS3_S5_PtSG_SI_NS1_21lower_bound_search_opENS9_16wrapped_functionINS8_6system6detail7generic6detail18binary_search_lessEbEEEE10hipError_tPvRmT1_T2_T3_mmT4_T5_P12ihipStream_tbEUlRKtE_EEST_SX_SY_mSZ_S12_bEUlT_E_NS1_11comp_targetILNS1_3genE8ELNS1_11target_archE1030ELNS1_3gpuE2ELNS1_3repE0EEENS1_30default_config_static_selectorELNS0_4arch9wavefront6targetE0EEEvSW_: ; @_ZN7rocprim17ROCPRIM_400000_NS6detail17trampoline_kernelINS0_14default_configENS1_27lower_bound_config_selectorItlEEZNS1_14transform_implILb0ES3_S5_N6thrust23THRUST_200600_302600_NS6detail15normal_iteratorINS8_7pointerItNS8_11hip_rocprim5par_tENS8_11use_defaultESE_EEEENSA_INSB_IlSD_SE_SE_EEEEZNS1_13binary_searchIS3_S5_PtSG_SI_NS1_21lower_bound_search_opENS9_16wrapped_functionINS8_6system6detail7generic6detail18binary_search_lessEbEEEE10hipError_tPvRmT1_T2_T3_mmT4_T5_P12ihipStream_tbEUlRKtE_EEST_SX_SY_mSZ_S12_bEUlT_E_NS1_11comp_targetILNS1_3genE8ELNS1_11target_archE1030ELNS1_3gpuE2ELNS1_3repE0EEENS1_30default_config_static_selectorELNS0_4arch9wavefront6targetE0EEEvSW_
; %bb.0:
	s_clause 0x2
	s_load_dwordx8 s[8:15], s[4:5], 0x0
	s_load_dword s2, s[4:5], 0x38
	s_load_dwordx4 s[16:19], s[4:5], 0x20
	s_mov_b32 s5, 0
	s_waitcnt lgkmcnt(0)
	s_lshl_b64 s[0:1], s[10:11], 1
	s_add_u32 s8, s8, s0
	s_addc_u32 s9, s9, s1
	s_lshl_b64 s[0:1], s[10:11], 3
	s_add_u32 s3, s14, s0
	s_addc_u32 s7, s15, s1
	s_lshl_b32 s4, s6, 9
	s_add_i32 s2, s2, -1
	s_lshl_b64 s[0:1], s[4:5], 1
	s_add_u32 s8, s8, s0
	s_addc_u32 s9, s9, s1
	s_cmp_lg_u32 s6, s2
	s_mov_b32 s0, -1
	s_cbranch_scc0 .LBB101_5
; %bb.1:
	v_lshlrev_b32_e32 v1, 1, v0
	s_cmp_lg_u64 s[18:19], 0
	v_add_co_u32 v1, s0, s8, v1
	v_add_co_ci_u32_e64 v2, null, s9, 0, s0
	s_cselect_b32 s0, -1, 0
	s_cmp_eq_u64 s[18:19], 0
	s_clause 0x2
	flat_load_ushort v7, v[1:2] offset:256
	flat_load_ushort v9, v[1:2] offset:512
	;; [unrolled: 1-line block ×3, first 2 shown]
	s_cbranch_scc1 .LBB101_6
; %bb.2:
	flat_load_ushort v5, v[1:2]
	v_mov_b32_e32 v1, 0
	v_mov_b32_e32 v3, s18
	;; [unrolled: 1-line block ×4, first 2 shown]
	s_mov_b32 s1, 0
	s_inst_prefetch 0x1
	.p2align	6
.LBB101_3:                              ; =>This Inner Loop Header: Depth=1
	v_sub_co_u32 v12, vcc_lo, v3, v1
	v_sub_co_ci_u32_e64 v13, null, v4, v2, vcc_lo
	v_lshrrev_b64 v[14:15], 1, v[12:13]
	v_lshrrev_b64 v[12:13], 6, v[12:13]
	v_add_co_u32 v6, vcc_lo, v14, v1
	v_add_co_ci_u32_e64 v8, null, v15, v2, vcc_lo
	v_add_co_u32 v12, vcc_lo, v6, v12
	v_add_co_ci_u32_e64 v13, null, v8, v13, vcc_lo
	v_lshlrev_b64 v[14:15], 1, v[12:13]
	v_add_co_u32 v14, vcc_lo, s16, v14
	v_add_co_ci_u32_e64 v15, null, s17, v15, vcc_lo
	v_add_co_u32 v8, vcc_lo, v12, 1
	v_add_co_ci_u32_e64 v10, null, 0, v13, vcc_lo
	global_load_ushort v6, v[14:15], off
	s_waitcnt vmcnt(0) lgkmcnt(0)
	v_cmp_lt_u16_e32 vcc_lo, v6, v5
	v_cndmask_b32_e32 v4, v13, v4, vcc_lo
	v_cndmask_b32_e32 v3, v12, v3, vcc_lo
	;; [unrolled: 1-line block ×4, first 2 shown]
	v_cmp_ge_u64_e32 vcc_lo, v[1:2], v[3:4]
	s_or_b32 s1, vcc_lo, s1
	s_andn2_b32 exec_lo, exec_lo, s1
	s_cbranch_execnz .LBB101_3
; %bb.4:
	s_inst_prefetch 0x2
	s_or_b32 exec_lo, exec_lo, s1
	s_branch .LBB101_7
.LBB101_5:
	s_mov_b32 s6, s5
                                        ; implicit-def: $vgpr7_vgpr8
                                        ; implicit-def: $vgpr11_vgpr12
	s_and_b32 vcc_lo, exec_lo, s0
	s_cbranch_vccnz .LBB101_20
	s_branch .LBB101_53
.LBB101_6:
	v_mov_b32_e32 v1, 0
	v_mov_b32_e32 v2, 0
.LBB101_7:
	v_mov_b32_e32 v3, 0
	v_cndmask_b32_e64 v10, 0, 1, s0
	v_mov_b32_e32 v4, 0
	s_andn2_b32 vcc_lo, exec_lo, s0
	s_cbranch_vccnz .LBB101_11
; %bb.8:
	v_mov_b32_e32 v5, s18
	v_mov_b32_e32 v6, s19
	s_mov_b32 s0, 0
	s_inst_prefetch 0x1
	.p2align	6
.LBB101_9:                              ; =>This Inner Loop Header: Depth=1
	v_sub_co_u32 v12, vcc_lo, v5, v3
	v_sub_co_ci_u32_e64 v13, null, v6, v4, vcc_lo
	v_lshrrev_b64 v[14:15], 1, v[12:13]
	v_lshrrev_b64 v[12:13], 6, v[12:13]
	v_add_co_u32 v8, vcc_lo, v14, v3
	v_add_co_ci_u32_e64 v14, null, v15, v4, vcc_lo
	v_add_co_u32 v12, vcc_lo, v8, v12
	v_add_co_ci_u32_e64 v13, null, v14, v13, vcc_lo
	v_lshlrev_b64 v[14:15], 1, v[12:13]
	v_add_co_u32 v14, vcc_lo, s16, v14
	v_add_co_ci_u32_e64 v15, null, s17, v15, vcc_lo
	global_load_ushort v8, v[14:15], off
	v_add_co_u32 v14, vcc_lo, v12, 1
	v_add_co_ci_u32_e64 v15, null, 0, v13, vcc_lo
	s_waitcnt vmcnt(0) lgkmcnt(2)
	v_cmp_lt_u16_e32 vcc_lo, v8, v7
	v_cndmask_b32_e32 v6, v13, v6, vcc_lo
	v_cndmask_b32_e32 v5, v12, v5, vcc_lo
	;; [unrolled: 1-line block ×4, first 2 shown]
	v_cmp_ge_u64_e32 vcc_lo, v[3:4], v[5:6]
	s_or_b32 s0, vcc_lo, s0
	s_andn2_b32 exec_lo, exec_lo, s0
	s_cbranch_execnz .LBB101_9
; %bb.10:
	s_inst_prefetch 0x2
	s_or_b32 exec_lo, exec_lo, s0
.LBB101_11:
	v_cmp_ne_u32_e32 vcc_lo, 1, v10
	v_mov_b32_e32 v5, 0
	v_mov_b32_e32 v6, 0
	s_cbranch_vccnz .LBB101_15
; %bb.12:
	s_waitcnt vmcnt(2) lgkmcnt(2)
	v_mov_b32_e32 v7, s18
	v_mov_b32_e32 v8, s19
	s_mov_b32 s0, 0
	s_inst_prefetch 0x1
	.p2align	6
.LBB101_13:                             ; =>This Inner Loop Header: Depth=1
	v_sub_co_u32 v12, vcc_lo, v7, v5
	v_sub_co_ci_u32_e64 v13, null, v8, v6, vcc_lo
	v_lshrrev_b64 v[14:15], 1, v[12:13]
	v_lshrrev_b64 v[12:13], 6, v[12:13]
	v_add_co_u32 v14, vcc_lo, v14, v5
	v_add_co_ci_u32_e64 v15, null, v15, v6, vcc_lo
	v_add_co_u32 v12, vcc_lo, v14, v12
	v_add_co_ci_u32_e64 v13, null, v15, v13, vcc_lo
	v_lshlrev_b64 v[14:15], 1, v[12:13]
	v_add_co_u32 v14, vcc_lo, s16, v14
	v_add_co_ci_u32_e64 v15, null, s17, v15, vcc_lo
	global_load_ushort v14, v[14:15], off
	v_add_co_u32 v15, vcc_lo, v12, 1
	v_add_co_ci_u32_e64 v16, null, 0, v13, vcc_lo
	s_waitcnt vmcnt(0) lgkmcnt(1)
	v_cmp_lt_u16_e32 vcc_lo, v14, v9
	v_cndmask_b32_e32 v8, v13, v8, vcc_lo
	v_cndmask_b32_e32 v7, v12, v7, vcc_lo
	;; [unrolled: 1-line block ×4, first 2 shown]
	v_cmp_ge_u64_e32 vcc_lo, v[5:6], v[7:8]
	s_or_b32 s0, vcc_lo, s0
	s_andn2_b32 exec_lo, exec_lo, s0
	s_cbranch_execnz .LBB101_13
; %bb.14:
	s_inst_prefetch 0x2
	s_or_b32 exec_lo, exec_lo, s0
.LBB101_15:
	v_cmp_ne_u32_e32 vcc_lo, 1, v10
	s_waitcnt vmcnt(2) lgkmcnt(2)
	v_mov_b32_e32 v7, 0
	v_mov_b32_e32 v8, 0
	s_cbranch_vccnz .LBB101_19
; %bb.16:
	s_waitcnt vmcnt(1) lgkmcnt(1)
	v_mov_b32_e32 v9, s18
	v_mov_b32_e32 v10, s19
	s_mov_b32 s0, 0
	s_inst_prefetch 0x1
	.p2align	6
.LBB101_17:                             ; =>This Inner Loop Header: Depth=1
	v_sub_co_u32 v12, vcc_lo, v9, v7
	v_sub_co_ci_u32_e64 v13, null, v10, v8, vcc_lo
	v_lshrrev_b64 v[14:15], 1, v[12:13]
	v_lshrrev_b64 v[12:13], 6, v[12:13]
	v_add_co_u32 v14, vcc_lo, v14, v7
	v_add_co_ci_u32_e64 v15, null, v15, v8, vcc_lo
	v_add_co_u32 v12, vcc_lo, v14, v12
	v_add_co_ci_u32_e64 v13, null, v15, v13, vcc_lo
	v_lshlrev_b64 v[14:15], 1, v[12:13]
	v_add_co_u32 v14, vcc_lo, s16, v14
	v_add_co_ci_u32_e64 v15, null, s17, v15, vcc_lo
	global_load_ushort v14, v[14:15], off
	v_add_co_u32 v15, vcc_lo, v12, 1
	v_add_co_ci_u32_e64 v16, null, 0, v13, vcc_lo
	s_waitcnt vmcnt(0) lgkmcnt(0)
	v_cmp_lt_u16_e32 vcc_lo, v14, v11
	v_cndmask_b32_e32 v10, v13, v10, vcc_lo
	v_cndmask_b32_e32 v9, v12, v9, vcc_lo
	;; [unrolled: 1-line block ×4, first 2 shown]
	v_cmp_ge_u64_e32 vcc_lo, v[7:8], v[9:10]
	s_or_b32 s0, vcc_lo, s0
	s_andn2_b32 exec_lo, exec_lo, s0
	s_cbranch_execnz .LBB101_17
; %bb.18:
	s_inst_prefetch 0x2
	s_or_b32 exec_lo, exec_lo, s0
.LBB101_19:
	s_waitcnt vmcnt(1) lgkmcnt(1)
	v_lshlrev_b32_e32 v9, 3, v0
	s_lshl_b64 s[0:1], s[4:5], 3
	s_mov_b32 s6, -1
	s_add_u32 s0, s3, s0
	s_addc_u32 s1, s7, s1
	s_waitcnt vmcnt(0) lgkmcnt(0)
	v_add_co_u32 v11, s0, s0, v9
	v_add_co_ci_u32_e64 v12, null, s1, 0, s0
	v_add_co_u32 v9, vcc_lo, 0x800, v11
	v_add_co_ci_u32_e64 v10, null, 0, v12, vcc_lo
	flat_store_dwordx2 v[11:12], v[1:2]
	flat_store_dwordx2 v[11:12], v[3:4] offset:1024
	flat_store_dwordx2 v[9:10], v[5:6]
	s_branch .LBB101_53
.LBB101_20:
	v_mov_b32_e32 v1, 0
	s_sub_i32 s6, s12, s4
	v_cmp_gt_u32_e64 s0, s6, v0
	v_mov_b32_e32 v2, v1
	s_and_saveexec_b32 s1, s0
	s_cbranch_execz .LBB101_22
; %bb.21:
	v_lshlrev_b32_e32 v2, 1, v0
	v_mov_b32_e32 v4, v1
	v_mov_b32_e32 v5, v1
	v_add_co_u32 v2, s2, s8, v2
	v_add_co_ci_u32_e64 v3, null, s9, 0, s2
	flat_load_short_d16 v4, v[2:3]
	s_waitcnt vmcnt(0) lgkmcnt(0)
	v_mov_b32_e32 v1, v4
	v_mov_b32_e32 v2, v5
.LBB101_22:
	s_or_b32 exec_lo, exec_lo, s1
	v_or_b32_e32 v3, 0x80, v0
	v_cmp_gt_u32_e64 s1, s6, v3
	s_and_saveexec_b32 s2, s1
	s_cbranch_execz .LBB101_24
; %bb.23:
	v_lshlrev_b32_e32 v3, 1, v0
	v_add_co_u32 v3, s10, s8, v3
	v_add_co_ci_u32_e64 v4, null, s9, 0, s10
	flat_load_short_d16_hi v1, v[3:4] offset:256
.LBB101_24:
	s_or_b32 exec_lo, exec_lo, s2
	v_or_b32_e32 v3, 0x100, v0
	v_cmp_gt_u32_e64 s2, s6, v3
	s_and_saveexec_b32 s10, s2
	s_cbranch_execz .LBB101_26
; %bb.25:
	v_lshlrev_b32_e32 v3, 1, v0
	v_add_co_u32 v3, s11, s8, v3
	v_add_co_ci_u32_e64 v4, null, s9, 0, s11
	flat_load_short_d16 v2, v[3:4] offset:512
.LBB101_26:
	s_or_b32 exec_lo, exec_lo, s10
	v_or_b32_e32 v3, 0x180, v0
	v_cmp_gt_u32_e64 s6, s6, v3
	s_and_saveexec_b32 s10, s6
	s_cbranch_execz .LBB101_28
; %bb.27:
	v_lshlrev_b32_e32 v3, 1, v0
	v_add_co_u32 v3, s8, s8, v3
	v_add_co_ci_u32_e64 v4, null, s9, 0, s8
	s_waitcnt vmcnt(0) lgkmcnt(0)
	flat_load_short_d16_hi v2, v[3:4] offset:768
.LBB101_28:
	s_or_b32 exec_lo, exec_lo, s10
	s_cmp_lg_u64 s[18:19], 0
                                        ; implicit-def: $vgpr3_vgpr4
	s_cselect_b32 s8, -1, 0
	s_and_saveexec_b32 s9, s0
	s_cbranch_execz .LBB101_33
; %bb.29:
	v_mov_b32_e32 v3, 0
	v_mov_b32_e32 v4, 0
	s_andn2_b32 vcc_lo, exec_lo, s8
	s_cbranch_vccnz .LBB101_33
; %bb.30:
	v_mov_b32_e32 v5, s18
	v_mov_b32_e32 v6, s19
	s_mov_b32 s10, 0
	s_inst_prefetch 0x1
	.p2align	6
.LBB101_31:                             ; =>This Inner Loop Header: Depth=1
	v_sub_co_u32 v7, vcc_lo, v5, v3
	v_sub_co_ci_u32_e64 v8, null, v6, v4, vcc_lo
	v_lshrrev_b64 v[9:10], 1, v[7:8]
	v_lshrrev_b64 v[7:8], 6, v[7:8]
	v_add_co_u32 v9, vcc_lo, v9, v3
	v_add_co_ci_u32_e64 v10, null, v10, v4, vcc_lo
	v_add_co_u32 v7, vcc_lo, v9, v7
	v_add_co_ci_u32_e64 v8, null, v10, v8, vcc_lo
	v_lshlrev_b64 v[9:10], 1, v[7:8]
	v_add_co_u32 v9, vcc_lo, s16, v9
	v_add_co_ci_u32_e64 v10, null, s17, v10, vcc_lo
	global_load_ushort v9, v[9:10], off
	v_add_co_u32 v10, vcc_lo, v7, 1
	v_add_co_ci_u32_e64 v11, null, 0, v8, vcc_lo
	s_waitcnt vmcnt(0) lgkmcnt(0)
	v_cmp_lt_u16_e32 vcc_lo, v9, v1
	v_cndmask_b32_e32 v6, v8, v6, vcc_lo
	v_cndmask_b32_e32 v5, v7, v5, vcc_lo
	;; [unrolled: 1-line block ×4, first 2 shown]
	v_cmp_ge_u64_e32 vcc_lo, v[3:4], v[5:6]
	s_or_b32 s10, vcc_lo, s10
	s_andn2_b32 exec_lo, exec_lo, s10
	s_cbranch_execnz .LBB101_31
; %bb.32:
	s_inst_prefetch 0x2
	s_or_b32 exec_lo, exec_lo, s10
.LBB101_33:
	s_or_b32 exec_lo, exec_lo, s9
                                        ; implicit-def: $vgpr5_vgpr6
	s_and_saveexec_b32 s9, s1
	s_cbranch_execz .LBB101_38
; %bb.34:
	v_mov_b32_e32 v5, 0
	v_mov_b32_e32 v6, 0
	s_andn2_b32 vcc_lo, exec_lo, s8
	s_cbranch_vccnz .LBB101_38
; %bb.35:
	v_mov_b32_e32 v7, s18
	v_mov_b32_e32 v8, s19
	s_mov_b32 s10, 0
	s_inst_prefetch 0x1
	.p2align	6
.LBB101_36:                             ; =>This Inner Loop Header: Depth=1
	v_sub_co_u32 v9, vcc_lo, v7, v5
	v_sub_co_ci_u32_e64 v10, null, v8, v6, vcc_lo
	v_lshrrev_b64 v[11:12], 1, v[9:10]
	v_lshrrev_b64 v[9:10], 6, v[9:10]
	v_add_co_u32 v11, vcc_lo, v11, v5
	v_add_co_ci_u32_e64 v12, null, v12, v6, vcc_lo
	v_add_co_u32 v9, vcc_lo, v11, v9
	v_add_co_ci_u32_e64 v10, null, v12, v10, vcc_lo
	v_lshlrev_b64 v[11:12], 1, v[9:10]
	v_add_co_u32 v11, vcc_lo, s16, v11
	v_add_co_ci_u32_e64 v12, null, s17, v12, vcc_lo
	global_load_ushort v11, v[11:12], off
	v_add_co_u32 v12, vcc_lo, v9, 1
	v_add_co_ci_u32_e64 v13, null, 0, v10, vcc_lo
	s_waitcnt vmcnt(0) lgkmcnt(0)
	v_cmp_lt_u16_sdwa vcc_lo, v11, v1 src0_sel:DWORD src1_sel:WORD_1
	v_cndmask_b32_e32 v8, v10, v8, vcc_lo
	v_cndmask_b32_e32 v7, v9, v7, vcc_lo
	;; [unrolled: 1-line block ×4, first 2 shown]
	v_cmp_ge_u64_e32 vcc_lo, v[5:6], v[7:8]
	s_or_b32 s10, vcc_lo, s10
	s_andn2_b32 exec_lo, exec_lo, s10
	s_cbranch_execnz .LBB101_36
; %bb.37:
	s_inst_prefetch 0x2
	s_or_b32 exec_lo, exec_lo, s10
.LBB101_38:
	s_or_b32 exec_lo, exec_lo, s9
                                        ; implicit-def: $vgpr9_vgpr10
	s_and_saveexec_b32 s9, s2
	s_cbranch_execz .LBB101_43
; %bb.39:
	v_mov_b32_e32 v9, 0
	v_mov_b32_e32 v10, 0
	s_andn2_b32 vcc_lo, exec_lo, s8
	s_cbranch_vccnz .LBB101_43
; %bb.40:
	v_mov_b32_e32 v7, s18
	v_mov_b32_e32 v8, s19
	s_mov_b32 s10, 0
	s_inst_prefetch 0x1
	.p2align	6
.LBB101_41:                             ; =>This Inner Loop Header: Depth=1
	v_sub_co_u32 v11, vcc_lo, v7, v9
	v_sub_co_ci_u32_e64 v12, null, v8, v10, vcc_lo
	v_lshrrev_b64 v[13:14], 1, v[11:12]
	v_lshrrev_b64 v[11:12], 6, v[11:12]
	s_waitcnt vmcnt(0) lgkmcnt(0)
	v_add_co_u32 v1, vcc_lo, v13, v9
	v_add_co_ci_u32_e64 v13, null, v14, v10, vcc_lo
	v_add_co_u32 v11, vcc_lo, v1, v11
	v_add_co_ci_u32_e64 v12, null, v13, v12, vcc_lo
	v_lshlrev_b64 v[13:14], 1, v[11:12]
	v_add_co_u32 v13, vcc_lo, s16, v13
	v_add_co_ci_u32_e64 v14, null, s17, v14, vcc_lo
	global_load_ushort v1, v[13:14], off
	v_add_co_u32 v13, vcc_lo, v11, 1
	v_add_co_ci_u32_e64 v14, null, 0, v12, vcc_lo
	s_waitcnt vmcnt(0)
	v_cmp_lt_u16_e32 vcc_lo, v1, v2
	v_cndmask_b32_e32 v8, v12, v8, vcc_lo
	v_cndmask_b32_e32 v7, v11, v7, vcc_lo
	;; [unrolled: 1-line block ×4, first 2 shown]
	v_cmp_ge_u64_e32 vcc_lo, v[9:10], v[7:8]
	s_or_b32 s10, vcc_lo, s10
	s_andn2_b32 exec_lo, exec_lo, s10
	s_cbranch_execnz .LBB101_41
; %bb.42:
	s_inst_prefetch 0x2
	s_or_b32 exec_lo, exec_lo, s10
.LBB101_43:
	s_or_b32 exec_lo, exec_lo, s9
                                        ; implicit-def: $vgpr7_vgpr8
	s_and_saveexec_b32 s9, s6
	s_cbranch_execz .LBB101_48
; %bb.44:
	v_mov_b32_e32 v7, 0
	v_mov_b32_e32 v8, 0
	s_andn2_b32 vcc_lo, exec_lo, s8
	s_cbranch_vccnz .LBB101_48
; %bb.45:
	v_mov_b32_e32 v11, s18
	v_mov_b32_e32 v12, s19
	s_mov_b32 s8, 0
	s_inst_prefetch 0x1
	.p2align	6
.LBB101_46:                             ; =>This Inner Loop Header: Depth=1
	v_sub_co_u32 v13, vcc_lo, v11, v7
	v_sub_co_ci_u32_e64 v14, null, v12, v8, vcc_lo
	v_lshrrev_b64 v[15:16], 1, v[13:14]
	v_lshrrev_b64 v[13:14], 6, v[13:14]
	s_waitcnt vmcnt(0) lgkmcnt(0)
	v_add_co_u32 v1, vcc_lo, v15, v7
	v_add_co_ci_u32_e64 v15, null, v16, v8, vcc_lo
	v_add_co_u32 v13, vcc_lo, v1, v13
	v_add_co_ci_u32_e64 v14, null, v15, v14, vcc_lo
	v_lshlrev_b64 v[15:16], 1, v[13:14]
	v_add_co_u32 v15, vcc_lo, s16, v15
	v_add_co_ci_u32_e64 v16, null, s17, v16, vcc_lo
	global_load_ushort v1, v[15:16], off
	v_add_co_u32 v15, vcc_lo, v13, 1
	v_add_co_ci_u32_e64 v16, null, 0, v14, vcc_lo
	s_waitcnt vmcnt(0)
	v_cmp_lt_u16_sdwa vcc_lo, v1, v2 src0_sel:DWORD src1_sel:WORD_1
	v_cndmask_b32_e32 v12, v14, v12, vcc_lo
	v_cndmask_b32_e32 v11, v13, v11, vcc_lo
	;; [unrolled: 1-line block ×4, first 2 shown]
	v_cmp_ge_u64_e32 vcc_lo, v[7:8], v[11:12]
	s_or_b32 s8, vcc_lo, s8
	s_andn2_b32 exec_lo, exec_lo, s8
	s_cbranch_execnz .LBB101_46
; %bb.47:
	s_inst_prefetch 0x2
	s_or_b32 exec_lo, exec_lo, s8
.LBB101_48:
	s_or_b32 exec_lo, exec_lo, s9
	v_lshlrev_b32_e32 v0, 3, v0
	s_lshl_b64 s[4:5], s[4:5], 3
	s_add_u32 s3, s3, s4
	s_addc_u32 s4, s7, s5
	v_add_co_u32 v11, s3, s3, v0
	v_add_co_ci_u32_e64 v12, null, s4, 0, s3
	s_and_saveexec_b32 s3, s0
	s_xor_b32 s0, exec_lo, s3
	s_cbranch_execnz .LBB101_56
; %bb.49:
	s_or_b32 exec_lo, exec_lo, s0
	s_and_saveexec_b32 s0, s1
	s_cbranch_execnz .LBB101_57
.LBB101_50:
	s_or_b32 exec_lo, exec_lo, s0
	s_and_saveexec_b32 s0, s2
	s_cbranch_execz .LBB101_52
.LBB101_51:
	v_add_co_u32 v0, vcc_lo, 0x800, v11
	s_waitcnt vmcnt(0) lgkmcnt(0)
	v_add_co_ci_u32_e64 v1, null, 0, v12, vcc_lo
	flat_store_dwordx2 v[0:1], v[9:10]
.LBB101_52:
	s_or_b32 exec_lo, exec_lo, s0
.LBB101_53:
	s_and_saveexec_b32 s0, s6
	s_cbranch_execnz .LBB101_55
; %bb.54:
	s_endpgm
.LBB101_55:
	v_add_co_u32 v0, vcc_lo, 0x800, v11
	s_waitcnt vmcnt(0) lgkmcnt(0)
	v_add_co_ci_u32_e64 v1, null, 0, v12, vcc_lo
	flat_store_dwordx2 v[0:1], v[7:8] offset:1024
	s_endpgm
.LBB101_56:
	flat_store_dwordx2 v[11:12], v[3:4]
	s_or_b32 exec_lo, exec_lo, s0
	s_and_saveexec_b32 s0, s1
	s_cbranch_execz .LBB101_50
.LBB101_57:
	flat_store_dwordx2 v[11:12], v[5:6] offset:1024
	s_or_b32 exec_lo, exec_lo, s0
	s_and_saveexec_b32 s0, s2
	s_cbranch_execnz .LBB101_51
	s_branch .LBB101_52
	.section	.rodata,"a",@progbits
	.p2align	6, 0x0
	.amdhsa_kernel _ZN7rocprim17ROCPRIM_400000_NS6detail17trampoline_kernelINS0_14default_configENS1_27lower_bound_config_selectorItlEEZNS1_14transform_implILb0ES3_S5_N6thrust23THRUST_200600_302600_NS6detail15normal_iteratorINS8_7pointerItNS8_11hip_rocprim5par_tENS8_11use_defaultESE_EEEENSA_INSB_IlSD_SE_SE_EEEEZNS1_13binary_searchIS3_S5_PtSG_SI_NS1_21lower_bound_search_opENS9_16wrapped_functionINS8_6system6detail7generic6detail18binary_search_lessEbEEEE10hipError_tPvRmT1_T2_T3_mmT4_T5_P12ihipStream_tbEUlRKtE_EEST_SX_SY_mSZ_S12_bEUlT_E_NS1_11comp_targetILNS1_3genE8ELNS1_11target_archE1030ELNS1_3gpuE2ELNS1_3repE0EEENS1_30default_config_static_selectorELNS0_4arch9wavefront6targetE0EEEvSW_
		.amdhsa_group_segment_fixed_size 0
		.amdhsa_private_segment_fixed_size 0
		.amdhsa_kernarg_size 312
		.amdhsa_user_sgpr_count 6
		.amdhsa_user_sgpr_private_segment_buffer 1
		.amdhsa_user_sgpr_dispatch_ptr 0
		.amdhsa_user_sgpr_queue_ptr 0
		.amdhsa_user_sgpr_kernarg_segment_ptr 1
		.amdhsa_user_sgpr_dispatch_id 0
		.amdhsa_user_sgpr_flat_scratch_init 0
		.amdhsa_user_sgpr_private_segment_size 0
		.amdhsa_wavefront_size32 1
		.amdhsa_uses_dynamic_stack 0
		.amdhsa_system_sgpr_private_segment_wavefront_offset 0
		.amdhsa_system_sgpr_workgroup_id_x 1
		.amdhsa_system_sgpr_workgroup_id_y 0
		.amdhsa_system_sgpr_workgroup_id_z 0
		.amdhsa_system_sgpr_workgroup_info 0
		.amdhsa_system_vgpr_workitem_id 0
		.amdhsa_next_free_vgpr 17
		.amdhsa_next_free_sgpr 20
		.amdhsa_reserve_vcc 1
		.amdhsa_reserve_flat_scratch 1
		.amdhsa_float_round_mode_32 0
		.amdhsa_float_round_mode_16_64 0
		.amdhsa_float_denorm_mode_32 3
		.amdhsa_float_denorm_mode_16_64 3
		.amdhsa_dx10_clamp 1
		.amdhsa_ieee_mode 1
		.amdhsa_fp16_overflow 0
		.amdhsa_workgroup_processor_mode 1
		.amdhsa_memory_ordered 1
		.amdhsa_forward_progress 1
		.amdhsa_shared_vgpr_count 0
		.amdhsa_exception_fp_ieee_invalid_op 0
		.amdhsa_exception_fp_denorm_src 0
		.amdhsa_exception_fp_ieee_div_zero 0
		.amdhsa_exception_fp_ieee_overflow 0
		.amdhsa_exception_fp_ieee_underflow 0
		.amdhsa_exception_fp_ieee_inexact 0
		.amdhsa_exception_int_div_zero 0
	.end_amdhsa_kernel
	.section	.text._ZN7rocprim17ROCPRIM_400000_NS6detail17trampoline_kernelINS0_14default_configENS1_27lower_bound_config_selectorItlEEZNS1_14transform_implILb0ES3_S5_N6thrust23THRUST_200600_302600_NS6detail15normal_iteratorINS8_7pointerItNS8_11hip_rocprim5par_tENS8_11use_defaultESE_EEEENSA_INSB_IlSD_SE_SE_EEEEZNS1_13binary_searchIS3_S5_PtSG_SI_NS1_21lower_bound_search_opENS9_16wrapped_functionINS8_6system6detail7generic6detail18binary_search_lessEbEEEE10hipError_tPvRmT1_T2_T3_mmT4_T5_P12ihipStream_tbEUlRKtE_EEST_SX_SY_mSZ_S12_bEUlT_E_NS1_11comp_targetILNS1_3genE8ELNS1_11target_archE1030ELNS1_3gpuE2ELNS1_3repE0EEENS1_30default_config_static_selectorELNS0_4arch9wavefront6targetE0EEEvSW_,"axG",@progbits,_ZN7rocprim17ROCPRIM_400000_NS6detail17trampoline_kernelINS0_14default_configENS1_27lower_bound_config_selectorItlEEZNS1_14transform_implILb0ES3_S5_N6thrust23THRUST_200600_302600_NS6detail15normal_iteratorINS8_7pointerItNS8_11hip_rocprim5par_tENS8_11use_defaultESE_EEEENSA_INSB_IlSD_SE_SE_EEEEZNS1_13binary_searchIS3_S5_PtSG_SI_NS1_21lower_bound_search_opENS9_16wrapped_functionINS8_6system6detail7generic6detail18binary_search_lessEbEEEE10hipError_tPvRmT1_T2_T3_mmT4_T5_P12ihipStream_tbEUlRKtE_EEST_SX_SY_mSZ_S12_bEUlT_E_NS1_11comp_targetILNS1_3genE8ELNS1_11target_archE1030ELNS1_3gpuE2ELNS1_3repE0EEENS1_30default_config_static_selectorELNS0_4arch9wavefront6targetE0EEEvSW_,comdat
.Lfunc_end101:
	.size	_ZN7rocprim17ROCPRIM_400000_NS6detail17trampoline_kernelINS0_14default_configENS1_27lower_bound_config_selectorItlEEZNS1_14transform_implILb0ES3_S5_N6thrust23THRUST_200600_302600_NS6detail15normal_iteratorINS8_7pointerItNS8_11hip_rocprim5par_tENS8_11use_defaultESE_EEEENSA_INSB_IlSD_SE_SE_EEEEZNS1_13binary_searchIS3_S5_PtSG_SI_NS1_21lower_bound_search_opENS9_16wrapped_functionINS8_6system6detail7generic6detail18binary_search_lessEbEEEE10hipError_tPvRmT1_T2_T3_mmT4_T5_P12ihipStream_tbEUlRKtE_EEST_SX_SY_mSZ_S12_bEUlT_E_NS1_11comp_targetILNS1_3genE8ELNS1_11target_archE1030ELNS1_3gpuE2ELNS1_3repE0EEENS1_30default_config_static_selectorELNS0_4arch9wavefront6targetE0EEEvSW_, .Lfunc_end101-_ZN7rocprim17ROCPRIM_400000_NS6detail17trampoline_kernelINS0_14default_configENS1_27lower_bound_config_selectorItlEEZNS1_14transform_implILb0ES3_S5_N6thrust23THRUST_200600_302600_NS6detail15normal_iteratorINS8_7pointerItNS8_11hip_rocprim5par_tENS8_11use_defaultESE_EEEENSA_INSB_IlSD_SE_SE_EEEEZNS1_13binary_searchIS3_S5_PtSG_SI_NS1_21lower_bound_search_opENS9_16wrapped_functionINS8_6system6detail7generic6detail18binary_search_lessEbEEEE10hipError_tPvRmT1_T2_T3_mmT4_T5_P12ihipStream_tbEUlRKtE_EEST_SX_SY_mSZ_S12_bEUlT_E_NS1_11comp_targetILNS1_3genE8ELNS1_11target_archE1030ELNS1_3gpuE2ELNS1_3repE0EEENS1_30default_config_static_selectorELNS0_4arch9wavefront6targetE0EEEvSW_
                                        ; -- End function
	.set _ZN7rocprim17ROCPRIM_400000_NS6detail17trampoline_kernelINS0_14default_configENS1_27lower_bound_config_selectorItlEEZNS1_14transform_implILb0ES3_S5_N6thrust23THRUST_200600_302600_NS6detail15normal_iteratorINS8_7pointerItNS8_11hip_rocprim5par_tENS8_11use_defaultESE_EEEENSA_INSB_IlSD_SE_SE_EEEEZNS1_13binary_searchIS3_S5_PtSG_SI_NS1_21lower_bound_search_opENS9_16wrapped_functionINS8_6system6detail7generic6detail18binary_search_lessEbEEEE10hipError_tPvRmT1_T2_T3_mmT4_T5_P12ihipStream_tbEUlRKtE_EEST_SX_SY_mSZ_S12_bEUlT_E_NS1_11comp_targetILNS1_3genE8ELNS1_11target_archE1030ELNS1_3gpuE2ELNS1_3repE0EEENS1_30default_config_static_selectorELNS0_4arch9wavefront6targetE0EEEvSW_.num_vgpr, 17
	.set _ZN7rocprim17ROCPRIM_400000_NS6detail17trampoline_kernelINS0_14default_configENS1_27lower_bound_config_selectorItlEEZNS1_14transform_implILb0ES3_S5_N6thrust23THRUST_200600_302600_NS6detail15normal_iteratorINS8_7pointerItNS8_11hip_rocprim5par_tENS8_11use_defaultESE_EEEENSA_INSB_IlSD_SE_SE_EEEEZNS1_13binary_searchIS3_S5_PtSG_SI_NS1_21lower_bound_search_opENS9_16wrapped_functionINS8_6system6detail7generic6detail18binary_search_lessEbEEEE10hipError_tPvRmT1_T2_T3_mmT4_T5_P12ihipStream_tbEUlRKtE_EEST_SX_SY_mSZ_S12_bEUlT_E_NS1_11comp_targetILNS1_3genE8ELNS1_11target_archE1030ELNS1_3gpuE2ELNS1_3repE0EEENS1_30default_config_static_selectorELNS0_4arch9wavefront6targetE0EEEvSW_.num_agpr, 0
	.set _ZN7rocprim17ROCPRIM_400000_NS6detail17trampoline_kernelINS0_14default_configENS1_27lower_bound_config_selectorItlEEZNS1_14transform_implILb0ES3_S5_N6thrust23THRUST_200600_302600_NS6detail15normal_iteratorINS8_7pointerItNS8_11hip_rocprim5par_tENS8_11use_defaultESE_EEEENSA_INSB_IlSD_SE_SE_EEEEZNS1_13binary_searchIS3_S5_PtSG_SI_NS1_21lower_bound_search_opENS9_16wrapped_functionINS8_6system6detail7generic6detail18binary_search_lessEbEEEE10hipError_tPvRmT1_T2_T3_mmT4_T5_P12ihipStream_tbEUlRKtE_EEST_SX_SY_mSZ_S12_bEUlT_E_NS1_11comp_targetILNS1_3genE8ELNS1_11target_archE1030ELNS1_3gpuE2ELNS1_3repE0EEENS1_30default_config_static_selectorELNS0_4arch9wavefront6targetE0EEEvSW_.numbered_sgpr, 20
	.set _ZN7rocprim17ROCPRIM_400000_NS6detail17trampoline_kernelINS0_14default_configENS1_27lower_bound_config_selectorItlEEZNS1_14transform_implILb0ES3_S5_N6thrust23THRUST_200600_302600_NS6detail15normal_iteratorINS8_7pointerItNS8_11hip_rocprim5par_tENS8_11use_defaultESE_EEEENSA_INSB_IlSD_SE_SE_EEEEZNS1_13binary_searchIS3_S5_PtSG_SI_NS1_21lower_bound_search_opENS9_16wrapped_functionINS8_6system6detail7generic6detail18binary_search_lessEbEEEE10hipError_tPvRmT1_T2_T3_mmT4_T5_P12ihipStream_tbEUlRKtE_EEST_SX_SY_mSZ_S12_bEUlT_E_NS1_11comp_targetILNS1_3genE8ELNS1_11target_archE1030ELNS1_3gpuE2ELNS1_3repE0EEENS1_30default_config_static_selectorELNS0_4arch9wavefront6targetE0EEEvSW_.num_named_barrier, 0
	.set _ZN7rocprim17ROCPRIM_400000_NS6detail17trampoline_kernelINS0_14default_configENS1_27lower_bound_config_selectorItlEEZNS1_14transform_implILb0ES3_S5_N6thrust23THRUST_200600_302600_NS6detail15normal_iteratorINS8_7pointerItNS8_11hip_rocprim5par_tENS8_11use_defaultESE_EEEENSA_INSB_IlSD_SE_SE_EEEEZNS1_13binary_searchIS3_S5_PtSG_SI_NS1_21lower_bound_search_opENS9_16wrapped_functionINS8_6system6detail7generic6detail18binary_search_lessEbEEEE10hipError_tPvRmT1_T2_T3_mmT4_T5_P12ihipStream_tbEUlRKtE_EEST_SX_SY_mSZ_S12_bEUlT_E_NS1_11comp_targetILNS1_3genE8ELNS1_11target_archE1030ELNS1_3gpuE2ELNS1_3repE0EEENS1_30default_config_static_selectorELNS0_4arch9wavefront6targetE0EEEvSW_.private_seg_size, 0
	.set _ZN7rocprim17ROCPRIM_400000_NS6detail17trampoline_kernelINS0_14default_configENS1_27lower_bound_config_selectorItlEEZNS1_14transform_implILb0ES3_S5_N6thrust23THRUST_200600_302600_NS6detail15normal_iteratorINS8_7pointerItNS8_11hip_rocprim5par_tENS8_11use_defaultESE_EEEENSA_INSB_IlSD_SE_SE_EEEEZNS1_13binary_searchIS3_S5_PtSG_SI_NS1_21lower_bound_search_opENS9_16wrapped_functionINS8_6system6detail7generic6detail18binary_search_lessEbEEEE10hipError_tPvRmT1_T2_T3_mmT4_T5_P12ihipStream_tbEUlRKtE_EEST_SX_SY_mSZ_S12_bEUlT_E_NS1_11comp_targetILNS1_3genE8ELNS1_11target_archE1030ELNS1_3gpuE2ELNS1_3repE0EEENS1_30default_config_static_selectorELNS0_4arch9wavefront6targetE0EEEvSW_.uses_vcc, 1
	.set _ZN7rocprim17ROCPRIM_400000_NS6detail17trampoline_kernelINS0_14default_configENS1_27lower_bound_config_selectorItlEEZNS1_14transform_implILb0ES3_S5_N6thrust23THRUST_200600_302600_NS6detail15normal_iteratorINS8_7pointerItNS8_11hip_rocprim5par_tENS8_11use_defaultESE_EEEENSA_INSB_IlSD_SE_SE_EEEEZNS1_13binary_searchIS3_S5_PtSG_SI_NS1_21lower_bound_search_opENS9_16wrapped_functionINS8_6system6detail7generic6detail18binary_search_lessEbEEEE10hipError_tPvRmT1_T2_T3_mmT4_T5_P12ihipStream_tbEUlRKtE_EEST_SX_SY_mSZ_S12_bEUlT_E_NS1_11comp_targetILNS1_3genE8ELNS1_11target_archE1030ELNS1_3gpuE2ELNS1_3repE0EEENS1_30default_config_static_selectorELNS0_4arch9wavefront6targetE0EEEvSW_.uses_flat_scratch, 1
	.set _ZN7rocprim17ROCPRIM_400000_NS6detail17trampoline_kernelINS0_14default_configENS1_27lower_bound_config_selectorItlEEZNS1_14transform_implILb0ES3_S5_N6thrust23THRUST_200600_302600_NS6detail15normal_iteratorINS8_7pointerItNS8_11hip_rocprim5par_tENS8_11use_defaultESE_EEEENSA_INSB_IlSD_SE_SE_EEEEZNS1_13binary_searchIS3_S5_PtSG_SI_NS1_21lower_bound_search_opENS9_16wrapped_functionINS8_6system6detail7generic6detail18binary_search_lessEbEEEE10hipError_tPvRmT1_T2_T3_mmT4_T5_P12ihipStream_tbEUlRKtE_EEST_SX_SY_mSZ_S12_bEUlT_E_NS1_11comp_targetILNS1_3genE8ELNS1_11target_archE1030ELNS1_3gpuE2ELNS1_3repE0EEENS1_30default_config_static_selectorELNS0_4arch9wavefront6targetE0EEEvSW_.has_dyn_sized_stack, 0
	.set _ZN7rocprim17ROCPRIM_400000_NS6detail17trampoline_kernelINS0_14default_configENS1_27lower_bound_config_selectorItlEEZNS1_14transform_implILb0ES3_S5_N6thrust23THRUST_200600_302600_NS6detail15normal_iteratorINS8_7pointerItNS8_11hip_rocprim5par_tENS8_11use_defaultESE_EEEENSA_INSB_IlSD_SE_SE_EEEEZNS1_13binary_searchIS3_S5_PtSG_SI_NS1_21lower_bound_search_opENS9_16wrapped_functionINS8_6system6detail7generic6detail18binary_search_lessEbEEEE10hipError_tPvRmT1_T2_T3_mmT4_T5_P12ihipStream_tbEUlRKtE_EEST_SX_SY_mSZ_S12_bEUlT_E_NS1_11comp_targetILNS1_3genE8ELNS1_11target_archE1030ELNS1_3gpuE2ELNS1_3repE0EEENS1_30default_config_static_selectorELNS0_4arch9wavefront6targetE0EEEvSW_.has_recursion, 0
	.set _ZN7rocprim17ROCPRIM_400000_NS6detail17trampoline_kernelINS0_14default_configENS1_27lower_bound_config_selectorItlEEZNS1_14transform_implILb0ES3_S5_N6thrust23THRUST_200600_302600_NS6detail15normal_iteratorINS8_7pointerItNS8_11hip_rocprim5par_tENS8_11use_defaultESE_EEEENSA_INSB_IlSD_SE_SE_EEEEZNS1_13binary_searchIS3_S5_PtSG_SI_NS1_21lower_bound_search_opENS9_16wrapped_functionINS8_6system6detail7generic6detail18binary_search_lessEbEEEE10hipError_tPvRmT1_T2_T3_mmT4_T5_P12ihipStream_tbEUlRKtE_EEST_SX_SY_mSZ_S12_bEUlT_E_NS1_11comp_targetILNS1_3genE8ELNS1_11target_archE1030ELNS1_3gpuE2ELNS1_3repE0EEENS1_30default_config_static_selectorELNS0_4arch9wavefront6targetE0EEEvSW_.has_indirect_call, 0
	.section	.AMDGPU.csdata,"",@progbits
; Kernel info:
; codeLenInByte = 2672
; TotalNumSgprs: 22
; NumVgprs: 17
; ScratchSize: 0
; MemoryBound: 0
; FloatMode: 240
; IeeeMode: 1
; LDSByteSize: 0 bytes/workgroup (compile time only)
; SGPRBlocks: 0
; VGPRBlocks: 2
; NumSGPRsForWavesPerEU: 22
; NumVGPRsForWavesPerEU: 17
; Occupancy: 16
; WaveLimiterHint : 1
; COMPUTE_PGM_RSRC2:SCRATCH_EN: 0
; COMPUTE_PGM_RSRC2:USER_SGPR: 6
; COMPUTE_PGM_RSRC2:TRAP_HANDLER: 0
; COMPUTE_PGM_RSRC2:TGID_X_EN: 1
; COMPUTE_PGM_RSRC2:TGID_Y_EN: 0
; COMPUTE_PGM_RSRC2:TGID_Z_EN: 0
; COMPUTE_PGM_RSRC2:TIDIG_COMP_CNT: 0
	.section	.text._ZN6thrust23THRUST_200600_302600_NS11hip_rocprim14__parallel_for6kernelILj256ENS1_20__uninitialized_fill7functorINS0_10device_ptrIxEExEEmLj1EEEvT0_T1_SA_,"axG",@progbits,_ZN6thrust23THRUST_200600_302600_NS11hip_rocprim14__parallel_for6kernelILj256ENS1_20__uninitialized_fill7functorINS0_10device_ptrIxEExEEmLj1EEEvT0_T1_SA_,comdat
	.protected	_ZN6thrust23THRUST_200600_302600_NS11hip_rocprim14__parallel_for6kernelILj256ENS1_20__uninitialized_fill7functorINS0_10device_ptrIxEExEEmLj1EEEvT0_T1_SA_ ; -- Begin function _ZN6thrust23THRUST_200600_302600_NS11hip_rocprim14__parallel_for6kernelILj256ENS1_20__uninitialized_fill7functorINS0_10device_ptrIxEExEEmLj1EEEvT0_T1_SA_
	.globl	_ZN6thrust23THRUST_200600_302600_NS11hip_rocprim14__parallel_for6kernelILj256ENS1_20__uninitialized_fill7functorINS0_10device_ptrIxEExEEmLj1EEEvT0_T1_SA_
	.p2align	8
	.type	_ZN6thrust23THRUST_200600_302600_NS11hip_rocprim14__parallel_for6kernelILj256ENS1_20__uninitialized_fill7functorINS0_10device_ptrIxEExEEmLj1EEEvT0_T1_SA_,@function
_ZN6thrust23THRUST_200600_302600_NS11hip_rocprim14__parallel_for6kernelILj256ENS1_20__uninitialized_fill7functorINS0_10device_ptrIxEExEEmLj1EEEvT0_T1_SA_: ; @_ZN6thrust23THRUST_200600_302600_NS11hip_rocprim14__parallel_for6kernelILj256ENS1_20__uninitialized_fill7functorINS0_10device_ptrIxEExEEmLj1EEEvT0_T1_SA_
; %bb.0:
	s_load_dwordx8 s[8:15], s[4:5], 0x0
	s_lshl_b32 s0, s6, 8
	s_waitcnt lgkmcnt(0)
	s_add_u32 s0, s14, s0
	s_addc_u32 s1, s15, 0
	s_sub_u32 s2, s12, s0
	s_subb_u32 s3, s13, s1
	v_cmp_lt_u64_e64 s3, 0xff, s[2:3]
	s_and_b32 vcc_lo, exec_lo, s3
	s_mov_b32 s3, -1
	s_cbranch_vccz .LBB102_3
; %bb.1:
	s_andn2_b32 vcc_lo, exec_lo, s3
	s_cbranch_vccz .LBB102_6
.LBB102_2:
	s_endpgm
.LBB102_3:
	v_cmp_gt_u32_e32 vcc_lo, s2, v0
	s_and_saveexec_b32 s2, vcc_lo
	s_cbranch_execz .LBB102_5
; %bb.4:
	v_lshlrev_b32_e32 v1, 3, v0
	s_lshl_b64 s[4:5], s[0:1], 3
	v_mov_b32_e32 v3, s10
	s_add_u32 s3, s8, s4
	s_addc_u32 s4, s9, s5
	v_add_co_u32 v1, s3, s3, v1
	v_add_co_ci_u32_e64 v2, null, s4, 0, s3
	v_mov_b32_e32 v4, s11
	flat_store_dwordx2 v[1:2], v[3:4]
.LBB102_5:
	s_or_b32 exec_lo, exec_lo, s2
	s_cbranch_execnz .LBB102_2
.LBB102_6:
	v_lshlrev_b32_e32 v0, 3, v0
	s_lshl_b64 s[0:1], s[0:1], 3
	v_mov_b32_e32 v2, s10
	s_add_u32 s0, s8, s0
	s_addc_u32 s1, s9, s1
	v_add_co_u32 v0, s0, s0, v0
	v_add_co_ci_u32_e64 v1, null, s1, 0, s0
	v_mov_b32_e32 v3, s11
	flat_store_dwordx2 v[0:1], v[2:3]
	s_endpgm
	.section	.rodata,"a",@progbits
	.p2align	6, 0x0
	.amdhsa_kernel _ZN6thrust23THRUST_200600_302600_NS11hip_rocprim14__parallel_for6kernelILj256ENS1_20__uninitialized_fill7functorINS0_10device_ptrIxEExEEmLj1EEEvT0_T1_SA_
		.amdhsa_group_segment_fixed_size 0
		.amdhsa_private_segment_fixed_size 0
		.amdhsa_kernarg_size 32
		.amdhsa_user_sgpr_count 6
		.amdhsa_user_sgpr_private_segment_buffer 1
		.amdhsa_user_sgpr_dispatch_ptr 0
		.amdhsa_user_sgpr_queue_ptr 0
		.amdhsa_user_sgpr_kernarg_segment_ptr 1
		.amdhsa_user_sgpr_dispatch_id 0
		.amdhsa_user_sgpr_flat_scratch_init 0
		.amdhsa_user_sgpr_private_segment_size 0
		.amdhsa_wavefront_size32 1
		.amdhsa_uses_dynamic_stack 0
		.amdhsa_system_sgpr_private_segment_wavefront_offset 0
		.amdhsa_system_sgpr_workgroup_id_x 1
		.amdhsa_system_sgpr_workgroup_id_y 0
		.amdhsa_system_sgpr_workgroup_id_z 0
		.amdhsa_system_sgpr_workgroup_info 0
		.amdhsa_system_vgpr_workitem_id 0
		.amdhsa_next_free_vgpr 5
		.amdhsa_next_free_sgpr 16
		.amdhsa_reserve_vcc 1
		.amdhsa_reserve_flat_scratch 0
		.amdhsa_float_round_mode_32 0
		.amdhsa_float_round_mode_16_64 0
		.amdhsa_float_denorm_mode_32 3
		.amdhsa_float_denorm_mode_16_64 3
		.amdhsa_dx10_clamp 1
		.amdhsa_ieee_mode 1
		.amdhsa_fp16_overflow 0
		.amdhsa_workgroup_processor_mode 1
		.amdhsa_memory_ordered 1
		.amdhsa_forward_progress 1
		.amdhsa_shared_vgpr_count 0
		.amdhsa_exception_fp_ieee_invalid_op 0
		.amdhsa_exception_fp_denorm_src 0
		.amdhsa_exception_fp_ieee_div_zero 0
		.amdhsa_exception_fp_ieee_overflow 0
		.amdhsa_exception_fp_ieee_underflow 0
		.amdhsa_exception_fp_ieee_inexact 0
		.amdhsa_exception_int_div_zero 0
	.end_amdhsa_kernel
	.section	.text._ZN6thrust23THRUST_200600_302600_NS11hip_rocprim14__parallel_for6kernelILj256ENS1_20__uninitialized_fill7functorINS0_10device_ptrIxEExEEmLj1EEEvT0_T1_SA_,"axG",@progbits,_ZN6thrust23THRUST_200600_302600_NS11hip_rocprim14__parallel_for6kernelILj256ENS1_20__uninitialized_fill7functorINS0_10device_ptrIxEExEEmLj1EEEvT0_T1_SA_,comdat
.Lfunc_end102:
	.size	_ZN6thrust23THRUST_200600_302600_NS11hip_rocprim14__parallel_for6kernelILj256ENS1_20__uninitialized_fill7functorINS0_10device_ptrIxEExEEmLj1EEEvT0_T1_SA_, .Lfunc_end102-_ZN6thrust23THRUST_200600_302600_NS11hip_rocprim14__parallel_for6kernelILj256ENS1_20__uninitialized_fill7functorINS0_10device_ptrIxEExEEmLj1EEEvT0_T1_SA_
                                        ; -- End function
	.set _ZN6thrust23THRUST_200600_302600_NS11hip_rocprim14__parallel_for6kernelILj256ENS1_20__uninitialized_fill7functorINS0_10device_ptrIxEExEEmLj1EEEvT0_T1_SA_.num_vgpr, 5
	.set _ZN6thrust23THRUST_200600_302600_NS11hip_rocprim14__parallel_for6kernelILj256ENS1_20__uninitialized_fill7functorINS0_10device_ptrIxEExEEmLj1EEEvT0_T1_SA_.num_agpr, 0
	.set _ZN6thrust23THRUST_200600_302600_NS11hip_rocprim14__parallel_for6kernelILj256ENS1_20__uninitialized_fill7functorINS0_10device_ptrIxEExEEmLj1EEEvT0_T1_SA_.numbered_sgpr, 16
	.set _ZN6thrust23THRUST_200600_302600_NS11hip_rocprim14__parallel_for6kernelILj256ENS1_20__uninitialized_fill7functorINS0_10device_ptrIxEExEEmLj1EEEvT0_T1_SA_.num_named_barrier, 0
	.set _ZN6thrust23THRUST_200600_302600_NS11hip_rocprim14__parallel_for6kernelILj256ENS1_20__uninitialized_fill7functorINS0_10device_ptrIxEExEEmLj1EEEvT0_T1_SA_.private_seg_size, 0
	.set _ZN6thrust23THRUST_200600_302600_NS11hip_rocprim14__parallel_for6kernelILj256ENS1_20__uninitialized_fill7functorINS0_10device_ptrIxEExEEmLj1EEEvT0_T1_SA_.uses_vcc, 1
	.set _ZN6thrust23THRUST_200600_302600_NS11hip_rocprim14__parallel_for6kernelILj256ENS1_20__uninitialized_fill7functorINS0_10device_ptrIxEExEEmLj1EEEvT0_T1_SA_.uses_flat_scratch, 0
	.set _ZN6thrust23THRUST_200600_302600_NS11hip_rocprim14__parallel_for6kernelILj256ENS1_20__uninitialized_fill7functorINS0_10device_ptrIxEExEEmLj1EEEvT0_T1_SA_.has_dyn_sized_stack, 0
	.set _ZN6thrust23THRUST_200600_302600_NS11hip_rocprim14__parallel_for6kernelILj256ENS1_20__uninitialized_fill7functorINS0_10device_ptrIxEExEEmLj1EEEvT0_T1_SA_.has_recursion, 0
	.set _ZN6thrust23THRUST_200600_302600_NS11hip_rocprim14__parallel_for6kernelILj256ENS1_20__uninitialized_fill7functorINS0_10device_ptrIxEExEEmLj1EEEvT0_T1_SA_.has_indirect_call, 0
	.section	.AMDGPU.csdata,"",@progbits
; Kernel info:
; codeLenInByte = 188
; TotalNumSgprs: 18
; NumVgprs: 5
; ScratchSize: 0
; MemoryBound: 0
; FloatMode: 240
; IeeeMode: 1
; LDSByteSize: 0 bytes/workgroup (compile time only)
; SGPRBlocks: 0
; VGPRBlocks: 0
; NumSGPRsForWavesPerEU: 18
; NumVGPRsForWavesPerEU: 5
; Occupancy: 16
; WaveLimiterHint : 0
; COMPUTE_PGM_RSRC2:SCRATCH_EN: 0
; COMPUTE_PGM_RSRC2:USER_SGPR: 6
; COMPUTE_PGM_RSRC2:TRAP_HANDLER: 0
; COMPUTE_PGM_RSRC2:TGID_X_EN: 1
; COMPUTE_PGM_RSRC2:TGID_Y_EN: 0
; COMPUTE_PGM_RSRC2:TGID_Z_EN: 0
; COMPUTE_PGM_RSRC2:TIDIG_COMP_CNT: 0
	.section	.text._Z18lower_bound_kernelIxEvmPT_Pl,"axG",@progbits,_Z18lower_bound_kernelIxEvmPT_Pl,comdat
	.protected	_Z18lower_bound_kernelIxEvmPT_Pl ; -- Begin function _Z18lower_bound_kernelIxEvmPT_Pl
	.globl	_Z18lower_bound_kernelIxEvmPT_Pl
	.p2align	8
	.type	_Z18lower_bound_kernelIxEvmPT_Pl,@function
_Z18lower_bound_kernelIxEvmPT_Pl:       ; @_Z18lower_bound_kernelIxEvmPT_Pl
; %bb.0:
	s_clause 0x1
	s_load_dwordx4 s[0:3], s[4:5], 0x0
	s_load_dwordx2 s[4:5], s[4:5], 0x10
	s_waitcnt lgkmcnt(0)
	s_lshl_b64 s[0:1], s[0:1], 3
	s_add_u32 s0, s2, s0
	s_addc_u32 s1, s3, s1
	s_sub_u32 s0, s0, s2
	s_subb_u32 s1, s1, s3
	s_ashr_i64 s[6:7], s[0:1], 3
	s_mov_b32 s1, -1
	v_cmp_lt_i64_e64 s0, s[6:7], 1
	s_and_b32 s0, exec_lo, s0
	s_mov_b32 vcc_lo, s0
	s_cbranch_vccz .LBB103_2
; %bb.1:
	v_mov_b32_e32 v0, 0
	s_mov_b32 s1, 0
	v_mov_b32_e32 v1, v0
	global_store_dwordx2 v0, v[0:1], s[4:5]
.LBB103_2:
	s_andn2_b32 vcc_lo, exec_lo, s1
	s_mov_b64 s[8:9], 0
	s_cbranch_vccnz .LBB103_7
; %bb.3:
	s_mov_b64 s[10:11], s[6:7]
	.p2align	6
.LBB103_4:                              ; =>This Inner Loop Header: Depth=1
	s_sub_u32 s12, s10, s8
	s_subb_u32 s13, s11, s9
	s_lshr_b64 s[12:13], s[12:13], 1
	s_add_u32 s12, s12, s8
	s_addc_u32 s13, s13, s9
	s_lshl_b64 s[14:15], s[12:13], 3
	s_add_u32 s14, s2, s14
	s_addc_u32 s15, s3, s15
	s_load_dwordx2 s[14:15], s[14:15], 0x0
	s_waitcnt lgkmcnt(0)
	v_cmp_lt_i64_e64 s1, s[14:15], 0
	s_add_u32 s14, s12, 1
	s_addc_u32 s15, s13, 0
	s_and_b32 s1, s1, exec_lo
	s_cselect_b32 s9, s15, s9
	s_cselect_b32 s8, s14, s8
	;; [unrolled: 1-line block ×4, first 2 shown]
	v_cmp_lt_i64_e64 s1, s[8:9], s[10:11]
	s_and_b32 vcc_lo, exec_lo, s1
	s_cbranch_vccnz .LBB103_4
; %bb.5:
	s_lshl_b64 s[8:9], s[8:9], 3
	v_mov_b32_e32 v2, 0
	s_add_u32 s1, s2, s8
	s_addc_u32 s9, s3, s9
	s_sub_u32 s8, s1, s2
	s_subb_u32 s9, s9, s3
	s_mov_b64 s[10:11], s[6:7]
	s_ashr_i64 s[8:9], s[8:9], 3
	v_mov_b32_e32 v0, s8
	v_mov_b32_e32 v1, s9
	s_mov_b64 s[8:9], 0
	global_store_dwordx2 v2, v[0:1], s[4:5]
	.p2align	6
.LBB103_6:                              ; =>This Inner Loop Header: Depth=1
	s_sub_u32 s12, s10, s8
	s_subb_u32 s13, s11, s9
	s_lshr_b64 s[12:13], s[12:13], 1
	s_add_u32 s12, s12, s8
	s_addc_u32 s13, s13, s9
	s_lshl_b64 s[14:15], s[12:13], 3
	s_add_u32 s14, s2, s14
	s_addc_u32 s15, s3, s15
	s_load_dwordx2 s[14:15], s[14:15], 0x0
	s_waitcnt lgkmcnt(0)
	v_cmp_lt_i64_e64 s1, s[14:15], 1
	s_add_u32 s14, s12, 1
	s_addc_u32 s15, s13, 0
	s_and_b32 s1, s1, exec_lo
	s_cselect_b32 s9, s15, s9
	s_cselect_b32 s8, s14, s8
	;; [unrolled: 1-line block ×4, first 2 shown]
	v_cmp_ge_i64_e64 s1, s[8:9], s[10:11]
	s_and_b32 vcc_lo, exec_lo, s1
	s_cbranch_vccz .LBB103_6
.LBB103_7:
	s_lshl_b64 s[8:9], s[8:9], 3
	v_mov_b32_e32 v0, 0
	s_add_u32 s1, s2, s8
	s_addc_u32 s9, s3, s9
	s_sub_u32 s8, s1, s2
	s_subb_u32 s9, s9, s3
	s_mov_b32 s1, -1
	s_ashr_i64 s[8:9], s[8:9], 3
	s_mov_b32 vcc_lo, s0
	v_mov_b32_e32 v1, s8
	v_mov_b32_e32 v2, s9
	global_store_dwordx2 v0, v[1:2], s[4:5] offset:8
	s_cbranch_vccz .LBB103_9
; %bb.8:
	v_mov_b32_e32 v1, v0
	s_mov_b32 s1, 0
	global_store_dwordx2 v0, v[0:1], s[4:5] offset:16
.LBB103_9:
	s_andn2_b32 vcc_lo, exec_lo, s1
	s_mov_b64 s[8:9], 0
	s_cbranch_vccnz .LBB103_14
; %bb.10:
	s_mov_b64 s[10:11], s[6:7]
	.p2align	6
.LBB103_11:                             ; =>This Inner Loop Header: Depth=1
	s_sub_u32 s12, s10, s8
	s_subb_u32 s13, s11, s9
	s_lshr_b64 s[12:13], s[12:13], 1
	s_add_u32 s12, s12, s8
	s_addc_u32 s13, s13, s9
	s_lshl_b64 s[14:15], s[12:13], 3
	s_add_u32 s14, s2, s14
	s_addc_u32 s15, s3, s15
	s_load_dwordx2 s[14:15], s[14:15], 0x0
	s_waitcnt lgkmcnt(0)
	v_cmp_lt_i64_e64 s1, s[14:15], 2
	s_add_u32 s14, s12, 1
	s_addc_u32 s15, s13, 0
	s_and_b32 s1, s1, exec_lo
	s_cselect_b32 s9, s15, s9
	s_cselect_b32 s8, s14, s8
	;; [unrolled: 1-line block ×4, first 2 shown]
	v_cmp_lt_i64_e64 s1, s[8:9], s[10:11]
	s_and_b32 vcc_lo, exec_lo, s1
	s_cbranch_vccnz .LBB103_11
; %bb.12:
	s_lshl_b64 s[8:9], s[8:9], 3
	v_mov_b32_e32 v2, 0
	s_add_u32 s1, s2, s8
	s_addc_u32 s9, s3, s9
	s_sub_u32 s8, s1, s2
	s_subb_u32 s9, s9, s3
	s_mov_b64 s[10:11], s[6:7]
	s_ashr_i64 s[8:9], s[8:9], 3
	v_mov_b32_e32 v0, s8
	v_mov_b32_e32 v1, s9
	s_mov_b64 s[8:9], 0
	global_store_dwordx2 v2, v[0:1], s[4:5] offset:16
	.p2align	6
.LBB103_13:                             ; =>This Inner Loop Header: Depth=1
	s_sub_u32 s12, s10, s8
	s_subb_u32 s13, s11, s9
	s_lshr_b64 s[12:13], s[12:13], 1
	s_add_u32 s12, s12, s8
	s_addc_u32 s13, s13, s9
	s_lshl_b64 s[14:15], s[12:13], 3
	s_add_u32 s14, s2, s14
	s_addc_u32 s15, s3, s15
	s_load_dwordx2 s[14:15], s[14:15], 0x0
	s_waitcnt lgkmcnt(0)
	v_cmp_lt_i64_e64 s1, s[14:15], 3
	s_add_u32 s14, s12, 1
	s_addc_u32 s15, s13, 0
	s_and_b32 s1, s1, exec_lo
	s_cselect_b32 s9, s15, s9
	s_cselect_b32 s8, s14, s8
	s_cselect_b32 s11, s11, s13
	s_cselect_b32 s10, s10, s12
	v_cmp_ge_i64_e64 s1, s[8:9], s[10:11]
	s_and_b32 vcc_lo, exec_lo, s1
	s_cbranch_vccz .LBB103_13
.LBB103_14:
	s_lshl_b64 s[8:9], s[8:9], 3
	v_mov_b32_e32 v0, 0
	s_add_u32 s1, s2, s8
	s_addc_u32 s9, s3, s9
	s_sub_u32 s8, s1, s2
	s_subb_u32 s9, s9, s3
	s_mov_b32 s1, -1
	s_ashr_i64 s[8:9], s[8:9], 3
	s_mov_b32 vcc_lo, s0
	v_mov_b32_e32 v1, s8
	v_mov_b32_e32 v2, s9
	global_store_dwordx2 v0, v[1:2], s[4:5] offset:24
	s_cbranch_vccz .LBB103_16
; %bb.15:
	v_mov_b32_e32 v1, v0
	s_mov_b32 s1, 0
	global_store_dwordx2 v0, v[0:1], s[4:5] offset:32
.LBB103_16:
	s_andn2_b32 vcc_lo, exec_lo, s1
	s_mov_b64 s[8:9], 0
	s_cbranch_vccnz .LBB103_21
; %bb.17:
	s_mov_b64 s[10:11], s[6:7]
	.p2align	6
.LBB103_18:                             ; =>This Inner Loop Header: Depth=1
	s_sub_u32 s12, s10, s8
	s_subb_u32 s13, s11, s9
	s_lshr_b64 s[12:13], s[12:13], 1
	s_add_u32 s12, s12, s8
	s_addc_u32 s13, s13, s9
	s_lshl_b64 s[14:15], s[12:13], 3
	s_add_u32 s14, s2, s14
	s_addc_u32 s15, s3, s15
	s_load_dwordx2 s[14:15], s[14:15], 0x0
	s_waitcnt lgkmcnt(0)
	v_cmp_lt_i64_e64 s1, s[14:15], 4
	s_add_u32 s14, s12, 1
	s_addc_u32 s15, s13, 0
	s_and_b32 s1, s1, exec_lo
	s_cselect_b32 s9, s15, s9
	s_cselect_b32 s8, s14, s8
	;; [unrolled: 1-line block ×4, first 2 shown]
	v_cmp_lt_i64_e64 s1, s[8:9], s[10:11]
	s_and_b32 vcc_lo, exec_lo, s1
	s_cbranch_vccnz .LBB103_18
; %bb.19:
	s_lshl_b64 s[8:9], s[8:9], 3
	v_mov_b32_e32 v2, 0
	s_add_u32 s1, s2, s8
	s_addc_u32 s9, s3, s9
	s_sub_u32 s8, s1, s2
	s_subb_u32 s9, s9, s3
	s_mov_b64 s[10:11], s[6:7]
	s_ashr_i64 s[8:9], s[8:9], 3
	v_mov_b32_e32 v0, s8
	v_mov_b32_e32 v1, s9
	s_mov_b64 s[8:9], 0
	global_store_dwordx2 v2, v[0:1], s[4:5] offset:32
	.p2align	6
.LBB103_20:                             ; =>This Inner Loop Header: Depth=1
	s_sub_u32 s12, s10, s8
	s_subb_u32 s13, s11, s9
	s_lshr_b64 s[12:13], s[12:13], 1
	s_add_u32 s12, s12, s8
	s_addc_u32 s13, s13, s9
	s_lshl_b64 s[14:15], s[12:13], 3
	s_add_u32 s14, s2, s14
	s_addc_u32 s15, s3, s15
	s_load_dwordx2 s[14:15], s[14:15], 0x0
	s_waitcnt lgkmcnt(0)
	v_cmp_lt_i64_e64 s1, s[14:15], 5
	s_add_u32 s14, s12, 1
	s_addc_u32 s15, s13, 0
	s_and_b32 s1, s1, exec_lo
	s_cselect_b32 s9, s15, s9
	s_cselect_b32 s8, s14, s8
	;; [unrolled: 1-line block ×4, first 2 shown]
	v_cmp_ge_i64_e64 s1, s[8:9], s[10:11]
	s_and_b32 vcc_lo, exec_lo, s1
	s_cbranch_vccz .LBB103_20
.LBB103_21:
	s_lshl_b64 s[8:9], s[8:9], 3
	v_mov_b32_e32 v0, 0
	s_add_u32 s1, s2, s8
	s_addc_u32 s9, s3, s9
	s_sub_u32 s8, s1, s2
	s_subb_u32 s9, s9, s3
	s_mov_b32 s1, -1
	s_ashr_i64 s[8:9], s[8:9], 3
	s_mov_b32 vcc_lo, s0
	v_mov_b32_e32 v1, s8
	v_mov_b32_e32 v2, s9
	global_store_dwordx2 v0, v[1:2], s[4:5] offset:40
	s_cbranch_vccz .LBB103_23
; %bb.22:
	v_mov_b32_e32 v1, v0
	s_mov_b32 s1, 0
	global_store_dwordx2 v0, v[0:1], s[4:5] offset:48
.LBB103_23:
	s_andn2_b32 vcc_lo, exec_lo, s1
	s_mov_b64 s[8:9], 0
	s_cbranch_vccnz .LBB103_28
; %bb.24:
	s_mov_b64 s[10:11], s[6:7]
	.p2align	6
.LBB103_25:                             ; =>This Inner Loop Header: Depth=1
	s_sub_u32 s12, s10, s8
	s_subb_u32 s13, s11, s9
	s_lshr_b64 s[12:13], s[12:13], 1
	s_add_u32 s12, s12, s8
	s_addc_u32 s13, s13, s9
	s_lshl_b64 s[14:15], s[12:13], 3
	s_add_u32 s14, s2, s14
	s_addc_u32 s15, s3, s15
	s_load_dwordx2 s[14:15], s[14:15], 0x0
	s_waitcnt lgkmcnt(0)
	v_cmp_lt_i64_e64 s1, s[14:15], 6
	s_add_u32 s14, s12, 1
	s_addc_u32 s15, s13, 0
	s_and_b32 s1, s1, exec_lo
	s_cselect_b32 s9, s15, s9
	s_cselect_b32 s8, s14, s8
	;; [unrolled: 1-line block ×4, first 2 shown]
	v_cmp_lt_i64_e64 s1, s[8:9], s[10:11]
	s_and_b32 vcc_lo, exec_lo, s1
	s_cbranch_vccnz .LBB103_25
; %bb.26:
	s_lshl_b64 s[8:9], s[8:9], 3
	v_mov_b32_e32 v2, 0
	s_add_u32 s1, s2, s8
	s_addc_u32 s9, s3, s9
	s_sub_u32 s8, s1, s2
	s_subb_u32 s9, s9, s3
	s_mov_b64 s[10:11], s[6:7]
	s_ashr_i64 s[8:9], s[8:9], 3
	v_mov_b32_e32 v0, s8
	v_mov_b32_e32 v1, s9
	s_mov_b64 s[8:9], 0
	global_store_dwordx2 v2, v[0:1], s[4:5] offset:48
	.p2align	6
.LBB103_27:                             ; =>This Inner Loop Header: Depth=1
	s_sub_u32 s12, s10, s8
	s_subb_u32 s13, s11, s9
	s_lshr_b64 s[12:13], s[12:13], 1
	s_add_u32 s12, s12, s8
	s_addc_u32 s13, s13, s9
	s_lshl_b64 s[14:15], s[12:13], 3
	s_add_u32 s14, s2, s14
	s_addc_u32 s15, s3, s15
	s_load_dwordx2 s[14:15], s[14:15], 0x0
	s_waitcnt lgkmcnt(0)
	v_cmp_lt_i64_e64 s1, s[14:15], 7
	s_add_u32 s14, s12, 1
	s_addc_u32 s15, s13, 0
	s_and_b32 s1, s1, exec_lo
	s_cselect_b32 s9, s15, s9
	s_cselect_b32 s8, s14, s8
	;; [unrolled: 1-line block ×4, first 2 shown]
	v_cmp_ge_i64_e64 s1, s[8:9], s[10:11]
	s_and_b32 vcc_lo, exec_lo, s1
	s_cbranch_vccz .LBB103_27
.LBB103_28:
	s_lshl_b64 s[8:9], s[8:9], 3
	v_mov_b32_e32 v0, 0
	s_add_u32 s1, s2, s8
	s_addc_u32 s9, s3, s9
	s_sub_u32 s8, s1, s2
	s_subb_u32 s9, s9, s3
	s_mov_b32 s1, -1
	s_ashr_i64 s[8:9], s[8:9], 3
	s_mov_b32 vcc_lo, s0
	v_mov_b32_e32 v1, s8
	v_mov_b32_e32 v2, s9
	global_store_dwordx2 v0, v[1:2], s[4:5] offset:56
	s_cbranch_vccz .LBB103_30
; %bb.29:
	v_mov_b32_e32 v1, v0
	s_mov_b32 s1, 0
	global_store_dwordx2 v0, v[0:1], s[4:5] offset:64
.LBB103_30:
	s_andn2_b32 vcc_lo, exec_lo, s1
	s_mov_b64 s[0:1], 0
	s_cbranch_vccnz .LBB103_35
; %bb.31:
	s_mov_b64 s[8:9], s[6:7]
	.p2align	6
.LBB103_32:                             ; =>This Inner Loop Header: Depth=1
	s_sub_u32 s10, s8, s0
	s_subb_u32 s11, s9, s1
	s_lshr_b64 s[10:11], s[10:11], 1
	s_add_u32 s10, s10, s0
	s_addc_u32 s11, s11, s1
	s_lshl_b64 s[12:13], s[10:11], 3
	s_add_u32 s12, s2, s12
	s_addc_u32 s13, s3, s13
	s_load_dwordx2 s[12:13], s[12:13], 0x0
	s_waitcnt lgkmcnt(0)
	v_cmp_lt_i64_e64 s12, s[12:13], 8
	s_add_u32 s13, s10, 1
	s_addc_u32 s14, s11, 0
	s_and_b32 s12, s12, exec_lo
	s_cselect_b32 s1, s14, s1
	s_cselect_b32 s0, s13, s0
	;; [unrolled: 1-line block ×4, first 2 shown]
	v_cmp_lt_i64_e64 s10, s[0:1], s[8:9]
	s_and_b32 vcc_lo, exec_lo, s10
	s_cbranch_vccnz .LBB103_32
; %bb.33:
	s_lshl_b64 s[0:1], s[0:1], 3
	v_mov_b32_e32 v2, 0
	s_add_u32 s0, s2, s0
	s_addc_u32 s1, s3, s1
	s_sub_u32 s0, s0, s2
	s_subb_u32 s1, s1, s3
	s_ashr_i64 s[0:1], s[0:1], 3
	v_mov_b32_e32 v0, s0
	v_mov_b32_e32 v1, s1
	s_mov_b64 s[0:1], 0
	global_store_dwordx2 v2, v[0:1], s[4:5] offset:64
	.p2align	6
.LBB103_34:                             ; =>This Inner Loop Header: Depth=1
	s_sub_u32 s8, s6, s0
	s_subb_u32 s9, s7, s1
	s_lshr_b64 s[8:9], s[8:9], 1
	s_add_u32 s8, s8, s0
	s_addc_u32 s9, s9, s1
	s_lshl_b64 s[10:11], s[8:9], 3
	s_add_u32 s10, s2, s10
	s_addc_u32 s11, s3, s11
	s_load_dwordx2 s[10:11], s[10:11], 0x0
	s_waitcnt lgkmcnt(0)
	v_cmp_lt_i64_e64 s10, s[10:11], 9
	s_add_u32 s11, s8, 1
	s_addc_u32 s12, s9, 0
	s_and_b32 s10, s10, exec_lo
	s_cselect_b32 s1, s12, s1
	s_cselect_b32 s0, s11, s0
	;; [unrolled: 1-line block ×4, first 2 shown]
	v_cmp_ge_i64_e64 s8, s[0:1], s[6:7]
	s_and_b32 vcc_lo, exec_lo, s8
	s_cbranch_vccz .LBB103_34
.LBB103_35:
	s_lshl_b64 s[0:1], s[0:1], 3
	v_mov_b32_e32 v2, 0
	s_add_u32 s0, s2, s0
	s_addc_u32 s1, s3, s1
	s_sub_u32 s0, s0, s2
	s_subb_u32 s1, s1, s3
	s_ashr_i64 s[0:1], s[0:1], 3
	v_mov_b32_e32 v0, s0
	v_mov_b32_e32 v1, s1
	global_store_dwordx2 v2, v[0:1], s[4:5] offset:72
	s_endpgm
	.section	.rodata,"a",@progbits
	.p2align	6, 0x0
	.amdhsa_kernel _Z18lower_bound_kernelIxEvmPT_Pl
		.amdhsa_group_segment_fixed_size 0
		.amdhsa_private_segment_fixed_size 0
		.amdhsa_kernarg_size 24
		.amdhsa_user_sgpr_count 6
		.amdhsa_user_sgpr_private_segment_buffer 1
		.amdhsa_user_sgpr_dispatch_ptr 0
		.amdhsa_user_sgpr_queue_ptr 0
		.amdhsa_user_sgpr_kernarg_segment_ptr 1
		.amdhsa_user_sgpr_dispatch_id 0
		.amdhsa_user_sgpr_flat_scratch_init 0
		.amdhsa_user_sgpr_private_segment_size 0
		.amdhsa_wavefront_size32 1
		.amdhsa_uses_dynamic_stack 0
		.amdhsa_system_sgpr_private_segment_wavefront_offset 0
		.amdhsa_system_sgpr_workgroup_id_x 1
		.amdhsa_system_sgpr_workgroup_id_y 0
		.amdhsa_system_sgpr_workgroup_id_z 0
		.amdhsa_system_sgpr_workgroup_info 0
		.amdhsa_system_vgpr_workitem_id 0
		.amdhsa_next_free_vgpr 3
		.amdhsa_next_free_sgpr 16
		.amdhsa_reserve_vcc 1
		.amdhsa_reserve_flat_scratch 0
		.amdhsa_float_round_mode_32 0
		.amdhsa_float_round_mode_16_64 0
		.amdhsa_float_denorm_mode_32 3
		.amdhsa_float_denorm_mode_16_64 3
		.amdhsa_dx10_clamp 1
		.amdhsa_ieee_mode 1
		.amdhsa_fp16_overflow 0
		.amdhsa_workgroup_processor_mode 1
		.amdhsa_memory_ordered 1
		.amdhsa_forward_progress 1
		.amdhsa_shared_vgpr_count 0
		.amdhsa_exception_fp_ieee_invalid_op 0
		.amdhsa_exception_fp_denorm_src 0
		.amdhsa_exception_fp_ieee_div_zero 0
		.amdhsa_exception_fp_ieee_overflow 0
		.amdhsa_exception_fp_ieee_underflow 0
		.amdhsa_exception_fp_ieee_inexact 0
		.amdhsa_exception_int_div_zero 0
	.end_amdhsa_kernel
	.section	.text._Z18lower_bound_kernelIxEvmPT_Pl,"axG",@progbits,_Z18lower_bound_kernelIxEvmPT_Pl,comdat
.Lfunc_end103:
	.size	_Z18lower_bound_kernelIxEvmPT_Pl, .Lfunc_end103-_Z18lower_bound_kernelIxEvmPT_Pl
                                        ; -- End function
	.set _Z18lower_bound_kernelIxEvmPT_Pl.num_vgpr, 3
	.set _Z18lower_bound_kernelIxEvmPT_Pl.num_agpr, 0
	.set _Z18lower_bound_kernelIxEvmPT_Pl.numbered_sgpr, 16
	.set _Z18lower_bound_kernelIxEvmPT_Pl.num_named_barrier, 0
	.set _Z18lower_bound_kernelIxEvmPT_Pl.private_seg_size, 0
	.set _Z18lower_bound_kernelIxEvmPT_Pl.uses_vcc, 1
	.set _Z18lower_bound_kernelIxEvmPT_Pl.uses_flat_scratch, 0
	.set _Z18lower_bound_kernelIxEvmPT_Pl.has_dyn_sized_stack, 0
	.set _Z18lower_bound_kernelIxEvmPT_Pl.has_recursion, 0
	.set _Z18lower_bound_kernelIxEvmPT_Pl.has_indirect_call, 0
	.section	.AMDGPU.csdata,"",@progbits
; Kernel info:
; codeLenInByte = 2000
; TotalNumSgprs: 18
; NumVgprs: 3
; ScratchSize: 0
; MemoryBound: 0
; FloatMode: 240
; IeeeMode: 1
; LDSByteSize: 0 bytes/workgroup (compile time only)
; SGPRBlocks: 0
; VGPRBlocks: 0
; NumSGPRsForWavesPerEU: 18
; NumVGPRsForWavesPerEU: 3
; Occupancy: 16
; WaveLimiterHint : 0
; COMPUTE_PGM_RSRC2:SCRATCH_EN: 0
; COMPUTE_PGM_RSRC2:USER_SGPR: 6
; COMPUTE_PGM_RSRC2:TRAP_HANDLER: 0
; COMPUTE_PGM_RSRC2:TGID_X_EN: 1
; COMPUTE_PGM_RSRC2:TGID_Y_EN: 0
; COMPUTE_PGM_RSRC2:TGID_Z_EN: 0
; COMPUTE_PGM_RSRC2:TIDIG_COMP_CNT: 0
	.section	.text._ZN7rocprim17ROCPRIM_400000_NS6detail17trampoline_kernelINS0_14default_configENS1_27lower_bound_config_selectorIxlEEZNS1_14transform_implILb0ES3_S5_N6thrust23THRUST_200600_302600_NS6detail15normal_iteratorINS8_7pointerIxNS8_11hip_rocprim5par_tENS8_11use_defaultESE_EEEENSA_INSB_IlSD_SE_SE_EEEEZNS1_13binary_searchIS3_S5_PxSG_SI_NS1_21lower_bound_search_opENS9_16wrapped_functionI11custom_lessbEEEE10hipError_tPvRmT1_T2_T3_mmT4_T5_P12ihipStream_tbEUlRKxE_EESP_ST_SU_mSV_SY_bEUlT_E_NS1_11comp_targetILNS1_3genE0ELNS1_11target_archE4294967295ELNS1_3gpuE0ELNS1_3repE0EEENS1_30default_config_static_selectorELNS0_4arch9wavefront6targetE0EEEvSS_,"axG",@progbits,_ZN7rocprim17ROCPRIM_400000_NS6detail17trampoline_kernelINS0_14default_configENS1_27lower_bound_config_selectorIxlEEZNS1_14transform_implILb0ES3_S5_N6thrust23THRUST_200600_302600_NS6detail15normal_iteratorINS8_7pointerIxNS8_11hip_rocprim5par_tENS8_11use_defaultESE_EEEENSA_INSB_IlSD_SE_SE_EEEEZNS1_13binary_searchIS3_S5_PxSG_SI_NS1_21lower_bound_search_opENS9_16wrapped_functionI11custom_lessbEEEE10hipError_tPvRmT1_T2_T3_mmT4_T5_P12ihipStream_tbEUlRKxE_EESP_ST_SU_mSV_SY_bEUlT_E_NS1_11comp_targetILNS1_3genE0ELNS1_11target_archE4294967295ELNS1_3gpuE0ELNS1_3repE0EEENS1_30default_config_static_selectorELNS0_4arch9wavefront6targetE0EEEvSS_,comdat
	.protected	_ZN7rocprim17ROCPRIM_400000_NS6detail17trampoline_kernelINS0_14default_configENS1_27lower_bound_config_selectorIxlEEZNS1_14transform_implILb0ES3_S5_N6thrust23THRUST_200600_302600_NS6detail15normal_iteratorINS8_7pointerIxNS8_11hip_rocprim5par_tENS8_11use_defaultESE_EEEENSA_INSB_IlSD_SE_SE_EEEEZNS1_13binary_searchIS3_S5_PxSG_SI_NS1_21lower_bound_search_opENS9_16wrapped_functionI11custom_lessbEEEE10hipError_tPvRmT1_T2_T3_mmT4_T5_P12ihipStream_tbEUlRKxE_EESP_ST_SU_mSV_SY_bEUlT_E_NS1_11comp_targetILNS1_3genE0ELNS1_11target_archE4294967295ELNS1_3gpuE0ELNS1_3repE0EEENS1_30default_config_static_selectorELNS0_4arch9wavefront6targetE0EEEvSS_ ; -- Begin function _ZN7rocprim17ROCPRIM_400000_NS6detail17trampoline_kernelINS0_14default_configENS1_27lower_bound_config_selectorIxlEEZNS1_14transform_implILb0ES3_S5_N6thrust23THRUST_200600_302600_NS6detail15normal_iteratorINS8_7pointerIxNS8_11hip_rocprim5par_tENS8_11use_defaultESE_EEEENSA_INSB_IlSD_SE_SE_EEEEZNS1_13binary_searchIS3_S5_PxSG_SI_NS1_21lower_bound_search_opENS9_16wrapped_functionI11custom_lessbEEEE10hipError_tPvRmT1_T2_T3_mmT4_T5_P12ihipStream_tbEUlRKxE_EESP_ST_SU_mSV_SY_bEUlT_E_NS1_11comp_targetILNS1_3genE0ELNS1_11target_archE4294967295ELNS1_3gpuE0ELNS1_3repE0EEENS1_30default_config_static_selectorELNS0_4arch9wavefront6targetE0EEEvSS_
	.globl	_ZN7rocprim17ROCPRIM_400000_NS6detail17trampoline_kernelINS0_14default_configENS1_27lower_bound_config_selectorIxlEEZNS1_14transform_implILb0ES3_S5_N6thrust23THRUST_200600_302600_NS6detail15normal_iteratorINS8_7pointerIxNS8_11hip_rocprim5par_tENS8_11use_defaultESE_EEEENSA_INSB_IlSD_SE_SE_EEEEZNS1_13binary_searchIS3_S5_PxSG_SI_NS1_21lower_bound_search_opENS9_16wrapped_functionI11custom_lessbEEEE10hipError_tPvRmT1_T2_T3_mmT4_T5_P12ihipStream_tbEUlRKxE_EESP_ST_SU_mSV_SY_bEUlT_E_NS1_11comp_targetILNS1_3genE0ELNS1_11target_archE4294967295ELNS1_3gpuE0ELNS1_3repE0EEENS1_30default_config_static_selectorELNS0_4arch9wavefront6targetE0EEEvSS_
	.p2align	8
	.type	_ZN7rocprim17ROCPRIM_400000_NS6detail17trampoline_kernelINS0_14default_configENS1_27lower_bound_config_selectorIxlEEZNS1_14transform_implILb0ES3_S5_N6thrust23THRUST_200600_302600_NS6detail15normal_iteratorINS8_7pointerIxNS8_11hip_rocprim5par_tENS8_11use_defaultESE_EEEENSA_INSB_IlSD_SE_SE_EEEEZNS1_13binary_searchIS3_S5_PxSG_SI_NS1_21lower_bound_search_opENS9_16wrapped_functionI11custom_lessbEEEE10hipError_tPvRmT1_T2_T3_mmT4_T5_P12ihipStream_tbEUlRKxE_EESP_ST_SU_mSV_SY_bEUlT_E_NS1_11comp_targetILNS1_3genE0ELNS1_11target_archE4294967295ELNS1_3gpuE0ELNS1_3repE0EEENS1_30default_config_static_selectorELNS0_4arch9wavefront6targetE0EEEvSS_,@function
_ZN7rocprim17ROCPRIM_400000_NS6detail17trampoline_kernelINS0_14default_configENS1_27lower_bound_config_selectorIxlEEZNS1_14transform_implILb0ES3_S5_N6thrust23THRUST_200600_302600_NS6detail15normal_iteratorINS8_7pointerIxNS8_11hip_rocprim5par_tENS8_11use_defaultESE_EEEENSA_INSB_IlSD_SE_SE_EEEEZNS1_13binary_searchIS3_S5_PxSG_SI_NS1_21lower_bound_search_opENS9_16wrapped_functionI11custom_lessbEEEE10hipError_tPvRmT1_T2_T3_mmT4_T5_P12ihipStream_tbEUlRKxE_EESP_ST_SU_mSV_SY_bEUlT_E_NS1_11comp_targetILNS1_3genE0ELNS1_11target_archE4294967295ELNS1_3gpuE0ELNS1_3repE0EEENS1_30default_config_static_selectorELNS0_4arch9wavefront6targetE0EEEvSS_: ; @_ZN7rocprim17ROCPRIM_400000_NS6detail17trampoline_kernelINS0_14default_configENS1_27lower_bound_config_selectorIxlEEZNS1_14transform_implILb0ES3_S5_N6thrust23THRUST_200600_302600_NS6detail15normal_iteratorINS8_7pointerIxNS8_11hip_rocprim5par_tENS8_11use_defaultESE_EEEENSA_INSB_IlSD_SE_SE_EEEEZNS1_13binary_searchIS3_S5_PxSG_SI_NS1_21lower_bound_search_opENS9_16wrapped_functionI11custom_lessbEEEE10hipError_tPvRmT1_T2_T3_mmT4_T5_P12ihipStream_tbEUlRKxE_EESP_ST_SU_mSV_SY_bEUlT_E_NS1_11comp_targetILNS1_3genE0ELNS1_11target_archE4294967295ELNS1_3gpuE0ELNS1_3repE0EEENS1_30default_config_static_selectorELNS0_4arch9wavefront6targetE0EEEvSS_
; %bb.0:
	.section	.rodata,"a",@progbits
	.p2align	6, 0x0
	.amdhsa_kernel _ZN7rocprim17ROCPRIM_400000_NS6detail17trampoline_kernelINS0_14default_configENS1_27lower_bound_config_selectorIxlEEZNS1_14transform_implILb0ES3_S5_N6thrust23THRUST_200600_302600_NS6detail15normal_iteratorINS8_7pointerIxNS8_11hip_rocprim5par_tENS8_11use_defaultESE_EEEENSA_INSB_IlSD_SE_SE_EEEEZNS1_13binary_searchIS3_S5_PxSG_SI_NS1_21lower_bound_search_opENS9_16wrapped_functionI11custom_lessbEEEE10hipError_tPvRmT1_T2_T3_mmT4_T5_P12ihipStream_tbEUlRKxE_EESP_ST_SU_mSV_SY_bEUlT_E_NS1_11comp_targetILNS1_3genE0ELNS1_11target_archE4294967295ELNS1_3gpuE0ELNS1_3repE0EEENS1_30default_config_static_selectorELNS0_4arch9wavefront6targetE0EEEvSS_
		.amdhsa_group_segment_fixed_size 0
		.amdhsa_private_segment_fixed_size 0
		.amdhsa_kernarg_size 56
		.amdhsa_user_sgpr_count 6
		.amdhsa_user_sgpr_private_segment_buffer 1
		.amdhsa_user_sgpr_dispatch_ptr 0
		.amdhsa_user_sgpr_queue_ptr 0
		.amdhsa_user_sgpr_kernarg_segment_ptr 1
		.amdhsa_user_sgpr_dispatch_id 0
		.amdhsa_user_sgpr_flat_scratch_init 0
		.amdhsa_user_sgpr_private_segment_size 0
		.amdhsa_wavefront_size32 1
		.amdhsa_uses_dynamic_stack 0
		.amdhsa_system_sgpr_private_segment_wavefront_offset 0
		.amdhsa_system_sgpr_workgroup_id_x 1
		.amdhsa_system_sgpr_workgroup_id_y 0
		.amdhsa_system_sgpr_workgroup_id_z 0
		.amdhsa_system_sgpr_workgroup_info 0
		.amdhsa_system_vgpr_workitem_id 0
		.amdhsa_next_free_vgpr 1
		.amdhsa_next_free_sgpr 1
		.amdhsa_reserve_vcc 0
		.amdhsa_reserve_flat_scratch 0
		.amdhsa_float_round_mode_32 0
		.amdhsa_float_round_mode_16_64 0
		.amdhsa_float_denorm_mode_32 3
		.amdhsa_float_denorm_mode_16_64 3
		.amdhsa_dx10_clamp 1
		.amdhsa_ieee_mode 1
		.amdhsa_fp16_overflow 0
		.amdhsa_workgroup_processor_mode 1
		.amdhsa_memory_ordered 1
		.amdhsa_forward_progress 1
		.amdhsa_shared_vgpr_count 0
		.amdhsa_exception_fp_ieee_invalid_op 0
		.amdhsa_exception_fp_denorm_src 0
		.amdhsa_exception_fp_ieee_div_zero 0
		.amdhsa_exception_fp_ieee_overflow 0
		.amdhsa_exception_fp_ieee_underflow 0
		.amdhsa_exception_fp_ieee_inexact 0
		.amdhsa_exception_int_div_zero 0
	.end_amdhsa_kernel
	.section	.text._ZN7rocprim17ROCPRIM_400000_NS6detail17trampoline_kernelINS0_14default_configENS1_27lower_bound_config_selectorIxlEEZNS1_14transform_implILb0ES3_S5_N6thrust23THRUST_200600_302600_NS6detail15normal_iteratorINS8_7pointerIxNS8_11hip_rocprim5par_tENS8_11use_defaultESE_EEEENSA_INSB_IlSD_SE_SE_EEEEZNS1_13binary_searchIS3_S5_PxSG_SI_NS1_21lower_bound_search_opENS9_16wrapped_functionI11custom_lessbEEEE10hipError_tPvRmT1_T2_T3_mmT4_T5_P12ihipStream_tbEUlRKxE_EESP_ST_SU_mSV_SY_bEUlT_E_NS1_11comp_targetILNS1_3genE0ELNS1_11target_archE4294967295ELNS1_3gpuE0ELNS1_3repE0EEENS1_30default_config_static_selectorELNS0_4arch9wavefront6targetE0EEEvSS_,"axG",@progbits,_ZN7rocprim17ROCPRIM_400000_NS6detail17trampoline_kernelINS0_14default_configENS1_27lower_bound_config_selectorIxlEEZNS1_14transform_implILb0ES3_S5_N6thrust23THRUST_200600_302600_NS6detail15normal_iteratorINS8_7pointerIxNS8_11hip_rocprim5par_tENS8_11use_defaultESE_EEEENSA_INSB_IlSD_SE_SE_EEEEZNS1_13binary_searchIS3_S5_PxSG_SI_NS1_21lower_bound_search_opENS9_16wrapped_functionI11custom_lessbEEEE10hipError_tPvRmT1_T2_T3_mmT4_T5_P12ihipStream_tbEUlRKxE_EESP_ST_SU_mSV_SY_bEUlT_E_NS1_11comp_targetILNS1_3genE0ELNS1_11target_archE4294967295ELNS1_3gpuE0ELNS1_3repE0EEENS1_30default_config_static_selectorELNS0_4arch9wavefront6targetE0EEEvSS_,comdat
.Lfunc_end104:
	.size	_ZN7rocprim17ROCPRIM_400000_NS6detail17trampoline_kernelINS0_14default_configENS1_27lower_bound_config_selectorIxlEEZNS1_14transform_implILb0ES3_S5_N6thrust23THRUST_200600_302600_NS6detail15normal_iteratorINS8_7pointerIxNS8_11hip_rocprim5par_tENS8_11use_defaultESE_EEEENSA_INSB_IlSD_SE_SE_EEEEZNS1_13binary_searchIS3_S5_PxSG_SI_NS1_21lower_bound_search_opENS9_16wrapped_functionI11custom_lessbEEEE10hipError_tPvRmT1_T2_T3_mmT4_T5_P12ihipStream_tbEUlRKxE_EESP_ST_SU_mSV_SY_bEUlT_E_NS1_11comp_targetILNS1_3genE0ELNS1_11target_archE4294967295ELNS1_3gpuE0ELNS1_3repE0EEENS1_30default_config_static_selectorELNS0_4arch9wavefront6targetE0EEEvSS_, .Lfunc_end104-_ZN7rocprim17ROCPRIM_400000_NS6detail17trampoline_kernelINS0_14default_configENS1_27lower_bound_config_selectorIxlEEZNS1_14transform_implILb0ES3_S5_N6thrust23THRUST_200600_302600_NS6detail15normal_iteratorINS8_7pointerIxNS8_11hip_rocprim5par_tENS8_11use_defaultESE_EEEENSA_INSB_IlSD_SE_SE_EEEEZNS1_13binary_searchIS3_S5_PxSG_SI_NS1_21lower_bound_search_opENS9_16wrapped_functionI11custom_lessbEEEE10hipError_tPvRmT1_T2_T3_mmT4_T5_P12ihipStream_tbEUlRKxE_EESP_ST_SU_mSV_SY_bEUlT_E_NS1_11comp_targetILNS1_3genE0ELNS1_11target_archE4294967295ELNS1_3gpuE0ELNS1_3repE0EEENS1_30default_config_static_selectorELNS0_4arch9wavefront6targetE0EEEvSS_
                                        ; -- End function
	.set _ZN7rocprim17ROCPRIM_400000_NS6detail17trampoline_kernelINS0_14default_configENS1_27lower_bound_config_selectorIxlEEZNS1_14transform_implILb0ES3_S5_N6thrust23THRUST_200600_302600_NS6detail15normal_iteratorINS8_7pointerIxNS8_11hip_rocprim5par_tENS8_11use_defaultESE_EEEENSA_INSB_IlSD_SE_SE_EEEEZNS1_13binary_searchIS3_S5_PxSG_SI_NS1_21lower_bound_search_opENS9_16wrapped_functionI11custom_lessbEEEE10hipError_tPvRmT1_T2_T3_mmT4_T5_P12ihipStream_tbEUlRKxE_EESP_ST_SU_mSV_SY_bEUlT_E_NS1_11comp_targetILNS1_3genE0ELNS1_11target_archE4294967295ELNS1_3gpuE0ELNS1_3repE0EEENS1_30default_config_static_selectorELNS0_4arch9wavefront6targetE0EEEvSS_.num_vgpr, 0
	.set _ZN7rocprim17ROCPRIM_400000_NS6detail17trampoline_kernelINS0_14default_configENS1_27lower_bound_config_selectorIxlEEZNS1_14transform_implILb0ES3_S5_N6thrust23THRUST_200600_302600_NS6detail15normal_iteratorINS8_7pointerIxNS8_11hip_rocprim5par_tENS8_11use_defaultESE_EEEENSA_INSB_IlSD_SE_SE_EEEEZNS1_13binary_searchIS3_S5_PxSG_SI_NS1_21lower_bound_search_opENS9_16wrapped_functionI11custom_lessbEEEE10hipError_tPvRmT1_T2_T3_mmT4_T5_P12ihipStream_tbEUlRKxE_EESP_ST_SU_mSV_SY_bEUlT_E_NS1_11comp_targetILNS1_3genE0ELNS1_11target_archE4294967295ELNS1_3gpuE0ELNS1_3repE0EEENS1_30default_config_static_selectorELNS0_4arch9wavefront6targetE0EEEvSS_.num_agpr, 0
	.set _ZN7rocprim17ROCPRIM_400000_NS6detail17trampoline_kernelINS0_14default_configENS1_27lower_bound_config_selectorIxlEEZNS1_14transform_implILb0ES3_S5_N6thrust23THRUST_200600_302600_NS6detail15normal_iteratorINS8_7pointerIxNS8_11hip_rocprim5par_tENS8_11use_defaultESE_EEEENSA_INSB_IlSD_SE_SE_EEEEZNS1_13binary_searchIS3_S5_PxSG_SI_NS1_21lower_bound_search_opENS9_16wrapped_functionI11custom_lessbEEEE10hipError_tPvRmT1_T2_T3_mmT4_T5_P12ihipStream_tbEUlRKxE_EESP_ST_SU_mSV_SY_bEUlT_E_NS1_11comp_targetILNS1_3genE0ELNS1_11target_archE4294967295ELNS1_3gpuE0ELNS1_3repE0EEENS1_30default_config_static_selectorELNS0_4arch9wavefront6targetE0EEEvSS_.numbered_sgpr, 0
	.set _ZN7rocprim17ROCPRIM_400000_NS6detail17trampoline_kernelINS0_14default_configENS1_27lower_bound_config_selectorIxlEEZNS1_14transform_implILb0ES3_S5_N6thrust23THRUST_200600_302600_NS6detail15normal_iteratorINS8_7pointerIxNS8_11hip_rocprim5par_tENS8_11use_defaultESE_EEEENSA_INSB_IlSD_SE_SE_EEEEZNS1_13binary_searchIS3_S5_PxSG_SI_NS1_21lower_bound_search_opENS9_16wrapped_functionI11custom_lessbEEEE10hipError_tPvRmT1_T2_T3_mmT4_T5_P12ihipStream_tbEUlRKxE_EESP_ST_SU_mSV_SY_bEUlT_E_NS1_11comp_targetILNS1_3genE0ELNS1_11target_archE4294967295ELNS1_3gpuE0ELNS1_3repE0EEENS1_30default_config_static_selectorELNS0_4arch9wavefront6targetE0EEEvSS_.num_named_barrier, 0
	.set _ZN7rocprim17ROCPRIM_400000_NS6detail17trampoline_kernelINS0_14default_configENS1_27lower_bound_config_selectorIxlEEZNS1_14transform_implILb0ES3_S5_N6thrust23THRUST_200600_302600_NS6detail15normal_iteratorINS8_7pointerIxNS8_11hip_rocprim5par_tENS8_11use_defaultESE_EEEENSA_INSB_IlSD_SE_SE_EEEEZNS1_13binary_searchIS3_S5_PxSG_SI_NS1_21lower_bound_search_opENS9_16wrapped_functionI11custom_lessbEEEE10hipError_tPvRmT1_T2_T3_mmT4_T5_P12ihipStream_tbEUlRKxE_EESP_ST_SU_mSV_SY_bEUlT_E_NS1_11comp_targetILNS1_3genE0ELNS1_11target_archE4294967295ELNS1_3gpuE0ELNS1_3repE0EEENS1_30default_config_static_selectorELNS0_4arch9wavefront6targetE0EEEvSS_.private_seg_size, 0
	.set _ZN7rocprim17ROCPRIM_400000_NS6detail17trampoline_kernelINS0_14default_configENS1_27lower_bound_config_selectorIxlEEZNS1_14transform_implILb0ES3_S5_N6thrust23THRUST_200600_302600_NS6detail15normal_iteratorINS8_7pointerIxNS8_11hip_rocprim5par_tENS8_11use_defaultESE_EEEENSA_INSB_IlSD_SE_SE_EEEEZNS1_13binary_searchIS3_S5_PxSG_SI_NS1_21lower_bound_search_opENS9_16wrapped_functionI11custom_lessbEEEE10hipError_tPvRmT1_T2_T3_mmT4_T5_P12ihipStream_tbEUlRKxE_EESP_ST_SU_mSV_SY_bEUlT_E_NS1_11comp_targetILNS1_3genE0ELNS1_11target_archE4294967295ELNS1_3gpuE0ELNS1_3repE0EEENS1_30default_config_static_selectorELNS0_4arch9wavefront6targetE0EEEvSS_.uses_vcc, 0
	.set _ZN7rocprim17ROCPRIM_400000_NS6detail17trampoline_kernelINS0_14default_configENS1_27lower_bound_config_selectorIxlEEZNS1_14transform_implILb0ES3_S5_N6thrust23THRUST_200600_302600_NS6detail15normal_iteratorINS8_7pointerIxNS8_11hip_rocprim5par_tENS8_11use_defaultESE_EEEENSA_INSB_IlSD_SE_SE_EEEEZNS1_13binary_searchIS3_S5_PxSG_SI_NS1_21lower_bound_search_opENS9_16wrapped_functionI11custom_lessbEEEE10hipError_tPvRmT1_T2_T3_mmT4_T5_P12ihipStream_tbEUlRKxE_EESP_ST_SU_mSV_SY_bEUlT_E_NS1_11comp_targetILNS1_3genE0ELNS1_11target_archE4294967295ELNS1_3gpuE0ELNS1_3repE0EEENS1_30default_config_static_selectorELNS0_4arch9wavefront6targetE0EEEvSS_.uses_flat_scratch, 0
	.set _ZN7rocprim17ROCPRIM_400000_NS6detail17trampoline_kernelINS0_14default_configENS1_27lower_bound_config_selectorIxlEEZNS1_14transform_implILb0ES3_S5_N6thrust23THRUST_200600_302600_NS6detail15normal_iteratorINS8_7pointerIxNS8_11hip_rocprim5par_tENS8_11use_defaultESE_EEEENSA_INSB_IlSD_SE_SE_EEEEZNS1_13binary_searchIS3_S5_PxSG_SI_NS1_21lower_bound_search_opENS9_16wrapped_functionI11custom_lessbEEEE10hipError_tPvRmT1_T2_T3_mmT4_T5_P12ihipStream_tbEUlRKxE_EESP_ST_SU_mSV_SY_bEUlT_E_NS1_11comp_targetILNS1_3genE0ELNS1_11target_archE4294967295ELNS1_3gpuE0ELNS1_3repE0EEENS1_30default_config_static_selectorELNS0_4arch9wavefront6targetE0EEEvSS_.has_dyn_sized_stack, 0
	.set _ZN7rocprim17ROCPRIM_400000_NS6detail17trampoline_kernelINS0_14default_configENS1_27lower_bound_config_selectorIxlEEZNS1_14transform_implILb0ES3_S5_N6thrust23THRUST_200600_302600_NS6detail15normal_iteratorINS8_7pointerIxNS8_11hip_rocprim5par_tENS8_11use_defaultESE_EEEENSA_INSB_IlSD_SE_SE_EEEEZNS1_13binary_searchIS3_S5_PxSG_SI_NS1_21lower_bound_search_opENS9_16wrapped_functionI11custom_lessbEEEE10hipError_tPvRmT1_T2_T3_mmT4_T5_P12ihipStream_tbEUlRKxE_EESP_ST_SU_mSV_SY_bEUlT_E_NS1_11comp_targetILNS1_3genE0ELNS1_11target_archE4294967295ELNS1_3gpuE0ELNS1_3repE0EEENS1_30default_config_static_selectorELNS0_4arch9wavefront6targetE0EEEvSS_.has_recursion, 0
	.set _ZN7rocprim17ROCPRIM_400000_NS6detail17trampoline_kernelINS0_14default_configENS1_27lower_bound_config_selectorIxlEEZNS1_14transform_implILb0ES3_S5_N6thrust23THRUST_200600_302600_NS6detail15normal_iteratorINS8_7pointerIxNS8_11hip_rocprim5par_tENS8_11use_defaultESE_EEEENSA_INSB_IlSD_SE_SE_EEEEZNS1_13binary_searchIS3_S5_PxSG_SI_NS1_21lower_bound_search_opENS9_16wrapped_functionI11custom_lessbEEEE10hipError_tPvRmT1_T2_T3_mmT4_T5_P12ihipStream_tbEUlRKxE_EESP_ST_SU_mSV_SY_bEUlT_E_NS1_11comp_targetILNS1_3genE0ELNS1_11target_archE4294967295ELNS1_3gpuE0ELNS1_3repE0EEENS1_30default_config_static_selectorELNS0_4arch9wavefront6targetE0EEEvSS_.has_indirect_call, 0
	.section	.AMDGPU.csdata,"",@progbits
; Kernel info:
; codeLenInByte = 0
; TotalNumSgprs: 0
; NumVgprs: 0
; ScratchSize: 0
; MemoryBound: 0
; FloatMode: 240
; IeeeMode: 1
; LDSByteSize: 0 bytes/workgroup (compile time only)
; SGPRBlocks: 0
; VGPRBlocks: 0
; NumSGPRsForWavesPerEU: 1
; NumVGPRsForWavesPerEU: 1
; Occupancy: 16
; WaveLimiterHint : 0
; COMPUTE_PGM_RSRC2:SCRATCH_EN: 0
; COMPUTE_PGM_RSRC2:USER_SGPR: 6
; COMPUTE_PGM_RSRC2:TRAP_HANDLER: 0
; COMPUTE_PGM_RSRC2:TGID_X_EN: 1
; COMPUTE_PGM_RSRC2:TGID_Y_EN: 0
; COMPUTE_PGM_RSRC2:TGID_Z_EN: 0
; COMPUTE_PGM_RSRC2:TIDIG_COMP_CNT: 0
	.section	.text._ZN7rocprim17ROCPRIM_400000_NS6detail17trampoline_kernelINS0_14default_configENS1_27lower_bound_config_selectorIxlEEZNS1_14transform_implILb0ES3_S5_N6thrust23THRUST_200600_302600_NS6detail15normal_iteratorINS8_7pointerIxNS8_11hip_rocprim5par_tENS8_11use_defaultESE_EEEENSA_INSB_IlSD_SE_SE_EEEEZNS1_13binary_searchIS3_S5_PxSG_SI_NS1_21lower_bound_search_opENS9_16wrapped_functionI11custom_lessbEEEE10hipError_tPvRmT1_T2_T3_mmT4_T5_P12ihipStream_tbEUlRKxE_EESP_ST_SU_mSV_SY_bEUlT_E_NS1_11comp_targetILNS1_3genE5ELNS1_11target_archE942ELNS1_3gpuE9ELNS1_3repE0EEENS1_30default_config_static_selectorELNS0_4arch9wavefront6targetE0EEEvSS_,"axG",@progbits,_ZN7rocprim17ROCPRIM_400000_NS6detail17trampoline_kernelINS0_14default_configENS1_27lower_bound_config_selectorIxlEEZNS1_14transform_implILb0ES3_S5_N6thrust23THRUST_200600_302600_NS6detail15normal_iteratorINS8_7pointerIxNS8_11hip_rocprim5par_tENS8_11use_defaultESE_EEEENSA_INSB_IlSD_SE_SE_EEEEZNS1_13binary_searchIS3_S5_PxSG_SI_NS1_21lower_bound_search_opENS9_16wrapped_functionI11custom_lessbEEEE10hipError_tPvRmT1_T2_T3_mmT4_T5_P12ihipStream_tbEUlRKxE_EESP_ST_SU_mSV_SY_bEUlT_E_NS1_11comp_targetILNS1_3genE5ELNS1_11target_archE942ELNS1_3gpuE9ELNS1_3repE0EEENS1_30default_config_static_selectorELNS0_4arch9wavefront6targetE0EEEvSS_,comdat
	.protected	_ZN7rocprim17ROCPRIM_400000_NS6detail17trampoline_kernelINS0_14default_configENS1_27lower_bound_config_selectorIxlEEZNS1_14transform_implILb0ES3_S5_N6thrust23THRUST_200600_302600_NS6detail15normal_iteratorINS8_7pointerIxNS8_11hip_rocprim5par_tENS8_11use_defaultESE_EEEENSA_INSB_IlSD_SE_SE_EEEEZNS1_13binary_searchIS3_S5_PxSG_SI_NS1_21lower_bound_search_opENS9_16wrapped_functionI11custom_lessbEEEE10hipError_tPvRmT1_T2_T3_mmT4_T5_P12ihipStream_tbEUlRKxE_EESP_ST_SU_mSV_SY_bEUlT_E_NS1_11comp_targetILNS1_3genE5ELNS1_11target_archE942ELNS1_3gpuE9ELNS1_3repE0EEENS1_30default_config_static_selectorELNS0_4arch9wavefront6targetE0EEEvSS_ ; -- Begin function _ZN7rocprim17ROCPRIM_400000_NS6detail17trampoline_kernelINS0_14default_configENS1_27lower_bound_config_selectorIxlEEZNS1_14transform_implILb0ES3_S5_N6thrust23THRUST_200600_302600_NS6detail15normal_iteratorINS8_7pointerIxNS8_11hip_rocprim5par_tENS8_11use_defaultESE_EEEENSA_INSB_IlSD_SE_SE_EEEEZNS1_13binary_searchIS3_S5_PxSG_SI_NS1_21lower_bound_search_opENS9_16wrapped_functionI11custom_lessbEEEE10hipError_tPvRmT1_T2_T3_mmT4_T5_P12ihipStream_tbEUlRKxE_EESP_ST_SU_mSV_SY_bEUlT_E_NS1_11comp_targetILNS1_3genE5ELNS1_11target_archE942ELNS1_3gpuE9ELNS1_3repE0EEENS1_30default_config_static_selectorELNS0_4arch9wavefront6targetE0EEEvSS_
	.globl	_ZN7rocprim17ROCPRIM_400000_NS6detail17trampoline_kernelINS0_14default_configENS1_27lower_bound_config_selectorIxlEEZNS1_14transform_implILb0ES3_S5_N6thrust23THRUST_200600_302600_NS6detail15normal_iteratorINS8_7pointerIxNS8_11hip_rocprim5par_tENS8_11use_defaultESE_EEEENSA_INSB_IlSD_SE_SE_EEEEZNS1_13binary_searchIS3_S5_PxSG_SI_NS1_21lower_bound_search_opENS9_16wrapped_functionI11custom_lessbEEEE10hipError_tPvRmT1_T2_T3_mmT4_T5_P12ihipStream_tbEUlRKxE_EESP_ST_SU_mSV_SY_bEUlT_E_NS1_11comp_targetILNS1_3genE5ELNS1_11target_archE942ELNS1_3gpuE9ELNS1_3repE0EEENS1_30default_config_static_selectorELNS0_4arch9wavefront6targetE0EEEvSS_
	.p2align	8
	.type	_ZN7rocprim17ROCPRIM_400000_NS6detail17trampoline_kernelINS0_14default_configENS1_27lower_bound_config_selectorIxlEEZNS1_14transform_implILb0ES3_S5_N6thrust23THRUST_200600_302600_NS6detail15normal_iteratorINS8_7pointerIxNS8_11hip_rocprim5par_tENS8_11use_defaultESE_EEEENSA_INSB_IlSD_SE_SE_EEEEZNS1_13binary_searchIS3_S5_PxSG_SI_NS1_21lower_bound_search_opENS9_16wrapped_functionI11custom_lessbEEEE10hipError_tPvRmT1_T2_T3_mmT4_T5_P12ihipStream_tbEUlRKxE_EESP_ST_SU_mSV_SY_bEUlT_E_NS1_11comp_targetILNS1_3genE5ELNS1_11target_archE942ELNS1_3gpuE9ELNS1_3repE0EEENS1_30default_config_static_selectorELNS0_4arch9wavefront6targetE0EEEvSS_,@function
_ZN7rocprim17ROCPRIM_400000_NS6detail17trampoline_kernelINS0_14default_configENS1_27lower_bound_config_selectorIxlEEZNS1_14transform_implILb0ES3_S5_N6thrust23THRUST_200600_302600_NS6detail15normal_iteratorINS8_7pointerIxNS8_11hip_rocprim5par_tENS8_11use_defaultESE_EEEENSA_INSB_IlSD_SE_SE_EEEEZNS1_13binary_searchIS3_S5_PxSG_SI_NS1_21lower_bound_search_opENS9_16wrapped_functionI11custom_lessbEEEE10hipError_tPvRmT1_T2_T3_mmT4_T5_P12ihipStream_tbEUlRKxE_EESP_ST_SU_mSV_SY_bEUlT_E_NS1_11comp_targetILNS1_3genE5ELNS1_11target_archE942ELNS1_3gpuE9ELNS1_3repE0EEENS1_30default_config_static_selectorELNS0_4arch9wavefront6targetE0EEEvSS_: ; @_ZN7rocprim17ROCPRIM_400000_NS6detail17trampoline_kernelINS0_14default_configENS1_27lower_bound_config_selectorIxlEEZNS1_14transform_implILb0ES3_S5_N6thrust23THRUST_200600_302600_NS6detail15normal_iteratorINS8_7pointerIxNS8_11hip_rocprim5par_tENS8_11use_defaultESE_EEEENSA_INSB_IlSD_SE_SE_EEEEZNS1_13binary_searchIS3_S5_PxSG_SI_NS1_21lower_bound_search_opENS9_16wrapped_functionI11custom_lessbEEEE10hipError_tPvRmT1_T2_T3_mmT4_T5_P12ihipStream_tbEUlRKxE_EESP_ST_SU_mSV_SY_bEUlT_E_NS1_11comp_targetILNS1_3genE5ELNS1_11target_archE942ELNS1_3gpuE9ELNS1_3repE0EEENS1_30default_config_static_selectorELNS0_4arch9wavefront6targetE0EEEvSS_
; %bb.0:
	.section	.rodata,"a",@progbits
	.p2align	6, 0x0
	.amdhsa_kernel _ZN7rocprim17ROCPRIM_400000_NS6detail17trampoline_kernelINS0_14default_configENS1_27lower_bound_config_selectorIxlEEZNS1_14transform_implILb0ES3_S5_N6thrust23THRUST_200600_302600_NS6detail15normal_iteratorINS8_7pointerIxNS8_11hip_rocprim5par_tENS8_11use_defaultESE_EEEENSA_INSB_IlSD_SE_SE_EEEEZNS1_13binary_searchIS3_S5_PxSG_SI_NS1_21lower_bound_search_opENS9_16wrapped_functionI11custom_lessbEEEE10hipError_tPvRmT1_T2_T3_mmT4_T5_P12ihipStream_tbEUlRKxE_EESP_ST_SU_mSV_SY_bEUlT_E_NS1_11comp_targetILNS1_3genE5ELNS1_11target_archE942ELNS1_3gpuE9ELNS1_3repE0EEENS1_30default_config_static_selectorELNS0_4arch9wavefront6targetE0EEEvSS_
		.amdhsa_group_segment_fixed_size 0
		.amdhsa_private_segment_fixed_size 0
		.amdhsa_kernarg_size 56
		.amdhsa_user_sgpr_count 6
		.amdhsa_user_sgpr_private_segment_buffer 1
		.amdhsa_user_sgpr_dispatch_ptr 0
		.amdhsa_user_sgpr_queue_ptr 0
		.amdhsa_user_sgpr_kernarg_segment_ptr 1
		.amdhsa_user_sgpr_dispatch_id 0
		.amdhsa_user_sgpr_flat_scratch_init 0
		.amdhsa_user_sgpr_private_segment_size 0
		.amdhsa_wavefront_size32 1
		.amdhsa_uses_dynamic_stack 0
		.amdhsa_system_sgpr_private_segment_wavefront_offset 0
		.amdhsa_system_sgpr_workgroup_id_x 1
		.amdhsa_system_sgpr_workgroup_id_y 0
		.amdhsa_system_sgpr_workgroup_id_z 0
		.amdhsa_system_sgpr_workgroup_info 0
		.amdhsa_system_vgpr_workitem_id 0
		.amdhsa_next_free_vgpr 1
		.amdhsa_next_free_sgpr 1
		.amdhsa_reserve_vcc 0
		.amdhsa_reserve_flat_scratch 0
		.amdhsa_float_round_mode_32 0
		.amdhsa_float_round_mode_16_64 0
		.amdhsa_float_denorm_mode_32 3
		.amdhsa_float_denorm_mode_16_64 3
		.amdhsa_dx10_clamp 1
		.amdhsa_ieee_mode 1
		.amdhsa_fp16_overflow 0
		.amdhsa_workgroup_processor_mode 1
		.amdhsa_memory_ordered 1
		.amdhsa_forward_progress 1
		.amdhsa_shared_vgpr_count 0
		.amdhsa_exception_fp_ieee_invalid_op 0
		.amdhsa_exception_fp_denorm_src 0
		.amdhsa_exception_fp_ieee_div_zero 0
		.amdhsa_exception_fp_ieee_overflow 0
		.amdhsa_exception_fp_ieee_underflow 0
		.amdhsa_exception_fp_ieee_inexact 0
		.amdhsa_exception_int_div_zero 0
	.end_amdhsa_kernel
	.section	.text._ZN7rocprim17ROCPRIM_400000_NS6detail17trampoline_kernelINS0_14default_configENS1_27lower_bound_config_selectorIxlEEZNS1_14transform_implILb0ES3_S5_N6thrust23THRUST_200600_302600_NS6detail15normal_iteratorINS8_7pointerIxNS8_11hip_rocprim5par_tENS8_11use_defaultESE_EEEENSA_INSB_IlSD_SE_SE_EEEEZNS1_13binary_searchIS3_S5_PxSG_SI_NS1_21lower_bound_search_opENS9_16wrapped_functionI11custom_lessbEEEE10hipError_tPvRmT1_T2_T3_mmT4_T5_P12ihipStream_tbEUlRKxE_EESP_ST_SU_mSV_SY_bEUlT_E_NS1_11comp_targetILNS1_3genE5ELNS1_11target_archE942ELNS1_3gpuE9ELNS1_3repE0EEENS1_30default_config_static_selectorELNS0_4arch9wavefront6targetE0EEEvSS_,"axG",@progbits,_ZN7rocprim17ROCPRIM_400000_NS6detail17trampoline_kernelINS0_14default_configENS1_27lower_bound_config_selectorIxlEEZNS1_14transform_implILb0ES3_S5_N6thrust23THRUST_200600_302600_NS6detail15normal_iteratorINS8_7pointerIxNS8_11hip_rocprim5par_tENS8_11use_defaultESE_EEEENSA_INSB_IlSD_SE_SE_EEEEZNS1_13binary_searchIS3_S5_PxSG_SI_NS1_21lower_bound_search_opENS9_16wrapped_functionI11custom_lessbEEEE10hipError_tPvRmT1_T2_T3_mmT4_T5_P12ihipStream_tbEUlRKxE_EESP_ST_SU_mSV_SY_bEUlT_E_NS1_11comp_targetILNS1_3genE5ELNS1_11target_archE942ELNS1_3gpuE9ELNS1_3repE0EEENS1_30default_config_static_selectorELNS0_4arch9wavefront6targetE0EEEvSS_,comdat
.Lfunc_end105:
	.size	_ZN7rocprim17ROCPRIM_400000_NS6detail17trampoline_kernelINS0_14default_configENS1_27lower_bound_config_selectorIxlEEZNS1_14transform_implILb0ES3_S5_N6thrust23THRUST_200600_302600_NS6detail15normal_iteratorINS8_7pointerIxNS8_11hip_rocprim5par_tENS8_11use_defaultESE_EEEENSA_INSB_IlSD_SE_SE_EEEEZNS1_13binary_searchIS3_S5_PxSG_SI_NS1_21lower_bound_search_opENS9_16wrapped_functionI11custom_lessbEEEE10hipError_tPvRmT1_T2_T3_mmT4_T5_P12ihipStream_tbEUlRKxE_EESP_ST_SU_mSV_SY_bEUlT_E_NS1_11comp_targetILNS1_3genE5ELNS1_11target_archE942ELNS1_3gpuE9ELNS1_3repE0EEENS1_30default_config_static_selectorELNS0_4arch9wavefront6targetE0EEEvSS_, .Lfunc_end105-_ZN7rocprim17ROCPRIM_400000_NS6detail17trampoline_kernelINS0_14default_configENS1_27lower_bound_config_selectorIxlEEZNS1_14transform_implILb0ES3_S5_N6thrust23THRUST_200600_302600_NS6detail15normal_iteratorINS8_7pointerIxNS8_11hip_rocprim5par_tENS8_11use_defaultESE_EEEENSA_INSB_IlSD_SE_SE_EEEEZNS1_13binary_searchIS3_S5_PxSG_SI_NS1_21lower_bound_search_opENS9_16wrapped_functionI11custom_lessbEEEE10hipError_tPvRmT1_T2_T3_mmT4_T5_P12ihipStream_tbEUlRKxE_EESP_ST_SU_mSV_SY_bEUlT_E_NS1_11comp_targetILNS1_3genE5ELNS1_11target_archE942ELNS1_3gpuE9ELNS1_3repE0EEENS1_30default_config_static_selectorELNS0_4arch9wavefront6targetE0EEEvSS_
                                        ; -- End function
	.set _ZN7rocprim17ROCPRIM_400000_NS6detail17trampoline_kernelINS0_14default_configENS1_27lower_bound_config_selectorIxlEEZNS1_14transform_implILb0ES3_S5_N6thrust23THRUST_200600_302600_NS6detail15normal_iteratorINS8_7pointerIxNS8_11hip_rocprim5par_tENS8_11use_defaultESE_EEEENSA_INSB_IlSD_SE_SE_EEEEZNS1_13binary_searchIS3_S5_PxSG_SI_NS1_21lower_bound_search_opENS9_16wrapped_functionI11custom_lessbEEEE10hipError_tPvRmT1_T2_T3_mmT4_T5_P12ihipStream_tbEUlRKxE_EESP_ST_SU_mSV_SY_bEUlT_E_NS1_11comp_targetILNS1_3genE5ELNS1_11target_archE942ELNS1_3gpuE9ELNS1_3repE0EEENS1_30default_config_static_selectorELNS0_4arch9wavefront6targetE0EEEvSS_.num_vgpr, 0
	.set _ZN7rocprim17ROCPRIM_400000_NS6detail17trampoline_kernelINS0_14default_configENS1_27lower_bound_config_selectorIxlEEZNS1_14transform_implILb0ES3_S5_N6thrust23THRUST_200600_302600_NS6detail15normal_iteratorINS8_7pointerIxNS8_11hip_rocprim5par_tENS8_11use_defaultESE_EEEENSA_INSB_IlSD_SE_SE_EEEEZNS1_13binary_searchIS3_S5_PxSG_SI_NS1_21lower_bound_search_opENS9_16wrapped_functionI11custom_lessbEEEE10hipError_tPvRmT1_T2_T3_mmT4_T5_P12ihipStream_tbEUlRKxE_EESP_ST_SU_mSV_SY_bEUlT_E_NS1_11comp_targetILNS1_3genE5ELNS1_11target_archE942ELNS1_3gpuE9ELNS1_3repE0EEENS1_30default_config_static_selectorELNS0_4arch9wavefront6targetE0EEEvSS_.num_agpr, 0
	.set _ZN7rocprim17ROCPRIM_400000_NS6detail17trampoline_kernelINS0_14default_configENS1_27lower_bound_config_selectorIxlEEZNS1_14transform_implILb0ES3_S5_N6thrust23THRUST_200600_302600_NS6detail15normal_iteratorINS8_7pointerIxNS8_11hip_rocprim5par_tENS8_11use_defaultESE_EEEENSA_INSB_IlSD_SE_SE_EEEEZNS1_13binary_searchIS3_S5_PxSG_SI_NS1_21lower_bound_search_opENS9_16wrapped_functionI11custom_lessbEEEE10hipError_tPvRmT1_T2_T3_mmT4_T5_P12ihipStream_tbEUlRKxE_EESP_ST_SU_mSV_SY_bEUlT_E_NS1_11comp_targetILNS1_3genE5ELNS1_11target_archE942ELNS1_3gpuE9ELNS1_3repE0EEENS1_30default_config_static_selectorELNS0_4arch9wavefront6targetE0EEEvSS_.numbered_sgpr, 0
	.set _ZN7rocprim17ROCPRIM_400000_NS6detail17trampoline_kernelINS0_14default_configENS1_27lower_bound_config_selectorIxlEEZNS1_14transform_implILb0ES3_S5_N6thrust23THRUST_200600_302600_NS6detail15normal_iteratorINS8_7pointerIxNS8_11hip_rocprim5par_tENS8_11use_defaultESE_EEEENSA_INSB_IlSD_SE_SE_EEEEZNS1_13binary_searchIS3_S5_PxSG_SI_NS1_21lower_bound_search_opENS9_16wrapped_functionI11custom_lessbEEEE10hipError_tPvRmT1_T2_T3_mmT4_T5_P12ihipStream_tbEUlRKxE_EESP_ST_SU_mSV_SY_bEUlT_E_NS1_11comp_targetILNS1_3genE5ELNS1_11target_archE942ELNS1_3gpuE9ELNS1_3repE0EEENS1_30default_config_static_selectorELNS0_4arch9wavefront6targetE0EEEvSS_.num_named_barrier, 0
	.set _ZN7rocprim17ROCPRIM_400000_NS6detail17trampoline_kernelINS0_14default_configENS1_27lower_bound_config_selectorIxlEEZNS1_14transform_implILb0ES3_S5_N6thrust23THRUST_200600_302600_NS6detail15normal_iteratorINS8_7pointerIxNS8_11hip_rocprim5par_tENS8_11use_defaultESE_EEEENSA_INSB_IlSD_SE_SE_EEEEZNS1_13binary_searchIS3_S5_PxSG_SI_NS1_21lower_bound_search_opENS9_16wrapped_functionI11custom_lessbEEEE10hipError_tPvRmT1_T2_T3_mmT4_T5_P12ihipStream_tbEUlRKxE_EESP_ST_SU_mSV_SY_bEUlT_E_NS1_11comp_targetILNS1_3genE5ELNS1_11target_archE942ELNS1_3gpuE9ELNS1_3repE0EEENS1_30default_config_static_selectorELNS0_4arch9wavefront6targetE0EEEvSS_.private_seg_size, 0
	.set _ZN7rocprim17ROCPRIM_400000_NS6detail17trampoline_kernelINS0_14default_configENS1_27lower_bound_config_selectorIxlEEZNS1_14transform_implILb0ES3_S5_N6thrust23THRUST_200600_302600_NS6detail15normal_iteratorINS8_7pointerIxNS8_11hip_rocprim5par_tENS8_11use_defaultESE_EEEENSA_INSB_IlSD_SE_SE_EEEEZNS1_13binary_searchIS3_S5_PxSG_SI_NS1_21lower_bound_search_opENS9_16wrapped_functionI11custom_lessbEEEE10hipError_tPvRmT1_T2_T3_mmT4_T5_P12ihipStream_tbEUlRKxE_EESP_ST_SU_mSV_SY_bEUlT_E_NS1_11comp_targetILNS1_3genE5ELNS1_11target_archE942ELNS1_3gpuE9ELNS1_3repE0EEENS1_30default_config_static_selectorELNS0_4arch9wavefront6targetE0EEEvSS_.uses_vcc, 0
	.set _ZN7rocprim17ROCPRIM_400000_NS6detail17trampoline_kernelINS0_14default_configENS1_27lower_bound_config_selectorIxlEEZNS1_14transform_implILb0ES3_S5_N6thrust23THRUST_200600_302600_NS6detail15normal_iteratorINS8_7pointerIxNS8_11hip_rocprim5par_tENS8_11use_defaultESE_EEEENSA_INSB_IlSD_SE_SE_EEEEZNS1_13binary_searchIS3_S5_PxSG_SI_NS1_21lower_bound_search_opENS9_16wrapped_functionI11custom_lessbEEEE10hipError_tPvRmT1_T2_T3_mmT4_T5_P12ihipStream_tbEUlRKxE_EESP_ST_SU_mSV_SY_bEUlT_E_NS1_11comp_targetILNS1_3genE5ELNS1_11target_archE942ELNS1_3gpuE9ELNS1_3repE0EEENS1_30default_config_static_selectorELNS0_4arch9wavefront6targetE0EEEvSS_.uses_flat_scratch, 0
	.set _ZN7rocprim17ROCPRIM_400000_NS6detail17trampoline_kernelINS0_14default_configENS1_27lower_bound_config_selectorIxlEEZNS1_14transform_implILb0ES3_S5_N6thrust23THRUST_200600_302600_NS6detail15normal_iteratorINS8_7pointerIxNS8_11hip_rocprim5par_tENS8_11use_defaultESE_EEEENSA_INSB_IlSD_SE_SE_EEEEZNS1_13binary_searchIS3_S5_PxSG_SI_NS1_21lower_bound_search_opENS9_16wrapped_functionI11custom_lessbEEEE10hipError_tPvRmT1_T2_T3_mmT4_T5_P12ihipStream_tbEUlRKxE_EESP_ST_SU_mSV_SY_bEUlT_E_NS1_11comp_targetILNS1_3genE5ELNS1_11target_archE942ELNS1_3gpuE9ELNS1_3repE0EEENS1_30default_config_static_selectorELNS0_4arch9wavefront6targetE0EEEvSS_.has_dyn_sized_stack, 0
	.set _ZN7rocprim17ROCPRIM_400000_NS6detail17trampoline_kernelINS0_14default_configENS1_27lower_bound_config_selectorIxlEEZNS1_14transform_implILb0ES3_S5_N6thrust23THRUST_200600_302600_NS6detail15normal_iteratorINS8_7pointerIxNS8_11hip_rocprim5par_tENS8_11use_defaultESE_EEEENSA_INSB_IlSD_SE_SE_EEEEZNS1_13binary_searchIS3_S5_PxSG_SI_NS1_21lower_bound_search_opENS9_16wrapped_functionI11custom_lessbEEEE10hipError_tPvRmT1_T2_T3_mmT4_T5_P12ihipStream_tbEUlRKxE_EESP_ST_SU_mSV_SY_bEUlT_E_NS1_11comp_targetILNS1_3genE5ELNS1_11target_archE942ELNS1_3gpuE9ELNS1_3repE0EEENS1_30default_config_static_selectorELNS0_4arch9wavefront6targetE0EEEvSS_.has_recursion, 0
	.set _ZN7rocprim17ROCPRIM_400000_NS6detail17trampoline_kernelINS0_14default_configENS1_27lower_bound_config_selectorIxlEEZNS1_14transform_implILb0ES3_S5_N6thrust23THRUST_200600_302600_NS6detail15normal_iteratorINS8_7pointerIxNS8_11hip_rocprim5par_tENS8_11use_defaultESE_EEEENSA_INSB_IlSD_SE_SE_EEEEZNS1_13binary_searchIS3_S5_PxSG_SI_NS1_21lower_bound_search_opENS9_16wrapped_functionI11custom_lessbEEEE10hipError_tPvRmT1_T2_T3_mmT4_T5_P12ihipStream_tbEUlRKxE_EESP_ST_SU_mSV_SY_bEUlT_E_NS1_11comp_targetILNS1_3genE5ELNS1_11target_archE942ELNS1_3gpuE9ELNS1_3repE0EEENS1_30default_config_static_selectorELNS0_4arch9wavefront6targetE0EEEvSS_.has_indirect_call, 0
	.section	.AMDGPU.csdata,"",@progbits
; Kernel info:
; codeLenInByte = 0
; TotalNumSgprs: 0
; NumVgprs: 0
; ScratchSize: 0
; MemoryBound: 0
; FloatMode: 240
; IeeeMode: 1
; LDSByteSize: 0 bytes/workgroup (compile time only)
; SGPRBlocks: 0
; VGPRBlocks: 0
; NumSGPRsForWavesPerEU: 1
; NumVGPRsForWavesPerEU: 1
; Occupancy: 16
; WaveLimiterHint : 0
; COMPUTE_PGM_RSRC2:SCRATCH_EN: 0
; COMPUTE_PGM_RSRC2:USER_SGPR: 6
; COMPUTE_PGM_RSRC2:TRAP_HANDLER: 0
; COMPUTE_PGM_RSRC2:TGID_X_EN: 1
; COMPUTE_PGM_RSRC2:TGID_Y_EN: 0
; COMPUTE_PGM_RSRC2:TGID_Z_EN: 0
; COMPUTE_PGM_RSRC2:TIDIG_COMP_CNT: 0
	.section	.text._ZN7rocprim17ROCPRIM_400000_NS6detail17trampoline_kernelINS0_14default_configENS1_27lower_bound_config_selectorIxlEEZNS1_14transform_implILb0ES3_S5_N6thrust23THRUST_200600_302600_NS6detail15normal_iteratorINS8_7pointerIxNS8_11hip_rocprim5par_tENS8_11use_defaultESE_EEEENSA_INSB_IlSD_SE_SE_EEEEZNS1_13binary_searchIS3_S5_PxSG_SI_NS1_21lower_bound_search_opENS9_16wrapped_functionI11custom_lessbEEEE10hipError_tPvRmT1_T2_T3_mmT4_T5_P12ihipStream_tbEUlRKxE_EESP_ST_SU_mSV_SY_bEUlT_E_NS1_11comp_targetILNS1_3genE4ELNS1_11target_archE910ELNS1_3gpuE8ELNS1_3repE0EEENS1_30default_config_static_selectorELNS0_4arch9wavefront6targetE0EEEvSS_,"axG",@progbits,_ZN7rocprim17ROCPRIM_400000_NS6detail17trampoline_kernelINS0_14default_configENS1_27lower_bound_config_selectorIxlEEZNS1_14transform_implILb0ES3_S5_N6thrust23THRUST_200600_302600_NS6detail15normal_iteratorINS8_7pointerIxNS8_11hip_rocprim5par_tENS8_11use_defaultESE_EEEENSA_INSB_IlSD_SE_SE_EEEEZNS1_13binary_searchIS3_S5_PxSG_SI_NS1_21lower_bound_search_opENS9_16wrapped_functionI11custom_lessbEEEE10hipError_tPvRmT1_T2_T3_mmT4_T5_P12ihipStream_tbEUlRKxE_EESP_ST_SU_mSV_SY_bEUlT_E_NS1_11comp_targetILNS1_3genE4ELNS1_11target_archE910ELNS1_3gpuE8ELNS1_3repE0EEENS1_30default_config_static_selectorELNS0_4arch9wavefront6targetE0EEEvSS_,comdat
	.protected	_ZN7rocprim17ROCPRIM_400000_NS6detail17trampoline_kernelINS0_14default_configENS1_27lower_bound_config_selectorIxlEEZNS1_14transform_implILb0ES3_S5_N6thrust23THRUST_200600_302600_NS6detail15normal_iteratorINS8_7pointerIxNS8_11hip_rocprim5par_tENS8_11use_defaultESE_EEEENSA_INSB_IlSD_SE_SE_EEEEZNS1_13binary_searchIS3_S5_PxSG_SI_NS1_21lower_bound_search_opENS9_16wrapped_functionI11custom_lessbEEEE10hipError_tPvRmT1_T2_T3_mmT4_T5_P12ihipStream_tbEUlRKxE_EESP_ST_SU_mSV_SY_bEUlT_E_NS1_11comp_targetILNS1_3genE4ELNS1_11target_archE910ELNS1_3gpuE8ELNS1_3repE0EEENS1_30default_config_static_selectorELNS0_4arch9wavefront6targetE0EEEvSS_ ; -- Begin function _ZN7rocprim17ROCPRIM_400000_NS6detail17trampoline_kernelINS0_14default_configENS1_27lower_bound_config_selectorIxlEEZNS1_14transform_implILb0ES3_S5_N6thrust23THRUST_200600_302600_NS6detail15normal_iteratorINS8_7pointerIxNS8_11hip_rocprim5par_tENS8_11use_defaultESE_EEEENSA_INSB_IlSD_SE_SE_EEEEZNS1_13binary_searchIS3_S5_PxSG_SI_NS1_21lower_bound_search_opENS9_16wrapped_functionI11custom_lessbEEEE10hipError_tPvRmT1_T2_T3_mmT4_T5_P12ihipStream_tbEUlRKxE_EESP_ST_SU_mSV_SY_bEUlT_E_NS1_11comp_targetILNS1_3genE4ELNS1_11target_archE910ELNS1_3gpuE8ELNS1_3repE0EEENS1_30default_config_static_selectorELNS0_4arch9wavefront6targetE0EEEvSS_
	.globl	_ZN7rocprim17ROCPRIM_400000_NS6detail17trampoline_kernelINS0_14default_configENS1_27lower_bound_config_selectorIxlEEZNS1_14transform_implILb0ES3_S5_N6thrust23THRUST_200600_302600_NS6detail15normal_iteratorINS8_7pointerIxNS8_11hip_rocprim5par_tENS8_11use_defaultESE_EEEENSA_INSB_IlSD_SE_SE_EEEEZNS1_13binary_searchIS3_S5_PxSG_SI_NS1_21lower_bound_search_opENS9_16wrapped_functionI11custom_lessbEEEE10hipError_tPvRmT1_T2_T3_mmT4_T5_P12ihipStream_tbEUlRKxE_EESP_ST_SU_mSV_SY_bEUlT_E_NS1_11comp_targetILNS1_3genE4ELNS1_11target_archE910ELNS1_3gpuE8ELNS1_3repE0EEENS1_30default_config_static_selectorELNS0_4arch9wavefront6targetE0EEEvSS_
	.p2align	8
	.type	_ZN7rocprim17ROCPRIM_400000_NS6detail17trampoline_kernelINS0_14default_configENS1_27lower_bound_config_selectorIxlEEZNS1_14transform_implILb0ES3_S5_N6thrust23THRUST_200600_302600_NS6detail15normal_iteratorINS8_7pointerIxNS8_11hip_rocprim5par_tENS8_11use_defaultESE_EEEENSA_INSB_IlSD_SE_SE_EEEEZNS1_13binary_searchIS3_S5_PxSG_SI_NS1_21lower_bound_search_opENS9_16wrapped_functionI11custom_lessbEEEE10hipError_tPvRmT1_T2_T3_mmT4_T5_P12ihipStream_tbEUlRKxE_EESP_ST_SU_mSV_SY_bEUlT_E_NS1_11comp_targetILNS1_3genE4ELNS1_11target_archE910ELNS1_3gpuE8ELNS1_3repE0EEENS1_30default_config_static_selectorELNS0_4arch9wavefront6targetE0EEEvSS_,@function
_ZN7rocprim17ROCPRIM_400000_NS6detail17trampoline_kernelINS0_14default_configENS1_27lower_bound_config_selectorIxlEEZNS1_14transform_implILb0ES3_S5_N6thrust23THRUST_200600_302600_NS6detail15normal_iteratorINS8_7pointerIxNS8_11hip_rocprim5par_tENS8_11use_defaultESE_EEEENSA_INSB_IlSD_SE_SE_EEEEZNS1_13binary_searchIS3_S5_PxSG_SI_NS1_21lower_bound_search_opENS9_16wrapped_functionI11custom_lessbEEEE10hipError_tPvRmT1_T2_T3_mmT4_T5_P12ihipStream_tbEUlRKxE_EESP_ST_SU_mSV_SY_bEUlT_E_NS1_11comp_targetILNS1_3genE4ELNS1_11target_archE910ELNS1_3gpuE8ELNS1_3repE0EEENS1_30default_config_static_selectorELNS0_4arch9wavefront6targetE0EEEvSS_: ; @_ZN7rocprim17ROCPRIM_400000_NS6detail17trampoline_kernelINS0_14default_configENS1_27lower_bound_config_selectorIxlEEZNS1_14transform_implILb0ES3_S5_N6thrust23THRUST_200600_302600_NS6detail15normal_iteratorINS8_7pointerIxNS8_11hip_rocprim5par_tENS8_11use_defaultESE_EEEENSA_INSB_IlSD_SE_SE_EEEEZNS1_13binary_searchIS3_S5_PxSG_SI_NS1_21lower_bound_search_opENS9_16wrapped_functionI11custom_lessbEEEE10hipError_tPvRmT1_T2_T3_mmT4_T5_P12ihipStream_tbEUlRKxE_EESP_ST_SU_mSV_SY_bEUlT_E_NS1_11comp_targetILNS1_3genE4ELNS1_11target_archE910ELNS1_3gpuE8ELNS1_3repE0EEENS1_30default_config_static_selectorELNS0_4arch9wavefront6targetE0EEEvSS_
; %bb.0:
	.section	.rodata,"a",@progbits
	.p2align	6, 0x0
	.amdhsa_kernel _ZN7rocprim17ROCPRIM_400000_NS6detail17trampoline_kernelINS0_14default_configENS1_27lower_bound_config_selectorIxlEEZNS1_14transform_implILb0ES3_S5_N6thrust23THRUST_200600_302600_NS6detail15normal_iteratorINS8_7pointerIxNS8_11hip_rocprim5par_tENS8_11use_defaultESE_EEEENSA_INSB_IlSD_SE_SE_EEEEZNS1_13binary_searchIS3_S5_PxSG_SI_NS1_21lower_bound_search_opENS9_16wrapped_functionI11custom_lessbEEEE10hipError_tPvRmT1_T2_T3_mmT4_T5_P12ihipStream_tbEUlRKxE_EESP_ST_SU_mSV_SY_bEUlT_E_NS1_11comp_targetILNS1_3genE4ELNS1_11target_archE910ELNS1_3gpuE8ELNS1_3repE0EEENS1_30default_config_static_selectorELNS0_4arch9wavefront6targetE0EEEvSS_
		.amdhsa_group_segment_fixed_size 0
		.amdhsa_private_segment_fixed_size 0
		.amdhsa_kernarg_size 56
		.amdhsa_user_sgpr_count 6
		.amdhsa_user_sgpr_private_segment_buffer 1
		.amdhsa_user_sgpr_dispatch_ptr 0
		.amdhsa_user_sgpr_queue_ptr 0
		.amdhsa_user_sgpr_kernarg_segment_ptr 1
		.amdhsa_user_sgpr_dispatch_id 0
		.amdhsa_user_sgpr_flat_scratch_init 0
		.amdhsa_user_sgpr_private_segment_size 0
		.amdhsa_wavefront_size32 1
		.amdhsa_uses_dynamic_stack 0
		.amdhsa_system_sgpr_private_segment_wavefront_offset 0
		.amdhsa_system_sgpr_workgroup_id_x 1
		.amdhsa_system_sgpr_workgroup_id_y 0
		.amdhsa_system_sgpr_workgroup_id_z 0
		.amdhsa_system_sgpr_workgroup_info 0
		.amdhsa_system_vgpr_workitem_id 0
		.amdhsa_next_free_vgpr 1
		.amdhsa_next_free_sgpr 1
		.amdhsa_reserve_vcc 0
		.amdhsa_reserve_flat_scratch 0
		.amdhsa_float_round_mode_32 0
		.amdhsa_float_round_mode_16_64 0
		.amdhsa_float_denorm_mode_32 3
		.amdhsa_float_denorm_mode_16_64 3
		.amdhsa_dx10_clamp 1
		.amdhsa_ieee_mode 1
		.amdhsa_fp16_overflow 0
		.amdhsa_workgroup_processor_mode 1
		.amdhsa_memory_ordered 1
		.amdhsa_forward_progress 1
		.amdhsa_shared_vgpr_count 0
		.amdhsa_exception_fp_ieee_invalid_op 0
		.amdhsa_exception_fp_denorm_src 0
		.amdhsa_exception_fp_ieee_div_zero 0
		.amdhsa_exception_fp_ieee_overflow 0
		.amdhsa_exception_fp_ieee_underflow 0
		.amdhsa_exception_fp_ieee_inexact 0
		.amdhsa_exception_int_div_zero 0
	.end_amdhsa_kernel
	.section	.text._ZN7rocprim17ROCPRIM_400000_NS6detail17trampoline_kernelINS0_14default_configENS1_27lower_bound_config_selectorIxlEEZNS1_14transform_implILb0ES3_S5_N6thrust23THRUST_200600_302600_NS6detail15normal_iteratorINS8_7pointerIxNS8_11hip_rocprim5par_tENS8_11use_defaultESE_EEEENSA_INSB_IlSD_SE_SE_EEEEZNS1_13binary_searchIS3_S5_PxSG_SI_NS1_21lower_bound_search_opENS9_16wrapped_functionI11custom_lessbEEEE10hipError_tPvRmT1_T2_T3_mmT4_T5_P12ihipStream_tbEUlRKxE_EESP_ST_SU_mSV_SY_bEUlT_E_NS1_11comp_targetILNS1_3genE4ELNS1_11target_archE910ELNS1_3gpuE8ELNS1_3repE0EEENS1_30default_config_static_selectorELNS0_4arch9wavefront6targetE0EEEvSS_,"axG",@progbits,_ZN7rocprim17ROCPRIM_400000_NS6detail17trampoline_kernelINS0_14default_configENS1_27lower_bound_config_selectorIxlEEZNS1_14transform_implILb0ES3_S5_N6thrust23THRUST_200600_302600_NS6detail15normal_iteratorINS8_7pointerIxNS8_11hip_rocprim5par_tENS8_11use_defaultESE_EEEENSA_INSB_IlSD_SE_SE_EEEEZNS1_13binary_searchIS3_S5_PxSG_SI_NS1_21lower_bound_search_opENS9_16wrapped_functionI11custom_lessbEEEE10hipError_tPvRmT1_T2_T3_mmT4_T5_P12ihipStream_tbEUlRKxE_EESP_ST_SU_mSV_SY_bEUlT_E_NS1_11comp_targetILNS1_3genE4ELNS1_11target_archE910ELNS1_3gpuE8ELNS1_3repE0EEENS1_30default_config_static_selectorELNS0_4arch9wavefront6targetE0EEEvSS_,comdat
.Lfunc_end106:
	.size	_ZN7rocprim17ROCPRIM_400000_NS6detail17trampoline_kernelINS0_14default_configENS1_27lower_bound_config_selectorIxlEEZNS1_14transform_implILb0ES3_S5_N6thrust23THRUST_200600_302600_NS6detail15normal_iteratorINS8_7pointerIxNS8_11hip_rocprim5par_tENS8_11use_defaultESE_EEEENSA_INSB_IlSD_SE_SE_EEEEZNS1_13binary_searchIS3_S5_PxSG_SI_NS1_21lower_bound_search_opENS9_16wrapped_functionI11custom_lessbEEEE10hipError_tPvRmT1_T2_T3_mmT4_T5_P12ihipStream_tbEUlRKxE_EESP_ST_SU_mSV_SY_bEUlT_E_NS1_11comp_targetILNS1_3genE4ELNS1_11target_archE910ELNS1_3gpuE8ELNS1_3repE0EEENS1_30default_config_static_selectorELNS0_4arch9wavefront6targetE0EEEvSS_, .Lfunc_end106-_ZN7rocprim17ROCPRIM_400000_NS6detail17trampoline_kernelINS0_14default_configENS1_27lower_bound_config_selectorIxlEEZNS1_14transform_implILb0ES3_S5_N6thrust23THRUST_200600_302600_NS6detail15normal_iteratorINS8_7pointerIxNS8_11hip_rocprim5par_tENS8_11use_defaultESE_EEEENSA_INSB_IlSD_SE_SE_EEEEZNS1_13binary_searchIS3_S5_PxSG_SI_NS1_21lower_bound_search_opENS9_16wrapped_functionI11custom_lessbEEEE10hipError_tPvRmT1_T2_T3_mmT4_T5_P12ihipStream_tbEUlRKxE_EESP_ST_SU_mSV_SY_bEUlT_E_NS1_11comp_targetILNS1_3genE4ELNS1_11target_archE910ELNS1_3gpuE8ELNS1_3repE0EEENS1_30default_config_static_selectorELNS0_4arch9wavefront6targetE0EEEvSS_
                                        ; -- End function
	.set _ZN7rocprim17ROCPRIM_400000_NS6detail17trampoline_kernelINS0_14default_configENS1_27lower_bound_config_selectorIxlEEZNS1_14transform_implILb0ES3_S5_N6thrust23THRUST_200600_302600_NS6detail15normal_iteratorINS8_7pointerIxNS8_11hip_rocprim5par_tENS8_11use_defaultESE_EEEENSA_INSB_IlSD_SE_SE_EEEEZNS1_13binary_searchIS3_S5_PxSG_SI_NS1_21lower_bound_search_opENS9_16wrapped_functionI11custom_lessbEEEE10hipError_tPvRmT1_T2_T3_mmT4_T5_P12ihipStream_tbEUlRKxE_EESP_ST_SU_mSV_SY_bEUlT_E_NS1_11comp_targetILNS1_3genE4ELNS1_11target_archE910ELNS1_3gpuE8ELNS1_3repE0EEENS1_30default_config_static_selectorELNS0_4arch9wavefront6targetE0EEEvSS_.num_vgpr, 0
	.set _ZN7rocprim17ROCPRIM_400000_NS6detail17trampoline_kernelINS0_14default_configENS1_27lower_bound_config_selectorIxlEEZNS1_14transform_implILb0ES3_S5_N6thrust23THRUST_200600_302600_NS6detail15normal_iteratorINS8_7pointerIxNS8_11hip_rocprim5par_tENS8_11use_defaultESE_EEEENSA_INSB_IlSD_SE_SE_EEEEZNS1_13binary_searchIS3_S5_PxSG_SI_NS1_21lower_bound_search_opENS9_16wrapped_functionI11custom_lessbEEEE10hipError_tPvRmT1_T2_T3_mmT4_T5_P12ihipStream_tbEUlRKxE_EESP_ST_SU_mSV_SY_bEUlT_E_NS1_11comp_targetILNS1_3genE4ELNS1_11target_archE910ELNS1_3gpuE8ELNS1_3repE0EEENS1_30default_config_static_selectorELNS0_4arch9wavefront6targetE0EEEvSS_.num_agpr, 0
	.set _ZN7rocprim17ROCPRIM_400000_NS6detail17trampoline_kernelINS0_14default_configENS1_27lower_bound_config_selectorIxlEEZNS1_14transform_implILb0ES3_S5_N6thrust23THRUST_200600_302600_NS6detail15normal_iteratorINS8_7pointerIxNS8_11hip_rocprim5par_tENS8_11use_defaultESE_EEEENSA_INSB_IlSD_SE_SE_EEEEZNS1_13binary_searchIS3_S5_PxSG_SI_NS1_21lower_bound_search_opENS9_16wrapped_functionI11custom_lessbEEEE10hipError_tPvRmT1_T2_T3_mmT4_T5_P12ihipStream_tbEUlRKxE_EESP_ST_SU_mSV_SY_bEUlT_E_NS1_11comp_targetILNS1_3genE4ELNS1_11target_archE910ELNS1_3gpuE8ELNS1_3repE0EEENS1_30default_config_static_selectorELNS0_4arch9wavefront6targetE0EEEvSS_.numbered_sgpr, 0
	.set _ZN7rocprim17ROCPRIM_400000_NS6detail17trampoline_kernelINS0_14default_configENS1_27lower_bound_config_selectorIxlEEZNS1_14transform_implILb0ES3_S5_N6thrust23THRUST_200600_302600_NS6detail15normal_iteratorINS8_7pointerIxNS8_11hip_rocprim5par_tENS8_11use_defaultESE_EEEENSA_INSB_IlSD_SE_SE_EEEEZNS1_13binary_searchIS3_S5_PxSG_SI_NS1_21lower_bound_search_opENS9_16wrapped_functionI11custom_lessbEEEE10hipError_tPvRmT1_T2_T3_mmT4_T5_P12ihipStream_tbEUlRKxE_EESP_ST_SU_mSV_SY_bEUlT_E_NS1_11comp_targetILNS1_3genE4ELNS1_11target_archE910ELNS1_3gpuE8ELNS1_3repE0EEENS1_30default_config_static_selectorELNS0_4arch9wavefront6targetE0EEEvSS_.num_named_barrier, 0
	.set _ZN7rocprim17ROCPRIM_400000_NS6detail17trampoline_kernelINS0_14default_configENS1_27lower_bound_config_selectorIxlEEZNS1_14transform_implILb0ES3_S5_N6thrust23THRUST_200600_302600_NS6detail15normal_iteratorINS8_7pointerIxNS8_11hip_rocprim5par_tENS8_11use_defaultESE_EEEENSA_INSB_IlSD_SE_SE_EEEEZNS1_13binary_searchIS3_S5_PxSG_SI_NS1_21lower_bound_search_opENS9_16wrapped_functionI11custom_lessbEEEE10hipError_tPvRmT1_T2_T3_mmT4_T5_P12ihipStream_tbEUlRKxE_EESP_ST_SU_mSV_SY_bEUlT_E_NS1_11comp_targetILNS1_3genE4ELNS1_11target_archE910ELNS1_3gpuE8ELNS1_3repE0EEENS1_30default_config_static_selectorELNS0_4arch9wavefront6targetE0EEEvSS_.private_seg_size, 0
	.set _ZN7rocprim17ROCPRIM_400000_NS6detail17trampoline_kernelINS0_14default_configENS1_27lower_bound_config_selectorIxlEEZNS1_14transform_implILb0ES3_S5_N6thrust23THRUST_200600_302600_NS6detail15normal_iteratorINS8_7pointerIxNS8_11hip_rocprim5par_tENS8_11use_defaultESE_EEEENSA_INSB_IlSD_SE_SE_EEEEZNS1_13binary_searchIS3_S5_PxSG_SI_NS1_21lower_bound_search_opENS9_16wrapped_functionI11custom_lessbEEEE10hipError_tPvRmT1_T2_T3_mmT4_T5_P12ihipStream_tbEUlRKxE_EESP_ST_SU_mSV_SY_bEUlT_E_NS1_11comp_targetILNS1_3genE4ELNS1_11target_archE910ELNS1_3gpuE8ELNS1_3repE0EEENS1_30default_config_static_selectorELNS0_4arch9wavefront6targetE0EEEvSS_.uses_vcc, 0
	.set _ZN7rocprim17ROCPRIM_400000_NS6detail17trampoline_kernelINS0_14default_configENS1_27lower_bound_config_selectorIxlEEZNS1_14transform_implILb0ES3_S5_N6thrust23THRUST_200600_302600_NS6detail15normal_iteratorINS8_7pointerIxNS8_11hip_rocprim5par_tENS8_11use_defaultESE_EEEENSA_INSB_IlSD_SE_SE_EEEEZNS1_13binary_searchIS3_S5_PxSG_SI_NS1_21lower_bound_search_opENS9_16wrapped_functionI11custom_lessbEEEE10hipError_tPvRmT1_T2_T3_mmT4_T5_P12ihipStream_tbEUlRKxE_EESP_ST_SU_mSV_SY_bEUlT_E_NS1_11comp_targetILNS1_3genE4ELNS1_11target_archE910ELNS1_3gpuE8ELNS1_3repE0EEENS1_30default_config_static_selectorELNS0_4arch9wavefront6targetE0EEEvSS_.uses_flat_scratch, 0
	.set _ZN7rocprim17ROCPRIM_400000_NS6detail17trampoline_kernelINS0_14default_configENS1_27lower_bound_config_selectorIxlEEZNS1_14transform_implILb0ES3_S5_N6thrust23THRUST_200600_302600_NS6detail15normal_iteratorINS8_7pointerIxNS8_11hip_rocprim5par_tENS8_11use_defaultESE_EEEENSA_INSB_IlSD_SE_SE_EEEEZNS1_13binary_searchIS3_S5_PxSG_SI_NS1_21lower_bound_search_opENS9_16wrapped_functionI11custom_lessbEEEE10hipError_tPvRmT1_T2_T3_mmT4_T5_P12ihipStream_tbEUlRKxE_EESP_ST_SU_mSV_SY_bEUlT_E_NS1_11comp_targetILNS1_3genE4ELNS1_11target_archE910ELNS1_3gpuE8ELNS1_3repE0EEENS1_30default_config_static_selectorELNS0_4arch9wavefront6targetE0EEEvSS_.has_dyn_sized_stack, 0
	.set _ZN7rocprim17ROCPRIM_400000_NS6detail17trampoline_kernelINS0_14default_configENS1_27lower_bound_config_selectorIxlEEZNS1_14transform_implILb0ES3_S5_N6thrust23THRUST_200600_302600_NS6detail15normal_iteratorINS8_7pointerIxNS8_11hip_rocprim5par_tENS8_11use_defaultESE_EEEENSA_INSB_IlSD_SE_SE_EEEEZNS1_13binary_searchIS3_S5_PxSG_SI_NS1_21lower_bound_search_opENS9_16wrapped_functionI11custom_lessbEEEE10hipError_tPvRmT1_T2_T3_mmT4_T5_P12ihipStream_tbEUlRKxE_EESP_ST_SU_mSV_SY_bEUlT_E_NS1_11comp_targetILNS1_3genE4ELNS1_11target_archE910ELNS1_3gpuE8ELNS1_3repE0EEENS1_30default_config_static_selectorELNS0_4arch9wavefront6targetE0EEEvSS_.has_recursion, 0
	.set _ZN7rocprim17ROCPRIM_400000_NS6detail17trampoline_kernelINS0_14default_configENS1_27lower_bound_config_selectorIxlEEZNS1_14transform_implILb0ES3_S5_N6thrust23THRUST_200600_302600_NS6detail15normal_iteratorINS8_7pointerIxNS8_11hip_rocprim5par_tENS8_11use_defaultESE_EEEENSA_INSB_IlSD_SE_SE_EEEEZNS1_13binary_searchIS3_S5_PxSG_SI_NS1_21lower_bound_search_opENS9_16wrapped_functionI11custom_lessbEEEE10hipError_tPvRmT1_T2_T3_mmT4_T5_P12ihipStream_tbEUlRKxE_EESP_ST_SU_mSV_SY_bEUlT_E_NS1_11comp_targetILNS1_3genE4ELNS1_11target_archE910ELNS1_3gpuE8ELNS1_3repE0EEENS1_30default_config_static_selectorELNS0_4arch9wavefront6targetE0EEEvSS_.has_indirect_call, 0
	.section	.AMDGPU.csdata,"",@progbits
; Kernel info:
; codeLenInByte = 0
; TotalNumSgprs: 0
; NumVgprs: 0
; ScratchSize: 0
; MemoryBound: 0
; FloatMode: 240
; IeeeMode: 1
; LDSByteSize: 0 bytes/workgroup (compile time only)
; SGPRBlocks: 0
; VGPRBlocks: 0
; NumSGPRsForWavesPerEU: 1
; NumVGPRsForWavesPerEU: 1
; Occupancy: 16
; WaveLimiterHint : 0
; COMPUTE_PGM_RSRC2:SCRATCH_EN: 0
; COMPUTE_PGM_RSRC2:USER_SGPR: 6
; COMPUTE_PGM_RSRC2:TRAP_HANDLER: 0
; COMPUTE_PGM_RSRC2:TGID_X_EN: 1
; COMPUTE_PGM_RSRC2:TGID_Y_EN: 0
; COMPUTE_PGM_RSRC2:TGID_Z_EN: 0
; COMPUTE_PGM_RSRC2:TIDIG_COMP_CNT: 0
	.section	.text._ZN7rocprim17ROCPRIM_400000_NS6detail17trampoline_kernelINS0_14default_configENS1_27lower_bound_config_selectorIxlEEZNS1_14transform_implILb0ES3_S5_N6thrust23THRUST_200600_302600_NS6detail15normal_iteratorINS8_7pointerIxNS8_11hip_rocprim5par_tENS8_11use_defaultESE_EEEENSA_INSB_IlSD_SE_SE_EEEEZNS1_13binary_searchIS3_S5_PxSG_SI_NS1_21lower_bound_search_opENS9_16wrapped_functionI11custom_lessbEEEE10hipError_tPvRmT1_T2_T3_mmT4_T5_P12ihipStream_tbEUlRKxE_EESP_ST_SU_mSV_SY_bEUlT_E_NS1_11comp_targetILNS1_3genE3ELNS1_11target_archE908ELNS1_3gpuE7ELNS1_3repE0EEENS1_30default_config_static_selectorELNS0_4arch9wavefront6targetE0EEEvSS_,"axG",@progbits,_ZN7rocprim17ROCPRIM_400000_NS6detail17trampoline_kernelINS0_14default_configENS1_27lower_bound_config_selectorIxlEEZNS1_14transform_implILb0ES3_S5_N6thrust23THRUST_200600_302600_NS6detail15normal_iteratorINS8_7pointerIxNS8_11hip_rocprim5par_tENS8_11use_defaultESE_EEEENSA_INSB_IlSD_SE_SE_EEEEZNS1_13binary_searchIS3_S5_PxSG_SI_NS1_21lower_bound_search_opENS9_16wrapped_functionI11custom_lessbEEEE10hipError_tPvRmT1_T2_T3_mmT4_T5_P12ihipStream_tbEUlRKxE_EESP_ST_SU_mSV_SY_bEUlT_E_NS1_11comp_targetILNS1_3genE3ELNS1_11target_archE908ELNS1_3gpuE7ELNS1_3repE0EEENS1_30default_config_static_selectorELNS0_4arch9wavefront6targetE0EEEvSS_,comdat
	.protected	_ZN7rocprim17ROCPRIM_400000_NS6detail17trampoline_kernelINS0_14default_configENS1_27lower_bound_config_selectorIxlEEZNS1_14transform_implILb0ES3_S5_N6thrust23THRUST_200600_302600_NS6detail15normal_iteratorINS8_7pointerIxNS8_11hip_rocprim5par_tENS8_11use_defaultESE_EEEENSA_INSB_IlSD_SE_SE_EEEEZNS1_13binary_searchIS3_S5_PxSG_SI_NS1_21lower_bound_search_opENS9_16wrapped_functionI11custom_lessbEEEE10hipError_tPvRmT1_T2_T3_mmT4_T5_P12ihipStream_tbEUlRKxE_EESP_ST_SU_mSV_SY_bEUlT_E_NS1_11comp_targetILNS1_3genE3ELNS1_11target_archE908ELNS1_3gpuE7ELNS1_3repE0EEENS1_30default_config_static_selectorELNS0_4arch9wavefront6targetE0EEEvSS_ ; -- Begin function _ZN7rocprim17ROCPRIM_400000_NS6detail17trampoline_kernelINS0_14default_configENS1_27lower_bound_config_selectorIxlEEZNS1_14transform_implILb0ES3_S5_N6thrust23THRUST_200600_302600_NS6detail15normal_iteratorINS8_7pointerIxNS8_11hip_rocprim5par_tENS8_11use_defaultESE_EEEENSA_INSB_IlSD_SE_SE_EEEEZNS1_13binary_searchIS3_S5_PxSG_SI_NS1_21lower_bound_search_opENS9_16wrapped_functionI11custom_lessbEEEE10hipError_tPvRmT1_T2_T3_mmT4_T5_P12ihipStream_tbEUlRKxE_EESP_ST_SU_mSV_SY_bEUlT_E_NS1_11comp_targetILNS1_3genE3ELNS1_11target_archE908ELNS1_3gpuE7ELNS1_3repE0EEENS1_30default_config_static_selectorELNS0_4arch9wavefront6targetE0EEEvSS_
	.globl	_ZN7rocprim17ROCPRIM_400000_NS6detail17trampoline_kernelINS0_14default_configENS1_27lower_bound_config_selectorIxlEEZNS1_14transform_implILb0ES3_S5_N6thrust23THRUST_200600_302600_NS6detail15normal_iteratorINS8_7pointerIxNS8_11hip_rocprim5par_tENS8_11use_defaultESE_EEEENSA_INSB_IlSD_SE_SE_EEEEZNS1_13binary_searchIS3_S5_PxSG_SI_NS1_21lower_bound_search_opENS9_16wrapped_functionI11custom_lessbEEEE10hipError_tPvRmT1_T2_T3_mmT4_T5_P12ihipStream_tbEUlRKxE_EESP_ST_SU_mSV_SY_bEUlT_E_NS1_11comp_targetILNS1_3genE3ELNS1_11target_archE908ELNS1_3gpuE7ELNS1_3repE0EEENS1_30default_config_static_selectorELNS0_4arch9wavefront6targetE0EEEvSS_
	.p2align	8
	.type	_ZN7rocprim17ROCPRIM_400000_NS6detail17trampoline_kernelINS0_14default_configENS1_27lower_bound_config_selectorIxlEEZNS1_14transform_implILb0ES3_S5_N6thrust23THRUST_200600_302600_NS6detail15normal_iteratorINS8_7pointerIxNS8_11hip_rocprim5par_tENS8_11use_defaultESE_EEEENSA_INSB_IlSD_SE_SE_EEEEZNS1_13binary_searchIS3_S5_PxSG_SI_NS1_21lower_bound_search_opENS9_16wrapped_functionI11custom_lessbEEEE10hipError_tPvRmT1_T2_T3_mmT4_T5_P12ihipStream_tbEUlRKxE_EESP_ST_SU_mSV_SY_bEUlT_E_NS1_11comp_targetILNS1_3genE3ELNS1_11target_archE908ELNS1_3gpuE7ELNS1_3repE0EEENS1_30default_config_static_selectorELNS0_4arch9wavefront6targetE0EEEvSS_,@function
_ZN7rocprim17ROCPRIM_400000_NS6detail17trampoline_kernelINS0_14default_configENS1_27lower_bound_config_selectorIxlEEZNS1_14transform_implILb0ES3_S5_N6thrust23THRUST_200600_302600_NS6detail15normal_iteratorINS8_7pointerIxNS8_11hip_rocprim5par_tENS8_11use_defaultESE_EEEENSA_INSB_IlSD_SE_SE_EEEEZNS1_13binary_searchIS3_S5_PxSG_SI_NS1_21lower_bound_search_opENS9_16wrapped_functionI11custom_lessbEEEE10hipError_tPvRmT1_T2_T3_mmT4_T5_P12ihipStream_tbEUlRKxE_EESP_ST_SU_mSV_SY_bEUlT_E_NS1_11comp_targetILNS1_3genE3ELNS1_11target_archE908ELNS1_3gpuE7ELNS1_3repE0EEENS1_30default_config_static_selectorELNS0_4arch9wavefront6targetE0EEEvSS_: ; @_ZN7rocprim17ROCPRIM_400000_NS6detail17trampoline_kernelINS0_14default_configENS1_27lower_bound_config_selectorIxlEEZNS1_14transform_implILb0ES3_S5_N6thrust23THRUST_200600_302600_NS6detail15normal_iteratorINS8_7pointerIxNS8_11hip_rocprim5par_tENS8_11use_defaultESE_EEEENSA_INSB_IlSD_SE_SE_EEEEZNS1_13binary_searchIS3_S5_PxSG_SI_NS1_21lower_bound_search_opENS9_16wrapped_functionI11custom_lessbEEEE10hipError_tPvRmT1_T2_T3_mmT4_T5_P12ihipStream_tbEUlRKxE_EESP_ST_SU_mSV_SY_bEUlT_E_NS1_11comp_targetILNS1_3genE3ELNS1_11target_archE908ELNS1_3gpuE7ELNS1_3repE0EEENS1_30default_config_static_selectorELNS0_4arch9wavefront6targetE0EEEvSS_
; %bb.0:
	.section	.rodata,"a",@progbits
	.p2align	6, 0x0
	.amdhsa_kernel _ZN7rocprim17ROCPRIM_400000_NS6detail17trampoline_kernelINS0_14default_configENS1_27lower_bound_config_selectorIxlEEZNS1_14transform_implILb0ES3_S5_N6thrust23THRUST_200600_302600_NS6detail15normal_iteratorINS8_7pointerIxNS8_11hip_rocprim5par_tENS8_11use_defaultESE_EEEENSA_INSB_IlSD_SE_SE_EEEEZNS1_13binary_searchIS3_S5_PxSG_SI_NS1_21lower_bound_search_opENS9_16wrapped_functionI11custom_lessbEEEE10hipError_tPvRmT1_T2_T3_mmT4_T5_P12ihipStream_tbEUlRKxE_EESP_ST_SU_mSV_SY_bEUlT_E_NS1_11comp_targetILNS1_3genE3ELNS1_11target_archE908ELNS1_3gpuE7ELNS1_3repE0EEENS1_30default_config_static_selectorELNS0_4arch9wavefront6targetE0EEEvSS_
		.amdhsa_group_segment_fixed_size 0
		.amdhsa_private_segment_fixed_size 0
		.amdhsa_kernarg_size 56
		.amdhsa_user_sgpr_count 6
		.amdhsa_user_sgpr_private_segment_buffer 1
		.amdhsa_user_sgpr_dispatch_ptr 0
		.amdhsa_user_sgpr_queue_ptr 0
		.amdhsa_user_sgpr_kernarg_segment_ptr 1
		.amdhsa_user_sgpr_dispatch_id 0
		.amdhsa_user_sgpr_flat_scratch_init 0
		.amdhsa_user_sgpr_private_segment_size 0
		.amdhsa_wavefront_size32 1
		.amdhsa_uses_dynamic_stack 0
		.amdhsa_system_sgpr_private_segment_wavefront_offset 0
		.amdhsa_system_sgpr_workgroup_id_x 1
		.amdhsa_system_sgpr_workgroup_id_y 0
		.amdhsa_system_sgpr_workgroup_id_z 0
		.amdhsa_system_sgpr_workgroup_info 0
		.amdhsa_system_vgpr_workitem_id 0
		.amdhsa_next_free_vgpr 1
		.amdhsa_next_free_sgpr 1
		.amdhsa_reserve_vcc 0
		.amdhsa_reserve_flat_scratch 0
		.amdhsa_float_round_mode_32 0
		.amdhsa_float_round_mode_16_64 0
		.amdhsa_float_denorm_mode_32 3
		.amdhsa_float_denorm_mode_16_64 3
		.amdhsa_dx10_clamp 1
		.amdhsa_ieee_mode 1
		.amdhsa_fp16_overflow 0
		.amdhsa_workgroup_processor_mode 1
		.amdhsa_memory_ordered 1
		.amdhsa_forward_progress 1
		.amdhsa_shared_vgpr_count 0
		.amdhsa_exception_fp_ieee_invalid_op 0
		.amdhsa_exception_fp_denorm_src 0
		.amdhsa_exception_fp_ieee_div_zero 0
		.amdhsa_exception_fp_ieee_overflow 0
		.amdhsa_exception_fp_ieee_underflow 0
		.amdhsa_exception_fp_ieee_inexact 0
		.amdhsa_exception_int_div_zero 0
	.end_amdhsa_kernel
	.section	.text._ZN7rocprim17ROCPRIM_400000_NS6detail17trampoline_kernelINS0_14default_configENS1_27lower_bound_config_selectorIxlEEZNS1_14transform_implILb0ES3_S5_N6thrust23THRUST_200600_302600_NS6detail15normal_iteratorINS8_7pointerIxNS8_11hip_rocprim5par_tENS8_11use_defaultESE_EEEENSA_INSB_IlSD_SE_SE_EEEEZNS1_13binary_searchIS3_S5_PxSG_SI_NS1_21lower_bound_search_opENS9_16wrapped_functionI11custom_lessbEEEE10hipError_tPvRmT1_T2_T3_mmT4_T5_P12ihipStream_tbEUlRKxE_EESP_ST_SU_mSV_SY_bEUlT_E_NS1_11comp_targetILNS1_3genE3ELNS1_11target_archE908ELNS1_3gpuE7ELNS1_3repE0EEENS1_30default_config_static_selectorELNS0_4arch9wavefront6targetE0EEEvSS_,"axG",@progbits,_ZN7rocprim17ROCPRIM_400000_NS6detail17trampoline_kernelINS0_14default_configENS1_27lower_bound_config_selectorIxlEEZNS1_14transform_implILb0ES3_S5_N6thrust23THRUST_200600_302600_NS6detail15normal_iteratorINS8_7pointerIxNS8_11hip_rocprim5par_tENS8_11use_defaultESE_EEEENSA_INSB_IlSD_SE_SE_EEEEZNS1_13binary_searchIS3_S5_PxSG_SI_NS1_21lower_bound_search_opENS9_16wrapped_functionI11custom_lessbEEEE10hipError_tPvRmT1_T2_T3_mmT4_T5_P12ihipStream_tbEUlRKxE_EESP_ST_SU_mSV_SY_bEUlT_E_NS1_11comp_targetILNS1_3genE3ELNS1_11target_archE908ELNS1_3gpuE7ELNS1_3repE0EEENS1_30default_config_static_selectorELNS0_4arch9wavefront6targetE0EEEvSS_,comdat
.Lfunc_end107:
	.size	_ZN7rocprim17ROCPRIM_400000_NS6detail17trampoline_kernelINS0_14default_configENS1_27lower_bound_config_selectorIxlEEZNS1_14transform_implILb0ES3_S5_N6thrust23THRUST_200600_302600_NS6detail15normal_iteratorINS8_7pointerIxNS8_11hip_rocprim5par_tENS8_11use_defaultESE_EEEENSA_INSB_IlSD_SE_SE_EEEEZNS1_13binary_searchIS3_S5_PxSG_SI_NS1_21lower_bound_search_opENS9_16wrapped_functionI11custom_lessbEEEE10hipError_tPvRmT1_T2_T3_mmT4_T5_P12ihipStream_tbEUlRKxE_EESP_ST_SU_mSV_SY_bEUlT_E_NS1_11comp_targetILNS1_3genE3ELNS1_11target_archE908ELNS1_3gpuE7ELNS1_3repE0EEENS1_30default_config_static_selectorELNS0_4arch9wavefront6targetE0EEEvSS_, .Lfunc_end107-_ZN7rocprim17ROCPRIM_400000_NS6detail17trampoline_kernelINS0_14default_configENS1_27lower_bound_config_selectorIxlEEZNS1_14transform_implILb0ES3_S5_N6thrust23THRUST_200600_302600_NS6detail15normal_iteratorINS8_7pointerIxNS8_11hip_rocprim5par_tENS8_11use_defaultESE_EEEENSA_INSB_IlSD_SE_SE_EEEEZNS1_13binary_searchIS3_S5_PxSG_SI_NS1_21lower_bound_search_opENS9_16wrapped_functionI11custom_lessbEEEE10hipError_tPvRmT1_T2_T3_mmT4_T5_P12ihipStream_tbEUlRKxE_EESP_ST_SU_mSV_SY_bEUlT_E_NS1_11comp_targetILNS1_3genE3ELNS1_11target_archE908ELNS1_3gpuE7ELNS1_3repE0EEENS1_30default_config_static_selectorELNS0_4arch9wavefront6targetE0EEEvSS_
                                        ; -- End function
	.set _ZN7rocprim17ROCPRIM_400000_NS6detail17trampoline_kernelINS0_14default_configENS1_27lower_bound_config_selectorIxlEEZNS1_14transform_implILb0ES3_S5_N6thrust23THRUST_200600_302600_NS6detail15normal_iteratorINS8_7pointerIxNS8_11hip_rocprim5par_tENS8_11use_defaultESE_EEEENSA_INSB_IlSD_SE_SE_EEEEZNS1_13binary_searchIS3_S5_PxSG_SI_NS1_21lower_bound_search_opENS9_16wrapped_functionI11custom_lessbEEEE10hipError_tPvRmT1_T2_T3_mmT4_T5_P12ihipStream_tbEUlRKxE_EESP_ST_SU_mSV_SY_bEUlT_E_NS1_11comp_targetILNS1_3genE3ELNS1_11target_archE908ELNS1_3gpuE7ELNS1_3repE0EEENS1_30default_config_static_selectorELNS0_4arch9wavefront6targetE0EEEvSS_.num_vgpr, 0
	.set _ZN7rocprim17ROCPRIM_400000_NS6detail17trampoline_kernelINS0_14default_configENS1_27lower_bound_config_selectorIxlEEZNS1_14transform_implILb0ES3_S5_N6thrust23THRUST_200600_302600_NS6detail15normal_iteratorINS8_7pointerIxNS8_11hip_rocprim5par_tENS8_11use_defaultESE_EEEENSA_INSB_IlSD_SE_SE_EEEEZNS1_13binary_searchIS3_S5_PxSG_SI_NS1_21lower_bound_search_opENS9_16wrapped_functionI11custom_lessbEEEE10hipError_tPvRmT1_T2_T3_mmT4_T5_P12ihipStream_tbEUlRKxE_EESP_ST_SU_mSV_SY_bEUlT_E_NS1_11comp_targetILNS1_3genE3ELNS1_11target_archE908ELNS1_3gpuE7ELNS1_3repE0EEENS1_30default_config_static_selectorELNS0_4arch9wavefront6targetE0EEEvSS_.num_agpr, 0
	.set _ZN7rocprim17ROCPRIM_400000_NS6detail17trampoline_kernelINS0_14default_configENS1_27lower_bound_config_selectorIxlEEZNS1_14transform_implILb0ES3_S5_N6thrust23THRUST_200600_302600_NS6detail15normal_iteratorINS8_7pointerIxNS8_11hip_rocprim5par_tENS8_11use_defaultESE_EEEENSA_INSB_IlSD_SE_SE_EEEEZNS1_13binary_searchIS3_S5_PxSG_SI_NS1_21lower_bound_search_opENS9_16wrapped_functionI11custom_lessbEEEE10hipError_tPvRmT1_T2_T3_mmT4_T5_P12ihipStream_tbEUlRKxE_EESP_ST_SU_mSV_SY_bEUlT_E_NS1_11comp_targetILNS1_3genE3ELNS1_11target_archE908ELNS1_3gpuE7ELNS1_3repE0EEENS1_30default_config_static_selectorELNS0_4arch9wavefront6targetE0EEEvSS_.numbered_sgpr, 0
	.set _ZN7rocprim17ROCPRIM_400000_NS6detail17trampoline_kernelINS0_14default_configENS1_27lower_bound_config_selectorIxlEEZNS1_14transform_implILb0ES3_S5_N6thrust23THRUST_200600_302600_NS6detail15normal_iteratorINS8_7pointerIxNS8_11hip_rocprim5par_tENS8_11use_defaultESE_EEEENSA_INSB_IlSD_SE_SE_EEEEZNS1_13binary_searchIS3_S5_PxSG_SI_NS1_21lower_bound_search_opENS9_16wrapped_functionI11custom_lessbEEEE10hipError_tPvRmT1_T2_T3_mmT4_T5_P12ihipStream_tbEUlRKxE_EESP_ST_SU_mSV_SY_bEUlT_E_NS1_11comp_targetILNS1_3genE3ELNS1_11target_archE908ELNS1_3gpuE7ELNS1_3repE0EEENS1_30default_config_static_selectorELNS0_4arch9wavefront6targetE0EEEvSS_.num_named_barrier, 0
	.set _ZN7rocprim17ROCPRIM_400000_NS6detail17trampoline_kernelINS0_14default_configENS1_27lower_bound_config_selectorIxlEEZNS1_14transform_implILb0ES3_S5_N6thrust23THRUST_200600_302600_NS6detail15normal_iteratorINS8_7pointerIxNS8_11hip_rocprim5par_tENS8_11use_defaultESE_EEEENSA_INSB_IlSD_SE_SE_EEEEZNS1_13binary_searchIS3_S5_PxSG_SI_NS1_21lower_bound_search_opENS9_16wrapped_functionI11custom_lessbEEEE10hipError_tPvRmT1_T2_T3_mmT4_T5_P12ihipStream_tbEUlRKxE_EESP_ST_SU_mSV_SY_bEUlT_E_NS1_11comp_targetILNS1_3genE3ELNS1_11target_archE908ELNS1_3gpuE7ELNS1_3repE0EEENS1_30default_config_static_selectorELNS0_4arch9wavefront6targetE0EEEvSS_.private_seg_size, 0
	.set _ZN7rocprim17ROCPRIM_400000_NS6detail17trampoline_kernelINS0_14default_configENS1_27lower_bound_config_selectorIxlEEZNS1_14transform_implILb0ES3_S5_N6thrust23THRUST_200600_302600_NS6detail15normal_iteratorINS8_7pointerIxNS8_11hip_rocprim5par_tENS8_11use_defaultESE_EEEENSA_INSB_IlSD_SE_SE_EEEEZNS1_13binary_searchIS3_S5_PxSG_SI_NS1_21lower_bound_search_opENS9_16wrapped_functionI11custom_lessbEEEE10hipError_tPvRmT1_T2_T3_mmT4_T5_P12ihipStream_tbEUlRKxE_EESP_ST_SU_mSV_SY_bEUlT_E_NS1_11comp_targetILNS1_3genE3ELNS1_11target_archE908ELNS1_3gpuE7ELNS1_3repE0EEENS1_30default_config_static_selectorELNS0_4arch9wavefront6targetE0EEEvSS_.uses_vcc, 0
	.set _ZN7rocprim17ROCPRIM_400000_NS6detail17trampoline_kernelINS0_14default_configENS1_27lower_bound_config_selectorIxlEEZNS1_14transform_implILb0ES3_S5_N6thrust23THRUST_200600_302600_NS6detail15normal_iteratorINS8_7pointerIxNS8_11hip_rocprim5par_tENS8_11use_defaultESE_EEEENSA_INSB_IlSD_SE_SE_EEEEZNS1_13binary_searchIS3_S5_PxSG_SI_NS1_21lower_bound_search_opENS9_16wrapped_functionI11custom_lessbEEEE10hipError_tPvRmT1_T2_T3_mmT4_T5_P12ihipStream_tbEUlRKxE_EESP_ST_SU_mSV_SY_bEUlT_E_NS1_11comp_targetILNS1_3genE3ELNS1_11target_archE908ELNS1_3gpuE7ELNS1_3repE0EEENS1_30default_config_static_selectorELNS0_4arch9wavefront6targetE0EEEvSS_.uses_flat_scratch, 0
	.set _ZN7rocprim17ROCPRIM_400000_NS6detail17trampoline_kernelINS0_14default_configENS1_27lower_bound_config_selectorIxlEEZNS1_14transform_implILb0ES3_S5_N6thrust23THRUST_200600_302600_NS6detail15normal_iteratorINS8_7pointerIxNS8_11hip_rocprim5par_tENS8_11use_defaultESE_EEEENSA_INSB_IlSD_SE_SE_EEEEZNS1_13binary_searchIS3_S5_PxSG_SI_NS1_21lower_bound_search_opENS9_16wrapped_functionI11custom_lessbEEEE10hipError_tPvRmT1_T2_T3_mmT4_T5_P12ihipStream_tbEUlRKxE_EESP_ST_SU_mSV_SY_bEUlT_E_NS1_11comp_targetILNS1_3genE3ELNS1_11target_archE908ELNS1_3gpuE7ELNS1_3repE0EEENS1_30default_config_static_selectorELNS0_4arch9wavefront6targetE0EEEvSS_.has_dyn_sized_stack, 0
	.set _ZN7rocprim17ROCPRIM_400000_NS6detail17trampoline_kernelINS0_14default_configENS1_27lower_bound_config_selectorIxlEEZNS1_14transform_implILb0ES3_S5_N6thrust23THRUST_200600_302600_NS6detail15normal_iteratorINS8_7pointerIxNS8_11hip_rocprim5par_tENS8_11use_defaultESE_EEEENSA_INSB_IlSD_SE_SE_EEEEZNS1_13binary_searchIS3_S5_PxSG_SI_NS1_21lower_bound_search_opENS9_16wrapped_functionI11custom_lessbEEEE10hipError_tPvRmT1_T2_T3_mmT4_T5_P12ihipStream_tbEUlRKxE_EESP_ST_SU_mSV_SY_bEUlT_E_NS1_11comp_targetILNS1_3genE3ELNS1_11target_archE908ELNS1_3gpuE7ELNS1_3repE0EEENS1_30default_config_static_selectorELNS0_4arch9wavefront6targetE0EEEvSS_.has_recursion, 0
	.set _ZN7rocprim17ROCPRIM_400000_NS6detail17trampoline_kernelINS0_14default_configENS1_27lower_bound_config_selectorIxlEEZNS1_14transform_implILb0ES3_S5_N6thrust23THRUST_200600_302600_NS6detail15normal_iteratorINS8_7pointerIxNS8_11hip_rocprim5par_tENS8_11use_defaultESE_EEEENSA_INSB_IlSD_SE_SE_EEEEZNS1_13binary_searchIS3_S5_PxSG_SI_NS1_21lower_bound_search_opENS9_16wrapped_functionI11custom_lessbEEEE10hipError_tPvRmT1_T2_T3_mmT4_T5_P12ihipStream_tbEUlRKxE_EESP_ST_SU_mSV_SY_bEUlT_E_NS1_11comp_targetILNS1_3genE3ELNS1_11target_archE908ELNS1_3gpuE7ELNS1_3repE0EEENS1_30default_config_static_selectorELNS0_4arch9wavefront6targetE0EEEvSS_.has_indirect_call, 0
	.section	.AMDGPU.csdata,"",@progbits
; Kernel info:
; codeLenInByte = 0
; TotalNumSgprs: 0
; NumVgprs: 0
; ScratchSize: 0
; MemoryBound: 0
; FloatMode: 240
; IeeeMode: 1
; LDSByteSize: 0 bytes/workgroup (compile time only)
; SGPRBlocks: 0
; VGPRBlocks: 0
; NumSGPRsForWavesPerEU: 1
; NumVGPRsForWavesPerEU: 1
; Occupancy: 16
; WaveLimiterHint : 0
; COMPUTE_PGM_RSRC2:SCRATCH_EN: 0
; COMPUTE_PGM_RSRC2:USER_SGPR: 6
; COMPUTE_PGM_RSRC2:TRAP_HANDLER: 0
; COMPUTE_PGM_RSRC2:TGID_X_EN: 1
; COMPUTE_PGM_RSRC2:TGID_Y_EN: 0
; COMPUTE_PGM_RSRC2:TGID_Z_EN: 0
; COMPUTE_PGM_RSRC2:TIDIG_COMP_CNT: 0
	.section	.text._ZN7rocprim17ROCPRIM_400000_NS6detail17trampoline_kernelINS0_14default_configENS1_27lower_bound_config_selectorIxlEEZNS1_14transform_implILb0ES3_S5_N6thrust23THRUST_200600_302600_NS6detail15normal_iteratorINS8_7pointerIxNS8_11hip_rocprim5par_tENS8_11use_defaultESE_EEEENSA_INSB_IlSD_SE_SE_EEEEZNS1_13binary_searchIS3_S5_PxSG_SI_NS1_21lower_bound_search_opENS9_16wrapped_functionI11custom_lessbEEEE10hipError_tPvRmT1_T2_T3_mmT4_T5_P12ihipStream_tbEUlRKxE_EESP_ST_SU_mSV_SY_bEUlT_E_NS1_11comp_targetILNS1_3genE2ELNS1_11target_archE906ELNS1_3gpuE6ELNS1_3repE0EEENS1_30default_config_static_selectorELNS0_4arch9wavefront6targetE0EEEvSS_,"axG",@progbits,_ZN7rocprim17ROCPRIM_400000_NS6detail17trampoline_kernelINS0_14default_configENS1_27lower_bound_config_selectorIxlEEZNS1_14transform_implILb0ES3_S5_N6thrust23THRUST_200600_302600_NS6detail15normal_iteratorINS8_7pointerIxNS8_11hip_rocprim5par_tENS8_11use_defaultESE_EEEENSA_INSB_IlSD_SE_SE_EEEEZNS1_13binary_searchIS3_S5_PxSG_SI_NS1_21lower_bound_search_opENS9_16wrapped_functionI11custom_lessbEEEE10hipError_tPvRmT1_T2_T3_mmT4_T5_P12ihipStream_tbEUlRKxE_EESP_ST_SU_mSV_SY_bEUlT_E_NS1_11comp_targetILNS1_3genE2ELNS1_11target_archE906ELNS1_3gpuE6ELNS1_3repE0EEENS1_30default_config_static_selectorELNS0_4arch9wavefront6targetE0EEEvSS_,comdat
	.protected	_ZN7rocprim17ROCPRIM_400000_NS6detail17trampoline_kernelINS0_14default_configENS1_27lower_bound_config_selectorIxlEEZNS1_14transform_implILb0ES3_S5_N6thrust23THRUST_200600_302600_NS6detail15normal_iteratorINS8_7pointerIxNS8_11hip_rocprim5par_tENS8_11use_defaultESE_EEEENSA_INSB_IlSD_SE_SE_EEEEZNS1_13binary_searchIS3_S5_PxSG_SI_NS1_21lower_bound_search_opENS9_16wrapped_functionI11custom_lessbEEEE10hipError_tPvRmT1_T2_T3_mmT4_T5_P12ihipStream_tbEUlRKxE_EESP_ST_SU_mSV_SY_bEUlT_E_NS1_11comp_targetILNS1_3genE2ELNS1_11target_archE906ELNS1_3gpuE6ELNS1_3repE0EEENS1_30default_config_static_selectorELNS0_4arch9wavefront6targetE0EEEvSS_ ; -- Begin function _ZN7rocprim17ROCPRIM_400000_NS6detail17trampoline_kernelINS0_14default_configENS1_27lower_bound_config_selectorIxlEEZNS1_14transform_implILb0ES3_S5_N6thrust23THRUST_200600_302600_NS6detail15normal_iteratorINS8_7pointerIxNS8_11hip_rocprim5par_tENS8_11use_defaultESE_EEEENSA_INSB_IlSD_SE_SE_EEEEZNS1_13binary_searchIS3_S5_PxSG_SI_NS1_21lower_bound_search_opENS9_16wrapped_functionI11custom_lessbEEEE10hipError_tPvRmT1_T2_T3_mmT4_T5_P12ihipStream_tbEUlRKxE_EESP_ST_SU_mSV_SY_bEUlT_E_NS1_11comp_targetILNS1_3genE2ELNS1_11target_archE906ELNS1_3gpuE6ELNS1_3repE0EEENS1_30default_config_static_selectorELNS0_4arch9wavefront6targetE0EEEvSS_
	.globl	_ZN7rocprim17ROCPRIM_400000_NS6detail17trampoline_kernelINS0_14default_configENS1_27lower_bound_config_selectorIxlEEZNS1_14transform_implILb0ES3_S5_N6thrust23THRUST_200600_302600_NS6detail15normal_iteratorINS8_7pointerIxNS8_11hip_rocprim5par_tENS8_11use_defaultESE_EEEENSA_INSB_IlSD_SE_SE_EEEEZNS1_13binary_searchIS3_S5_PxSG_SI_NS1_21lower_bound_search_opENS9_16wrapped_functionI11custom_lessbEEEE10hipError_tPvRmT1_T2_T3_mmT4_T5_P12ihipStream_tbEUlRKxE_EESP_ST_SU_mSV_SY_bEUlT_E_NS1_11comp_targetILNS1_3genE2ELNS1_11target_archE906ELNS1_3gpuE6ELNS1_3repE0EEENS1_30default_config_static_selectorELNS0_4arch9wavefront6targetE0EEEvSS_
	.p2align	8
	.type	_ZN7rocprim17ROCPRIM_400000_NS6detail17trampoline_kernelINS0_14default_configENS1_27lower_bound_config_selectorIxlEEZNS1_14transform_implILb0ES3_S5_N6thrust23THRUST_200600_302600_NS6detail15normal_iteratorINS8_7pointerIxNS8_11hip_rocprim5par_tENS8_11use_defaultESE_EEEENSA_INSB_IlSD_SE_SE_EEEEZNS1_13binary_searchIS3_S5_PxSG_SI_NS1_21lower_bound_search_opENS9_16wrapped_functionI11custom_lessbEEEE10hipError_tPvRmT1_T2_T3_mmT4_T5_P12ihipStream_tbEUlRKxE_EESP_ST_SU_mSV_SY_bEUlT_E_NS1_11comp_targetILNS1_3genE2ELNS1_11target_archE906ELNS1_3gpuE6ELNS1_3repE0EEENS1_30default_config_static_selectorELNS0_4arch9wavefront6targetE0EEEvSS_,@function
_ZN7rocprim17ROCPRIM_400000_NS6detail17trampoline_kernelINS0_14default_configENS1_27lower_bound_config_selectorIxlEEZNS1_14transform_implILb0ES3_S5_N6thrust23THRUST_200600_302600_NS6detail15normal_iteratorINS8_7pointerIxNS8_11hip_rocprim5par_tENS8_11use_defaultESE_EEEENSA_INSB_IlSD_SE_SE_EEEEZNS1_13binary_searchIS3_S5_PxSG_SI_NS1_21lower_bound_search_opENS9_16wrapped_functionI11custom_lessbEEEE10hipError_tPvRmT1_T2_T3_mmT4_T5_P12ihipStream_tbEUlRKxE_EESP_ST_SU_mSV_SY_bEUlT_E_NS1_11comp_targetILNS1_3genE2ELNS1_11target_archE906ELNS1_3gpuE6ELNS1_3repE0EEENS1_30default_config_static_selectorELNS0_4arch9wavefront6targetE0EEEvSS_: ; @_ZN7rocprim17ROCPRIM_400000_NS6detail17trampoline_kernelINS0_14default_configENS1_27lower_bound_config_selectorIxlEEZNS1_14transform_implILb0ES3_S5_N6thrust23THRUST_200600_302600_NS6detail15normal_iteratorINS8_7pointerIxNS8_11hip_rocprim5par_tENS8_11use_defaultESE_EEEENSA_INSB_IlSD_SE_SE_EEEEZNS1_13binary_searchIS3_S5_PxSG_SI_NS1_21lower_bound_search_opENS9_16wrapped_functionI11custom_lessbEEEE10hipError_tPvRmT1_T2_T3_mmT4_T5_P12ihipStream_tbEUlRKxE_EESP_ST_SU_mSV_SY_bEUlT_E_NS1_11comp_targetILNS1_3genE2ELNS1_11target_archE906ELNS1_3gpuE6ELNS1_3repE0EEENS1_30default_config_static_selectorELNS0_4arch9wavefront6targetE0EEEvSS_
; %bb.0:
	.section	.rodata,"a",@progbits
	.p2align	6, 0x0
	.amdhsa_kernel _ZN7rocprim17ROCPRIM_400000_NS6detail17trampoline_kernelINS0_14default_configENS1_27lower_bound_config_selectorIxlEEZNS1_14transform_implILb0ES3_S5_N6thrust23THRUST_200600_302600_NS6detail15normal_iteratorINS8_7pointerIxNS8_11hip_rocprim5par_tENS8_11use_defaultESE_EEEENSA_INSB_IlSD_SE_SE_EEEEZNS1_13binary_searchIS3_S5_PxSG_SI_NS1_21lower_bound_search_opENS9_16wrapped_functionI11custom_lessbEEEE10hipError_tPvRmT1_T2_T3_mmT4_T5_P12ihipStream_tbEUlRKxE_EESP_ST_SU_mSV_SY_bEUlT_E_NS1_11comp_targetILNS1_3genE2ELNS1_11target_archE906ELNS1_3gpuE6ELNS1_3repE0EEENS1_30default_config_static_selectorELNS0_4arch9wavefront6targetE0EEEvSS_
		.amdhsa_group_segment_fixed_size 0
		.amdhsa_private_segment_fixed_size 0
		.amdhsa_kernarg_size 56
		.amdhsa_user_sgpr_count 6
		.amdhsa_user_sgpr_private_segment_buffer 1
		.amdhsa_user_sgpr_dispatch_ptr 0
		.amdhsa_user_sgpr_queue_ptr 0
		.amdhsa_user_sgpr_kernarg_segment_ptr 1
		.amdhsa_user_sgpr_dispatch_id 0
		.amdhsa_user_sgpr_flat_scratch_init 0
		.amdhsa_user_sgpr_private_segment_size 0
		.amdhsa_wavefront_size32 1
		.amdhsa_uses_dynamic_stack 0
		.amdhsa_system_sgpr_private_segment_wavefront_offset 0
		.amdhsa_system_sgpr_workgroup_id_x 1
		.amdhsa_system_sgpr_workgroup_id_y 0
		.amdhsa_system_sgpr_workgroup_id_z 0
		.amdhsa_system_sgpr_workgroup_info 0
		.amdhsa_system_vgpr_workitem_id 0
		.amdhsa_next_free_vgpr 1
		.amdhsa_next_free_sgpr 1
		.amdhsa_reserve_vcc 0
		.amdhsa_reserve_flat_scratch 0
		.amdhsa_float_round_mode_32 0
		.amdhsa_float_round_mode_16_64 0
		.amdhsa_float_denorm_mode_32 3
		.amdhsa_float_denorm_mode_16_64 3
		.amdhsa_dx10_clamp 1
		.amdhsa_ieee_mode 1
		.amdhsa_fp16_overflow 0
		.amdhsa_workgroup_processor_mode 1
		.amdhsa_memory_ordered 1
		.amdhsa_forward_progress 1
		.amdhsa_shared_vgpr_count 0
		.amdhsa_exception_fp_ieee_invalid_op 0
		.amdhsa_exception_fp_denorm_src 0
		.amdhsa_exception_fp_ieee_div_zero 0
		.amdhsa_exception_fp_ieee_overflow 0
		.amdhsa_exception_fp_ieee_underflow 0
		.amdhsa_exception_fp_ieee_inexact 0
		.amdhsa_exception_int_div_zero 0
	.end_amdhsa_kernel
	.section	.text._ZN7rocprim17ROCPRIM_400000_NS6detail17trampoline_kernelINS0_14default_configENS1_27lower_bound_config_selectorIxlEEZNS1_14transform_implILb0ES3_S5_N6thrust23THRUST_200600_302600_NS6detail15normal_iteratorINS8_7pointerIxNS8_11hip_rocprim5par_tENS8_11use_defaultESE_EEEENSA_INSB_IlSD_SE_SE_EEEEZNS1_13binary_searchIS3_S5_PxSG_SI_NS1_21lower_bound_search_opENS9_16wrapped_functionI11custom_lessbEEEE10hipError_tPvRmT1_T2_T3_mmT4_T5_P12ihipStream_tbEUlRKxE_EESP_ST_SU_mSV_SY_bEUlT_E_NS1_11comp_targetILNS1_3genE2ELNS1_11target_archE906ELNS1_3gpuE6ELNS1_3repE0EEENS1_30default_config_static_selectorELNS0_4arch9wavefront6targetE0EEEvSS_,"axG",@progbits,_ZN7rocprim17ROCPRIM_400000_NS6detail17trampoline_kernelINS0_14default_configENS1_27lower_bound_config_selectorIxlEEZNS1_14transform_implILb0ES3_S5_N6thrust23THRUST_200600_302600_NS6detail15normal_iteratorINS8_7pointerIxNS8_11hip_rocprim5par_tENS8_11use_defaultESE_EEEENSA_INSB_IlSD_SE_SE_EEEEZNS1_13binary_searchIS3_S5_PxSG_SI_NS1_21lower_bound_search_opENS9_16wrapped_functionI11custom_lessbEEEE10hipError_tPvRmT1_T2_T3_mmT4_T5_P12ihipStream_tbEUlRKxE_EESP_ST_SU_mSV_SY_bEUlT_E_NS1_11comp_targetILNS1_3genE2ELNS1_11target_archE906ELNS1_3gpuE6ELNS1_3repE0EEENS1_30default_config_static_selectorELNS0_4arch9wavefront6targetE0EEEvSS_,comdat
.Lfunc_end108:
	.size	_ZN7rocprim17ROCPRIM_400000_NS6detail17trampoline_kernelINS0_14default_configENS1_27lower_bound_config_selectorIxlEEZNS1_14transform_implILb0ES3_S5_N6thrust23THRUST_200600_302600_NS6detail15normal_iteratorINS8_7pointerIxNS8_11hip_rocprim5par_tENS8_11use_defaultESE_EEEENSA_INSB_IlSD_SE_SE_EEEEZNS1_13binary_searchIS3_S5_PxSG_SI_NS1_21lower_bound_search_opENS9_16wrapped_functionI11custom_lessbEEEE10hipError_tPvRmT1_T2_T3_mmT4_T5_P12ihipStream_tbEUlRKxE_EESP_ST_SU_mSV_SY_bEUlT_E_NS1_11comp_targetILNS1_3genE2ELNS1_11target_archE906ELNS1_3gpuE6ELNS1_3repE0EEENS1_30default_config_static_selectorELNS0_4arch9wavefront6targetE0EEEvSS_, .Lfunc_end108-_ZN7rocprim17ROCPRIM_400000_NS6detail17trampoline_kernelINS0_14default_configENS1_27lower_bound_config_selectorIxlEEZNS1_14transform_implILb0ES3_S5_N6thrust23THRUST_200600_302600_NS6detail15normal_iteratorINS8_7pointerIxNS8_11hip_rocprim5par_tENS8_11use_defaultESE_EEEENSA_INSB_IlSD_SE_SE_EEEEZNS1_13binary_searchIS3_S5_PxSG_SI_NS1_21lower_bound_search_opENS9_16wrapped_functionI11custom_lessbEEEE10hipError_tPvRmT1_T2_T3_mmT4_T5_P12ihipStream_tbEUlRKxE_EESP_ST_SU_mSV_SY_bEUlT_E_NS1_11comp_targetILNS1_3genE2ELNS1_11target_archE906ELNS1_3gpuE6ELNS1_3repE0EEENS1_30default_config_static_selectorELNS0_4arch9wavefront6targetE0EEEvSS_
                                        ; -- End function
	.set _ZN7rocprim17ROCPRIM_400000_NS6detail17trampoline_kernelINS0_14default_configENS1_27lower_bound_config_selectorIxlEEZNS1_14transform_implILb0ES3_S5_N6thrust23THRUST_200600_302600_NS6detail15normal_iteratorINS8_7pointerIxNS8_11hip_rocprim5par_tENS8_11use_defaultESE_EEEENSA_INSB_IlSD_SE_SE_EEEEZNS1_13binary_searchIS3_S5_PxSG_SI_NS1_21lower_bound_search_opENS9_16wrapped_functionI11custom_lessbEEEE10hipError_tPvRmT1_T2_T3_mmT4_T5_P12ihipStream_tbEUlRKxE_EESP_ST_SU_mSV_SY_bEUlT_E_NS1_11comp_targetILNS1_3genE2ELNS1_11target_archE906ELNS1_3gpuE6ELNS1_3repE0EEENS1_30default_config_static_selectorELNS0_4arch9wavefront6targetE0EEEvSS_.num_vgpr, 0
	.set _ZN7rocprim17ROCPRIM_400000_NS6detail17trampoline_kernelINS0_14default_configENS1_27lower_bound_config_selectorIxlEEZNS1_14transform_implILb0ES3_S5_N6thrust23THRUST_200600_302600_NS6detail15normal_iteratorINS8_7pointerIxNS8_11hip_rocprim5par_tENS8_11use_defaultESE_EEEENSA_INSB_IlSD_SE_SE_EEEEZNS1_13binary_searchIS3_S5_PxSG_SI_NS1_21lower_bound_search_opENS9_16wrapped_functionI11custom_lessbEEEE10hipError_tPvRmT1_T2_T3_mmT4_T5_P12ihipStream_tbEUlRKxE_EESP_ST_SU_mSV_SY_bEUlT_E_NS1_11comp_targetILNS1_3genE2ELNS1_11target_archE906ELNS1_3gpuE6ELNS1_3repE0EEENS1_30default_config_static_selectorELNS0_4arch9wavefront6targetE0EEEvSS_.num_agpr, 0
	.set _ZN7rocprim17ROCPRIM_400000_NS6detail17trampoline_kernelINS0_14default_configENS1_27lower_bound_config_selectorIxlEEZNS1_14transform_implILb0ES3_S5_N6thrust23THRUST_200600_302600_NS6detail15normal_iteratorINS8_7pointerIxNS8_11hip_rocprim5par_tENS8_11use_defaultESE_EEEENSA_INSB_IlSD_SE_SE_EEEEZNS1_13binary_searchIS3_S5_PxSG_SI_NS1_21lower_bound_search_opENS9_16wrapped_functionI11custom_lessbEEEE10hipError_tPvRmT1_T2_T3_mmT4_T5_P12ihipStream_tbEUlRKxE_EESP_ST_SU_mSV_SY_bEUlT_E_NS1_11comp_targetILNS1_3genE2ELNS1_11target_archE906ELNS1_3gpuE6ELNS1_3repE0EEENS1_30default_config_static_selectorELNS0_4arch9wavefront6targetE0EEEvSS_.numbered_sgpr, 0
	.set _ZN7rocprim17ROCPRIM_400000_NS6detail17trampoline_kernelINS0_14default_configENS1_27lower_bound_config_selectorIxlEEZNS1_14transform_implILb0ES3_S5_N6thrust23THRUST_200600_302600_NS6detail15normal_iteratorINS8_7pointerIxNS8_11hip_rocprim5par_tENS8_11use_defaultESE_EEEENSA_INSB_IlSD_SE_SE_EEEEZNS1_13binary_searchIS3_S5_PxSG_SI_NS1_21lower_bound_search_opENS9_16wrapped_functionI11custom_lessbEEEE10hipError_tPvRmT1_T2_T3_mmT4_T5_P12ihipStream_tbEUlRKxE_EESP_ST_SU_mSV_SY_bEUlT_E_NS1_11comp_targetILNS1_3genE2ELNS1_11target_archE906ELNS1_3gpuE6ELNS1_3repE0EEENS1_30default_config_static_selectorELNS0_4arch9wavefront6targetE0EEEvSS_.num_named_barrier, 0
	.set _ZN7rocprim17ROCPRIM_400000_NS6detail17trampoline_kernelINS0_14default_configENS1_27lower_bound_config_selectorIxlEEZNS1_14transform_implILb0ES3_S5_N6thrust23THRUST_200600_302600_NS6detail15normal_iteratorINS8_7pointerIxNS8_11hip_rocprim5par_tENS8_11use_defaultESE_EEEENSA_INSB_IlSD_SE_SE_EEEEZNS1_13binary_searchIS3_S5_PxSG_SI_NS1_21lower_bound_search_opENS9_16wrapped_functionI11custom_lessbEEEE10hipError_tPvRmT1_T2_T3_mmT4_T5_P12ihipStream_tbEUlRKxE_EESP_ST_SU_mSV_SY_bEUlT_E_NS1_11comp_targetILNS1_3genE2ELNS1_11target_archE906ELNS1_3gpuE6ELNS1_3repE0EEENS1_30default_config_static_selectorELNS0_4arch9wavefront6targetE0EEEvSS_.private_seg_size, 0
	.set _ZN7rocprim17ROCPRIM_400000_NS6detail17trampoline_kernelINS0_14default_configENS1_27lower_bound_config_selectorIxlEEZNS1_14transform_implILb0ES3_S5_N6thrust23THRUST_200600_302600_NS6detail15normal_iteratorINS8_7pointerIxNS8_11hip_rocprim5par_tENS8_11use_defaultESE_EEEENSA_INSB_IlSD_SE_SE_EEEEZNS1_13binary_searchIS3_S5_PxSG_SI_NS1_21lower_bound_search_opENS9_16wrapped_functionI11custom_lessbEEEE10hipError_tPvRmT1_T2_T3_mmT4_T5_P12ihipStream_tbEUlRKxE_EESP_ST_SU_mSV_SY_bEUlT_E_NS1_11comp_targetILNS1_3genE2ELNS1_11target_archE906ELNS1_3gpuE6ELNS1_3repE0EEENS1_30default_config_static_selectorELNS0_4arch9wavefront6targetE0EEEvSS_.uses_vcc, 0
	.set _ZN7rocprim17ROCPRIM_400000_NS6detail17trampoline_kernelINS0_14default_configENS1_27lower_bound_config_selectorIxlEEZNS1_14transform_implILb0ES3_S5_N6thrust23THRUST_200600_302600_NS6detail15normal_iteratorINS8_7pointerIxNS8_11hip_rocprim5par_tENS8_11use_defaultESE_EEEENSA_INSB_IlSD_SE_SE_EEEEZNS1_13binary_searchIS3_S5_PxSG_SI_NS1_21lower_bound_search_opENS9_16wrapped_functionI11custom_lessbEEEE10hipError_tPvRmT1_T2_T3_mmT4_T5_P12ihipStream_tbEUlRKxE_EESP_ST_SU_mSV_SY_bEUlT_E_NS1_11comp_targetILNS1_3genE2ELNS1_11target_archE906ELNS1_3gpuE6ELNS1_3repE0EEENS1_30default_config_static_selectorELNS0_4arch9wavefront6targetE0EEEvSS_.uses_flat_scratch, 0
	.set _ZN7rocprim17ROCPRIM_400000_NS6detail17trampoline_kernelINS0_14default_configENS1_27lower_bound_config_selectorIxlEEZNS1_14transform_implILb0ES3_S5_N6thrust23THRUST_200600_302600_NS6detail15normal_iteratorINS8_7pointerIxNS8_11hip_rocprim5par_tENS8_11use_defaultESE_EEEENSA_INSB_IlSD_SE_SE_EEEEZNS1_13binary_searchIS3_S5_PxSG_SI_NS1_21lower_bound_search_opENS9_16wrapped_functionI11custom_lessbEEEE10hipError_tPvRmT1_T2_T3_mmT4_T5_P12ihipStream_tbEUlRKxE_EESP_ST_SU_mSV_SY_bEUlT_E_NS1_11comp_targetILNS1_3genE2ELNS1_11target_archE906ELNS1_3gpuE6ELNS1_3repE0EEENS1_30default_config_static_selectorELNS0_4arch9wavefront6targetE0EEEvSS_.has_dyn_sized_stack, 0
	.set _ZN7rocprim17ROCPRIM_400000_NS6detail17trampoline_kernelINS0_14default_configENS1_27lower_bound_config_selectorIxlEEZNS1_14transform_implILb0ES3_S5_N6thrust23THRUST_200600_302600_NS6detail15normal_iteratorINS8_7pointerIxNS8_11hip_rocprim5par_tENS8_11use_defaultESE_EEEENSA_INSB_IlSD_SE_SE_EEEEZNS1_13binary_searchIS3_S5_PxSG_SI_NS1_21lower_bound_search_opENS9_16wrapped_functionI11custom_lessbEEEE10hipError_tPvRmT1_T2_T3_mmT4_T5_P12ihipStream_tbEUlRKxE_EESP_ST_SU_mSV_SY_bEUlT_E_NS1_11comp_targetILNS1_3genE2ELNS1_11target_archE906ELNS1_3gpuE6ELNS1_3repE0EEENS1_30default_config_static_selectorELNS0_4arch9wavefront6targetE0EEEvSS_.has_recursion, 0
	.set _ZN7rocprim17ROCPRIM_400000_NS6detail17trampoline_kernelINS0_14default_configENS1_27lower_bound_config_selectorIxlEEZNS1_14transform_implILb0ES3_S5_N6thrust23THRUST_200600_302600_NS6detail15normal_iteratorINS8_7pointerIxNS8_11hip_rocprim5par_tENS8_11use_defaultESE_EEEENSA_INSB_IlSD_SE_SE_EEEEZNS1_13binary_searchIS3_S5_PxSG_SI_NS1_21lower_bound_search_opENS9_16wrapped_functionI11custom_lessbEEEE10hipError_tPvRmT1_T2_T3_mmT4_T5_P12ihipStream_tbEUlRKxE_EESP_ST_SU_mSV_SY_bEUlT_E_NS1_11comp_targetILNS1_3genE2ELNS1_11target_archE906ELNS1_3gpuE6ELNS1_3repE0EEENS1_30default_config_static_selectorELNS0_4arch9wavefront6targetE0EEEvSS_.has_indirect_call, 0
	.section	.AMDGPU.csdata,"",@progbits
; Kernel info:
; codeLenInByte = 0
; TotalNumSgprs: 0
; NumVgprs: 0
; ScratchSize: 0
; MemoryBound: 0
; FloatMode: 240
; IeeeMode: 1
; LDSByteSize: 0 bytes/workgroup (compile time only)
; SGPRBlocks: 0
; VGPRBlocks: 0
; NumSGPRsForWavesPerEU: 1
; NumVGPRsForWavesPerEU: 1
; Occupancy: 16
; WaveLimiterHint : 0
; COMPUTE_PGM_RSRC2:SCRATCH_EN: 0
; COMPUTE_PGM_RSRC2:USER_SGPR: 6
; COMPUTE_PGM_RSRC2:TRAP_HANDLER: 0
; COMPUTE_PGM_RSRC2:TGID_X_EN: 1
; COMPUTE_PGM_RSRC2:TGID_Y_EN: 0
; COMPUTE_PGM_RSRC2:TGID_Z_EN: 0
; COMPUTE_PGM_RSRC2:TIDIG_COMP_CNT: 0
	.section	.text._ZN7rocprim17ROCPRIM_400000_NS6detail17trampoline_kernelINS0_14default_configENS1_27lower_bound_config_selectorIxlEEZNS1_14transform_implILb0ES3_S5_N6thrust23THRUST_200600_302600_NS6detail15normal_iteratorINS8_7pointerIxNS8_11hip_rocprim5par_tENS8_11use_defaultESE_EEEENSA_INSB_IlSD_SE_SE_EEEEZNS1_13binary_searchIS3_S5_PxSG_SI_NS1_21lower_bound_search_opENS9_16wrapped_functionI11custom_lessbEEEE10hipError_tPvRmT1_T2_T3_mmT4_T5_P12ihipStream_tbEUlRKxE_EESP_ST_SU_mSV_SY_bEUlT_E_NS1_11comp_targetILNS1_3genE10ELNS1_11target_archE1201ELNS1_3gpuE5ELNS1_3repE0EEENS1_30default_config_static_selectorELNS0_4arch9wavefront6targetE0EEEvSS_,"axG",@progbits,_ZN7rocprim17ROCPRIM_400000_NS6detail17trampoline_kernelINS0_14default_configENS1_27lower_bound_config_selectorIxlEEZNS1_14transform_implILb0ES3_S5_N6thrust23THRUST_200600_302600_NS6detail15normal_iteratorINS8_7pointerIxNS8_11hip_rocprim5par_tENS8_11use_defaultESE_EEEENSA_INSB_IlSD_SE_SE_EEEEZNS1_13binary_searchIS3_S5_PxSG_SI_NS1_21lower_bound_search_opENS9_16wrapped_functionI11custom_lessbEEEE10hipError_tPvRmT1_T2_T3_mmT4_T5_P12ihipStream_tbEUlRKxE_EESP_ST_SU_mSV_SY_bEUlT_E_NS1_11comp_targetILNS1_3genE10ELNS1_11target_archE1201ELNS1_3gpuE5ELNS1_3repE0EEENS1_30default_config_static_selectorELNS0_4arch9wavefront6targetE0EEEvSS_,comdat
	.protected	_ZN7rocprim17ROCPRIM_400000_NS6detail17trampoline_kernelINS0_14default_configENS1_27lower_bound_config_selectorIxlEEZNS1_14transform_implILb0ES3_S5_N6thrust23THRUST_200600_302600_NS6detail15normal_iteratorINS8_7pointerIxNS8_11hip_rocprim5par_tENS8_11use_defaultESE_EEEENSA_INSB_IlSD_SE_SE_EEEEZNS1_13binary_searchIS3_S5_PxSG_SI_NS1_21lower_bound_search_opENS9_16wrapped_functionI11custom_lessbEEEE10hipError_tPvRmT1_T2_T3_mmT4_T5_P12ihipStream_tbEUlRKxE_EESP_ST_SU_mSV_SY_bEUlT_E_NS1_11comp_targetILNS1_3genE10ELNS1_11target_archE1201ELNS1_3gpuE5ELNS1_3repE0EEENS1_30default_config_static_selectorELNS0_4arch9wavefront6targetE0EEEvSS_ ; -- Begin function _ZN7rocprim17ROCPRIM_400000_NS6detail17trampoline_kernelINS0_14default_configENS1_27lower_bound_config_selectorIxlEEZNS1_14transform_implILb0ES3_S5_N6thrust23THRUST_200600_302600_NS6detail15normal_iteratorINS8_7pointerIxNS8_11hip_rocprim5par_tENS8_11use_defaultESE_EEEENSA_INSB_IlSD_SE_SE_EEEEZNS1_13binary_searchIS3_S5_PxSG_SI_NS1_21lower_bound_search_opENS9_16wrapped_functionI11custom_lessbEEEE10hipError_tPvRmT1_T2_T3_mmT4_T5_P12ihipStream_tbEUlRKxE_EESP_ST_SU_mSV_SY_bEUlT_E_NS1_11comp_targetILNS1_3genE10ELNS1_11target_archE1201ELNS1_3gpuE5ELNS1_3repE0EEENS1_30default_config_static_selectorELNS0_4arch9wavefront6targetE0EEEvSS_
	.globl	_ZN7rocprim17ROCPRIM_400000_NS6detail17trampoline_kernelINS0_14default_configENS1_27lower_bound_config_selectorIxlEEZNS1_14transform_implILb0ES3_S5_N6thrust23THRUST_200600_302600_NS6detail15normal_iteratorINS8_7pointerIxNS8_11hip_rocprim5par_tENS8_11use_defaultESE_EEEENSA_INSB_IlSD_SE_SE_EEEEZNS1_13binary_searchIS3_S5_PxSG_SI_NS1_21lower_bound_search_opENS9_16wrapped_functionI11custom_lessbEEEE10hipError_tPvRmT1_T2_T3_mmT4_T5_P12ihipStream_tbEUlRKxE_EESP_ST_SU_mSV_SY_bEUlT_E_NS1_11comp_targetILNS1_3genE10ELNS1_11target_archE1201ELNS1_3gpuE5ELNS1_3repE0EEENS1_30default_config_static_selectorELNS0_4arch9wavefront6targetE0EEEvSS_
	.p2align	8
	.type	_ZN7rocprim17ROCPRIM_400000_NS6detail17trampoline_kernelINS0_14default_configENS1_27lower_bound_config_selectorIxlEEZNS1_14transform_implILb0ES3_S5_N6thrust23THRUST_200600_302600_NS6detail15normal_iteratorINS8_7pointerIxNS8_11hip_rocprim5par_tENS8_11use_defaultESE_EEEENSA_INSB_IlSD_SE_SE_EEEEZNS1_13binary_searchIS3_S5_PxSG_SI_NS1_21lower_bound_search_opENS9_16wrapped_functionI11custom_lessbEEEE10hipError_tPvRmT1_T2_T3_mmT4_T5_P12ihipStream_tbEUlRKxE_EESP_ST_SU_mSV_SY_bEUlT_E_NS1_11comp_targetILNS1_3genE10ELNS1_11target_archE1201ELNS1_3gpuE5ELNS1_3repE0EEENS1_30default_config_static_selectorELNS0_4arch9wavefront6targetE0EEEvSS_,@function
_ZN7rocprim17ROCPRIM_400000_NS6detail17trampoline_kernelINS0_14default_configENS1_27lower_bound_config_selectorIxlEEZNS1_14transform_implILb0ES3_S5_N6thrust23THRUST_200600_302600_NS6detail15normal_iteratorINS8_7pointerIxNS8_11hip_rocprim5par_tENS8_11use_defaultESE_EEEENSA_INSB_IlSD_SE_SE_EEEEZNS1_13binary_searchIS3_S5_PxSG_SI_NS1_21lower_bound_search_opENS9_16wrapped_functionI11custom_lessbEEEE10hipError_tPvRmT1_T2_T3_mmT4_T5_P12ihipStream_tbEUlRKxE_EESP_ST_SU_mSV_SY_bEUlT_E_NS1_11comp_targetILNS1_3genE10ELNS1_11target_archE1201ELNS1_3gpuE5ELNS1_3repE0EEENS1_30default_config_static_selectorELNS0_4arch9wavefront6targetE0EEEvSS_: ; @_ZN7rocprim17ROCPRIM_400000_NS6detail17trampoline_kernelINS0_14default_configENS1_27lower_bound_config_selectorIxlEEZNS1_14transform_implILb0ES3_S5_N6thrust23THRUST_200600_302600_NS6detail15normal_iteratorINS8_7pointerIxNS8_11hip_rocprim5par_tENS8_11use_defaultESE_EEEENSA_INSB_IlSD_SE_SE_EEEEZNS1_13binary_searchIS3_S5_PxSG_SI_NS1_21lower_bound_search_opENS9_16wrapped_functionI11custom_lessbEEEE10hipError_tPvRmT1_T2_T3_mmT4_T5_P12ihipStream_tbEUlRKxE_EESP_ST_SU_mSV_SY_bEUlT_E_NS1_11comp_targetILNS1_3genE10ELNS1_11target_archE1201ELNS1_3gpuE5ELNS1_3repE0EEENS1_30default_config_static_selectorELNS0_4arch9wavefront6targetE0EEEvSS_
; %bb.0:
	.section	.rodata,"a",@progbits
	.p2align	6, 0x0
	.amdhsa_kernel _ZN7rocprim17ROCPRIM_400000_NS6detail17trampoline_kernelINS0_14default_configENS1_27lower_bound_config_selectorIxlEEZNS1_14transform_implILb0ES3_S5_N6thrust23THRUST_200600_302600_NS6detail15normal_iteratorINS8_7pointerIxNS8_11hip_rocprim5par_tENS8_11use_defaultESE_EEEENSA_INSB_IlSD_SE_SE_EEEEZNS1_13binary_searchIS3_S5_PxSG_SI_NS1_21lower_bound_search_opENS9_16wrapped_functionI11custom_lessbEEEE10hipError_tPvRmT1_T2_T3_mmT4_T5_P12ihipStream_tbEUlRKxE_EESP_ST_SU_mSV_SY_bEUlT_E_NS1_11comp_targetILNS1_3genE10ELNS1_11target_archE1201ELNS1_3gpuE5ELNS1_3repE0EEENS1_30default_config_static_selectorELNS0_4arch9wavefront6targetE0EEEvSS_
		.amdhsa_group_segment_fixed_size 0
		.amdhsa_private_segment_fixed_size 0
		.amdhsa_kernarg_size 56
		.amdhsa_user_sgpr_count 6
		.amdhsa_user_sgpr_private_segment_buffer 1
		.amdhsa_user_sgpr_dispatch_ptr 0
		.amdhsa_user_sgpr_queue_ptr 0
		.amdhsa_user_sgpr_kernarg_segment_ptr 1
		.amdhsa_user_sgpr_dispatch_id 0
		.amdhsa_user_sgpr_flat_scratch_init 0
		.amdhsa_user_sgpr_private_segment_size 0
		.amdhsa_wavefront_size32 1
		.amdhsa_uses_dynamic_stack 0
		.amdhsa_system_sgpr_private_segment_wavefront_offset 0
		.amdhsa_system_sgpr_workgroup_id_x 1
		.amdhsa_system_sgpr_workgroup_id_y 0
		.amdhsa_system_sgpr_workgroup_id_z 0
		.amdhsa_system_sgpr_workgroup_info 0
		.amdhsa_system_vgpr_workitem_id 0
		.amdhsa_next_free_vgpr 1
		.amdhsa_next_free_sgpr 1
		.amdhsa_reserve_vcc 0
		.amdhsa_reserve_flat_scratch 0
		.amdhsa_float_round_mode_32 0
		.amdhsa_float_round_mode_16_64 0
		.amdhsa_float_denorm_mode_32 3
		.amdhsa_float_denorm_mode_16_64 3
		.amdhsa_dx10_clamp 1
		.amdhsa_ieee_mode 1
		.amdhsa_fp16_overflow 0
		.amdhsa_workgroup_processor_mode 1
		.amdhsa_memory_ordered 1
		.amdhsa_forward_progress 1
		.amdhsa_shared_vgpr_count 0
		.amdhsa_exception_fp_ieee_invalid_op 0
		.amdhsa_exception_fp_denorm_src 0
		.amdhsa_exception_fp_ieee_div_zero 0
		.amdhsa_exception_fp_ieee_overflow 0
		.amdhsa_exception_fp_ieee_underflow 0
		.amdhsa_exception_fp_ieee_inexact 0
		.amdhsa_exception_int_div_zero 0
	.end_amdhsa_kernel
	.section	.text._ZN7rocprim17ROCPRIM_400000_NS6detail17trampoline_kernelINS0_14default_configENS1_27lower_bound_config_selectorIxlEEZNS1_14transform_implILb0ES3_S5_N6thrust23THRUST_200600_302600_NS6detail15normal_iteratorINS8_7pointerIxNS8_11hip_rocprim5par_tENS8_11use_defaultESE_EEEENSA_INSB_IlSD_SE_SE_EEEEZNS1_13binary_searchIS3_S5_PxSG_SI_NS1_21lower_bound_search_opENS9_16wrapped_functionI11custom_lessbEEEE10hipError_tPvRmT1_T2_T3_mmT4_T5_P12ihipStream_tbEUlRKxE_EESP_ST_SU_mSV_SY_bEUlT_E_NS1_11comp_targetILNS1_3genE10ELNS1_11target_archE1201ELNS1_3gpuE5ELNS1_3repE0EEENS1_30default_config_static_selectorELNS0_4arch9wavefront6targetE0EEEvSS_,"axG",@progbits,_ZN7rocprim17ROCPRIM_400000_NS6detail17trampoline_kernelINS0_14default_configENS1_27lower_bound_config_selectorIxlEEZNS1_14transform_implILb0ES3_S5_N6thrust23THRUST_200600_302600_NS6detail15normal_iteratorINS8_7pointerIxNS8_11hip_rocprim5par_tENS8_11use_defaultESE_EEEENSA_INSB_IlSD_SE_SE_EEEEZNS1_13binary_searchIS3_S5_PxSG_SI_NS1_21lower_bound_search_opENS9_16wrapped_functionI11custom_lessbEEEE10hipError_tPvRmT1_T2_T3_mmT4_T5_P12ihipStream_tbEUlRKxE_EESP_ST_SU_mSV_SY_bEUlT_E_NS1_11comp_targetILNS1_3genE10ELNS1_11target_archE1201ELNS1_3gpuE5ELNS1_3repE0EEENS1_30default_config_static_selectorELNS0_4arch9wavefront6targetE0EEEvSS_,comdat
.Lfunc_end109:
	.size	_ZN7rocprim17ROCPRIM_400000_NS6detail17trampoline_kernelINS0_14default_configENS1_27lower_bound_config_selectorIxlEEZNS1_14transform_implILb0ES3_S5_N6thrust23THRUST_200600_302600_NS6detail15normal_iteratorINS8_7pointerIxNS8_11hip_rocprim5par_tENS8_11use_defaultESE_EEEENSA_INSB_IlSD_SE_SE_EEEEZNS1_13binary_searchIS3_S5_PxSG_SI_NS1_21lower_bound_search_opENS9_16wrapped_functionI11custom_lessbEEEE10hipError_tPvRmT1_T2_T3_mmT4_T5_P12ihipStream_tbEUlRKxE_EESP_ST_SU_mSV_SY_bEUlT_E_NS1_11comp_targetILNS1_3genE10ELNS1_11target_archE1201ELNS1_3gpuE5ELNS1_3repE0EEENS1_30default_config_static_selectorELNS0_4arch9wavefront6targetE0EEEvSS_, .Lfunc_end109-_ZN7rocprim17ROCPRIM_400000_NS6detail17trampoline_kernelINS0_14default_configENS1_27lower_bound_config_selectorIxlEEZNS1_14transform_implILb0ES3_S5_N6thrust23THRUST_200600_302600_NS6detail15normal_iteratorINS8_7pointerIxNS8_11hip_rocprim5par_tENS8_11use_defaultESE_EEEENSA_INSB_IlSD_SE_SE_EEEEZNS1_13binary_searchIS3_S5_PxSG_SI_NS1_21lower_bound_search_opENS9_16wrapped_functionI11custom_lessbEEEE10hipError_tPvRmT1_T2_T3_mmT4_T5_P12ihipStream_tbEUlRKxE_EESP_ST_SU_mSV_SY_bEUlT_E_NS1_11comp_targetILNS1_3genE10ELNS1_11target_archE1201ELNS1_3gpuE5ELNS1_3repE0EEENS1_30default_config_static_selectorELNS0_4arch9wavefront6targetE0EEEvSS_
                                        ; -- End function
	.set _ZN7rocprim17ROCPRIM_400000_NS6detail17trampoline_kernelINS0_14default_configENS1_27lower_bound_config_selectorIxlEEZNS1_14transform_implILb0ES3_S5_N6thrust23THRUST_200600_302600_NS6detail15normal_iteratorINS8_7pointerIxNS8_11hip_rocprim5par_tENS8_11use_defaultESE_EEEENSA_INSB_IlSD_SE_SE_EEEEZNS1_13binary_searchIS3_S5_PxSG_SI_NS1_21lower_bound_search_opENS9_16wrapped_functionI11custom_lessbEEEE10hipError_tPvRmT1_T2_T3_mmT4_T5_P12ihipStream_tbEUlRKxE_EESP_ST_SU_mSV_SY_bEUlT_E_NS1_11comp_targetILNS1_3genE10ELNS1_11target_archE1201ELNS1_3gpuE5ELNS1_3repE0EEENS1_30default_config_static_selectorELNS0_4arch9wavefront6targetE0EEEvSS_.num_vgpr, 0
	.set _ZN7rocprim17ROCPRIM_400000_NS6detail17trampoline_kernelINS0_14default_configENS1_27lower_bound_config_selectorIxlEEZNS1_14transform_implILb0ES3_S5_N6thrust23THRUST_200600_302600_NS6detail15normal_iteratorINS8_7pointerIxNS8_11hip_rocprim5par_tENS8_11use_defaultESE_EEEENSA_INSB_IlSD_SE_SE_EEEEZNS1_13binary_searchIS3_S5_PxSG_SI_NS1_21lower_bound_search_opENS9_16wrapped_functionI11custom_lessbEEEE10hipError_tPvRmT1_T2_T3_mmT4_T5_P12ihipStream_tbEUlRKxE_EESP_ST_SU_mSV_SY_bEUlT_E_NS1_11comp_targetILNS1_3genE10ELNS1_11target_archE1201ELNS1_3gpuE5ELNS1_3repE0EEENS1_30default_config_static_selectorELNS0_4arch9wavefront6targetE0EEEvSS_.num_agpr, 0
	.set _ZN7rocprim17ROCPRIM_400000_NS6detail17trampoline_kernelINS0_14default_configENS1_27lower_bound_config_selectorIxlEEZNS1_14transform_implILb0ES3_S5_N6thrust23THRUST_200600_302600_NS6detail15normal_iteratorINS8_7pointerIxNS8_11hip_rocprim5par_tENS8_11use_defaultESE_EEEENSA_INSB_IlSD_SE_SE_EEEEZNS1_13binary_searchIS3_S5_PxSG_SI_NS1_21lower_bound_search_opENS9_16wrapped_functionI11custom_lessbEEEE10hipError_tPvRmT1_T2_T3_mmT4_T5_P12ihipStream_tbEUlRKxE_EESP_ST_SU_mSV_SY_bEUlT_E_NS1_11comp_targetILNS1_3genE10ELNS1_11target_archE1201ELNS1_3gpuE5ELNS1_3repE0EEENS1_30default_config_static_selectorELNS0_4arch9wavefront6targetE0EEEvSS_.numbered_sgpr, 0
	.set _ZN7rocprim17ROCPRIM_400000_NS6detail17trampoline_kernelINS0_14default_configENS1_27lower_bound_config_selectorIxlEEZNS1_14transform_implILb0ES3_S5_N6thrust23THRUST_200600_302600_NS6detail15normal_iteratorINS8_7pointerIxNS8_11hip_rocprim5par_tENS8_11use_defaultESE_EEEENSA_INSB_IlSD_SE_SE_EEEEZNS1_13binary_searchIS3_S5_PxSG_SI_NS1_21lower_bound_search_opENS9_16wrapped_functionI11custom_lessbEEEE10hipError_tPvRmT1_T2_T3_mmT4_T5_P12ihipStream_tbEUlRKxE_EESP_ST_SU_mSV_SY_bEUlT_E_NS1_11comp_targetILNS1_3genE10ELNS1_11target_archE1201ELNS1_3gpuE5ELNS1_3repE0EEENS1_30default_config_static_selectorELNS0_4arch9wavefront6targetE0EEEvSS_.num_named_barrier, 0
	.set _ZN7rocprim17ROCPRIM_400000_NS6detail17trampoline_kernelINS0_14default_configENS1_27lower_bound_config_selectorIxlEEZNS1_14transform_implILb0ES3_S5_N6thrust23THRUST_200600_302600_NS6detail15normal_iteratorINS8_7pointerIxNS8_11hip_rocprim5par_tENS8_11use_defaultESE_EEEENSA_INSB_IlSD_SE_SE_EEEEZNS1_13binary_searchIS3_S5_PxSG_SI_NS1_21lower_bound_search_opENS9_16wrapped_functionI11custom_lessbEEEE10hipError_tPvRmT1_T2_T3_mmT4_T5_P12ihipStream_tbEUlRKxE_EESP_ST_SU_mSV_SY_bEUlT_E_NS1_11comp_targetILNS1_3genE10ELNS1_11target_archE1201ELNS1_3gpuE5ELNS1_3repE0EEENS1_30default_config_static_selectorELNS0_4arch9wavefront6targetE0EEEvSS_.private_seg_size, 0
	.set _ZN7rocprim17ROCPRIM_400000_NS6detail17trampoline_kernelINS0_14default_configENS1_27lower_bound_config_selectorIxlEEZNS1_14transform_implILb0ES3_S5_N6thrust23THRUST_200600_302600_NS6detail15normal_iteratorINS8_7pointerIxNS8_11hip_rocprim5par_tENS8_11use_defaultESE_EEEENSA_INSB_IlSD_SE_SE_EEEEZNS1_13binary_searchIS3_S5_PxSG_SI_NS1_21lower_bound_search_opENS9_16wrapped_functionI11custom_lessbEEEE10hipError_tPvRmT1_T2_T3_mmT4_T5_P12ihipStream_tbEUlRKxE_EESP_ST_SU_mSV_SY_bEUlT_E_NS1_11comp_targetILNS1_3genE10ELNS1_11target_archE1201ELNS1_3gpuE5ELNS1_3repE0EEENS1_30default_config_static_selectorELNS0_4arch9wavefront6targetE0EEEvSS_.uses_vcc, 0
	.set _ZN7rocprim17ROCPRIM_400000_NS6detail17trampoline_kernelINS0_14default_configENS1_27lower_bound_config_selectorIxlEEZNS1_14transform_implILb0ES3_S5_N6thrust23THRUST_200600_302600_NS6detail15normal_iteratorINS8_7pointerIxNS8_11hip_rocprim5par_tENS8_11use_defaultESE_EEEENSA_INSB_IlSD_SE_SE_EEEEZNS1_13binary_searchIS3_S5_PxSG_SI_NS1_21lower_bound_search_opENS9_16wrapped_functionI11custom_lessbEEEE10hipError_tPvRmT1_T2_T3_mmT4_T5_P12ihipStream_tbEUlRKxE_EESP_ST_SU_mSV_SY_bEUlT_E_NS1_11comp_targetILNS1_3genE10ELNS1_11target_archE1201ELNS1_3gpuE5ELNS1_3repE0EEENS1_30default_config_static_selectorELNS0_4arch9wavefront6targetE0EEEvSS_.uses_flat_scratch, 0
	.set _ZN7rocprim17ROCPRIM_400000_NS6detail17trampoline_kernelINS0_14default_configENS1_27lower_bound_config_selectorIxlEEZNS1_14transform_implILb0ES3_S5_N6thrust23THRUST_200600_302600_NS6detail15normal_iteratorINS8_7pointerIxNS8_11hip_rocprim5par_tENS8_11use_defaultESE_EEEENSA_INSB_IlSD_SE_SE_EEEEZNS1_13binary_searchIS3_S5_PxSG_SI_NS1_21lower_bound_search_opENS9_16wrapped_functionI11custom_lessbEEEE10hipError_tPvRmT1_T2_T3_mmT4_T5_P12ihipStream_tbEUlRKxE_EESP_ST_SU_mSV_SY_bEUlT_E_NS1_11comp_targetILNS1_3genE10ELNS1_11target_archE1201ELNS1_3gpuE5ELNS1_3repE0EEENS1_30default_config_static_selectorELNS0_4arch9wavefront6targetE0EEEvSS_.has_dyn_sized_stack, 0
	.set _ZN7rocprim17ROCPRIM_400000_NS6detail17trampoline_kernelINS0_14default_configENS1_27lower_bound_config_selectorIxlEEZNS1_14transform_implILb0ES3_S5_N6thrust23THRUST_200600_302600_NS6detail15normal_iteratorINS8_7pointerIxNS8_11hip_rocprim5par_tENS8_11use_defaultESE_EEEENSA_INSB_IlSD_SE_SE_EEEEZNS1_13binary_searchIS3_S5_PxSG_SI_NS1_21lower_bound_search_opENS9_16wrapped_functionI11custom_lessbEEEE10hipError_tPvRmT1_T2_T3_mmT4_T5_P12ihipStream_tbEUlRKxE_EESP_ST_SU_mSV_SY_bEUlT_E_NS1_11comp_targetILNS1_3genE10ELNS1_11target_archE1201ELNS1_3gpuE5ELNS1_3repE0EEENS1_30default_config_static_selectorELNS0_4arch9wavefront6targetE0EEEvSS_.has_recursion, 0
	.set _ZN7rocprim17ROCPRIM_400000_NS6detail17trampoline_kernelINS0_14default_configENS1_27lower_bound_config_selectorIxlEEZNS1_14transform_implILb0ES3_S5_N6thrust23THRUST_200600_302600_NS6detail15normal_iteratorINS8_7pointerIxNS8_11hip_rocprim5par_tENS8_11use_defaultESE_EEEENSA_INSB_IlSD_SE_SE_EEEEZNS1_13binary_searchIS3_S5_PxSG_SI_NS1_21lower_bound_search_opENS9_16wrapped_functionI11custom_lessbEEEE10hipError_tPvRmT1_T2_T3_mmT4_T5_P12ihipStream_tbEUlRKxE_EESP_ST_SU_mSV_SY_bEUlT_E_NS1_11comp_targetILNS1_3genE10ELNS1_11target_archE1201ELNS1_3gpuE5ELNS1_3repE0EEENS1_30default_config_static_selectorELNS0_4arch9wavefront6targetE0EEEvSS_.has_indirect_call, 0
	.section	.AMDGPU.csdata,"",@progbits
; Kernel info:
; codeLenInByte = 0
; TotalNumSgprs: 0
; NumVgprs: 0
; ScratchSize: 0
; MemoryBound: 0
; FloatMode: 240
; IeeeMode: 1
; LDSByteSize: 0 bytes/workgroup (compile time only)
; SGPRBlocks: 0
; VGPRBlocks: 0
; NumSGPRsForWavesPerEU: 1
; NumVGPRsForWavesPerEU: 1
; Occupancy: 16
; WaveLimiterHint : 0
; COMPUTE_PGM_RSRC2:SCRATCH_EN: 0
; COMPUTE_PGM_RSRC2:USER_SGPR: 6
; COMPUTE_PGM_RSRC2:TRAP_HANDLER: 0
; COMPUTE_PGM_RSRC2:TGID_X_EN: 1
; COMPUTE_PGM_RSRC2:TGID_Y_EN: 0
; COMPUTE_PGM_RSRC2:TGID_Z_EN: 0
; COMPUTE_PGM_RSRC2:TIDIG_COMP_CNT: 0
	.section	.text._ZN7rocprim17ROCPRIM_400000_NS6detail17trampoline_kernelINS0_14default_configENS1_27lower_bound_config_selectorIxlEEZNS1_14transform_implILb0ES3_S5_N6thrust23THRUST_200600_302600_NS6detail15normal_iteratorINS8_7pointerIxNS8_11hip_rocprim5par_tENS8_11use_defaultESE_EEEENSA_INSB_IlSD_SE_SE_EEEEZNS1_13binary_searchIS3_S5_PxSG_SI_NS1_21lower_bound_search_opENS9_16wrapped_functionI11custom_lessbEEEE10hipError_tPvRmT1_T2_T3_mmT4_T5_P12ihipStream_tbEUlRKxE_EESP_ST_SU_mSV_SY_bEUlT_E_NS1_11comp_targetILNS1_3genE10ELNS1_11target_archE1200ELNS1_3gpuE4ELNS1_3repE0EEENS1_30default_config_static_selectorELNS0_4arch9wavefront6targetE0EEEvSS_,"axG",@progbits,_ZN7rocprim17ROCPRIM_400000_NS6detail17trampoline_kernelINS0_14default_configENS1_27lower_bound_config_selectorIxlEEZNS1_14transform_implILb0ES3_S5_N6thrust23THRUST_200600_302600_NS6detail15normal_iteratorINS8_7pointerIxNS8_11hip_rocprim5par_tENS8_11use_defaultESE_EEEENSA_INSB_IlSD_SE_SE_EEEEZNS1_13binary_searchIS3_S5_PxSG_SI_NS1_21lower_bound_search_opENS9_16wrapped_functionI11custom_lessbEEEE10hipError_tPvRmT1_T2_T3_mmT4_T5_P12ihipStream_tbEUlRKxE_EESP_ST_SU_mSV_SY_bEUlT_E_NS1_11comp_targetILNS1_3genE10ELNS1_11target_archE1200ELNS1_3gpuE4ELNS1_3repE0EEENS1_30default_config_static_selectorELNS0_4arch9wavefront6targetE0EEEvSS_,comdat
	.protected	_ZN7rocprim17ROCPRIM_400000_NS6detail17trampoline_kernelINS0_14default_configENS1_27lower_bound_config_selectorIxlEEZNS1_14transform_implILb0ES3_S5_N6thrust23THRUST_200600_302600_NS6detail15normal_iteratorINS8_7pointerIxNS8_11hip_rocprim5par_tENS8_11use_defaultESE_EEEENSA_INSB_IlSD_SE_SE_EEEEZNS1_13binary_searchIS3_S5_PxSG_SI_NS1_21lower_bound_search_opENS9_16wrapped_functionI11custom_lessbEEEE10hipError_tPvRmT1_T2_T3_mmT4_T5_P12ihipStream_tbEUlRKxE_EESP_ST_SU_mSV_SY_bEUlT_E_NS1_11comp_targetILNS1_3genE10ELNS1_11target_archE1200ELNS1_3gpuE4ELNS1_3repE0EEENS1_30default_config_static_selectorELNS0_4arch9wavefront6targetE0EEEvSS_ ; -- Begin function _ZN7rocprim17ROCPRIM_400000_NS6detail17trampoline_kernelINS0_14default_configENS1_27lower_bound_config_selectorIxlEEZNS1_14transform_implILb0ES3_S5_N6thrust23THRUST_200600_302600_NS6detail15normal_iteratorINS8_7pointerIxNS8_11hip_rocprim5par_tENS8_11use_defaultESE_EEEENSA_INSB_IlSD_SE_SE_EEEEZNS1_13binary_searchIS3_S5_PxSG_SI_NS1_21lower_bound_search_opENS9_16wrapped_functionI11custom_lessbEEEE10hipError_tPvRmT1_T2_T3_mmT4_T5_P12ihipStream_tbEUlRKxE_EESP_ST_SU_mSV_SY_bEUlT_E_NS1_11comp_targetILNS1_3genE10ELNS1_11target_archE1200ELNS1_3gpuE4ELNS1_3repE0EEENS1_30default_config_static_selectorELNS0_4arch9wavefront6targetE0EEEvSS_
	.globl	_ZN7rocprim17ROCPRIM_400000_NS6detail17trampoline_kernelINS0_14default_configENS1_27lower_bound_config_selectorIxlEEZNS1_14transform_implILb0ES3_S5_N6thrust23THRUST_200600_302600_NS6detail15normal_iteratorINS8_7pointerIxNS8_11hip_rocprim5par_tENS8_11use_defaultESE_EEEENSA_INSB_IlSD_SE_SE_EEEEZNS1_13binary_searchIS3_S5_PxSG_SI_NS1_21lower_bound_search_opENS9_16wrapped_functionI11custom_lessbEEEE10hipError_tPvRmT1_T2_T3_mmT4_T5_P12ihipStream_tbEUlRKxE_EESP_ST_SU_mSV_SY_bEUlT_E_NS1_11comp_targetILNS1_3genE10ELNS1_11target_archE1200ELNS1_3gpuE4ELNS1_3repE0EEENS1_30default_config_static_selectorELNS0_4arch9wavefront6targetE0EEEvSS_
	.p2align	8
	.type	_ZN7rocprim17ROCPRIM_400000_NS6detail17trampoline_kernelINS0_14default_configENS1_27lower_bound_config_selectorIxlEEZNS1_14transform_implILb0ES3_S5_N6thrust23THRUST_200600_302600_NS6detail15normal_iteratorINS8_7pointerIxNS8_11hip_rocprim5par_tENS8_11use_defaultESE_EEEENSA_INSB_IlSD_SE_SE_EEEEZNS1_13binary_searchIS3_S5_PxSG_SI_NS1_21lower_bound_search_opENS9_16wrapped_functionI11custom_lessbEEEE10hipError_tPvRmT1_T2_T3_mmT4_T5_P12ihipStream_tbEUlRKxE_EESP_ST_SU_mSV_SY_bEUlT_E_NS1_11comp_targetILNS1_3genE10ELNS1_11target_archE1200ELNS1_3gpuE4ELNS1_3repE0EEENS1_30default_config_static_selectorELNS0_4arch9wavefront6targetE0EEEvSS_,@function
_ZN7rocprim17ROCPRIM_400000_NS6detail17trampoline_kernelINS0_14default_configENS1_27lower_bound_config_selectorIxlEEZNS1_14transform_implILb0ES3_S5_N6thrust23THRUST_200600_302600_NS6detail15normal_iteratorINS8_7pointerIxNS8_11hip_rocprim5par_tENS8_11use_defaultESE_EEEENSA_INSB_IlSD_SE_SE_EEEEZNS1_13binary_searchIS3_S5_PxSG_SI_NS1_21lower_bound_search_opENS9_16wrapped_functionI11custom_lessbEEEE10hipError_tPvRmT1_T2_T3_mmT4_T5_P12ihipStream_tbEUlRKxE_EESP_ST_SU_mSV_SY_bEUlT_E_NS1_11comp_targetILNS1_3genE10ELNS1_11target_archE1200ELNS1_3gpuE4ELNS1_3repE0EEENS1_30default_config_static_selectorELNS0_4arch9wavefront6targetE0EEEvSS_: ; @_ZN7rocprim17ROCPRIM_400000_NS6detail17trampoline_kernelINS0_14default_configENS1_27lower_bound_config_selectorIxlEEZNS1_14transform_implILb0ES3_S5_N6thrust23THRUST_200600_302600_NS6detail15normal_iteratorINS8_7pointerIxNS8_11hip_rocprim5par_tENS8_11use_defaultESE_EEEENSA_INSB_IlSD_SE_SE_EEEEZNS1_13binary_searchIS3_S5_PxSG_SI_NS1_21lower_bound_search_opENS9_16wrapped_functionI11custom_lessbEEEE10hipError_tPvRmT1_T2_T3_mmT4_T5_P12ihipStream_tbEUlRKxE_EESP_ST_SU_mSV_SY_bEUlT_E_NS1_11comp_targetILNS1_3genE10ELNS1_11target_archE1200ELNS1_3gpuE4ELNS1_3repE0EEENS1_30default_config_static_selectorELNS0_4arch9wavefront6targetE0EEEvSS_
; %bb.0:
	.section	.rodata,"a",@progbits
	.p2align	6, 0x0
	.amdhsa_kernel _ZN7rocprim17ROCPRIM_400000_NS6detail17trampoline_kernelINS0_14default_configENS1_27lower_bound_config_selectorIxlEEZNS1_14transform_implILb0ES3_S5_N6thrust23THRUST_200600_302600_NS6detail15normal_iteratorINS8_7pointerIxNS8_11hip_rocprim5par_tENS8_11use_defaultESE_EEEENSA_INSB_IlSD_SE_SE_EEEEZNS1_13binary_searchIS3_S5_PxSG_SI_NS1_21lower_bound_search_opENS9_16wrapped_functionI11custom_lessbEEEE10hipError_tPvRmT1_T2_T3_mmT4_T5_P12ihipStream_tbEUlRKxE_EESP_ST_SU_mSV_SY_bEUlT_E_NS1_11comp_targetILNS1_3genE10ELNS1_11target_archE1200ELNS1_3gpuE4ELNS1_3repE0EEENS1_30default_config_static_selectorELNS0_4arch9wavefront6targetE0EEEvSS_
		.amdhsa_group_segment_fixed_size 0
		.amdhsa_private_segment_fixed_size 0
		.amdhsa_kernarg_size 56
		.amdhsa_user_sgpr_count 6
		.amdhsa_user_sgpr_private_segment_buffer 1
		.amdhsa_user_sgpr_dispatch_ptr 0
		.amdhsa_user_sgpr_queue_ptr 0
		.amdhsa_user_sgpr_kernarg_segment_ptr 1
		.amdhsa_user_sgpr_dispatch_id 0
		.amdhsa_user_sgpr_flat_scratch_init 0
		.amdhsa_user_sgpr_private_segment_size 0
		.amdhsa_wavefront_size32 1
		.amdhsa_uses_dynamic_stack 0
		.amdhsa_system_sgpr_private_segment_wavefront_offset 0
		.amdhsa_system_sgpr_workgroup_id_x 1
		.amdhsa_system_sgpr_workgroup_id_y 0
		.amdhsa_system_sgpr_workgroup_id_z 0
		.amdhsa_system_sgpr_workgroup_info 0
		.amdhsa_system_vgpr_workitem_id 0
		.amdhsa_next_free_vgpr 1
		.amdhsa_next_free_sgpr 1
		.amdhsa_reserve_vcc 0
		.amdhsa_reserve_flat_scratch 0
		.amdhsa_float_round_mode_32 0
		.amdhsa_float_round_mode_16_64 0
		.amdhsa_float_denorm_mode_32 3
		.amdhsa_float_denorm_mode_16_64 3
		.amdhsa_dx10_clamp 1
		.amdhsa_ieee_mode 1
		.amdhsa_fp16_overflow 0
		.amdhsa_workgroup_processor_mode 1
		.amdhsa_memory_ordered 1
		.amdhsa_forward_progress 1
		.amdhsa_shared_vgpr_count 0
		.amdhsa_exception_fp_ieee_invalid_op 0
		.amdhsa_exception_fp_denorm_src 0
		.amdhsa_exception_fp_ieee_div_zero 0
		.amdhsa_exception_fp_ieee_overflow 0
		.amdhsa_exception_fp_ieee_underflow 0
		.amdhsa_exception_fp_ieee_inexact 0
		.amdhsa_exception_int_div_zero 0
	.end_amdhsa_kernel
	.section	.text._ZN7rocprim17ROCPRIM_400000_NS6detail17trampoline_kernelINS0_14default_configENS1_27lower_bound_config_selectorIxlEEZNS1_14transform_implILb0ES3_S5_N6thrust23THRUST_200600_302600_NS6detail15normal_iteratorINS8_7pointerIxNS8_11hip_rocprim5par_tENS8_11use_defaultESE_EEEENSA_INSB_IlSD_SE_SE_EEEEZNS1_13binary_searchIS3_S5_PxSG_SI_NS1_21lower_bound_search_opENS9_16wrapped_functionI11custom_lessbEEEE10hipError_tPvRmT1_T2_T3_mmT4_T5_P12ihipStream_tbEUlRKxE_EESP_ST_SU_mSV_SY_bEUlT_E_NS1_11comp_targetILNS1_3genE10ELNS1_11target_archE1200ELNS1_3gpuE4ELNS1_3repE0EEENS1_30default_config_static_selectorELNS0_4arch9wavefront6targetE0EEEvSS_,"axG",@progbits,_ZN7rocprim17ROCPRIM_400000_NS6detail17trampoline_kernelINS0_14default_configENS1_27lower_bound_config_selectorIxlEEZNS1_14transform_implILb0ES3_S5_N6thrust23THRUST_200600_302600_NS6detail15normal_iteratorINS8_7pointerIxNS8_11hip_rocprim5par_tENS8_11use_defaultESE_EEEENSA_INSB_IlSD_SE_SE_EEEEZNS1_13binary_searchIS3_S5_PxSG_SI_NS1_21lower_bound_search_opENS9_16wrapped_functionI11custom_lessbEEEE10hipError_tPvRmT1_T2_T3_mmT4_T5_P12ihipStream_tbEUlRKxE_EESP_ST_SU_mSV_SY_bEUlT_E_NS1_11comp_targetILNS1_3genE10ELNS1_11target_archE1200ELNS1_3gpuE4ELNS1_3repE0EEENS1_30default_config_static_selectorELNS0_4arch9wavefront6targetE0EEEvSS_,comdat
.Lfunc_end110:
	.size	_ZN7rocprim17ROCPRIM_400000_NS6detail17trampoline_kernelINS0_14default_configENS1_27lower_bound_config_selectorIxlEEZNS1_14transform_implILb0ES3_S5_N6thrust23THRUST_200600_302600_NS6detail15normal_iteratorINS8_7pointerIxNS8_11hip_rocprim5par_tENS8_11use_defaultESE_EEEENSA_INSB_IlSD_SE_SE_EEEEZNS1_13binary_searchIS3_S5_PxSG_SI_NS1_21lower_bound_search_opENS9_16wrapped_functionI11custom_lessbEEEE10hipError_tPvRmT1_T2_T3_mmT4_T5_P12ihipStream_tbEUlRKxE_EESP_ST_SU_mSV_SY_bEUlT_E_NS1_11comp_targetILNS1_3genE10ELNS1_11target_archE1200ELNS1_3gpuE4ELNS1_3repE0EEENS1_30default_config_static_selectorELNS0_4arch9wavefront6targetE0EEEvSS_, .Lfunc_end110-_ZN7rocprim17ROCPRIM_400000_NS6detail17trampoline_kernelINS0_14default_configENS1_27lower_bound_config_selectorIxlEEZNS1_14transform_implILb0ES3_S5_N6thrust23THRUST_200600_302600_NS6detail15normal_iteratorINS8_7pointerIxNS8_11hip_rocprim5par_tENS8_11use_defaultESE_EEEENSA_INSB_IlSD_SE_SE_EEEEZNS1_13binary_searchIS3_S5_PxSG_SI_NS1_21lower_bound_search_opENS9_16wrapped_functionI11custom_lessbEEEE10hipError_tPvRmT1_T2_T3_mmT4_T5_P12ihipStream_tbEUlRKxE_EESP_ST_SU_mSV_SY_bEUlT_E_NS1_11comp_targetILNS1_3genE10ELNS1_11target_archE1200ELNS1_3gpuE4ELNS1_3repE0EEENS1_30default_config_static_selectorELNS0_4arch9wavefront6targetE0EEEvSS_
                                        ; -- End function
	.set _ZN7rocprim17ROCPRIM_400000_NS6detail17trampoline_kernelINS0_14default_configENS1_27lower_bound_config_selectorIxlEEZNS1_14transform_implILb0ES3_S5_N6thrust23THRUST_200600_302600_NS6detail15normal_iteratorINS8_7pointerIxNS8_11hip_rocprim5par_tENS8_11use_defaultESE_EEEENSA_INSB_IlSD_SE_SE_EEEEZNS1_13binary_searchIS3_S5_PxSG_SI_NS1_21lower_bound_search_opENS9_16wrapped_functionI11custom_lessbEEEE10hipError_tPvRmT1_T2_T3_mmT4_T5_P12ihipStream_tbEUlRKxE_EESP_ST_SU_mSV_SY_bEUlT_E_NS1_11comp_targetILNS1_3genE10ELNS1_11target_archE1200ELNS1_3gpuE4ELNS1_3repE0EEENS1_30default_config_static_selectorELNS0_4arch9wavefront6targetE0EEEvSS_.num_vgpr, 0
	.set _ZN7rocprim17ROCPRIM_400000_NS6detail17trampoline_kernelINS0_14default_configENS1_27lower_bound_config_selectorIxlEEZNS1_14transform_implILb0ES3_S5_N6thrust23THRUST_200600_302600_NS6detail15normal_iteratorINS8_7pointerIxNS8_11hip_rocprim5par_tENS8_11use_defaultESE_EEEENSA_INSB_IlSD_SE_SE_EEEEZNS1_13binary_searchIS3_S5_PxSG_SI_NS1_21lower_bound_search_opENS9_16wrapped_functionI11custom_lessbEEEE10hipError_tPvRmT1_T2_T3_mmT4_T5_P12ihipStream_tbEUlRKxE_EESP_ST_SU_mSV_SY_bEUlT_E_NS1_11comp_targetILNS1_3genE10ELNS1_11target_archE1200ELNS1_3gpuE4ELNS1_3repE0EEENS1_30default_config_static_selectorELNS0_4arch9wavefront6targetE0EEEvSS_.num_agpr, 0
	.set _ZN7rocprim17ROCPRIM_400000_NS6detail17trampoline_kernelINS0_14default_configENS1_27lower_bound_config_selectorIxlEEZNS1_14transform_implILb0ES3_S5_N6thrust23THRUST_200600_302600_NS6detail15normal_iteratorINS8_7pointerIxNS8_11hip_rocprim5par_tENS8_11use_defaultESE_EEEENSA_INSB_IlSD_SE_SE_EEEEZNS1_13binary_searchIS3_S5_PxSG_SI_NS1_21lower_bound_search_opENS9_16wrapped_functionI11custom_lessbEEEE10hipError_tPvRmT1_T2_T3_mmT4_T5_P12ihipStream_tbEUlRKxE_EESP_ST_SU_mSV_SY_bEUlT_E_NS1_11comp_targetILNS1_3genE10ELNS1_11target_archE1200ELNS1_3gpuE4ELNS1_3repE0EEENS1_30default_config_static_selectorELNS0_4arch9wavefront6targetE0EEEvSS_.numbered_sgpr, 0
	.set _ZN7rocprim17ROCPRIM_400000_NS6detail17trampoline_kernelINS0_14default_configENS1_27lower_bound_config_selectorIxlEEZNS1_14transform_implILb0ES3_S5_N6thrust23THRUST_200600_302600_NS6detail15normal_iteratorINS8_7pointerIxNS8_11hip_rocprim5par_tENS8_11use_defaultESE_EEEENSA_INSB_IlSD_SE_SE_EEEEZNS1_13binary_searchIS3_S5_PxSG_SI_NS1_21lower_bound_search_opENS9_16wrapped_functionI11custom_lessbEEEE10hipError_tPvRmT1_T2_T3_mmT4_T5_P12ihipStream_tbEUlRKxE_EESP_ST_SU_mSV_SY_bEUlT_E_NS1_11comp_targetILNS1_3genE10ELNS1_11target_archE1200ELNS1_3gpuE4ELNS1_3repE0EEENS1_30default_config_static_selectorELNS0_4arch9wavefront6targetE0EEEvSS_.num_named_barrier, 0
	.set _ZN7rocprim17ROCPRIM_400000_NS6detail17trampoline_kernelINS0_14default_configENS1_27lower_bound_config_selectorIxlEEZNS1_14transform_implILb0ES3_S5_N6thrust23THRUST_200600_302600_NS6detail15normal_iteratorINS8_7pointerIxNS8_11hip_rocprim5par_tENS8_11use_defaultESE_EEEENSA_INSB_IlSD_SE_SE_EEEEZNS1_13binary_searchIS3_S5_PxSG_SI_NS1_21lower_bound_search_opENS9_16wrapped_functionI11custom_lessbEEEE10hipError_tPvRmT1_T2_T3_mmT4_T5_P12ihipStream_tbEUlRKxE_EESP_ST_SU_mSV_SY_bEUlT_E_NS1_11comp_targetILNS1_3genE10ELNS1_11target_archE1200ELNS1_3gpuE4ELNS1_3repE0EEENS1_30default_config_static_selectorELNS0_4arch9wavefront6targetE0EEEvSS_.private_seg_size, 0
	.set _ZN7rocprim17ROCPRIM_400000_NS6detail17trampoline_kernelINS0_14default_configENS1_27lower_bound_config_selectorIxlEEZNS1_14transform_implILb0ES3_S5_N6thrust23THRUST_200600_302600_NS6detail15normal_iteratorINS8_7pointerIxNS8_11hip_rocprim5par_tENS8_11use_defaultESE_EEEENSA_INSB_IlSD_SE_SE_EEEEZNS1_13binary_searchIS3_S5_PxSG_SI_NS1_21lower_bound_search_opENS9_16wrapped_functionI11custom_lessbEEEE10hipError_tPvRmT1_T2_T3_mmT4_T5_P12ihipStream_tbEUlRKxE_EESP_ST_SU_mSV_SY_bEUlT_E_NS1_11comp_targetILNS1_3genE10ELNS1_11target_archE1200ELNS1_3gpuE4ELNS1_3repE0EEENS1_30default_config_static_selectorELNS0_4arch9wavefront6targetE0EEEvSS_.uses_vcc, 0
	.set _ZN7rocprim17ROCPRIM_400000_NS6detail17trampoline_kernelINS0_14default_configENS1_27lower_bound_config_selectorIxlEEZNS1_14transform_implILb0ES3_S5_N6thrust23THRUST_200600_302600_NS6detail15normal_iteratorINS8_7pointerIxNS8_11hip_rocprim5par_tENS8_11use_defaultESE_EEEENSA_INSB_IlSD_SE_SE_EEEEZNS1_13binary_searchIS3_S5_PxSG_SI_NS1_21lower_bound_search_opENS9_16wrapped_functionI11custom_lessbEEEE10hipError_tPvRmT1_T2_T3_mmT4_T5_P12ihipStream_tbEUlRKxE_EESP_ST_SU_mSV_SY_bEUlT_E_NS1_11comp_targetILNS1_3genE10ELNS1_11target_archE1200ELNS1_3gpuE4ELNS1_3repE0EEENS1_30default_config_static_selectorELNS0_4arch9wavefront6targetE0EEEvSS_.uses_flat_scratch, 0
	.set _ZN7rocprim17ROCPRIM_400000_NS6detail17trampoline_kernelINS0_14default_configENS1_27lower_bound_config_selectorIxlEEZNS1_14transform_implILb0ES3_S5_N6thrust23THRUST_200600_302600_NS6detail15normal_iteratorINS8_7pointerIxNS8_11hip_rocprim5par_tENS8_11use_defaultESE_EEEENSA_INSB_IlSD_SE_SE_EEEEZNS1_13binary_searchIS3_S5_PxSG_SI_NS1_21lower_bound_search_opENS9_16wrapped_functionI11custom_lessbEEEE10hipError_tPvRmT1_T2_T3_mmT4_T5_P12ihipStream_tbEUlRKxE_EESP_ST_SU_mSV_SY_bEUlT_E_NS1_11comp_targetILNS1_3genE10ELNS1_11target_archE1200ELNS1_3gpuE4ELNS1_3repE0EEENS1_30default_config_static_selectorELNS0_4arch9wavefront6targetE0EEEvSS_.has_dyn_sized_stack, 0
	.set _ZN7rocprim17ROCPRIM_400000_NS6detail17trampoline_kernelINS0_14default_configENS1_27lower_bound_config_selectorIxlEEZNS1_14transform_implILb0ES3_S5_N6thrust23THRUST_200600_302600_NS6detail15normal_iteratorINS8_7pointerIxNS8_11hip_rocprim5par_tENS8_11use_defaultESE_EEEENSA_INSB_IlSD_SE_SE_EEEEZNS1_13binary_searchIS3_S5_PxSG_SI_NS1_21lower_bound_search_opENS9_16wrapped_functionI11custom_lessbEEEE10hipError_tPvRmT1_T2_T3_mmT4_T5_P12ihipStream_tbEUlRKxE_EESP_ST_SU_mSV_SY_bEUlT_E_NS1_11comp_targetILNS1_3genE10ELNS1_11target_archE1200ELNS1_3gpuE4ELNS1_3repE0EEENS1_30default_config_static_selectorELNS0_4arch9wavefront6targetE0EEEvSS_.has_recursion, 0
	.set _ZN7rocprim17ROCPRIM_400000_NS6detail17trampoline_kernelINS0_14default_configENS1_27lower_bound_config_selectorIxlEEZNS1_14transform_implILb0ES3_S5_N6thrust23THRUST_200600_302600_NS6detail15normal_iteratorINS8_7pointerIxNS8_11hip_rocprim5par_tENS8_11use_defaultESE_EEEENSA_INSB_IlSD_SE_SE_EEEEZNS1_13binary_searchIS3_S5_PxSG_SI_NS1_21lower_bound_search_opENS9_16wrapped_functionI11custom_lessbEEEE10hipError_tPvRmT1_T2_T3_mmT4_T5_P12ihipStream_tbEUlRKxE_EESP_ST_SU_mSV_SY_bEUlT_E_NS1_11comp_targetILNS1_3genE10ELNS1_11target_archE1200ELNS1_3gpuE4ELNS1_3repE0EEENS1_30default_config_static_selectorELNS0_4arch9wavefront6targetE0EEEvSS_.has_indirect_call, 0
	.section	.AMDGPU.csdata,"",@progbits
; Kernel info:
; codeLenInByte = 0
; TotalNumSgprs: 0
; NumVgprs: 0
; ScratchSize: 0
; MemoryBound: 0
; FloatMode: 240
; IeeeMode: 1
; LDSByteSize: 0 bytes/workgroup (compile time only)
; SGPRBlocks: 0
; VGPRBlocks: 0
; NumSGPRsForWavesPerEU: 1
; NumVGPRsForWavesPerEU: 1
; Occupancy: 16
; WaveLimiterHint : 0
; COMPUTE_PGM_RSRC2:SCRATCH_EN: 0
; COMPUTE_PGM_RSRC2:USER_SGPR: 6
; COMPUTE_PGM_RSRC2:TRAP_HANDLER: 0
; COMPUTE_PGM_RSRC2:TGID_X_EN: 1
; COMPUTE_PGM_RSRC2:TGID_Y_EN: 0
; COMPUTE_PGM_RSRC2:TGID_Z_EN: 0
; COMPUTE_PGM_RSRC2:TIDIG_COMP_CNT: 0
	.section	.text._ZN7rocprim17ROCPRIM_400000_NS6detail17trampoline_kernelINS0_14default_configENS1_27lower_bound_config_selectorIxlEEZNS1_14transform_implILb0ES3_S5_N6thrust23THRUST_200600_302600_NS6detail15normal_iteratorINS8_7pointerIxNS8_11hip_rocprim5par_tENS8_11use_defaultESE_EEEENSA_INSB_IlSD_SE_SE_EEEEZNS1_13binary_searchIS3_S5_PxSG_SI_NS1_21lower_bound_search_opENS9_16wrapped_functionI11custom_lessbEEEE10hipError_tPvRmT1_T2_T3_mmT4_T5_P12ihipStream_tbEUlRKxE_EESP_ST_SU_mSV_SY_bEUlT_E_NS1_11comp_targetILNS1_3genE9ELNS1_11target_archE1100ELNS1_3gpuE3ELNS1_3repE0EEENS1_30default_config_static_selectorELNS0_4arch9wavefront6targetE0EEEvSS_,"axG",@progbits,_ZN7rocprim17ROCPRIM_400000_NS6detail17trampoline_kernelINS0_14default_configENS1_27lower_bound_config_selectorIxlEEZNS1_14transform_implILb0ES3_S5_N6thrust23THRUST_200600_302600_NS6detail15normal_iteratorINS8_7pointerIxNS8_11hip_rocprim5par_tENS8_11use_defaultESE_EEEENSA_INSB_IlSD_SE_SE_EEEEZNS1_13binary_searchIS3_S5_PxSG_SI_NS1_21lower_bound_search_opENS9_16wrapped_functionI11custom_lessbEEEE10hipError_tPvRmT1_T2_T3_mmT4_T5_P12ihipStream_tbEUlRKxE_EESP_ST_SU_mSV_SY_bEUlT_E_NS1_11comp_targetILNS1_3genE9ELNS1_11target_archE1100ELNS1_3gpuE3ELNS1_3repE0EEENS1_30default_config_static_selectorELNS0_4arch9wavefront6targetE0EEEvSS_,comdat
	.protected	_ZN7rocprim17ROCPRIM_400000_NS6detail17trampoline_kernelINS0_14default_configENS1_27lower_bound_config_selectorIxlEEZNS1_14transform_implILb0ES3_S5_N6thrust23THRUST_200600_302600_NS6detail15normal_iteratorINS8_7pointerIxNS8_11hip_rocprim5par_tENS8_11use_defaultESE_EEEENSA_INSB_IlSD_SE_SE_EEEEZNS1_13binary_searchIS3_S5_PxSG_SI_NS1_21lower_bound_search_opENS9_16wrapped_functionI11custom_lessbEEEE10hipError_tPvRmT1_T2_T3_mmT4_T5_P12ihipStream_tbEUlRKxE_EESP_ST_SU_mSV_SY_bEUlT_E_NS1_11comp_targetILNS1_3genE9ELNS1_11target_archE1100ELNS1_3gpuE3ELNS1_3repE0EEENS1_30default_config_static_selectorELNS0_4arch9wavefront6targetE0EEEvSS_ ; -- Begin function _ZN7rocprim17ROCPRIM_400000_NS6detail17trampoline_kernelINS0_14default_configENS1_27lower_bound_config_selectorIxlEEZNS1_14transform_implILb0ES3_S5_N6thrust23THRUST_200600_302600_NS6detail15normal_iteratorINS8_7pointerIxNS8_11hip_rocprim5par_tENS8_11use_defaultESE_EEEENSA_INSB_IlSD_SE_SE_EEEEZNS1_13binary_searchIS3_S5_PxSG_SI_NS1_21lower_bound_search_opENS9_16wrapped_functionI11custom_lessbEEEE10hipError_tPvRmT1_T2_T3_mmT4_T5_P12ihipStream_tbEUlRKxE_EESP_ST_SU_mSV_SY_bEUlT_E_NS1_11comp_targetILNS1_3genE9ELNS1_11target_archE1100ELNS1_3gpuE3ELNS1_3repE0EEENS1_30default_config_static_selectorELNS0_4arch9wavefront6targetE0EEEvSS_
	.globl	_ZN7rocprim17ROCPRIM_400000_NS6detail17trampoline_kernelINS0_14default_configENS1_27lower_bound_config_selectorIxlEEZNS1_14transform_implILb0ES3_S5_N6thrust23THRUST_200600_302600_NS6detail15normal_iteratorINS8_7pointerIxNS8_11hip_rocprim5par_tENS8_11use_defaultESE_EEEENSA_INSB_IlSD_SE_SE_EEEEZNS1_13binary_searchIS3_S5_PxSG_SI_NS1_21lower_bound_search_opENS9_16wrapped_functionI11custom_lessbEEEE10hipError_tPvRmT1_T2_T3_mmT4_T5_P12ihipStream_tbEUlRKxE_EESP_ST_SU_mSV_SY_bEUlT_E_NS1_11comp_targetILNS1_3genE9ELNS1_11target_archE1100ELNS1_3gpuE3ELNS1_3repE0EEENS1_30default_config_static_selectorELNS0_4arch9wavefront6targetE0EEEvSS_
	.p2align	8
	.type	_ZN7rocprim17ROCPRIM_400000_NS6detail17trampoline_kernelINS0_14default_configENS1_27lower_bound_config_selectorIxlEEZNS1_14transform_implILb0ES3_S5_N6thrust23THRUST_200600_302600_NS6detail15normal_iteratorINS8_7pointerIxNS8_11hip_rocprim5par_tENS8_11use_defaultESE_EEEENSA_INSB_IlSD_SE_SE_EEEEZNS1_13binary_searchIS3_S5_PxSG_SI_NS1_21lower_bound_search_opENS9_16wrapped_functionI11custom_lessbEEEE10hipError_tPvRmT1_T2_T3_mmT4_T5_P12ihipStream_tbEUlRKxE_EESP_ST_SU_mSV_SY_bEUlT_E_NS1_11comp_targetILNS1_3genE9ELNS1_11target_archE1100ELNS1_3gpuE3ELNS1_3repE0EEENS1_30default_config_static_selectorELNS0_4arch9wavefront6targetE0EEEvSS_,@function
_ZN7rocprim17ROCPRIM_400000_NS6detail17trampoline_kernelINS0_14default_configENS1_27lower_bound_config_selectorIxlEEZNS1_14transform_implILb0ES3_S5_N6thrust23THRUST_200600_302600_NS6detail15normal_iteratorINS8_7pointerIxNS8_11hip_rocprim5par_tENS8_11use_defaultESE_EEEENSA_INSB_IlSD_SE_SE_EEEEZNS1_13binary_searchIS3_S5_PxSG_SI_NS1_21lower_bound_search_opENS9_16wrapped_functionI11custom_lessbEEEE10hipError_tPvRmT1_T2_T3_mmT4_T5_P12ihipStream_tbEUlRKxE_EESP_ST_SU_mSV_SY_bEUlT_E_NS1_11comp_targetILNS1_3genE9ELNS1_11target_archE1100ELNS1_3gpuE3ELNS1_3repE0EEENS1_30default_config_static_selectorELNS0_4arch9wavefront6targetE0EEEvSS_: ; @_ZN7rocprim17ROCPRIM_400000_NS6detail17trampoline_kernelINS0_14default_configENS1_27lower_bound_config_selectorIxlEEZNS1_14transform_implILb0ES3_S5_N6thrust23THRUST_200600_302600_NS6detail15normal_iteratorINS8_7pointerIxNS8_11hip_rocprim5par_tENS8_11use_defaultESE_EEEENSA_INSB_IlSD_SE_SE_EEEEZNS1_13binary_searchIS3_S5_PxSG_SI_NS1_21lower_bound_search_opENS9_16wrapped_functionI11custom_lessbEEEE10hipError_tPvRmT1_T2_T3_mmT4_T5_P12ihipStream_tbEUlRKxE_EESP_ST_SU_mSV_SY_bEUlT_E_NS1_11comp_targetILNS1_3genE9ELNS1_11target_archE1100ELNS1_3gpuE3ELNS1_3repE0EEENS1_30default_config_static_selectorELNS0_4arch9wavefront6targetE0EEEvSS_
; %bb.0:
	.section	.rodata,"a",@progbits
	.p2align	6, 0x0
	.amdhsa_kernel _ZN7rocprim17ROCPRIM_400000_NS6detail17trampoline_kernelINS0_14default_configENS1_27lower_bound_config_selectorIxlEEZNS1_14transform_implILb0ES3_S5_N6thrust23THRUST_200600_302600_NS6detail15normal_iteratorINS8_7pointerIxNS8_11hip_rocprim5par_tENS8_11use_defaultESE_EEEENSA_INSB_IlSD_SE_SE_EEEEZNS1_13binary_searchIS3_S5_PxSG_SI_NS1_21lower_bound_search_opENS9_16wrapped_functionI11custom_lessbEEEE10hipError_tPvRmT1_T2_T3_mmT4_T5_P12ihipStream_tbEUlRKxE_EESP_ST_SU_mSV_SY_bEUlT_E_NS1_11comp_targetILNS1_3genE9ELNS1_11target_archE1100ELNS1_3gpuE3ELNS1_3repE0EEENS1_30default_config_static_selectorELNS0_4arch9wavefront6targetE0EEEvSS_
		.amdhsa_group_segment_fixed_size 0
		.amdhsa_private_segment_fixed_size 0
		.amdhsa_kernarg_size 56
		.amdhsa_user_sgpr_count 6
		.amdhsa_user_sgpr_private_segment_buffer 1
		.amdhsa_user_sgpr_dispatch_ptr 0
		.amdhsa_user_sgpr_queue_ptr 0
		.amdhsa_user_sgpr_kernarg_segment_ptr 1
		.amdhsa_user_sgpr_dispatch_id 0
		.amdhsa_user_sgpr_flat_scratch_init 0
		.amdhsa_user_sgpr_private_segment_size 0
		.amdhsa_wavefront_size32 1
		.amdhsa_uses_dynamic_stack 0
		.amdhsa_system_sgpr_private_segment_wavefront_offset 0
		.amdhsa_system_sgpr_workgroup_id_x 1
		.amdhsa_system_sgpr_workgroup_id_y 0
		.amdhsa_system_sgpr_workgroup_id_z 0
		.amdhsa_system_sgpr_workgroup_info 0
		.amdhsa_system_vgpr_workitem_id 0
		.amdhsa_next_free_vgpr 1
		.amdhsa_next_free_sgpr 1
		.amdhsa_reserve_vcc 0
		.amdhsa_reserve_flat_scratch 0
		.amdhsa_float_round_mode_32 0
		.amdhsa_float_round_mode_16_64 0
		.amdhsa_float_denorm_mode_32 3
		.amdhsa_float_denorm_mode_16_64 3
		.amdhsa_dx10_clamp 1
		.amdhsa_ieee_mode 1
		.amdhsa_fp16_overflow 0
		.amdhsa_workgroup_processor_mode 1
		.amdhsa_memory_ordered 1
		.amdhsa_forward_progress 1
		.amdhsa_shared_vgpr_count 0
		.amdhsa_exception_fp_ieee_invalid_op 0
		.amdhsa_exception_fp_denorm_src 0
		.amdhsa_exception_fp_ieee_div_zero 0
		.amdhsa_exception_fp_ieee_overflow 0
		.amdhsa_exception_fp_ieee_underflow 0
		.amdhsa_exception_fp_ieee_inexact 0
		.amdhsa_exception_int_div_zero 0
	.end_amdhsa_kernel
	.section	.text._ZN7rocprim17ROCPRIM_400000_NS6detail17trampoline_kernelINS0_14default_configENS1_27lower_bound_config_selectorIxlEEZNS1_14transform_implILb0ES3_S5_N6thrust23THRUST_200600_302600_NS6detail15normal_iteratorINS8_7pointerIxNS8_11hip_rocprim5par_tENS8_11use_defaultESE_EEEENSA_INSB_IlSD_SE_SE_EEEEZNS1_13binary_searchIS3_S5_PxSG_SI_NS1_21lower_bound_search_opENS9_16wrapped_functionI11custom_lessbEEEE10hipError_tPvRmT1_T2_T3_mmT4_T5_P12ihipStream_tbEUlRKxE_EESP_ST_SU_mSV_SY_bEUlT_E_NS1_11comp_targetILNS1_3genE9ELNS1_11target_archE1100ELNS1_3gpuE3ELNS1_3repE0EEENS1_30default_config_static_selectorELNS0_4arch9wavefront6targetE0EEEvSS_,"axG",@progbits,_ZN7rocprim17ROCPRIM_400000_NS6detail17trampoline_kernelINS0_14default_configENS1_27lower_bound_config_selectorIxlEEZNS1_14transform_implILb0ES3_S5_N6thrust23THRUST_200600_302600_NS6detail15normal_iteratorINS8_7pointerIxNS8_11hip_rocprim5par_tENS8_11use_defaultESE_EEEENSA_INSB_IlSD_SE_SE_EEEEZNS1_13binary_searchIS3_S5_PxSG_SI_NS1_21lower_bound_search_opENS9_16wrapped_functionI11custom_lessbEEEE10hipError_tPvRmT1_T2_T3_mmT4_T5_P12ihipStream_tbEUlRKxE_EESP_ST_SU_mSV_SY_bEUlT_E_NS1_11comp_targetILNS1_3genE9ELNS1_11target_archE1100ELNS1_3gpuE3ELNS1_3repE0EEENS1_30default_config_static_selectorELNS0_4arch9wavefront6targetE0EEEvSS_,comdat
.Lfunc_end111:
	.size	_ZN7rocprim17ROCPRIM_400000_NS6detail17trampoline_kernelINS0_14default_configENS1_27lower_bound_config_selectorIxlEEZNS1_14transform_implILb0ES3_S5_N6thrust23THRUST_200600_302600_NS6detail15normal_iteratorINS8_7pointerIxNS8_11hip_rocprim5par_tENS8_11use_defaultESE_EEEENSA_INSB_IlSD_SE_SE_EEEEZNS1_13binary_searchIS3_S5_PxSG_SI_NS1_21lower_bound_search_opENS9_16wrapped_functionI11custom_lessbEEEE10hipError_tPvRmT1_T2_T3_mmT4_T5_P12ihipStream_tbEUlRKxE_EESP_ST_SU_mSV_SY_bEUlT_E_NS1_11comp_targetILNS1_3genE9ELNS1_11target_archE1100ELNS1_3gpuE3ELNS1_3repE0EEENS1_30default_config_static_selectorELNS0_4arch9wavefront6targetE0EEEvSS_, .Lfunc_end111-_ZN7rocprim17ROCPRIM_400000_NS6detail17trampoline_kernelINS0_14default_configENS1_27lower_bound_config_selectorIxlEEZNS1_14transform_implILb0ES3_S5_N6thrust23THRUST_200600_302600_NS6detail15normal_iteratorINS8_7pointerIxNS8_11hip_rocprim5par_tENS8_11use_defaultESE_EEEENSA_INSB_IlSD_SE_SE_EEEEZNS1_13binary_searchIS3_S5_PxSG_SI_NS1_21lower_bound_search_opENS9_16wrapped_functionI11custom_lessbEEEE10hipError_tPvRmT1_T2_T3_mmT4_T5_P12ihipStream_tbEUlRKxE_EESP_ST_SU_mSV_SY_bEUlT_E_NS1_11comp_targetILNS1_3genE9ELNS1_11target_archE1100ELNS1_3gpuE3ELNS1_3repE0EEENS1_30default_config_static_selectorELNS0_4arch9wavefront6targetE0EEEvSS_
                                        ; -- End function
	.set _ZN7rocprim17ROCPRIM_400000_NS6detail17trampoline_kernelINS0_14default_configENS1_27lower_bound_config_selectorIxlEEZNS1_14transform_implILb0ES3_S5_N6thrust23THRUST_200600_302600_NS6detail15normal_iteratorINS8_7pointerIxNS8_11hip_rocprim5par_tENS8_11use_defaultESE_EEEENSA_INSB_IlSD_SE_SE_EEEEZNS1_13binary_searchIS3_S5_PxSG_SI_NS1_21lower_bound_search_opENS9_16wrapped_functionI11custom_lessbEEEE10hipError_tPvRmT1_T2_T3_mmT4_T5_P12ihipStream_tbEUlRKxE_EESP_ST_SU_mSV_SY_bEUlT_E_NS1_11comp_targetILNS1_3genE9ELNS1_11target_archE1100ELNS1_3gpuE3ELNS1_3repE0EEENS1_30default_config_static_selectorELNS0_4arch9wavefront6targetE0EEEvSS_.num_vgpr, 0
	.set _ZN7rocprim17ROCPRIM_400000_NS6detail17trampoline_kernelINS0_14default_configENS1_27lower_bound_config_selectorIxlEEZNS1_14transform_implILb0ES3_S5_N6thrust23THRUST_200600_302600_NS6detail15normal_iteratorINS8_7pointerIxNS8_11hip_rocprim5par_tENS8_11use_defaultESE_EEEENSA_INSB_IlSD_SE_SE_EEEEZNS1_13binary_searchIS3_S5_PxSG_SI_NS1_21lower_bound_search_opENS9_16wrapped_functionI11custom_lessbEEEE10hipError_tPvRmT1_T2_T3_mmT4_T5_P12ihipStream_tbEUlRKxE_EESP_ST_SU_mSV_SY_bEUlT_E_NS1_11comp_targetILNS1_3genE9ELNS1_11target_archE1100ELNS1_3gpuE3ELNS1_3repE0EEENS1_30default_config_static_selectorELNS0_4arch9wavefront6targetE0EEEvSS_.num_agpr, 0
	.set _ZN7rocprim17ROCPRIM_400000_NS6detail17trampoline_kernelINS0_14default_configENS1_27lower_bound_config_selectorIxlEEZNS1_14transform_implILb0ES3_S5_N6thrust23THRUST_200600_302600_NS6detail15normal_iteratorINS8_7pointerIxNS8_11hip_rocprim5par_tENS8_11use_defaultESE_EEEENSA_INSB_IlSD_SE_SE_EEEEZNS1_13binary_searchIS3_S5_PxSG_SI_NS1_21lower_bound_search_opENS9_16wrapped_functionI11custom_lessbEEEE10hipError_tPvRmT1_T2_T3_mmT4_T5_P12ihipStream_tbEUlRKxE_EESP_ST_SU_mSV_SY_bEUlT_E_NS1_11comp_targetILNS1_3genE9ELNS1_11target_archE1100ELNS1_3gpuE3ELNS1_3repE0EEENS1_30default_config_static_selectorELNS0_4arch9wavefront6targetE0EEEvSS_.numbered_sgpr, 0
	.set _ZN7rocprim17ROCPRIM_400000_NS6detail17trampoline_kernelINS0_14default_configENS1_27lower_bound_config_selectorIxlEEZNS1_14transform_implILb0ES3_S5_N6thrust23THRUST_200600_302600_NS6detail15normal_iteratorINS8_7pointerIxNS8_11hip_rocprim5par_tENS8_11use_defaultESE_EEEENSA_INSB_IlSD_SE_SE_EEEEZNS1_13binary_searchIS3_S5_PxSG_SI_NS1_21lower_bound_search_opENS9_16wrapped_functionI11custom_lessbEEEE10hipError_tPvRmT1_T2_T3_mmT4_T5_P12ihipStream_tbEUlRKxE_EESP_ST_SU_mSV_SY_bEUlT_E_NS1_11comp_targetILNS1_3genE9ELNS1_11target_archE1100ELNS1_3gpuE3ELNS1_3repE0EEENS1_30default_config_static_selectorELNS0_4arch9wavefront6targetE0EEEvSS_.num_named_barrier, 0
	.set _ZN7rocprim17ROCPRIM_400000_NS6detail17trampoline_kernelINS0_14default_configENS1_27lower_bound_config_selectorIxlEEZNS1_14transform_implILb0ES3_S5_N6thrust23THRUST_200600_302600_NS6detail15normal_iteratorINS8_7pointerIxNS8_11hip_rocprim5par_tENS8_11use_defaultESE_EEEENSA_INSB_IlSD_SE_SE_EEEEZNS1_13binary_searchIS3_S5_PxSG_SI_NS1_21lower_bound_search_opENS9_16wrapped_functionI11custom_lessbEEEE10hipError_tPvRmT1_T2_T3_mmT4_T5_P12ihipStream_tbEUlRKxE_EESP_ST_SU_mSV_SY_bEUlT_E_NS1_11comp_targetILNS1_3genE9ELNS1_11target_archE1100ELNS1_3gpuE3ELNS1_3repE0EEENS1_30default_config_static_selectorELNS0_4arch9wavefront6targetE0EEEvSS_.private_seg_size, 0
	.set _ZN7rocprim17ROCPRIM_400000_NS6detail17trampoline_kernelINS0_14default_configENS1_27lower_bound_config_selectorIxlEEZNS1_14transform_implILb0ES3_S5_N6thrust23THRUST_200600_302600_NS6detail15normal_iteratorINS8_7pointerIxNS8_11hip_rocprim5par_tENS8_11use_defaultESE_EEEENSA_INSB_IlSD_SE_SE_EEEEZNS1_13binary_searchIS3_S5_PxSG_SI_NS1_21lower_bound_search_opENS9_16wrapped_functionI11custom_lessbEEEE10hipError_tPvRmT1_T2_T3_mmT4_T5_P12ihipStream_tbEUlRKxE_EESP_ST_SU_mSV_SY_bEUlT_E_NS1_11comp_targetILNS1_3genE9ELNS1_11target_archE1100ELNS1_3gpuE3ELNS1_3repE0EEENS1_30default_config_static_selectorELNS0_4arch9wavefront6targetE0EEEvSS_.uses_vcc, 0
	.set _ZN7rocprim17ROCPRIM_400000_NS6detail17trampoline_kernelINS0_14default_configENS1_27lower_bound_config_selectorIxlEEZNS1_14transform_implILb0ES3_S5_N6thrust23THRUST_200600_302600_NS6detail15normal_iteratorINS8_7pointerIxNS8_11hip_rocprim5par_tENS8_11use_defaultESE_EEEENSA_INSB_IlSD_SE_SE_EEEEZNS1_13binary_searchIS3_S5_PxSG_SI_NS1_21lower_bound_search_opENS9_16wrapped_functionI11custom_lessbEEEE10hipError_tPvRmT1_T2_T3_mmT4_T5_P12ihipStream_tbEUlRKxE_EESP_ST_SU_mSV_SY_bEUlT_E_NS1_11comp_targetILNS1_3genE9ELNS1_11target_archE1100ELNS1_3gpuE3ELNS1_3repE0EEENS1_30default_config_static_selectorELNS0_4arch9wavefront6targetE0EEEvSS_.uses_flat_scratch, 0
	.set _ZN7rocprim17ROCPRIM_400000_NS6detail17trampoline_kernelINS0_14default_configENS1_27lower_bound_config_selectorIxlEEZNS1_14transform_implILb0ES3_S5_N6thrust23THRUST_200600_302600_NS6detail15normal_iteratorINS8_7pointerIxNS8_11hip_rocprim5par_tENS8_11use_defaultESE_EEEENSA_INSB_IlSD_SE_SE_EEEEZNS1_13binary_searchIS3_S5_PxSG_SI_NS1_21lower_bound_search_opENS9_16wrapped_functionI11custom_lessbEEEE10hipError_tPvRmT1_T2_T3_mmT4_T5_P12ihipStream_tbEUlRKxE_EESP_ST_SU_mSV_SY_bEUlT_E_NS1_11comp_targetILNS1_3genE9ELNS1_11target_archE1100ELNS1_3gpuE3ELNS1_3repE0EEENS1_30default_config_static_selectorELNS0_4arch9wavefront6targetE0EEEvSS_.has_dyn_sized_stack, 0
	.set _ZN7rocprim17ROCPRIM_400000_NS6detail17trampoline_kernelINS0_14default_configENS1_27lower_bound_config_selectorIxlEEZNS1_14transform_implILb0ES3_S5_N6thrust23THRUST_200600_302600_NS6detail15normal_iteratorINS8_7pointerIxNS8_11hip_rocprim5par_tENS8_11use_defaultESE_EEEENSA_INSB_IlSD_SE_SE_EEEEZNS1_13binary_searchIS3_S5_PxSG_SI_NS1_21lower_bound_search_opENS9_16wrapped_functionI11custom_lessbEEEE10hipError_tPvRmT1_T2_T3_mmT4_T5_P12ihipStream_tbEUlRKxE_EESP_ST_SU_mSV_SY_bEUlT_E_NS1_11comp_targetILNS1_3genE9ELNS1_11target_archE1100ELNS1_3gpuE3ELNS1_3repE0EEENS1_30default_config_static_selectorELNS0_4arch9wavefront6targetE0EEEvSS_.has_recursion, 0
	.set _ZN7rocprim17ROCPRIM_400000_NS6detail17trampoline_kernelINS0_14default_configENS1_27lower_bound_config_selectorIxlEEZNS1_14transform_implILb0ES3_S5_N6thrust23THRUST_200600_302600_NS6detail15normal_iteratorINS8_7pointerIxNS8_11hip_rocprim5par_tENS8_11use_defaultESE_EEEENSA_INSB_IlSD_SE_SE_EEEEZNS1_13binary_searchIS3_S5_PxSG_SI_NS1_21lower_bound_search_opENS9_16wrapped_functionI11custom_lessbEEEE10hipError_tPvRmT1_T2_T3_mmT4_T5_P12ihipStream_tbEUlRKxE_EESP_ST_SU_mSV_SY_bEUlT_E_NS1_11comp_targetILNS1_3genE9ELNS1_11target_archE1100ELNS1_3gpuE3ELNS1_3repE0EEENS1_30default_config_static_selectorELNS0_4arch9wavefront6targetE0EEEvSS_.has_indirect_call, 0
	.section	.AMDGPU.csdata,"",@progbits
; Kernel info:
; codeLenInByte = 0
; TotalNumSgprs: 0
; NumVgprs: 0
; ScratchSize: 0
; MemoryBound: 0
; FloatMode: 240
; IeeeMode: 1
; LDSByteSize: 0 bytes/workgroup (compile time only)
; SGPRBlocks: 0
; VGPRBlocks: 0
; NumSGPRsForWavesPerEU: 1
; NumVGPRsForWavesPerEU: 1
; Occupancy: 16
; WaveLimiterHint : 0
; COMPUTE_PGM_RSRC2:SCRATCH_EN: 0
; COMPUTE_PGM_RSRC2:USER_SGPR: 6
; COMPUTE_PGM_RSRC2:TRAP_HANDLER: 0
; COMPUTE_PGM_RSRC2:TGID_X_EN: 1
; COMPUTE_PGM_RSRC2:TGID_Y_EN: 0
; COMPUTE_PGM_RSRC2:TGID_Z_EN: 0
; COMPUTE_PGM_RSRC2:TIDIG_COMP_CNT: 0
	.section	.text._ZN7rocprim17ROCPRIM_400000_NS6detail17trampoline_kernelINS0_14default_configENS1_27lower_bound_config_selectorIxlEEZNS1_14transform_implILb0ES3_S5_N6thrust23THRUST_200600_302600_NS6detail15normal_iteratorINS8_7pointerIxNS8_11hip_rocprim5par_tENS8_11use_defaultESE_EEEENSA_INSB_IlSD_SE_SE_EEEEZNS1_13binary_searchIS3_S5_PxSG_SI_NS1_21lower_bound_search_opENS9_16wrapped_functionI11custom_lessbEEEE10hipError_tPvRmT1_T2_T3_mmT4_T5_P12ihipStream_tbEUlRKxE_EESP_ST_SU_mSV_SY_bEUlT_E_NS1_11comp_targetILNS1_3genE8ELNS1_11target_archE1030ELNS1_3gpuE2ELNS1_3repE0EEENS1_30default_config_static_selectorELNS0_4arch9wavefront6targetE0EEEvSS_,"axG",@progbits,_ZN7rocprim17ROCPRIM_400000_NS6detail17trampoline_kernelINS0_14default_configENS1_27lower_bound_config_selectorIxlEEZNS1_14transform_implILb0ES3_S5_N6thrust23THRUST_200600_302600_NS6detail15normal_iteratorINS8_7pointerIxNS8_11hip_rocprim5par_tENS8_11use_defaultESE_EEEENSA_INSB_IlSD_SE_SE_EEEEZNS1_13binary_searchIS3_S5_PxSG_SI_NS1_21lower_bound_search_opENS9_16wrapped_functionI11custom_lessbEEEE10hipError_tPvRmT1_T2_T3_mmT4_T5_P12ihipStream_tbEUlRKxE_EESP_ST_SU_mSV_SY_bEUlT_E_NS1_11comp_targetILNS1_3genE8ELNS1_11target_archE1030ELNS1_3gpuE2ELNS1_3repE0EEENS1_30default_config_static_selectorELNS0_4arch9wavefront6targetE0EEEvSS_,comdat
	.protected	_ZN7rocprim17ROCPRIM_400000_NS6detail17trampoline_kernelINS0_14default_configENS1_27lower_bound_config_selectorIxlEEZNS1_14transform_implILb0ES3_S5_N6thrust23THRUST_200600_302600_NS6detail15normal_iteratorINS8_7pointerIxNS8_11hip_rocprim5par_tENS8_11use_defaultESE_EEEENSA_INSB_IlSD_SE_SE_EEEEZNS1_13binary_searchIS3_S5_PxSG_SI_NS1_21lower_bound_search_opENS9_16wrapped_functionI11custom_lessbEEEE10hipError_tPvRmT1_T2_T3_mmT4_T5_P12ihipStream_tbEUlRKxE_EESP_ST_SU_mSV_SY_bEUlT_E_NS1_11comp_targetILNS1_3genE8ELNS1_11target_archE1030ELNS1_3gpuE2ELNS1_3repE0EEENS1_30default_config_static_selectorELNS0_4arch9wavefront6targetE0EEEvSS_ ; -- Begin function _ZN7rocprim17ROCPRIM_400000_NS6detail17trampoline_kernelINS0_14default_configENS1_27lower_bound_config_selectorIxlEEZNS1_14transform_implILb0ES3_S5_N6thrust23THRUST_200600_302600_NS6detail15normal_iteratorINS8_7pointerIxNS8_11hip_rocprim5par_tENS8_11use_defaultESE_EEEENSA_INSB_IlSD_SE_SE_EEEEZNS1_13binary_searchIS3_S5_PxSG_SI_NS1_21lower_bound_search_opENS9_16wrapped_functionI11custom_lessbEEEE10hipError_tPvRmT1_T2_T3_mmT4_T5_P12ihipStream_tbEUlRKxE_EESP_ST_SU_mSV_SY_bEUlT_E_NS1_11comp_targetILNS1_3genE8ELNS1_11target_archE1030ELNS1_3gpuE2ELNS1_3repE0EEENS1_30default_config_static_selectorELNS0_4arch9wavefront6targetE0EEEvSS_
	.globl	_ZN7rocprim17ROCPRIM_400000_NS6detail17trampoline_kernelINS0_14default_configENS1_27lower_bound_config_selectorIxlEEZNS1_14transform_implILb0ES3_S5_N6thrust23THRUST_200600_302600_NS6detail15normal_iteratorINS8_7pointerIxNS8_11hip_rocprim5par_tENS8_11use_defaultESE_EEEENSA_INSB_IlSD_SE_SE_EEEEZNS1_13binary_searchIS3_S5_PxSG_SI_NS1_21lower_bound_search_opENS9_16wrapped_functionI11custom_lessbEEEE10hipError_tPvRmT1_T2_T3_mmT4_T5_P12ihipStream_tbEUlRKxE_EESP_ST_SU_mSV_SY_bEUlT_E_NS1_11comp_targetILNS1_3genE8ELNS1_11target_archE1030ELNS1_3gpuE2ELNS1_3repE0EEENS1_30default_config_static_selectorELNS0_4arch9wavefront6targetE0EEEvSS_
	.p2align	8
	.type	_ZN7rocprim17ROCPRIM_400000_NS6detail17trampoline_kernelINS0_14default_configENS1_27lower_bound_config_selectorIxlEEZNS1_14transform_implILb0ES3_S5_N6thrust23THRUST_200600_302600_NS6detail15normal_iteratorINS8_7pointerIxNS8_11hip_rocprim5par_tENS8_11use_defaultESE_EEEENSA_INSB_IlSD_SE_SE_EEEEZNS1_13binary_searchIS3_S5_PxSG_SI_NS1_21lower_bound_search_opENS9_16wrapped_functionI11custom_lessbEEEE10hipError_tPvRmT1_T2_T3_mmT4_T5_P12ihipStream_tbEUlRKxE_EESP_ST_SU_mSV_SY_bEUlT_E_NS1_11comp_targetILNS1_3genE8ELNS1_11target_archE1030ELNS1_3gpuE2ELNS1_3repE0EEENS1_30default_config_static_selectorELNS0_4arch9wavefront6targetE0EEEvSS_,@function
_ZN7rocprim17ROCPRIM_400000_NS6detail17trampoline_kernelINS0_14default_configENS1_27lower_bound_config_selectorIxlEEZNS1_14transform_implILb0ES3_S5_N6thrust23THRUST_200600_302600_NS6detail15normal_iteratorINS8_7pointerIxNS8_11hip_rocprim5par_tENS8_11use_defaultESE_EEEENSA_INSB_IlSD_SE_SE_EEEEZNS1_13binary_searchIS3_S5_PxSG_SI_NS1_21lower_bound_search_opENS9_16wrapped_functionI11custom_lessbEEEE10hipError_tPvRmT1_T2_T3_mmT4_T5_P12ihipStream_tbEUlRKxE_EESP_ST_SU_mSV_SY_bEUlT_E_NS1_11comp_targetILNS1_3genE8ELNS1_11target_archE1030ELNS1_3gpuE2ELNS1_3repE0EEENS1_30default_config_static_selectorELNS0_4arch9wavefront6targetE0EEEvSS_: ; @_ZN7rocprim17ROCPRIM_400000_NS6detail17trampoline_kernelINS0_14default_configENS1_27lower_bound_config_selectorIxlEEZNS1_14transform_implILb0ES3_S5_N6thrust23THRUST_200600_302600_NS6detail15normal_iteratorINS8_7pointerIxNS8_11hip_rocprim5par_tENS8_11use_defaultESE_EEEENSA_INSB_IlSD_SE_SE_EEEEZNS1_13binary_searchIS3_S5_PxSG_SI_NS1_21lower_bound_search_opENS9_16wrapped_functionI11custom_lessbEEEE10hipError_tPvRmT1_T2_T3_mmT4_T5_P12ihipStream_tbEUlRKxE_EESP_ST_SU_mSV_SY_bEUlT_E_NS1_11comp_targetILNS1_3genE8ELNS1_11target_archE1030ELNS1_3gpuE2ELNS1_3repE0EEENS1_30default_config_static_selectorELNS0_4arch9wavefront6targetE0EEEvSS_
; %bb.0:
	s_clause 0x3
	s_load_dwordx4 s[16:19], s[4:5], 0x0
	s_load_dwordx4 s[0:3], s[4:5], 0x18
	s_load_dword s15, s[4:5], 0x38
	s_load_dwordx2 s[10:11], s[4:5], 0x28
	s_waitcnt lgkmcnt(0)
	s_lshl_b64 s[8:9], s[18:19], 3
	s_add_u32 s13, s16, s8
	s_addc_u32 s14, s17, s9
	s_add_u32 s7, s0, s8
	s_addc_u32 s12, s1, s9
	s_add_i32 s15, s15, -1
	s_lshl_b32 s8, s6, 8
	s_mov_b32 s9, 0
	s_cmp_lg_u32 s6, s15
	s_mov_b32 s0, -1
	s_cbranch_scc0 .LBB112_7
; %bb.1:
	s_cmp_eq_u64 s[10:11], 0
	s_cbranch_scc1 .LBB112_5
; %bb.2:
	v_lshlrev_b32_e32 v1, 3, v0
	s_lshl_b64 s[0:1], s[8:9], 3
	v_mov_b32_e32 v5, s10
	s_add_u32 s0, s13, s0
	s_addc_u32 s1, s14, s1
	v_add_co_u32 v1, s0, s0, v1
	v_add_co_ci_u32_e64 v2, null, s1, 0, s0
	v_mov_b32_e32 v6, s11
	s_mov_b32 s1, 0
	flat_load_dwordx2 v[3:4], v[1:2]
	v_mov_b32_e32 v1, 0
	v_mov_b32_e32 v2, 0
	s_inst_prefetch 0x1
	.p2align	6
.LBB112_3:                              ; =>This Inner Loop Header: Depth=1
	v_sub_co_u32 v7, vcc_lo, v5, v1
	v_sub_co_ci_u32_e64 v8, null, v6, v2, vcc_lo
	v_lshrrev_b64 v[9:10], 1, v[7:8]
	v_lshrrev_b64 v[7:8], 6, v[7:8]
	v_add_co_u32 v9, vcc_lo, v9, v1
	v_add_co_ci_u32_e64 v10, null, v10, v2, vcc_lo
	v_add_co_u32 v7, vcc_lo, v9, v7
	v_add_co_ci_u32_e64 v8, null, v10, v8, vcc_lo
	v_lshlrev_b64 v[9:10], 3, v[7:8]
	v_add_co_u32 v9, vcc_lo, s2, v9
	v_add_co_ci_u32_e64 v10, null, s3, v10, vcc_lo
	v_add_co_u32 v11, vcc_lo, v7, 1
	global_load_dwordx2 v[9:10], v[9:10], off
	s_waitcnt vmcnt(0) lgkmcnt(0)
	v_cmp_lt_i64_e64 s0, v[9:10], v[3:4]
	v_add_co_ci_u32_e64 v9, null, 0, v8, vcc_lo
	v_cndmask_b32_e64 v6, v8, v6, s0
	v_cndmask_b32_e64 v5, v7, v5, s0
	;; [unrolled: 1-line block ×4, first 2 shown]
	v_cmp_ge_u64_e32 vcc_lo, v[1:2], v[5:6]
	s_or_b32 s1, vcc_lo, s1
	s_andn2_b32 exec_lo, exec_lo, s1
	s_cbranch_execnz .LBB112_3
; %bb.4:
	s_inst_prefetch 0x2
	s_or_b32 exec_lo, exec_lo, s1
	s_branch .LBB112_6
.LBB112_5:
	v_mov_b32_e32 v1, 0
	v_mov_b32_e32 v2, 0
.LBB112_6:
	v_lshlrev_b32_e32 v3, 3, v0
	s_lshl_b64 s[0:1], s[8:9], 3
	s_add_u32 s0, s7, s0
	s_addc_u32 s1, s12, s1
	v_add_co_u32 v3, s0, s0, v3
	v_add_co_ci_u32_e64 v4, null, s1, 0, s0
	s_mov_b32 s0, 0
	flat_store_dwordx2 v[3:4], v[1:2]
.LBB112_7:
	s_and_b32 vcc_lo, exec_lo, s0
	s_cbranch_vccz .LBB112_16
; %bb.8:
	s_load_dword s0, s[4:5], 0x10
                                        ; implicit-def: $vgpr3_vgpr4
	s_waitcnt lgkmcnt(0)
	s_sub_i32 s1, s0, s8
	v_cmp_le_u32_e64 s0, s1, v0
	v_cmp_gt_u32_e32 vcc_lo, s1, v0
	s_and_saveexec_b32 s1, vcc_lo
	s_cbranch_execz .LBB112_10
; %bb.9:
	v_lshlrev_b32_e32 v1, 3, v0
	s_lshl_b64 s[4:5], s[8:9], 3
	s_add_u32 s4, s13, s4
	s_addc_u32 s5, s14, s5
	v_add_co_u32 v1, s4, s4, v1
	v_add_co_ci_u32_e64 v2, null, s5, 0, s4
	flat_load_dwordx2 v[3:4], v[1:2]
.LBB112_10:
	s_or_b32 exec_lo, exec_lo, s1
	s_cmp_lg_u64 s[10:11], 0
	v_mov_b32_e32 v1, 0
	v_mov_b32_e32 v2, 0
	s_cselect_b32 s1, -1, 0
	s_xor_b32 s0, s0, -1
	s_and_b32 s0, s0, s1
	s_and_saveexec_b32 s4, s0
	s_cbranch_execz .LBB112_14
; %bb.11:
	v_mov_b32_e32 v1, 0
	v_mov_b32_e32 v5, s10
	;; [unrolled: 1-line block ×4, first 2 shown]
	s_mov_b32 s5, 0
	s_inst_prefetch 0x1
	.p2align	6
.LBB112_12:                             ; =>This Inner Loop Header: Depth=1
	v_sub_co_u32 v7, s0, v5, v1
	v_sub_co_ci_u32_e64 v8, null, v6, v2, s0
	v_lshrrev_b64 v[9:10], 1, v[7:8]
	v_lshrrev_b64 v[7:8], 6, v[7:8]
	v_add_co_u32 v9, s0, v9, v1
	v_add_co_ci_u32_e64 v10, null, v10, v2, s0
	v_add_co_u32 v7, s0, v9, v7
	v_add_co_ci_u32_e64 v8, null, v10, v8, s0
	v_lshlrev_b64 v[9:10], 3, v[7:8]
	v_add_co_u32 v9, s0, s2, v9
	v_add_co_ci_u32_e64 v10, null, s3, v10, s0
	v_add_co_u32 v11, s0, v7, 1
	global_load_dwordx2 v[9:10], v[9:10], off
	s_waitcnt vmcnt(0) lgkmcnt(0)
	v_cmp_lt_i64_e64 s1, v[9:10], v[3:4]
	v_add_co_ci_u32_e64 v9, null, 0, v8, s0
	v_cndmask_b32_e64 v6, v8, v6, s1
	v_cndmask_b32_e64 v5, v7, v5, s1
	;; [unrolled: 1-line block ×4, first 2 shown]
	v_cmp_ge_u64_e64 s0, v[1:2], v[5:6]
	s_or_b32 s5, s0, s5
	s_andn2_b32 exec_lo, exec_lo, s5
	s_cbranch_execnz .LBB112_12
; %bb.13:
	s_inst_prefetch 0x2
	s_or_b32 exec_lo, exec_lo, s5
.LBB112_14:
	s_or_b32 exec_lo, exec_lo, s4
	s_and_saveexec_b32 s0, vcc_lo
	s_cbranch_execz .LBB112_16
; %bb.15:
	v_lshlrev_b32_e32 v0, 3, v0
	s_lshl_b64 s[0:1], s[8:9], 3
	s_add_u32 s0, s7, s0
	s_addc_u32 s1, s12, s1
	s_waitcnt vmcnt(0) lgkmcnt(0)
	v_add_co_u32 v3, s0, s0, v0
	v_add_co_ci_u32_e64 v4, null, s1, 0, s0
	flat_store_dwordx2 v[3:4], v[1:2]
.LBB112_16:
	s_endpgm
	.section	.rodata,"a",@progbits
	.p2align	6, 0x0
	.amdhsa_kernel _ZN7rocprim17ROCPRIM_400000_NS6detail17trampoline_kernelINS0_14default_configENS1_27lower_bound_config_selectorIxlEEZNS1_14transform_implILb0ES3_S5_N6thrust23THRUST_200600_302600_NS6detail15normal_iteratorINS8_7pointerIxNS8_11hip_rocprim5par_tENS8_11use_defaultESE_EEEENSA_INSB_IlSD_SE_SE_EEEEZNS1_13binary_searchIS3_S5_PxSG_SI_NS1_21lower_bound_search_opENS9_16wrapped_functionI11custom_lessbEEEE10hipError_tPvRmT1_T2_T3_mmT4_T5_P12ihipStream_tbEUlRKxE_EESP_ST_SU_mSV_SY_bEUlT_E_NS1_11comp_targetILNS1_3genE8ELNS1_11target_archE1030ELNS1_3gpuE2ELNS1_3repE0EEENS1_30default_config_static_selectorELNS0_4arch9wavefront6targetE0EEEvSS_
		.amdhsa_group_segment_fixed_size 0
		.amdhsa_private_segment_fixed_size 0
		.amdhsa_kernarg_size 312
		.amdhsa_user_sgpr_count 6
		.amdhsa_user_sgpr_private_segment_buffer 1
		.amdhsa_user_sgpr_dispatch_ptr 0
		.amdhsa_user_sgpr_queue_ptr 0
		.amdhsa_user_sgpr_kernarg_segment_ptr 1
		.amdhsa_user_sgpr_dispatch_id 0
		.amdhsa_user_sgpr_flat_scratch_init 0
		.amdhsa_user_sgpr_private_segment_size 0
		.amdhsa_wavefront_size32 1
		.amdhsa_uses_dynamic_stack 0
		.amdhsa_system_sgpr_private_segment_wavefront_offset 0
		.amdhsa_system_sgpr_workgroup_id_x 1
		.amdhsa_system_sgpr_workgroup_id_y 0
		.amdhsa_system_sgpr_workgroup_id_z 0
		.amdhsa_system_sgpr_workgroup_info 0
		.amdhsa_system_vgpr_workitem_id 0
		.amdhsa_next_free_vgpr 12
		.amdhsa_next_free_sgpr 20
		.amdhsa_reserve_vcc 1
		.amdhsa_reserve_flat_scratch 0
		.amdhsa_float_round_mode_32 0
		.amdhsa_float_round_mode_16_64 0
		.amdhsa_float_denorm_mode_32 3
		.amdhsa_float_denorm_mode_16_64 3
		.amdhsa_dx10_clamp 1
		.amdhsa_ieee_mode 1
		.amdhsa_fp16_overflow 0
		.amdhsa_workgroup_processor_mode 1
		.amdhsa_memory_ordered 1
		.amdhsa_forward_progress 1
		.amdhsa_shared_vgpr_count 0
		.amdhsa_exception_fp_ieee_invalid_op 0
		.amdhsa_exception_fp_denorm_src 0
		.amdhsa_exception_fp_ieee_div_zero 0
		.amdhsa_exception_fp_ieee_overflow 0
		.amdhsa_exception_fp_ieee_underflow 0
		.amdhsa_exception_fp_ieee_inexact 0
		.amdhsa_exception_int_div_zero 0
	.end_amdhsa_kernel
	.section	.text._ZN7rocprim17ROCPRIM_400000_NS6detail17trampoline_kernelINS0_14default_configENS1_27lower_bound_config_selectorIxlEEZNS1_14transform_implILb0ES3_S5_N6thrust23THRUST_200600_302600_NS6detail15normal_iteratorINS8_7pointerIxNS8_11hip_rocprim5par_tENS8_11use_defaultESE_EEEENSA_INSB_IlSD_SE_SE_EEEEZNS1_13binary_searchIS3_S5_PxSG_SI_NS1_21lower_bound_search_opENS9_16wrapped_functionI11custom_lessbEEEE10hipError_tPvRmT1_T2_T3_mmT4_T5_P12ihipStream_tbEUlRKxE_EESP_ST_SU_mSV_SY_bEUlT_E_NS1_11comp_targetILNS1_3genE8ELNS1_11target_archE1030ELNS1_3gpuE2ELNS1_3repE0EEENS1_30default_config_static_selectorELNS0_4arch9wavefront6targetE0EEEvSS_,"axG",@progbits,_ZN7rocprim17ROCPRIM_400000_NS6detail17trampoline_kernelINS0_14default_configENS1_27lower_bound_config_selectorIxlEEZNS1_14transform_implILb0ES3_S5_N6thrust23THRUST_200600_302600_NS6detail15normal_iteratorINS8_7pointerIxNS8_11hip_rocprim5par_tENS8_11use_defaultESE_EEEENSA_INSB_IlSD_SE_SE_EEEEZNS1_13binary_searchIS3_S5_PxSG_SI_NS1_21lower_bound_search_opENS9_16wrapped_functionI11custom_lessbEEEE10hipError_tPvRmT1_T2_T3_mmT4_T5_P12ihipStream_tbEUlRKxE_EESP_ST_SU_mSV_SY_bEUlT_E_NS1_11comp_targetILNS1_3genE8ELNS1_11target_archE1030ELNS1_3gpuE2ELNS1_3repE0EEENS1_30default_config_static_selectorELNS0_4arch9wavefront6targetE0EEEvSS_,comdat
.Lfunc_end112:
	.size	_ZN7rocprim17ROCPRIM_400000_NS6detail17trampoline_kernelINS0_14default_configENS1_27lower_bound_config_selectorIxlEEZNS1_14transform_implILb0ES3_S5_N6thrust23THRUST_200600_302600_NS6detail15normal_iteratorINS8_7pointerIxNS8_11hip_rocprim5par_tENS8_11use_defaultESE_EEEENSA_INSB_IlSD_SE_SE_EEEEZNS1_13binary_searchIS3_S5_PxSG_SI_NS1_21lower_bound_search_opENS9_16wrapped_functionI11custom_lessbEEEE10hipError_tPvRmT1_T2_T3_mmT4_T5_P12ihipStream_tbEUlRKxE_EESP_ST_SU_mSV_SY_bEUlT_E_NS1_11comp_targetILNS1_3genE8ELNS1_11target_archE1030ELNS1_3gpuE2ELNS1_3repE0EEENS1_30default_config_static_selectorELNS0_4arch9wavefront6targetE0EEEvSS_, .Lfunc_end112-_ZN7rocprim17ROCPRIM_400000_NS6detail17trampoline_kernelINS0_14default_configENS1_27lower_bound_config_selectorIxlEEZNS1_14transform_implILb0ES3_S5_N6thrust23THRUST_200600_302600_NS6detail15normal_iteratorINS8_7pointerIxNS8_11hip_rocprim5par_tENS8_11use_defaultESE_EEEENSA_INSB_IlSD_SE_SE_EEEEZNS1_13binary_searchIS3_S5_PxSG_SI_NS1_21lower_bound_search_opENS9_16wrapped_functionI11custom_lessbEEEE10hipError_tPvRmT1_T2_T3_mmT4_T5_P12ihipStream_tbEUlRKxE_EESP_ST_SU_mSV_SY_bEUlT_E_NS1_11comp_targetILNS1_3genE8ELNS1_11target_archE1030ELNS1_3gpuE2ELNS1_3repE0EEENS1_30default_config_static_selectorELNS0_4arch9wavefront6targetE0EEEvSS_
                                        ; -- End function
	.set _ZN7rocprim17ROCPRIM_400000_NS6detail17trampoline_kernelINS0_14default_configENS1_27lower_bound_config_selectorIxlEEZNS1_14transform_implILb0ES3_S5_N6thrust23THRUST_200600_302600_NS6detail15normal_iteratorINS8_7pointerIxNS8_11hip_rocprim5par_tENS8_11use_defaultESE_EEEENSA_INSB_IlSD_SE_SE_EEEEZNS1_13binary_searchIS3_S5_PxSG_SI_NS1_21lower_bound_search_opENS9_16wrapped_functionI11custom_lessbEEEE10hipError_tPvRmT1_T2_T3_mmT4_T5_P12ihipStream_tbEUlRKxE_EESP_ST_SU_mSV_SY_bEUlT_E_NS1_11comp_targetILNS1_3genE8ELNS1_11target_archE1030ELNS1_3gpuE2ELNS1_3repE0EEENS1_30default_config_static_selectorELNS0_4arch9wavefront6targetE0EEEvSS_.num_vgpr, 12
	.set _ZN7rocprim17ROCPRIM_400000_NS6detail17trampoline_kernelINS0_14default_configENS1_27lower_bound_config_selectorIxlEEZNS1_14transform_implILb0ES3_S5_N6thrust23THRUST_200600_302600_NS6detail15normal_iteratorINS8_7pointerIxNS8_11hip_rocprim5par_tENS8_11use_defaultESE_EEEENSA_INSB_IlSD_SE_SE_EEEEZNS1_13binary_searchIS3_S5_PxSG_SI_NS1_21lower_bound_search_opENS9_16wrapped_functionI11custom_lessbEEEE10hipError_tPvRmT1_T2_T3_mmT4_T5_P12ihipStream_tbEUlRKxE_EESP_ST_SU_mSV_SY_bEUlT_E_NS1_11comp_targetILNS1_3genE8ELNS1_11target_archE1030ELNS1_3gpuE2ELNS1_3repE0EEENS1_30default_config_static_selectorELNS0_4arch9wavefront6targetE0EEEvSS_.num_agpr, 0
	.set _ZN7rocprim17ROCPRIM_400000_NS6detail17trampoline_kernelINS0_14default_configENS1_27lower_bound_config_selectorIxlEEZNS1_14transform_implILb0ES3_S5_N6thrust23THRUST_200600_302600_NS6detail15normal_iteratorINS8_7pointerIxNS8_11hip_rocprim5par_tENS8_11use_defaultESE_EEEENSA_INSB_IlSD_SE_SE_EEEEZNS1_13binary_searchIS3_S5_PxSG_SI_NS1_21lower_bound_search_opENS9_16wrapped_functionI11custom_lessbEEEE10hipError_tPvRmT1_T2_T3_mmT4_T5_P12ihipStream_tbEUlRKxE_EESP_ST_SU_mSV_SY_bEUlT_E_NS1_11comp_targetILNS1_3genE8ELNS1_11target_archE1030ELNS1_3gpuE2ELNS1_3repE0EEENS1_30default_config_static_selectorELNS0_4arch9wavefront6targetE0EEEvSS_.numbered_sgpr, 20
	.set _ZN7rocprim17ROCPRIM_400000_NS6detail17trampoline_kernelINS0_14default_configENS1_27lower_bound_config_selectorIxlEEZNS1_14transform_implILb0ES3_S5_N6thrust23THRUST_200600_302600_NS6detail15normal_iteratorINS8_7pointerIxNS8_11hip_rocprim5par_tENS8_11use_defaultESE_EEEENSA_INSB_IlSD_SE_SE_EEEEZNS1_13binary_searchIS3_S5_PxSG_SI_NS1_21lower_bound_search_opENS9_16wrapped_functionI11custom_lessbEEEE10hipError_tPvRmT1_T2_T3_mmT4_T5_P12ihipStream_tbEUlRKxE_EESP_ST_SU_mSV_SY_bEUlT_E_NS1_11comp_targetILNS1_3genE8ELNS1_11target_archE1030ELNS1_3gpuE2ELNS1_3repE0EEENS1_30default_config_static_selectorELNS0_4arch9wavefront6targetE0EEEvSS_.num_named_barrier, 0
	.set _ZN7rocprim17ROCPRIM_400000_NS6detail17trampoline_kernelINS0_14default_configENS1_27lower_bound_config_selectorIxlEEZNS1_14transform_implILb0ES3_S5_N6thrust23THRUST_200600_302600_NS6detail15normal_iteratorINS8_7pointerIxNS8_11hip_rocprim5par_tENS8_11use_defaultESE_EEEENSA_INSB_IlSD_SE_SE_EEEEZNS1_13binary_searchIS3_S5_PxSG_SI_NS1_21lower_bound_search_opENS9_16wrapped_functionI11custom_lessbEEEE10hipError_tPvRmT1_T2_T3_mmT4_T5_P12ihipStream_tbEUlRKxE_EESP_ST_SU_mSV_SY_bEUlT_E_NS1_11comp_targetILNS1_3genE8ELNS1_11target_archE1030ELNS1_3gpuE2ELNS1_3repE0EEENS1_30default_config_static_selectorELNS0_4arch9wavefront6targetE0EEEvSS_.private_seg_size, 0
	.set _ZN7rocprim17ROCPRIM_400000_NS6detail17trampoline_kernelINS0_14default_configENS1_27lower_bound_config_selectorIxlEEZNS1_14transform_implILb0ES3_S5_N6thrust23THRUST_200600_302600_NS6detail15normal_iteratorINS8_7pointerIxNS8_11hip_rocprim5par_tENS8_11use_defaultESE_EEEENSA_INSB_IlSD_SE_SE_EEEEZNS1_13binary_searchIS3_S5_PxSG_SI_NS1_21lower_bound_search_opENS9_16wrapped_functionI11custom_lessbEEEE10hipError_tPvRmT1_T2_T3_mmT4_T5_P12ihipStream_tbEUlRKxE_EESP_ST_SU_mSV_SY_bEUlT_E_NS1_11comp_targetILNS1_3genE8ELNS1_11target_archE1030ELNS1_3gpuE2ELNS1_3repE0EEENS1_30default_config_static_selectorELNS0_4arch9wavefront6targetE0EEEvSS_.uses_vcc, 1
	.set _ZN7rocprim17ROCPRIM_400000_NS6detail17trampoline_kernelINS0_14default_configENS1_27lower_bound_config_selectorIxlEEZNS1_14transform_implILb0ES3_S5_N6thrust23THRUST_200600_302600_NS6detail15normal_iteratorINS8_7pointerIxNS8_11hip_rocprim5par_tENS8_11use_defaultESE_EEEENSA_INSB_IlSD_SE_SE_EEEEZNS1_13binary_searchIS3_S5_PxSG_SI_NS1_21lower_bound_search_opENS9_16wrapped_functionI11custom_lessbEEEE10hipError_tPvRmT1_T2_T3_mmT4_T5_P12ihipStream_tbEUlRKxE_EESP_ST_SU_mSV_SY_bEUlT_E_NS1_11comp_targetILNS1_3genE8ELNS1_11target_archE1030ELNS1_3gpuE2ELNS1_3repE0EEENS1_30default_config_static_selectorELNS0_4arch9wavefront6targetE0EEEvSS_.uses_flat_scratch, 0
	.set _ZN7rocprim17ROCPRIM_400000_NS6detail17trampoline_kernelINS0_14default_configENS1_27lower_bound_config_selectorIxlEEZNS1_14transform_implILb0ES3_S5_N6thrust23THRUST_200600_302600_NS6detail15normal_iteratorINS8_7pointerIxNS8_11hip_rocprim5par_tENS8_11use_defaultESE_EEEENSA_INSB_IlSD_SE_SE_EEEEZNS1_13binary_searchIS3_S5_PxSG_SI_NS1_21lower_bound_search_opENS9_16wrapped_functionI11custom_lessbEEEE10hipError_tPvRmT1_T2_T3_mmT4_T5_P12ihipStream_tbEUlRKxE_EESP_ST_SU_mSV_SY_bEUlT_E_NS1_11comp_targetILNS1_3genE8ELNS1_11target_archE1030ELNS1_3gpuE2ELNS1_3repE0EEENS1_30default_config_static_selectorELNS0_4arch9wavefront6targetE0EEEvSS_.has_dyn_sized_stack, 0
	.set _ZN7rocprim17ROCPRIM_400000_NS6detail17trampoline_kernelINS0_14default_configENS1_27lower_bound_config_selectorIxlEEZNS1_14transform_implILb0ES3_S5_N6thrust23THRUST_200600_302600_NS6detail15normal_iteratorINS8_7pointerIxNS8_11hip_rocprim5par_tENS8_11use_defaultESE_EEEENSA_INSB_IlSD_SE_SE_EEEEZNS1_13binary_searchIS3_S5_PxSG_SI_NS1_21lower_bound_search_opENS9_16wrapped_functionI11custom_lessbEEEE10hipError_tPvRmT1_T2_T3_mmT4_T5_P12ihipStream_tbEUlRKxE_EESP_ST_SU_mSV_SY_bEUlT_E_NS1_11comp_targetILNS1_3genE8ELNS1_11target_archE1030ELNS1_3gpuE2ELNS1_3repE0EEENS1_30default_config_static_selectorELNS0_4arch9wavefront6targetE0EEEvSS_.has_recursion, 0
	.set _ZN7rocprim17ROCPRIM_400000_NS6detail17trampoline_kernelINS0_14default_configENS1_27lower_bound_config_selectorIxlEEZNS1_14transform_implILb0ES3_S5_N6thrust23THRUST_200600_302600_NS6detail15normal_iteratorINS8_7pointerIxNS8_11hip_rocprim5par_tENS8_11use_defaultESE_EEEENSA_INSB_IlSD_SE_SE_EEEEZNS1_13binary_searchIS3_S5_PxSG_SI_NS1_21lower_bound_search_opENS9_16wrapped_functionI11custom_lessbEEEE10hipError_tPvRmT1_T2_T3_mmT4_T5_P12ihipStream_tbEUlRKxE_EESP_ST_SU_mSV_SY_bEUlT_E_NS1_11comp_targetILNS1_3genE8ELNS1_11target_archE1030ELNS1_3gpuE2ELNS1_3repE0EEENS1_30default_config_static_selectorELNS0_4arch9wavefront6targetE0EEEvSS_.has_indirect_call, 0
	.section	.AMDGPU.csdata,"",@progbits
; Kernel info:
; codeLenInByte = 820
; TotalNumSgprs: 22
; NumVgprs: 12
; ScratchSize: 0
; MemoryBound: 0
; FloatMode: 240
; IeeeMode: 1
; LDSByteSize: 0 bytes/workgroup (compile time only)
; SGPRBlocks: 0
; VGPRBlocks: 1
; NumSGPRsForWavesPerEU: 22
; NumVGPRsForWavesPerEU: 12
; Occupancy: 16
; WaveLimiterHint : 0
; COMPUTE_PGM_RSRC2:SCRATCH_EN: 0
; COMPUTE_PGM_RSRC2:USER_SGPR: 6
; COMPUTE_PGM_RSRC2:TRAP_HANDLER: 0
; COMPUTE_PGM_RSRC2:TGID_X_EN: 1
; COMPUTE_PGM_RSRC2:TGID_Y_EN: 0
; COMPUTE_PGM_RSRC2:TGID_Z_EN: 0
; COMPUTE_PGM_RSRC2:TIDIG_COMP_CNT: 0
	.section	.text._ZN7rocprim17ROCPRIM_400000_NS6detail17trampoline_kernelINS0_14default_configENS1_27lower_bound_config_selectorIxlEEZNS1_14transform_implILb0ES3_S5_N6thrust23THRUST_200600_302600_NS6detail15normal_iteratorINS8_7pointerIxNS8_11hip_rocprim5par_tENS8_11use_defaultESE_EEEENSA_INSB_IlSD_SE_SE_EEEEZNS1_13binary_searchIS3_S5_PxSG_SI_NS1_21lower_bound_search_opENS9_16wrapped_functionINS8_6system6detail7generic6detail18binary_search_lessEbEEEE10hipError_tPvRmT1_T2_T3_mmT4_T5_P12ihipStream_tbEUlRKxE_EEST_SX_SY_mSZ_S12_bEUlT_E_NS1_11comp_targetILNS1_3genE0ELNS1_11target_archE4294967295ELNS1_3gpuE0ELNS1_3repE0EEENS1_30default_config_static_selectorELNS0_4arch9wavefront6targetE0EEEvSW_,"axG",@progbits,_ZN7rocprim17ROCPRIM_400000_NS6detail17trampoline_kernelINS0_14default_configENS1_27lower_bound_config_selectorIxlEEZNS1_14transform_implILb0ES3_S5_N6thrust23THRUST_200600_302600_NS6detail15normal_iteratorINS8_7pointerIxNS8_11hip_rocprim5par_tENS8_11use_defaultESE_EEEENSA_INSB_IlSD_SE_SE_EEEEZNS1_13binary_searchIS3_S5_PxSG_SI_NS1_21lower_bound_search_opENS9_16wrapped_functionINS8_6system6detail7generic6detail18binary_search_lessEbEEEE10hipError_tPvRmT1_T2_T3_mmT4_T5_P12ihipStream_tbEUlRKxE_EEST_SX_SY_mSZ_S12_bEUlT_E_NS1_11comp_targetILNS1_3genE0ELNS1_11target_archE4294967295ELNS1_3gpuE0ELNS1_3repE0EEENS1_30default_config_static_selectorELNS0_4arch9wavefront6targetE0EEEvSW_,comdat
	.protected	_ZN7rocprim17ROCPRIM_400000_NS6detail17trampoline_kernelINS0_14default_configENS1_27lower_bound_config_selectorIxlEEZNS1_14transform_implILb0ES3_S5_N6thrust23THRUST_200600_302600_NS6detail15normal_iteratorINS8_7pointerIxNS8_11hip_rocprim5par_tENS8_11use_defaultESE_EEEENSA_INSB_IlSD_SE_SE_EEEEZNS1_13binary_searchIS3_S5_PxSG_SI_NS1_21lower_bound_search_opENS9_16wrapped_functionINS8_6system6detail7generic6detail18binary_search_lessEbEEEE10hipError_tPvRmT1_T2_T3_mmT4_T5_P12ihipStream_tbEUlRKxE_EEST_SX_SY_mSZ_S12_bEUlT_E_NS1_11comp_targetILNS1_3genE0ELNS1_11target_archE4294967295ELNS1_3gpuE0ELNS1_3repE0EEENS1_30default_config_static_selectorELNS0_4arch9wavefront6targetE0EEEvSW_ ; -- Begin function _ZN7rocprim17ROCPRIM_400000_NS6detail17trampoline_kernelINS0_14default_configENS1_27lower_bound_config_selectorIxlEEZNS1_14transform_implILb0ES3_S5_N6thrust23THRUST_200600_302600_NS6detail15normal_iteratorINS8_7pointerIxNS8_11hip_rocprim5par_tENS8_11use_defaultESE_EEEENSA_INSB_IlSD_SE_SE_EEEEZNS1_13binary_searchIS3_S5_PxSG_SI_NS1_21lower_bound_search_opENS9_16wrapped_functionINS8_6system6detail7generic6detail18binary_search_lessEbEEEE10hipError_tPvRmT1_T2_T3_mmT4_T5_P12ihipStream_tbEUlRKxE_EEST_SX_SY_mSZ_S12_bEUlT_E_NS1_11comp_targetILNS1_3genE0ELNS1_11target_archE4294967295ELNS1_3gpuE0ELNS1_3repE0EEENS1_30default_config_static_selectorELNS0_4arch9wavefront6targetE0EEEvSW_
	.globl	_ZN7rocprim17ROCPRIM_400000_NS6detail17trampoline_kernelINS0_14default_configENS1_27lower_bound_config_selectorIxlEEZNS1_14transform_implILb0ES3_S5_N6thrust23THRUST_200600_302600_NS6detail15normal_iteratorINS8_7pointerIxNS8_11hip_rocprim5par_tENS8_11use_defaultESE_EEEENSA_INSB_IlSD_SE_SE_EEEEZNS1_13binary_searchIS3_S5_PxSG_SI_NS1_21lower_bound_search_opENS9_16wrapped_functionINS8_6system6detail7generic6detail18binary_search_lessEbEEEE10hipError_tPvRmT1_T2_T3_mmT4_T5_P12ihipStream_tbEUlRKxE_EEST_SX_SY_mSZ_S12_bEUlT_E_NS1_11comp_targetILNS1_3genE0ELNS1_11target_archE4294967295ELNS1_3gpuE0ELNS1_3repE0EEENS1_30default_config_static_selectorELNS0_4arch9wavefront6targetE0EEEvSW_
	.p2align	8
	.type	_ZN7rocprim17ROCPRIM_400000_NS6detail17trampoline_kernelINS0_14default_configENS1_27lower_bound_config_selectorIxlEEZNS1_14transform_implILb0ES3_S5_N6thrust23THRUST_200600_302600_NS6detail15normal_iteratorINS8_7pointerIxNS8_11hip_rocprim5par_tENS8_11use_defaultESE_EEEENSA_INSB_IlSD_SE_SE_EEEEZNS1_13binary_searchIS3_S5_PxSG_SI_NS1_21lower_bound_search_opENS9_16wrapped_functionINS8_6system6detail7generic6detail18binary_search_lessEbEEEE10hipError_tPvRmT1_T2_T3_mmT4_T5_P12ihipStream_tbEUlRKxE_EEST_SX_SY_mSZ_S12_bEUlT_E_NS1_11comp_targetILNS1_3genE0ELNS1_11target_archE4294967295ELNS1_3gpuE0ELNS1_3repE0EEENS1_30default_config_static_selectorELNS0_4arch9wavefront6targetE0EEEvSW_,@function
_ZN7rocprim17ROCPRIM_400000_NS6detail17trampoline_kernelINS0_14default_configENS1_27lower_bound_config_selectorIxlEEZNS1_14transform_implILb0ES3_S5_N6thrust23THRUST_200600_302600_NS6detail15normal_iteratorINS8_7pointerIxNS8_11hip_rocprim5par_tENS8_11use_defaultESE_EEEENSA_INSB_IlSD_SE_SE_EEEEZNS1_13binary_searchIS3_S5_PxSG_SI_NS1_21lower_bound_search_opENS9_16wrapped_functionINS8_6system6detail7generic6detail18binary_search_lessEbEEEE10hipError_tPvRmT1_T2_T3_mmT4_T5_P12ihipStream_tbEUlRKxE_EEST_SX_SY_mSZ_S12_bEUlT_E_NS1_11comp_targetILNS1_3genE0ELNS1_11target_archE4294967295ELNS1_3gpuE0ELNS1_3repE0EEENS1_30default_config_static_selectorELNS0_4arch9wavefront6targetE0EEEvSW_: ; @_ZN7rocprim17ROCPRIM_400000_NS6detail17trampoline_kernelINS0_14default_configENS1_27lower_bound_config_selectorIxlEEZNS1_14transform_implILb0ES3_S5_N6thrust23THRUST_200600_302600_NS6detail15normal_iteratorINS8_7pointerIxNS8_11hip_rocprim5par_tENS8_11use_defaultESE_EEEENSA_INSB_IlSD_SE_SE_EEEEZNS1_13binary_searchIS3_S5_PxSG_SI_NS1_21lower_bound_search_opENS9_16wrapped_functionINS8_6system6detail7generic6detail18binary_search_lessEbEEEE10hipError_tPvRmT1_T2_T3_mmT4_T5_P12ihipStream_tbEUlRKxE_EEST_SX_SY_mSZ_S12_bEUlT_E_NS1_11comp_targetILNS1_3genE0ELNS1_11target_archE4294967295ELNS1_3gpuE0ELNS1_3repE0EEENS1_30default_config_static_selectorELNS0_4arch9wavefront6targetE0EEEvSW_
; %bb.0:
	.section	.rodata,"a",@progbits
	.p2align	6, 0x0
	.amdhsa_kernel _ZN7rocprim17ROCPRIM_400000_NS6detail17trampoline_kernelINS0_14default_configENS1_27lower_bound_config_selectorIxlEEZNS1_14transform_implILb0ES3_S5_N6thrust23THRUST_200600_302600_NS6detail15normal_iteratorINS8_7pointerIxNS8_11hip_rocprim5par_tENS8_11use_defaultESE_EEEENSA_INSB_IlSD_SE_SE_EEEEZNS1_13binary_searchIS3_S5_PxSG_SI_NS1_21lower_bound_search_opENS9_16wrapped_functionINS8_6system6detail7generic6detail18binary_search_lessEbEEEE10hipError_tPvRmT1_T2_T3_mmT4_T5_P12ihipStream_tbEUlRKxE_EEST_SX_SY_mSZ_S12_bEUlT_E_NS1_11comp_targetILNS1_3genE0ELNS1_11target_archE4294967295ELNS1_3gpuE0ELNS1_3repE0EEENS1_30default_config_static_selectorELNS0_4arch9wavefront6targetE0EEEvSW_
		.amdhsa_group_segment_fixed_size 0
		.amdhsa_private_segment_fixed_size 0
		.amdhsa_kernarg_size 56
		.amdhsa_user_sgpr_count 6
		.amdhsa_user_sgpr_private_segment_buffer 1
		.amdhsa_user_sgpr_dispatch_ptr 0
		.amdhsa_user_sgpr_queue_ptr 0
		.amdhsa_user_sgpr_kernarg_segment_ptr 1
		.amdhsa_user_sgpr_dispatch_id 0
		.amdhsa_user_sgpr_flat_scratch_init 0
		.amdhsa_user_sgpr_private_segment_size 0
		.amdhsa_wavefront_size32 1
		.amdhsa_uses_dynamic_stack 0
		.amdhsa_system_sgpr_private_segment_wavefront_offset 0
		.amdhsa_system_sgpr_workgroup_id_x 1
		.amdhsa_system_sgpr_workgroup_id_y 0
		.amdhsa_system_sgpr_workgroup_id_z 0
		.amdhsa_system_sgpr_workgroup_info 0
		.amdhsa_system_vgpr_workitem_id 0
		.amdhsa_next_free_vgpr 1
		.amdhsa_next_free_sgpr 1
		.amdhsa_reserve_vcc 0
		.amdhsa_reserve_flat_scratch 0
		.amdhsa_float_round_mode_32 0
		.amdhsa_float_round_mode_16_64 0
		.amdhsa_float_denorm_mode_32 3
		.amdhsa_float_denorm_mode_16_64 3
		.amdhsa_dx10_clamp 1
		.amdhsa_ieee_mode 1
		.amdhsa_fp16_overflow 0
		.amdhsa_workgroup_processor_mode 1
		.amdhsa_memory_ordered 1
		.amdhsa_forward_progress 1
		.amdhsa_shared_vgpr_count 0
		.amdhsa_exception_fp_ieee_invalid_op 0
		.amdhsa_exception_fp_denorm_src 0
		.amdhsa_exception_fp_ieee_div_zero 0
		.amdhsa_exception_fp_ieee_overflow 0
		.amdhsa_exception_fp_ieee_underflow 0
		.amdhsa_exception_fp_ieee_inexact 0
		.amdhsa_exception_int_div_zero 0
	.end_amdhsa_kernel
	.section	.text._ZN7rocprim17ROCPRIM_400000_NS6detail17trampoline_kernelINS0_14default_configENS1_27lower_bound_config_selectorIxlEEZNS1_14transform_implILb0ES3_S5_N6thrust23THRUST_200600_302600_NS6detail15normal_iteratorINS8_7pointerIxNS8_11hip_rocprim5par_tENS8_11use_defaultESE_EEEENSA_INSB_IlSD_SE_SE_EEEEZNS1_13binary_searchIS3_S5_PxSG_SI_NS1_21lower_bound_search_opENS9_16wrapped_functionINS8_6system6detail7generic6detail18binary_search_lessEbEEEE10hipError_tPvRmT1_T2_T3_mmT4_T5_P12ihipStream_tbEUlRKxE_EEST_SX_SY_mSZ_S12_bEUlT_E_NS1_11comp_targetILNS1_3genE0ELNS1_11target_archE4294967295ELNS1_3gpuE0ELNS1_3repE0EEENS1_30default_config_static_selectorELNS0_4arch9wavefront6targetE0EEEvSW_,"axG",@progbits,_ZN7rocprim17ROCPRIM_400000_NS6detail17trampoline_kernelINS0_14default_configENS1_27lower_bound_config_selectorIxlEEZNS1_14transform_implILb0ES3_S5_N6thrust23THRUST_200600_302600_NS6detail15normal_iteratorINS8_7pointerIxNS8_11hip_rocprim5par_tENS8_11use_defaultESE_EEEENSA_INSB_IlSD_SE_SE_EEEEZNS1_13binary_searchIS3_S5_PxSG_SI_NS1_21lower_bound_search_opENS9_16wrapped_functionINS8_6system6detail7generic6detail18binary_search_lessEbEEEE10hipError_tPvRmT1_T2_T3_mmT4_T5_P12ihipStream_tbEUlRKxE_EEST_SX_SY_mSZ_S12_bEUlT_E_NS1_11comp_targetILNS1_3genE0ELNS1_11target_archE4294967295ELNS1_3gpuE0ELNS1_3repE0EEENS1_30default_config_static_selectorELNS0_4arch9wavefront6targetE0EEEvSW_,comdat
.Lfunc_end113:
	.size	_ZN7rocprim17ROCPRIM_400000_NS6detail17trampoline_kernelINS0_14default_configENS1_27lower_bound_config_selectorIxlEEZNS1_14transform_implILb0ES3_S5_N6thrust23THRUST_200600_302600_NS6detail15normal_iteratorINS8_7pointerIxNS8_11hip_rocprim5par_tENS8_11use_defaultESE_EEEENSA_INSB_IlSD_SE_SE_EEEEZNS1_13binary_searchIS3_S5_PxSG_SI_NS1_21lower_bound_search_opENS9_16wrapped_functionINS8_6system6detail7generic6detail18binary_search_lessEbEEEE10hipError_tPvRmT1_T2_T3_mmT4_T5_P12ihipStream_tbEUlRKxE_EEST_SX_SY_mSZ_S12_bEUlT_E_NS1_11comp_targetILNS1_3genE0ELNS1_11target_archE4294967295ELNS1_3gpuE0ELNS1_3repE0EEENS1_30default_config_static_selectorELNS0_4arch9wavefront6targetE0EEEvSW_, .Lfunc_end113-_ZN7rocprim17ROCPRIM_400000_NS6detail17trampoline_kernelINS0_14default_configENS1_27lower_bound_config_selectorIxlEEZNS1_14transform_implILb0ES3_S5_N6thrust23THRUST_200600_302600_NS6detail15normal_iteratorINS8_7pointerIxNS8_11hip_rocprim5par_tENS8_11use_defaultESE_EEEENSA_INSB_IlSD_SE_SE_EEEEZNS1_13binary_searchIS3_S5_PxSG_SI_NS1_21lower_bound_search_opENS9_16wrapped_functionINS8_6system6detail7generic6detail18binary_search_lessEbEEEE10hipError_tPvRmT1_T2_T3_mmT4_T5_P12ihipStream_tbEUlRKxE_EEST_SX_SY_mSZ_S12_bEUlT_E_NS1_11comp_targetILNS1_3genE0ELNS1_11target_archE4294967295ELNS1_3gpuE0ELNS1_3repE0EEENS1_30default_config_static_selectorELNS0_4arch9wavefront6targetE0EEEvSW_
                                        ; -- End function
	.set _ZN7rocprim17ROCPRIM_400000_NS6detail17trampoline_kernelINS0_14default_configENS1_27lower_bound_config_selectorIxlEEZNS1_14transform_implILb0ES3_S5_N6thrust23THRUST_200600_302600_NS6detail15normal_iteratorINS8_7pointerIxNS8_11hip_rocprim5par_tENS8_11use_defaultESE_EEEENSA_INSB_IlSD_SE_SE_EEEEZNS1_13binary_searchIS3_S5_PxSG_SI_NS1_21lower_bound_search_opENS9_16wrapped_functionINS8_6system6detail7generic6detail18binary_search_lessEbEEEE10hipError_tPvRmT1_T2_T3_mmT4_T5_P12ihipStream_tbEUlRKxE_EEST_SX_SY_mSZ_S12_bEUlT_E_NS1_11comp_targetILNS1_3genE0ELNS1_11target_archE4294967295ELNS1_3gpuE0ELNS1_3repE0EEENS1_30default_config_static_selectorELNS0_4arch9wavefront6targetE0EEEvSW_.num_vgpr, 0
	.set _ZN7rocprim17ROCPRIM_400000_NS6detail17trampoline_kernelINS0_14default_configENS1_27lower_bound_config_selectorIxlEEZNS1_14transform_implILb0ES3_S5_N6thrust23THRUST_200600_302600_NS6detail15normal_iteratorINS8_7pointerIxNS8_11hip_rocprim5par_tENS8_11use_defaultESE_EEEENSA_INSB_IlSD_SE_SE_EEEEZNS1_13binary_searchIS3_S5_PxSG_SI_NS1_21lower_bound_search_opENS9_16wrapped_functionINS8_6system6detail7generic6detail18binary_search_lessEbEEEE10hipError_tPvRmT1_T2_T3_mmT4_T5_P12ihipStream_tbEUlRKxE_EEST_SX_SY_mSZ_S12_bEUlT_E_NS1_11comp_targetILNS1_3genE0ELNS1_11target_archE4294967295ELNS1_3gpuE0ELNS1_3repE0EEENS1_30default_config_static_selectorELNS0_4arch9wavefront6targetE0EEEvSW_.num_agpr, 0
	.set _ZN7rocprim17ROCPRIM_400000_NS6detail17trampoline_kernelINS0_14default_configENS1_27lower_bound_config_selectorIxlEEZNS1_14transform_implILb0ES3_S5_N6thrust23THRUST_200600_302600_NS6detail15normal_iteratorINS8_7pointerIxNS8_11hip_rocprim5par_tENS8_11use_defaultESE_EEEENSA_INSB_IlSD_SE_SE_EEEEZNS1_13binary_searchIS3_S5_PxSG_SI_NS1_21lower_bound_search_opENS9_16wrapped_functionINS8_6system6detail7generic6detail18binary_search_lessEbEEEE10hipError_tPvRmT1_T2_T3_mmT4_T5_P12ihipStream_tbEUlRKxE_EEST_SX_SY_mSZ_S12_bEUlT_E_NS1_11comp_targetILNS1_3genE0ELNS1_11target_archE4294967295ELNS1_3gpuE0ELNS1_3repE0EEENS1_30default_config_static_selectorELNS0_4arch9wavefront6targetE0EEEvSW_.numbered_sgpr, 0
	.set _ZN7rocprim17ROCPRIM_400000_NS6detail17trampoline_kernelINS0_14default_configENS1_27lower_bound_config_selectorIxlEEZNS1_14transform_implILb0ES3_S5_N6thrust23THRUST_200600_302600_NS6detail15normal_iteratorINS8_7pointerIxNS8_11hip_rocprim5par_tENS8_11use_defaultESE_EEEENSA_INSB_IlSD_SE_SE_EEEEZNS1_13binary_searchIS3_S5_PxSG_SI_NS1_21lower_bound_search_opENS9_16wrapped_functionINS8_6system6detail7generic6detail18binary_search_lessEbEEEE10hipError_tPvRmT1_T2_T3_mmT4_T5_P12ihipStream_tbEUlRKxE_EEST_SX_SY_mSZ_S12_bEUlT_E_NS1_11comp_targetILNS1_3genE0ELNS1_11target_archE4294967295ELNS1_3gpuE0ELNS1_3repE0EEENS1_30default_config_static_selectorELNS0_4arch9wavefront6targetE0EEEvSW_.num_named_barrier, 0
	.set _ZN7rocprim17ROCPRIM_400000_NS6detail17trampoline_kernelINS0_14default_configENS1_27lower_bound_config_selectorIxlEEZNS1_14transform_implILb0ES3_S5_N6thrust23THRUST_200600_302600_NS6detail15normal_iteratorINS8_7pointerIxNS8_11hip_rocprim5par_tENS8_11use_defaultESE_EEEENSA_INSB_IlSD_SE_SE_EEEEZNS1_13binary_searchIS3_S5_PxSG_SI_NS1_21lower_bound_search_opENS9_16wrapped_functionINS8_6system6detail7generic6detail18binary_search_lessEbEEEE10hipError_tPvRmT1_T2_T3_mmT4_T5_P12ihipStream_tbEUlRKxE_EEST_SX_SY_mSZ_S12_bEUlT_E_NS1_11comp_targetILNS1_3genE0ELNS1_11target_archE4294967295ELNS1_3gpuE0ELNS1_3repE0EEENS1_30default_config_static_selectorELNS0_4arch9wavefront6targetE0EEEvSW_.private_seg_size, 0
	.set _ZN7rocprim17ROCPRIM_400000_NS6detail17trampoline_kernelINS0_14default_configENS1_27lower_bound_config_selectorIxlEEZNS1_14transform_implILb0ES3_S5_N6thrust23THRUST_200600_302600_NS6detail15normal_iteratorINS8_7pointerIxNS8_11hip_rocprim5par_tENS8_11use_defaultESE_EEEENSA_INSB_IlSD_SE_SE_EEEEZNS1_13binary_searchIS3_S5_PxSG_SI_NS1_21lower_bound_search_opENS9_16wrapped_functionINS8_6system6detail7generic6detail18binary_search_lessEbEEEE10hipError_tPvRmT1_T2_T3_mmT4_T5_P12ihipStream_tbEUlRKxE_EEST_SX_SY_mSZ_S12_bEUlT_E_NS1_11comp_targetILNS1_3genE0ELNS1_11target_archE4294967295ELNS1_3gpuE0ELNS1_3repE0EEENS1_30default_config_static_selectorELNS0_4arch9wavefront6targetE0EEEvSW_.uses_vcc, 0
	.set _ZN7rocprim17ROCPRIM_400000_NS6detail17trampoline_kernelINS0_14default_configENS1_27lower_bound_config_selectorIxlEEZNS1_14transform_implILb0ES3_S5_N6thrust23THRUST_200600_302600_NS6detail15normal_iteratorINS8_7pointerIxNS8_11hip_rocprim5par_tENS8_11use_defaultESE_EEEENSA_INSB_IlSD_SE_SE_EEEEZNS1_13binary_searchIS3_S5_PxSG_SI_NS1_21lower_bound_search_opENS9_16wrapped_functionINS8_6system6detail7generic6detail18binary_search_lessEbEEEE10hipError_tPvRmT1_T2_T3_mmT4_T5_P12ihipStream_tbEUlRKxE_EEST_SX_SY_mSZ_S12_bEUlT_E_NS1_11comp_targetILNS1_3genE0ELNS1_11target_archE4294967295ELNS1_3gpuE0ELNS1_3repE0EEENS1_30default_config_static_selectorELNS0_4arch9wavefront6targetE0EEEvSW_.uses_flat_scratch, 0
	.set _ZN7rocprim17ROCPRIM_400000_NS6detail17trampoline_kernelINS0_14default_configENS1_27lower_bound_config_selectorIxlEEZNS1_14transform_implILb0ES3_S5_N6thrust23THRUST_200600_302600_NS6detail15normal_iteratorINS8_7pointerIxNS8_11hip_rocprim5par_tENS8_11use_defaultESE_EEEENSA_INSB_IlSD_SE_SE_EEEEZNS1_13binary_searchIS3_S5_PxSG_SI_NS1_21lower_bound_search_opENS9_16wrapped_functionINS8_6system6detail7generic6detail18binary_search_lessEbEEEE10hipError_tPvRmT1_T2_T3_mmT4_T5_P12ihipStream_tbEUlRKxE_EEST_SX_SY_mSZ_S12_bEUlT_E_NS1_11comp_targetILNS1_3genE0ELNS1_11target_archE4294967295ELNS1_3gpuE0ELNS1_3repE0EEENS1_30default_config_static_selectorELNS0_4arch9wavefront6targetE0EEEvSW_.has_dyn_sized_stack, 0
	.set _ZN7rocprim17ROCPRIM_400000_NS6detail17trampoline_kernelINS0_14default_configENS1_27lower_bound_config_selectorIxlEEZNS1_14transform_implILb0ES3_S5_N6thrust23THRUST_200600_302600_NS6detail15normal_iteratorINS8_7pointerIxNS8_11hip_rocprim5par_tENS8_11use_defaultESE_EEEENSA_INSB_IlSD_SE_SE_EEEEZNS1_13binary_searchIS3_S5_PxSG_SI_NS1_21lower_bound_search_opENS9_16wrapped_functionINS8_6system6detail7generic6detail18binary_search_lessEbEEEE10hipError_tPvRmT1_T2_T3_mmT4_T5_P12ihipStream_tbEUlRKxE_EEST_SX_SY_mSZ_S12_bEUlT_E_NS1_11comp_targetILNS1_3genE0ELNS1_11target_archE4294967295ELNS1_3gpuE0ELNS1_3repE0EEENS1_30default_config_static_selectorELNS0_4arch9wavefront6targetE0EEEvSW_.has_recursion, 0
	.set _ZN7rocprim17ROCPRIM_400000_NS6detail17trampoline_kernelINS0_14default_configENS1_27lower_bound_config_selectorIxlEEZNS1_14transform_implILb0ES3_S5_N6thrust23THRUST_200600_302600_NS6detail15normal_iteratorINS8_7pointerIxNS8_11hip_rocprim5par_tENS8_11use_defaultESE_EEEENSA_INSB_IlSD_SE_SE_EEEEZNS1_13binary_searchIS3_S5_PxSG_SI_NS1_21lower_bound_search_opENS9_16wrapped_functionINS8_6system6detail7generic6detail18binary_search_lessEbEEEE10hipError_tPvRmT1_T2_T3_mmT4_T5_P12ihipStream_tbEUlRKxE_EEST_SX_SY_mSZ_S12_bEUlT_E_NS1_11comp_targetILNS1_3genE0ELNS1_11target_archE4294967295ELNS1_3gpuE0ELNS1_3repE0EEENS1_30default_config_static_selectorELNS0_4arch9wavefront6targetE0EEEvSW_.has_indirect_call, 0
	.section	.AMDGPU.csdata,"",@progbits
; Kernel info:
; codeLenInByte = 0
; TotalNumSgprs: 0
; NumVgprs: 0
; ScratchSize: 0
; MemoryBound: 0
; FloatMode: 240
; IeeeMode: 1
; LDSByteSize: 0 bytes/workgroup (compile time only)
; SGPRBlocks: 0
; VGPRBlocks: 0
; NumSGPRsForWavesPerEU: 1
; NumVGPRsForWavesPerEU: 1
; Occupancy: 16
; WaveLimiterHint : 0
; COMPUTE_PGM_RSRC2:SCRATCH_EN: 0
; COMPUTE_PGM_RSRC2:USER_SGPR: 6
; COMPUTE_PGM_RSRC2:TRAP_HANDLER: 0
; COMPUTE_PGM_RSRC2:TGID_X_EN: 1
; COMPUTE_PGM_RSRC2:TGID_Y_EN: 0
; COMPUTE_PGM_RSRC2:TGID_Z_EN: 0
; COMPUTE_PGM_RSRC2:TIDIG_COMP_CNT: 0
	.section	.text._ZN7rocprim17ROCPRIM_400000_NS6detail17trampoline_kernelINS0_14default_configENS1_27lower_bound_config_selectorIxlEEZNS1_14transform_implILb0ES3_S5_N6thrust23THRUST_200600_302600_NS6detail15normal_iteratorINS8_7pointerIxNS8_11hip_rocprim5par_tENS8_11use_defaultESE_EEEENSA_INSB_IlSD_SE_SE_EEEEZNS1_13binary_searchIS3_S5_PxSG_SI_NS1_21lower_bound_search_opENS9_16wrapped_functionINS8_6system6detail7generic6detail18binary_search_lessEbEEEE10hipError_tPvRmT1_T2_T3_mmT4_T5_P12ihipStream_tbEUlRKxE_EEST_SX_SY_mSZ_S12_bEUlT_E_NS1_11comp_targetILNS1_3genE5ELNS1_11target_archE942ELNS1_3gpuE9ELNS1_3repE0EEENS1_30default_config_static_selectorELNS0_4arch9wavefront6targetE0EEEvSW_,"axG",@progbits,_ZN7rocprim17ROCPRIM_400000_NS6detail17trampoline_kernelINS0_14default_configENS1_27lower_bound_config_selectorIxlEEZNS1_14transform_implILb0ES3_S5_N6thrust23THRUST_200600_302600_NS6detail15normal_iteratorINS8_7pointerIxNS8_11hip_rocprim5par_tENS8_11use_defaultESE_EEEENSA_INSB_IlSD_SE_SE_EEEEZNS1_13binary_searchIS3_S5_PxSG_SI_NS1_21lower_bound_search_opENS9_16wrapped_functionINS8_6system6detail7generic6detail18binary_search_lessEbEEEE10hipError_tPvRmT1_T2_T3_mmT4_T5_P12ihipStream_tbEUlRKxE_EEST_SX_SY_mSZ_S12_bEUlT_E_NS1_11comp_targetILNS1_3genE5ELNS1_11target_archE942ELNS1_3gpuE9ELNS1_3repE0EEENS1_30default_config_static_selectorELNS0_4arch9wavefront6targetE0EEEvSW_,comdat
	.protected	_ZN7rocprim17ROCPRIM_400000_NS6detail17trampoline_kernelINS0_14default_configENS1_27lower_bound_config_selectorIxlEEZNS1_14transform_implILb0ES3_S5_N6thrust23THRUST_200600_302600_NS6detail15normal_iteratorINS8_7pointerIxNS8_11hip_rocprim5par_tENS8_11use_defaultESE_EEEENSA_INSB_IlSD_SE_SE_EEEEZNS1_13binary_searchIS3_S5_PxSG_SI_NS1_21lower_bound_search_opENS9_16wrapped_functionINS8_6system6detail7generic6detail18binary_search_lessEbEEEE10hipError_tPvRmT1_T2_T3_mmT4_T5_P12ihipStream_tbEUlRKxE_EEST_SX_SY_mSZ_S12_bEUlT_E_NS1_11comp_targetILNS1_3genE5ELNS1_11target_archE942ELNS1_3gpuE9ELNS1_3repE0EEENS1_30default_config_static_selectorELNS0_4arch9wavefront6targetE0EEEvSW_ ; -- Begin function _ZN7rocprim17ROCPRIM_400000_NS6detail17trampoline_kernelINS0_14default_configENS1_27lower_bound_config_selectorIxlEEZNS1_14transform_implILb0ES3_S5_N6thrust23THRUST_200600_302600_NS6detail15normal_iteratorINS8_7pointerIxNS8_11hip_rocprim5par_tENS8_11use_defaultESE_EEEENSA_INSB_IlSD_SE_SE_EEEEZNS1_13binary_searchIS3_S5_PxSG_SI_NS1_21lower_bound_search_opENS9_16wrapped_functionINS8_6system6detail7generic6detail18binary_search_lessEbEEEE10hipError_tPvRmT1_T2_T3_mmT4_T5_P12ihipStream_tbEUlRKxE_EEST_SX_SY_mSZ_S12_bEUlT_E_NS1_11comp_targetILNS1_3genE5ELNS1_11target_archE942ELNS1_3gpuE9ELNS1_3repE0EEENS1_30default_config_static_selectorELNS0_4arch9wavefront6targetE0EEEvSW_
	.globl	_ZN7rocprim17ROCPRIM_400000_NS6detail17trampoline_kernelINS0_14default_configENS1_27lower_bound_config_selectorIxlEEZNS1_14transform_implILb0ES3_S5_N6thrust23THRUST_200600_302600_NS6detail15normal_iteratorINS8_7pointerIxNS8_11hip_rocprim5par_tENS8_11use_defaultESE_EEEENSA_INSB_IlSD_SE_SE_EEEEZNS1_13binary_searchIS3_S5_PxSG_SI_NS1_21lower_bound_search_opENS9_16wrapped_functionINS8_6system6detail7generic6detail18binary_search_lessEbEEEE10hipError_tPvRmT1_T2_T3_mmT4_T5_P12ihipStream_tbEUlRKxE_EEST_SX_SY_mSZ_S12_bEUlT_E_NS1_11comp_targetILNS1_3genE5ELNS1_11target_archE942ELNS1_3gpuE9ELNS1_3repE0EEENS1_30default_config_static_selectorELNS0_4arch9wavefront6targetE0EEEvSW_
	.p2align	8
	.type	_ZN7rocprim17ROCPRIM_400000_NS6detail17trampoline_kernelINS0_14default_configENS1_27lower_bound_config_selectorIxlEEZNS1_14transform_implILb0ES3_S5_N6thrust23THRUST_200600_302600_NS6detail15normal_iteratorINS8_7pointerIxNS8_11hip_rocprim5par_tENS8_11use_defaultESE_EEEENSA_INSB_IlSD_SE_SE_EEEEZNS1_13binary_searchIS3_S5_PxSG_SI_NS1_21lower_bound_search_opENS9_16wrapped_functionINS8_6system6detail7generic6detail18binary_search_lessEbEEEE10hipError_tPvRmT1_T2_T3_mmT4_T5_P12ihipStream_tbEUlRKxE_EEST_SX_SY_mSZ_S12_bEUlT_E_NS1_11comp_targetILNS1_3genE5ELNS1_11target_archE942ELNS1_3gpuE9ELNS1_3repE0EEENS1_30default_config_static_selectorELNS0_4arch9wavefront6targetE0EEEvSW_,@function
_ZN7rocprim17ROCPRIM_400000_NS6detail17trampoline_kernelINS0_14default_configENS1_27lower_bound_config_selectorIxlEEZNS1_14transform_implILb0ES3_S5_N6thrust23THRUST_200600_302600_NS6detail15normal_iteratorINS8_7pointerIxNS8_11hip_rocprim5par_tENS8_11use_defaultESE_EEEENSA_INSB_IlSD_SE_SE_EEEEZNS1_13binary_searchIS3_S5_PxSG_SI_NS1_21lower_bound_search_opENS9_16wrapped_functionINS8_6system6detail7generic6detail18binary_search_lessEbEEEE10hipError_tPvRmT1_T2_T3_mmT4_T5_P12ihipStream_tbEUlRKxE_EEST_SX_SY_mSZ_S12_bEUlT_E_NS1_11comp_targetILNS1_3genE5ELNS1_11target_archE942ELNS1_3gpuE9ELNS1_3repE0EEENS1_30default_config_static_selectorELNS0_4arch9wavefront6targetE0EEEvSW_: ; @_ZN7rocprim17ROCPRIM_400000_NS6detail17trampoline_kernelINS0_14default_configENS1_27lower_bound_config_selectorIxlEEZNS1_14transform_implILb0ES3_S5_N6thrust23THRUST_200600_302600_NS6detail15normal_iteratorINS8_7pointerIxNS8_11hip_rocprim5par_tENS8_11use_defaultESE_EEEENSA_INSB_IlSD_SE_SE_EEEEZNS1_13binary_searchIS3_S5_PxSG_SI_NS1_21lower_bound_search_opENS9_16wrapped_functionINS8_6system6detail7generic6detail18binary_search_lessEbEEEE10hipError_tPvRmT1_T2_T3_mmT4_T5_P12ihipStream_tbEUlRKxE_EEST_SX_SY_mSZ_S12_bEUlT_E_NS1_11comp_targetILNS1_3genE5ELNS1_11target_archE942ELNS1_3gpuE9ELNS1_3repE0EEENS1_30default_config_static_selectorELNS0_4arch9wavefront6targetE0EEEvSW_
; %bb.0:
	.section	.rodata,"a",@progbits
	.p2align	6, 0x0
	.amdhsa_kernel _ZN7rocprim17ROCPRIM_400000_NS6detail17trampoline_kernelINS0_14default_configENS1_27lower_bound_config_selectorIxlEEZNS1_14transform_implILb0ES3_S5_N6thrust23THRUST_200600_302600_NS6detail15normal_iteratorINS8_7pointerIxNS8_11hip_rocprim5par_tENS8_11use_defaultESE_EEEENSA_INSB_IlSD_SE_SE_EEEEZNS1_13binary_searchIS3_S5_PxSG_SI_NS1_21lower_bound_search_opENS9_16wrapped_functionINS8_6system6detail7generic6detail18binary_search_lessEbEEEE10hipError_tPvRmT1_T2_T3_mmT4_T5_P12ihipStream_tbEUlRKxE_EEST_SX_SY_mSZ_S12_bEUlT_E_NS1_11comp_targetILNS1_3genE5ELNS1_11target_archE942ELNS1_3gpuE9ELNS1_3repE0EEENS1_30default_config_static_selectorELNS0_4arch9wavefront6targetE0EEEvSW_
		.amdhsa_group_segment_fixed_size 0
		.amdhsa_private_segment_fixed_size 0
		.amdhsa_kernarg_size 56
		.amdhsa_user_sgpr_count 6
		.amdhsa_user_sgpr_private_segment_buffer 1
		.amdhsa_user_sgpr_dispatch_ptr 0
		.amdhsa_user_sgpr_queue_ptr 0
		.amdhsa_user_sgpr_kernarg_segment_ptr 1
		.amdhsa_user_sgpr_dispatch_id 0
		.amdhsa_user_sgpr_flat_scratch_init 0
		.amdhsa_user_sgpr_private_segment_size 0
		.amdhsa_wavefront_size32 1
		.amdhsa_uses_dynamic_stack 0
		.amdhsa_system_sgpr_private_segment_wavefront_offset 0
		.amdhsa_system_sgpr_workgroup_id_x 1
		.amdhsa_system_sgpr_workgroup_id_y 0
		.amdhsa_system_sgpr_workgroup_id_z 0
		.amdhsa_system_sgpr_workgroup_info 0
		.amdhsa_system_vgpr_workitem_id 0
		.amdhsa_next_free_vgpr 1
		.amdhsa_next_free_sgpr 1
		.amdhsa_reserve_vcc 0
		.amdhsa_reserve_flat_scratch 0
		.amdhsa_float_round_mode_32 0
		.amdhsa_float_round_mode_16_64 0
		.amdhsa_float_denorm_mode_32 3
		.amdhsa_float_denorm_mode_16_64 3
		.amdhsa_dx10_clamp 1
		.amdhsa_ieee_mode 1
		.amdhsa_fp16_overflow 0
		.amdhsa_workgroup_processor_mode 1
		.amdhsa_memory_ordered 1
		.amdhsa_forward_progress 1
		.amdhsa_shared_vgpr_count 0
		.amdhsa_exception_fp_ieee_invalid_op 0
		.amdhsa_exception_fp_denorm_src 0
		.amdhsa_exception_fp_ieee_div_zero 0
		.amdhsa_exception_fp_ieee_overflow 0
		.amdhsa_exception_fp_ieee_underflow 0
		.amdhsa_exception_fp_ieee_inexact 0
		.amdhsa_exception_int_div_zero 0
	.end_amdhsa_kernel
	.section	.text._ZN7rocprim17ROCPRIM_400000_NS6detail17trampoline_kernelINS0_14default_configENS1_27lower_bound_config_selectorIxlEEZNS1_14transform_implILb0ES3_S5_N6thrust23THRUST_200600_302600_NS6detail15normal_iteratorINS8_7pointerIxNS8_11hip_rocprim5par_tENS8_11use_defaultESE_EEEENSA_INSB_IlSD_SE_SE_EEEEZNS1_13binary_searchIS3_S5_PxSG_SI_NS1_21lower_bound_search_opENS9_16wrapped_functionINS8_6system6detail7generic6detail18binary_search_lessEbEEEE10hipError_tPvRmT1_T2_T3_mmT4_T5_P12ihipStream_tbEUlRKxE_EEST_SX_SY_mSZ_S12_bEUlT_E_NS1_11comp_targetILNS1_3genE5ELNS1_11target_archE942ELNS1_3gpuE9ELNS1_3repE0EEENS1_30default_config_static_selectorELNS0_4arch9wavefront6targetE0EEEvSW_,"axG",@progbits,_ZN7rocprim17ROCPRIM_400000_NS6detail17trampoline_kernelINS0_14default_configENS1_27lower_bound_config_selectorIxlEEZNS1_14transform_implILb0ES3_S5_N6thrust23THRUST_200600_302600_NS6detail15normal_iteratorINS8_7pointerIxNS8_11hip_rocprim5par_tENS8_11use_defaultESE_EEEENSA_INSB_IlSD_SE_SE_EEEEZNS1_13binary_searchIS3_S5_PxSG_SI_NS1_21lower_bound_search_opENS9_16wrapped_functionINS8_6system6detail7generic6detail18binary_search_lessEbEEEE10hipError_tPvRmT1_T2_T3_mmT4_T5_P12ihipStream_tbEUlRKxE_EEST_SX_SY_mSZ_S12_bEUlT_E_NS1_11comp_targetILNS1_3genE5ELNS1_11target_archE942ELNS1_3gpuE9ELNS1_3repE0EEENS1_30default_config_static_selectorELNS0_4arch9wavefront6targetE0EEEvSW_,comdat
.Lfunc_end114:
	.size	_ZN7rocprim17ROCPRIM_400000_NS6detail17trampoline_kernelINS0_14default_configENS1_27lower_bound_config_selectorIxlEEZNS1_14transform_implILb0ES3_S5_N6thrust23THRUST_200600_302600_NS6detail15normal_iteratorINS8_7pointerIxNS8_11hip_rocprim5par_tENS8_11use_defaultESE_EEEENSA_INSB_IlSD_SE_SE_EEEEZNS1_13binary_searchIS3_S5_PxSG_SI_NS1_21lower_bound_search_opENS9_16wrapped_functionINS8_6system6detail7generic6detail18binary_search_lessEbEEEE10hipError_tPvRmT1_T2_T3_mmT4_T5_P12ihipStream_tbEUlRKxE_EEST_SX_SY_mSZ_S12_bEUlT_E_NS1_11comp_targetILNS1_3genE5ELNS1_11target_archE942ELNS1_3gpuE9ELNS1_3repE0EEENS1_30default_config_static_selectorELNS0_4arch9wavefront6targetE0EEEvSW_, .Lfunc_end114-_ZN7rocprim17ROCPRIM_400000_NS6detail17trampoline_kernelINS0_14default_configENS1_27lower_bound_config_selectorIxlEEZNS1_14transform_implILb0ES3_S5_N6thrust23THRUST_200600_302600_NS6detail15normal_iteratorINS8_7pointerIxNS8_11hip_rocprim5par_tENS8_11use_defaultESE_EEEENSA_INSB_IlSD_SE_SE_EEEEZNS1_13binary_searchIS3_S5_PxSG_SI_NS1_21lower_bound_search_opENS9_16wrapped_functionINS8_6system6detail7generic6detail18binary_search_lessEbEEEE10hipError_tPvRmT1_T2_T3_mmT4_T5_P12ihipStream_tbEUlRKxE_EEST_SX_SY_mSZ_S12_bEUlT_E_NS1_11comp_targetILNS1_3genE5ELNS1_11target_archE942ELNS1_3gpuE9ELNS1_3repE0EEENS1_30default_config_static_selectorELNS0_4arch9wavefront6targetE0EEEvSW_
                                        ; -- End function
	.set _ZN7rocprim17ROCPRIM_400000_NS6detail17trampoline_kernelINS0_14default_configENS1_27lower_bound_config_selectorIxlEEZNS1_14transform_implILb0ES3_S5_N6thrust23THRUST_200600_302600_NS6detail15normal_iteratorINS8_7pointerIxNS8_11hip_rocprim5par_tENS8_11use_defaultESE_EEEENSA_INSB_IlSD_SE_SE_EEEEZNS1_13binary_searchIS3_S5_PxSG_SI_NS1_21lower_bound_search_opENS9_16wrapped_functionINS8_6system6detail7generic6detail18binary_search_lessEbEEEE10hipError_tPvRmT1_T2_T3_mmT4_T5_P12ihipStream_tbEUlRKxE_EEST_SX_SY_mSZ_S12_bEUlT_E_NS1_11comp_targetILNS1_3genE5ELNS1_11target_archE942ELNS1_3gpuE9ELNS1_3repE0EEENS1_30default_config_static_selectorELNS0_4arch9wavefront6targetE0EEEvSW_.num_vgpr, 0
	.set _ZN7rocprim17ROCPRIM_400000_NS6detail17trampoline_kernelINS0_14default_configENS1_27lower_bound_config_selectorIxlEEZNS1_14transform_implILb0ES3_S5_N6thrust23THRUST_200600_302600_NS6detail15normal_iteratorINS8_7pointerIxNS8_11hip_rocprim5par_tENS8_11use_defaultESE_EEEENSA_INSB_IlSD_SE_SE_EEEEZNS1_13binary_searchIS3_S5_PxSG_SI_NS1_21lower_bound_search_opENS9_16wrapped_functionINS8_6system6detail7generic6detail18binary_search_lessEbEEEE10hipError_tPvRmT1_T2_T3_mmT4_T5_P12ihipStream_tbEUlRKxE_EEST_SX_SY_mSZ_S12_bEUlT_E_NS1_11comp_targetILNS1_3genE5ELNS1_11target_archE942ELNS1_3gpuE9ELNS1_3repE0EEENS1_30default_config_static_selectorELNS0_4arch9wavefront6targetE0EEEvSW_.num_agpr, 0
	.set _ZN7rocprim17ROCPRIM_400000_NS6detail17trampoline_kernelINS0_14default_configENS1_27lower_bound_config_selectorIxlEEZNS1_14transform_implILb0ES3_S5_N6thrust23THRUST_200600_302600_NS6detail15normal_iteratorINS8_7pointerIxNS8_11hip_rocprim5par_tENS8_11use_defaultESE_EEEENSA_INSB_IlSD_SE_SE_EEEEZNS1_13binary_searchIS3_S5_PxSG_SI_NS1_21lower_bound_search_opENS9_16wrapped_functionINS8_6system6detail7generic6detail18binary_search_lessEbEEEE10hipError_tPvRmT1_T2_T3_mmT4_T5_P12ihipStream_tbEUlRKxE_EEST_SX_SY_mSZ_S12_bEUlT_E_NS1_11comp_targetILNS1_3genE5ELNS1_11target_archE942ELNS1_3gpuE9ELNS1_3repE0EEENS1_30default_config_static_selectorELNS0_4arch9wavefront6targetE0EEEvSW_.numbered_sgpr, 0
	.set _ZN7rocprim17ROCPRIM_400000_NS6detail17trampoline_kernelINS0_14default_configENS1_27lower_bound_config_selectorIxlEEZNS1_14transform_implILb0ES3_S5_N6thrust23THRUST_200600_302600_NS6detail15normal_iteratorINS8_7pointerIxNS8_11hip_rocprim5par_tENS8_11use_defaultESE_EEEENSA_INSB_IlSD_SE_SE_EEEEZNS1_13binary_searchIS3_S5_PxSG_SI_NS1_21lower_bound_search_opENS9_16wrapped_functionINS8_6system6detail7generic6detail18binary_search_lessEbEEEE10hipError_tPvRmT1_T2_T3_mmT4_T5_P12ihipStream_tbEUlRKxE_EEST_SX_SY_mSZ_S12_bEUlT_E_NS1_11comp_targetILNS1_3genE5ELNS1_11target_archE942ELNS1_3gpuE9ELNS1_3repE0EEENS1_30default_config_static_selectorELNS0_4arch9wavefront6targetE0EEEvSW_.num_named_barrier, 0
	.set _ZN7rocprim17ROCPRIM_400000_NS6detail17trampoline_kernelINS0_14default_configENS1_27lower_bound_config_selectorIxlEEZNS1_14transform_implILb0ES3_S5_N6thrust23THRUST_200600_302600_NS6detail15normal_iteratorINS8_7pointerIxNS8_11hip_rocprim5par_tENS8_11use_defaultESE_EEEENSA_INSB_IlSD_SE_SE_EEEEZNS1_13binary_searchIS3_S5_PxSG_SI_NS1_21lower_bound_search_opENS9_16wrapped_functionINS8_6system6detail7generic6detail18binary_search_lessEbEEEE10hipError_tPvRmT1_T2_T3_mmT4_T5_P12ihipStream_tbEUlRKxE_EEST_SX_SY_mSZ_S12_bEUlT_E_NS1_11comp_targetILNS1_3genE5ELNS1_11target_archE942ELNS1_3gpuE9ELNS1_3repE0EEENS1_30default_config_static_selectorELNS0_4arch9wavefront6targetE0EEEvSW_.private_seg_size, 0
	.set _ZN7rocprim17ROCPRIM_400000_NS6detail17trampoline_kernelINS0_14default_configENS1_27lower_bound_config_selectorIxlEEZNS1_14transform_implILb0ES3_S5_N6thrust23THRUST_200600_302600_NS6detail15normal_iteratorINS8_7pointerIxNS8_11hip_rocprim5par_tENS8_11use_defaultESE_EEEENSA_INSB_IlSD_SE_SE_EEEEZNS1_13binary_searchIS3_S5_PxSG_SI_NS1_21lower_bound_search_opENS9_16wrapped_functionINS8_6system6detail7generic6detail18binary_search_lessEbEEEE10hipError_tPvRmT1_T2_T3_mmT4_T5_P12ihipStream_tbEUlRKxE_EEST_SX_SY_mSZ_S12_bEUlT_E_NS1_11comp_targetILNS1_3genE5ELNS1_11target_archE942ELNS1_3gpuE9ELNS1_3repE0EEENS1_30default_config_static_selectorELNS0_4arch9wavefront6targetE0EEEvSW_.uses_vcc, 0
	.set _ZN7rocprim17ROCPRIM_400000_NS6detail17trampoline_kernelINS0_14default_configENS1_27lower_bound_config_selectorIxlEEZNS1_14transform_implILb0ES3_S5_N6thrust23THRUST_200600_302600_NS6detail15normal_iteratorINS8_7pointerIxNS8_11hip_rocprim5par_tENS8_11use_defaultESE_EEEENSA_INSB_IlSD_SE_SE_EEEEZNS1_13binary_searchIS3_S5_PxSG_SI_NS1_21lower_bound_search_opENS9_16wrapped_functionINS8_6system6detail7generic6detail18binary_search_lessEbEEEE10hipError_tPvRmT1_T2_T3_mmT4_T5_P12ihipStream_tbEUlRKxE_EEST_SX_SY_mSZ_S12_bEUlT_E_NS1_11comp_targetILNS1_3genE5ELNS1_11target_archE942ELNS1_3gpuE9ELNS1_3repE0EEENS1_30default_config_static_selectorELNS0_4arch9wavefront6targetE0EEEvSW_.uses_flat_scratch, 0
	.set _ZN7rocprim17ROCPRIM_400000_NS6detail17trampoline_kernelINS0_14default_configENS1_27lower_bound_config_selectorIxlEEZNS1_14transform_implILb0ES3_S5_N6thrust23THRUST_200600_302600_NS6detail15normal_iteratorINS8_7pointerIxNS8_11hip_rocprim5par_tENS8_11use_defaultESE_EEEENSA_INSB_IlSD_SE_SE_EEEEZNS1_13binary_searchIS3_S5_PxSG_SI_NS1_21lower_bound_search_opENS9_16wrapped_functionINS8_6system6detail7generic6detail18binary_search_lessEbEEEE10hipError_tPvRmT1_T2_T3_mmT4_T5_P12ihipStream_tbEUlRKxE_EEST_SX_SY_mSZ_S12_bEUlT_E_NS1_11comp_targetILNS1_3genE5ELNS1_11target_archE942ELNS1_3gpuE9ELNS1_3repE0EEENS1_30default_config_static_selectorELNS0_4arch9wavefront6targetE0EEEvSW_.has_dyn_sized_stack, 0
	.set _ZN7rocprim17ROCPRIM_400000_NS6detail17trampoline_kernelINS0_14default_configENS1_27lower_bound_config_selectorIxlEEZNS1_14transform_implILb0ES3_S5_N6thrust23THRUST_200600_302600_NS6detail15normal_iteratorINS8_7pointerIxNS8_11hip_rocprim5par_tENS8_11use_defaultESE_EEEENSA_INSB_IlSD_SE_SE_EEEEZNS1_13binary_searchIS3_S5_PxSG_SI_NS1_21lower_bound_search_opENS9_16wrapped_functionINS8_6system6detail7generic6detail18binary_search_lessEbEEEE10hipError_tPvRmT1_T2_T3_mmT4_T5_P12ihipStream_tbEUlRKxE_EEST_SX_SY_mSZ_S12_bEUlT_E_NS1_11comp_targetILNS1_3genE5ELNS1_11target_archE942ELNS1_3gpuE9ELNS1_3repE0EEENS1_30default_config_static_selectorELNS0_4arch9wavefront6targetE0EEEvSW_.has_recursion, 0
	.set _ZN7rocprim17ROCPRIM_400000_NS6detail17trampoline_kernelINS0_14default_configENS1_27lower_bound_config_selectorIxlEEZNS1_14transform_implILb0ES3_S5_N6thrust23THRUST_200600_302600_NS6detail15normal_iteratorINS8_7pointerIxNS8_11hip_rocprim5par_tENS8_11use_defaultESE_EEEENSA_INSB_IlSD_SE_SE_EEEEZNS1_13binary_searchIS3_S5_PxSG_SI_NS1_21lower_bound_search_opENS9_16wrapped_functionINS8_6system6detail7generic6detail18binary_search_lessEbEEEE10hipError_tPvRmT1_T2_T3_mmT4_T5_P12ihipStream_tbEUlRKxE_EEST_SX_SY_mSZ_S12_bEUlT_E_NS1_11comp_targetILNS1_3genE5ELNS1_11target_archE942ELNS1_3gpuE9ELNS1_3repE0EEENS1_30default_config_static_selectorELNS0_4arch9wavefront6targetE0EEEvSW_.has_indirect_call, 0
	.section	.AMDGPU.csdata,"",@progbits
; Kernel info:
; codeLenInByte = 0
; TotalNumSgprs: 0
; NumVgprs: 0
; ScratchSize: 0
; MemoryBound: 0
; FloatMode: 240
; IeeeMode: 1
; LDSByteSize: 0 bytes/workgroup (compile time only)
; SGPRBlocks: 0
; VGPRBlocks: 0
; NumSGPRsForWavesPerEU: 1
; NumVGPRsForWavesPerEU: 1
; Occupancy: 16
; WaveLimiterHint : 0
; COMPUTE_PGM_RSRC2:SCRATCH_EN: 0
; COMPUTE_PGM_RSRC2:USER_SGPR: 6
; COMPUTE_PGM_RSRC2:TRAP_HANDLER: 0
; COMPUTE_PGM_RSRC2:TGID_X_EN: 1
; COMPUTE_PGM_RSRC2:TGID_Y_EN: 0
; COMPUTE_PGM_RSRC2:TGID_Z_EN: 0
; COMPUTE_PGM_RSRC2:TIDIG_COMP_CNT: 0
	.section	.text._ZN7rocprim17ROCPRIM_400000_NS6detail17trampoline_kernelINS0_14default_configENS1_27lower_bound_config_selectorIxlEEZNS1_14transform_implILb0ES3_S5_N6thrust23THRUST_200600_302600_NS6detail15normal_iteratorINS8_7pointerIxNS8_11hip_rocprim5par_tENS8_11use_defaultESE_EEEENSA_INSB_IlSD_SE_SE_EEEEZNS1_13binary_searchIS3_S5_PxSG_SI_NS1_21lower_bound_search_opENS9_16wrapped_functionINS8_6system6detail7generic6detail18binary_search_lessEbEEEE10hipError_tPvRmT1_T2_T3_mmT4_T5_P12ihipStream_tbEUlRKxE_EEST_SX_SY_mSZ_S12_bEUlT_E_NS1_11comp_targetILNS1_3genE4ELNS1_11target_archE910ELNS1_3gpuE8ELNS1_3repE0EEENS1_30default_config_static_selectorELNS0_4arch9wavefront6targetE0EEEvSW_,"axG",@progbits,_ZN7rocprim17ROCPRIM_400000_NS6detail17trampoline_kernelINS0_14default_configENS1_27lower_bound_config_selectorIxlEEZNS1_14transform_implILb0ES3_S5_N6thrust23THRUST_200600_302600_NS6detail15normal_iteratorINS8_7pointerIxNS8_11hip_rocprim5par_tENS8_11use_defaultESE_EEEENSA_INSB_IlSD_SE_SE_EEEEZNS1_13binary_searchIS3_S5_PxSG_SI_NS1_21lower_bound_search_opENS9_16wrapped_functionINS8_6system6detail7generic6detail18binary_search_lessEbEEEE10hipError_tPvRmT1_T2_T3_mmT4_T5_P12ihipStream_tbEUlRKxE_EEST_SX_SY_mSZ_S12_bEUlT_E_NS1_11comp_targetILNS1_3genE4ELNS1_11target_archE910ELNS1_3gpuE8ELNS1_3repE0EEENS1_30default_config_static_selectorELNS0_4arch9wavefront6targetE0EEEvSW_,comdat
	.protected	_ZN7rocprim17ROCPRIM_400000_NS6detail17trampoline_kernelINS0_14default_configENS1_27lower_bound_config_selectorIxlEEZNS1_14transform_implILb0ES3_S5_N6thrust23THRUST_200600_302600_NS6detail15normal_iteratorINS8_7pointerIxNS8_11hip_rocprim5par_tENS8_11use_defaultESE_EEEENSA_INSB_IlSD_SE_SE_EEEEZNS1_13binary_searchIS3_S5_PxSG_SI_NS1_21lower_bound_search_opENS9_16wrapped_functionINS8_6system6detail7generic6detail18binary_search_lessEbEEEE10hipError_tPvRmT1_T2_T3_mmT4_T5_P12ihipStream_tbEUlRKxE_EEST_SX_SY_mSZ_S12_bEUlT_E_NS1_11comp_targetILNS1_3genE4ELNS1_11target_archE910ELNS1_3gpuE8ELNS1_3repE0EEENS1_30default_config_static_selectorELNS0_4arch9wavefront6targetE0EEEvSW_ ; -- Begin function _ZN7rocprim17ROCPRIM_400000_NS6detail17trampoline_kernelINS0_14default_configENS1_27lower_bound_config_selectorIxlEEZNS1_14transform_implILb0ES3_S5_N6thrust23THRUST_200600_302600_NS6detail15normal_iteratorINS8_7pointerIxNS8_11hip_rocprim5par_tENS8_11use_defaultESE_EEEENSA_INSB_IlSD_SE_SE_EEEEZNS1_13binary_searchIS3_S5_PxSG_SI_NS1_21lower_bound_search_opENS9_16wrapped_functionINS8_6system6detail7generic6detail18binary_search_lessEbEEEE10hipError_tPvRmT1_T2_T3_mmT4_T5_P12ihipStream_tbEUlRKxE_EEST_SX_SY_mSZ_S12_bEUlT_E_NS1_11comp_targetILNS1_3genE4ELNS1_11target_archE910ELNS1_3gpuE8ELNS1_3repE0EEENS1_30default_config_static_selectorELNS0_4arch9wavefront6targetE0EEEvSW_
	.globl	_ZN7rocprim17ROCPRIM_400000_NS6detail17trampoline_kernelINS0_14default_configENS1_27lower_bound_config_selectorIxlEEZNS1_14transform_implILb0ES3_S5_N6thrust23THRUST_200600_302600_NS6detail15normal_iteratorINS8_7pointerIxNS8_11hip_rocprim5par_tENS8_11use_defaultESE_EEEENSA_INSB_IlSD_SE_SE_EEEEZNS1_13binary_searchIS3_S5_PxSG_SI_NS1_21lower_bound_search_opENS9_16wrapped_functionINS8_6system6detail7generic6detail18binary_search_lessEbEEEE10hipError_tPvRmT1_T2_T3_mmT4_T5_P12ihipStream_tbEUlRKxE_EEST_SX_SY_mSZ_S12_bEUlT_E_NS1_11comp_targetILNS1_3genE4ELNS1_11target_archE910ELNS1_3gpuE8ELNS1_3repE0EEENS1_30default_config_static_selectorELNS0_4arch9wavefront6targetE0EEEvSW_
	.p2align	8
	.type	_ZN7rocprim17ROCPRIM_400000_NS6detail17trampoline_kernelINS0_14default_configENS1_27lower_bound_config_selectorIxlEEZNS1_14transform_implILb0ES3_S5_N6thrust23THRUST_200600_302600_NS6detail15normal_iteratorINS8_7pointerIxNS8_11hip_rocprim5par_tENS8_11use_defaultESE_EEEENSA_INSB_IlSD_SE_SE_EEEEZNS1_13binary_searchIS3_S5_PxSG_SI_NS1_21lower_bound_search_opENS9_16wrapped_functionINS8_6system6detail7generic6detail18binary_search_lessEbEEEE10hipError_tPvRmT1_T2_T3_mmT4_T5_P12ihipStream_tbEUlRKxE_EEST_SX_SY_mSZ_S12_bEUlT_E_NS1_11comp_targetILNS1_3genE4ELNS1_11target_archE910ELNS1_3gpuE8ELNS1_3repE0EEENS1_30default_config_static_selectorELNS0_4arch9wavefront6targetE0EEEvSW_,@function
_ZN7rocprim17ROCPRIM_400000_NS6detail17trampoline_kernelINS0_14default_configENS1_27lower_bound_config_selectorIxlEEZNS1_14transform_implILb0ES3_S5_N6thrust23THRUST_200600_302600_NS6detail15normal_iteratorINS8_7pointerIxNS8_11hip_rocprim5par_tENS8_11use_defaultESE_EEEENSA_INSB_IlSD_SE_SE_EEEEZNS1_13binary_searchIS3_S5_PxSG_SI_NS1_21lower_bound_search_opENS9_16wrapped_functionINS8_6system6detail7generic6detail18binary_search_lessEbEEEE10hipError_tPvRmT1_T2_T3_mmT4_T5_P12ihipStream_tbEUlRKxE_EEST_SX_SY_mSZ_S12_bEUlT_E_NS1_11comp_targetILNS1_3genE4ELNS1_11target_archE910ELNS1_3gpuE8ELNS1_3repE0EEENS1_30default_config_static_selectorELNS0_4arch9wavefront6targetE0EEEvSW_: ; @_ZN7rocprim17ROCPRIM_400000_NS6detail17trampoline_kernelINS0_14default_configENS1_27lower_bound_config_selectorIxlEEZNS1_14transform_implILb0ES3_S5_N6thrust23THRUST_200600_302600_NS6detail15normal_iteratorINS8_7pointerIxNS8_11hip_rocprim5par_tENS8_11use_defaultESE_EEEENSA_INSB_IlSD_SE_SE_EEEEZNS1_13binary_searchIS3_S5_PxSG_SI_NS1_21lower_bound_search_opENS9_16wrapped_functionINS8_6system6detail7generic6detail18binary_search_lessEbEEEE10hipError_tPvRmT1_T2_T3_mmT4_T5_P12ihipStream_tbEUlRKxE_EEST_SX_SY_mSZ_S12_bEUlT_E_NS1_11comp_targetILNS1_3genE4ELNS1_11target_archE910ELNS1_3gpuE8ELNS1_3repE0EEENS1_30default_config_static_selectorELNS0_4arch9wavefront6targetE0EEEvSW_
; %bb.0:
	.section	.rodata,"a",@progbits
	.p2align	6, 0x0
	.amdhsa_kernel _ZN7rocprim17ROCPRIM_400000_NS6detail17trampoline_kernelINS0_14default_configENS1_27lower_bound_config_selectorIxlEEZNS1_14transform_implILb0ES3_S5_N6thrust23THRUST_200600_302600_NS6detail15normal_iteratorINS8_7pointerIxNS8_11hip_rocprim5par_tENS8_11use_defaultESE_EEEENSA_INSB_IlSD_SE_SE_EEEEZNS1_13binary_searchIS3_S5_PxSG_SI_NS1_21lower_bound_search_opENS9_16wrapped_functionINS8_6system6detail7generic6detail18binary_search_lessEbEEEE10hipError_tPvRmT1_T2_T3_mmT4_T5_P12ihipStream_tbEUlRKxE_EEST_SX_SY_mSZ_S12_bEUlT_E_NS1_11comp_targetILNS1_3genE4ELNS1_11target_archE910ELNS1_3gpuE8ELNS1_3repE0EEENS1_30default_config_static_selectorELNS0_4arch9wavefront6targetE0EEEvSW_
		.amdhsa_group_segment_fixed_size 0
		.amdhsa_private_segment_fixed_size 0
		.amdhsa_kernarg_size 56
		.amdhsa_user_sgpr_count 6
		.amdhsa_user_sgpr_private_segment_buffer 1
		.amdhsa_user_sgpr_dispatch_ptr 0
		.amdhsa_user_sgpr_queue_ptr 0
		.amdhsa_user_sgpr_kernarg_segment_ptr 1
		.amdhsa_user_sgpr_dispatch_id 0
		.amdhsa_user_sgpr_flat_scratch_init 0
		.amdhsa_user_sgpr_private_segment_size 0
		.amdhsa_wavefront_size32 1
		.amdhsa_uses_dynamic_stack 0
		.amdhsa_system_sgpr_private_segment_wavefront_offset 0
		.amdhsa_system_sgpr_workgroup_id_x 1
		.amdhsa_system_sgpr_workgroup_id_y 0
		.amdhsa_system_sgpr_workgroup_id_z 0
		.amdhsa_system_sgpr_workgroup_info 0
		.amdhsa_system_vgpr_workitem_id 0
		.amdhsa_next_free_vgpr 1
		.amdhsa_next_free_sgpr 1
		.amdhsa_reserve_vcc 0
		.amdhsa_reserve_flat_scratch 0
		.amdhsa_float_round_mode_32 0
		.amdhsa_float_round_mode_16_64 0
		.amdhsa_float_denorm_mode_32 3
		.amdhsa_float_denorm_mode_16_64 3
		.amdhsa_dx10_clamp 1
		.amdhsa_ieee_mode 1
		.amdhsa_fp16_overflow 0
		.amdhsa_workgroup_processor_mode 1
		.amdhsa_memory_ordered 1
		.amdhsa_forward_progress 1
		.amdhsa_shared_vgpr_count 0
		.amdhsa_exception_fp_ieee_invalid_op 0
		.amdhsa_exception_fp_denorm_src 0
		.amdhsa_exception_fp_ieee_div_zero 0
		.amdhsa_exception_fp_ieee_overflow 0
		.amdhsa_exception_fp_ieee_underflow 0
		.amdhsa_exception_fp_ieee_inexact 0
		.amdhsa_exception_int_div_zero 0
	.end_amdhsa_kernel
	.section	.text._ZN7rocprim17ROCPRIM_400000_NS6detail17trampoline_kernelINS0_14default_configENS1_27lower_bound_config_selectorIxlEEZNS1_14transform_implILb0ES3_S5_N6thrust23THRUST_200600_302600_NS6detail15normal_iteratorINS8_7pointerIxNS8_11hip_rocprim5par_tENS8_11use_defaultESE_EEEENSA_INSB_IlSD_SE_SE_EEEEZNS1_13binary_searchIS3_S5_PxSG_SI_NS1_21lower_bound_search_opENS9_16wrapped_functionINS8_6system6detail7generic6detail18binary_search_lessEbEEEE10hipError_tPvRmT1_T2_T3_mmT4_T5_P12ihipStream_tbEUlRKxE_EEST_SX_SY_mSZ_S12_bEUlT_E_NS1_11comp_targetILNS1_3genE4ELNS1_11target_archE910ELNS1_3gpuE8ELNS1_3repE0EEENS1_30default_config_static_selectorELNS0_4arch9wavefront6targetE0EEEvSW_,"axG",@progbits,_ZN7rocprim17ROCPRIM_400000_NS6detail17trampoline_kernelINS0_14default_configENS1_27lower_bound_config_selectorIxlEEZNS1_14transform_implILb0ES3_S5_N6thrust23THRUST_200600_302600_NS6detail15normal_iteratorINS8_7pointerIxNS8_11hip_rocprim5par_tENS8_11use_defaultESE_EEEENSA_INSB_IlSD_SE_SE_EEEEZNS1_13binary_searchIS3_S5_PxSG_SI_NS1_21lower_bound_search_opENS9_16wrapped_functionINS8_6system6detail7generic6detail18binary_search_lessEbEEEE10hipError_tPvRmT1_T2_T3_mmT4_T5_P12ihipStream_tbEUlRKxE_EEST_SX_SY_mSZ_S12_bEUlT_E_NS1_11comp_targetILNS1_3genE4ELNS1_11target_archE910ELNS1_3gpuE8ELNS1_3repE0EEENS1_30default_config_static_selectorELNS0_4arch9wavefront6targetE0EEEvSW_,comdat
.Lfunc_end115:
	.size	_ZN7rocprim17ROCPRIM_400000_NS6detail17trampoline_kernelINS0_14default_configENS1_27lower_bound_config_selectorIxlEEZNS1_14transform_implILb0ES3_S5_N6thrust23THRUST_200600_302600_NS6detail15normal_iteratorINS8_7pointerIxNS8_11hip_rocprim5par_tENS8_11use_defaultESE_EEEENSA_INSB_IlSD_SE_SE_EEEEZNS1_13binary_searchIS3_S5_PxSG_SI_NS1_21lower_bound_search_opENS9_16wrapped_functionINS8_6system6detail7generic6detail18binary_search_lessEbEEEE10hipError_tPvRmT1_T2_T3_mmT4_T5_P12ihipStream_tbEUlRKxE_EEST_SX_SY_mSZ_S12_bEUlT_E_NS1_11comp_targetILNS1_3genE4ELNS1_11target_archE910ELNS1_3gpuE8ELNS1_3repE0EEENS1_30default_config_static_selectorELNS0_4arch9wavefront6targetE0EEEvSW_, .Lfunc_end115-_ZN7rocprim17ROCPRIM_400000_NS6detail17trampoline_kernelINS0_14default_configENS1_27lower_bound_config_selectorIxlEEZNS1_14transform_implILb0ES3_S5_N6thrust23THRUST_200600_302600_NS6detail15normal_iteratorINS8_7pointerIxNS8_11hip_rocprim5par_tENS8_11use_defaultESE_EEEENSA_INSB_IlSD_SE_SE_EEEEZNS1_13binary_searchIS3_S5_PxSG_SI_NS1_21lower_bound_search_opENS9_16wrapped_functionINS8_6system6detail7generic6detail18binary_search_lessEbEEEE10hipError_tPvRmT1_T2_T3_mmT4_T5_P12ihipStream_tbEUlRKxE_EEST_SX_SY_mSZ_S12_bEUlT_E_NS1_11comp_targetILNS1_3genE4ELNS1_11target_archE910ELNS1_3gpuE8ELNS1_3repE0EEENS1_30default_config_static_selectorELNS0_4arch9wavefront6targetE0EEEvSW_
                                        ; -- End function
	.set _ZN7rocprim17ROCPRIM_400000_NS6detail17trampoline_kernelINS0_14default_configENS1_27lower_bound_config_selectorIxlEEZNS1_14transform_implILb0ES3_S5_N6thrust23THRUST_200600_302600_NS6detail15normal_iteratorINS8_7pointerIxNS8_11hip_rocprim5par_tENS8_11use_defaultESE_EEEENSA_INSB_IlSD_SE_SE_EEEEZNS1_13binary_searchIS3_S5_PxSG_SI_NS1_21lower_bound_search_opENS9_16wrapped_functionINS8_6system6detail7generic6detail18binary_search_lessEbEEEE10hipError_tPvRmT1_T2_T3_mmT4_T5_P12ihipStream_tbEUlRKxE_EEST_SX_SY_mSZ_S12_bEUlT_E_NS1_11comp_targetILNS1_3genE4ELNS1_11target_archE910ELNS1_3gpuE8ELNS1_3repE0EEENS1_30default_config_static_selectorELNS0_4arch9wavefront6targetE0EEEvSW_.num_vgpr, 0
	.set _ZN7rocprim17ROCPRIM_400000_NS6detail17trampoline_kernelINS0_14default_configENS1_27lower_bound_config_selectorIxlEEZNS1_14transform_implILb0ES3_S5_N6thrust23THRUST_200600_302600_NS6detail15normal_iteratorINS8_7pointerIxNS8_11hip_rocprim5par_tENS8_11use_defaultESE_EEEENSA_INSB_IlSD_SE_SE_EEEEZNS1_13binary_searchIS3_S5_PxSG_SI_NS1_21lower_bound_search_opENS9_16wrapped_functionINS8_6system6detail7generic6detail18binary_search_lessEbEEEE10hipError_tPvRmT1_T2_T3_mmT4_T5_P12ihipStream_tbEUlRKxE_EEST_SX_SY_mSZ_S12_bEUlT_E_NS1_11comp_targetILNS1_3genE4ELNS1_11target_archE910ELNS1_3gpuE8ELNS1_3repE0EEENS1_30default_config_static_selectorELNS0_4arch9wavefront6targetE0EEEvSW_.num_agpr, 0
	.set _ZN7rocprim17ROCPRIM_400000_NS6detail17trampoline_kernelINS0_14default_configENS1_27lower_bound_config_selectorIxlEEZNS1_14transform_implILb0ES3_S5_N6thrust23THRUST_200600_302600_NS6detail15normal_iteratorINS8_7pointerIxNS8_11hip_rocprim5par_tENS8_11use_defaultESE_EEEENSA_INSB_IlSD_SE_SE_EEEEZNS1_13binary_searchIS3_S5_PxSG_SI_NS1_21lower_bound_search_opENS9_16wrapped_functionINS8_6system6detail7generic6detail18binary_search_lessEbEEEE10hipError_tPvRmT1_T2_T3_mmT4_T5_P12ihipStream_tbEUlRKxE_EEST_SX_SY_mSZ_S12_bEUlT_E_NS1_11comp_targetILNS1_3genE4ELNS1_11target_archE910ELNS1_3gpuE8ELNS1_3repE0EEENS1_30default_config_static_selectorELNS0_4arch9wavefront6targetE0EEEvSW_.numbered_sgpr, 0
	.set _ZN7rocprim17ROCPRIM_400000_NS6detail17trampoline_kernelINS0_14default_configENS1_27lower_bound_config_selectorIxlEEZNS1_14transform_implILb0ES3_S5_N6thrust23THRUST_200600_302600_NS6detail15normal_iteratorINS8_7pointerIxNS8_11hip_rocprim5par_tENS8_11use_defaultESE_EEEENSA_INSB_IlSD_SE_SE_EEEEZNS1_13binary_searchIS3_S5_PxSG_SI_NS1_21lower_bound_search_opENS9_16wrapped_functionINS8_6system6detail7generic6detail18binary_search_lessEbEEEE10hipError_tPvRmT1_T2_T3_mmT4_T5_P12ihipStream_tbEUlRKxE_EEST_SX_SY_mSZ_S12_bEUlT_E_NS1_11comp_targetILNS1_3genE4ELNS1_11target_archE910ELNS1_3gpuE8ELNS1_3repE0EEENS1_30default_config_static_selectorELNS0_4arch9wavefront6targetE0EEEvSW_.num_named_barrier, 0
	.set _ZN7rocprim17ROCPRIM_400000_NS6detail17trampoline_kernelINS0_14default_configENS1_27lower_bound_config_selectorIxlEEZNS1_14transform_implILb0ES3_S5_N6thrust23THRUST_200600_302600_NS6detail15normal_iteratorINS8_7pointerIxNS8_11hip_rocprim5par_tENS8_11use_defaultESE_EEEENSA_INSB_IlSD_SE_SE_EEEEZNS1_13binary_searchIS3_S5_PxSG_SI_NS1_21lower_bound_search_opENS9_16wrapped_functionINS8_6system6detail7generic6detail18binary_search_lessEbEEEE10hipError_tPvRmT1_T2_T3_mmT4_T5_P12ihipStream_tbEUlRKxE_EEST_SX_SY_mSZ_S12_bEUlT_E_NS1_11comp_targetILNS1_3genE4ELNS1_11target_archE910ELNS1_3gpuE8ELNS1_3repE0EEENS1_30default_config_static_selectorELNS0_4arch9wavefront6targetE0EEEvSW_.private_seg_size, 0
	.set _ZN7rocprim17ROCPRIM_400000_NS6detail17trampoline_kernelINS0_14default_configENS1_27lower_bound_config_selectorIxlEEZNS1_14transform_implILb0ES3_S5_N6thrust23THRUST_200600_302600_NS6detail15normal_iteratorINS8_7pointerIxNS8_11hip_rocprim5par_tENS8_11use_defaultESE_EEEENSA_INSB_IlSD_SE_SE_EEEEZNS1_13binary_searchIS3_S5_PxSG_SI_NS1_21lower_bound_search_opENS9_16wrapped_functionINS8_6system6detail7generic6detail18binary_search_lessEbEEEE10hipError_tPvRmT1_T2_T3_mmT4_T5_P12ihipStream_tbEUlRKxE_EEST_SX_SY_mSZ_S12_bEUlT_E_NS1_11comp_targetILNS1_3genE4ELNS1_11target_archE910ELNS1_3gpuE8ELNS1_3repE0EEENS1_30default_config_static_selectorELNS0_4arch9wavefront6targetE0EEEvSW_.uses_vcc, 0
	.set _ZN7rocprim17ROCPRIM_400000_NS6detail17trampoline_kernelINS0_14default_configENS1_27lower_bound_config_selectorIxlEEZNS1_14transform_implILb0ES3_S5_N6thrust23THRUST_200600_302600_NS6detail15normal_iteratorINS8_7pointerIxNS8_11hip_rocprim5par_tENS8_11use_defaultESE_EEEENSA_INSB_IlSD_SE_SE_EEEEZNS1_13binary_searchIS3_S5_PxSG_SI_NS1_21lower_bound_search_opENS9_16wrapped_functionINS8_6system6detail7generic6detail18binary_search_lessEbEEEE10hipError_tPvRmT1_T2_T3_mmT4_T5_P12ihipStream_tbEUlRKxE_EEST_SX_SY_mSZ_S12_bEUlT_E_NS1_11comp_targetILNS1_3genE4ELNS1_11target_archE910ELNS1_3gpuE8ELNS1_3repE0EEENS1_30default_config_static_selectorELNS0_4arch9wavefront6targetE0EEEvSW_.uses_flat_scratch, 0
	.set _ZN7rocprim17ROCPRIM_400000_NS6detail17trampoline_kernelINS0_14default_configENS1_27lower_bound_config_selectorIxlEEZNS1_14transform_implILb0ES3_S5_N6thrust23THRUST_200600_302600_NS6detail15normal_iteratorINS8_7pointerIxNS8_11hip_rocprim5par_tENS8_11use_defaultESE_EEEENSA_INSB_IlSD_SE_SE_EEEEZNS1_13binary_searchIS3_S5_PxSG_SI_NS1_21lower_bound_search_opENS9_16wrapped_functionINS8_6system6detail7generic6detail18binary_search_lessEbEEEE10hipError_tPvRmT1_T2_T3_mmT4_T5_P12ihipStream_tbEUlRKxE_EEST_SX_SY_mSZ_S12_bEUlT_E_NS1_11comp_targetILNS1_3genE4ELNS1_11target_archE910ELNS1_3gpuE8ELNS1_3repE0EEENS1_30default_config_static_selectorELNS0_4arch9wavefront6targetE0EEEvSW_.has_dyn_sized_stack, 0
	.set _ZN7rocprim17ROCPRIM_400000_NS6detail17trampoline_kernelINS0_14default_configENS1_27lower_bound_config_selectorIxlEEZNS1_14transform_implILb0ES3_S5_N6thrust23THRUST_200600_302600_NS6detail15normal_iteratorINS8_7pointerIxNS8_11hip_rocprim5par_tENS8_11use_defaultESE_EEEENSA_INSB_IlSD_SE_SE_EEEEZNS1_13binary_searchIS3_S5_PxSG_SI_NS1_21lower_bound_search_opENS9_16wrapped_functionINS8_6system6detail7generic6detail18binary_search_lessEbEEEE10hipError_tPvRmT1_T2_T3_mmT4_T5_P12ihipStream_tbEUlRKxE_EEST_SX_SY_mSZ_S12_bEUlT_E_NS1_11comp_targetILNS1_3genE4ELNS1_11target_archE910ELNS1_3gpuE8ELNS1_3repE0EEENS1_30default_config_static_selectorELNS0_4arch9wavefront6targetE0EEEvSW_.has_recursion, 0
	.set _ZN7rocprim17ROCPRIM_400000_NS6detail17trampoline_kernelINS0_14default_configENS1_27lower_bound_config_selectorIxlEEZNS1_14transform_implILb0ES3_S5_N6thrust23THRUST_200600_302600_NS6detail15normal_iteratorINS8_7pointerIxNS8_11hip_rocprim5par_tENS8_11use_defaultESE_EEEENSA_INSB_IlSD_SE_SE_EEEEZNS1_13binary_searchIS3_S5_PxSG_SI_NS1_21lower_bound_search_opENS9_16wrapped_functionINS8_6system6detail7generic6detail18binary_search_lessEbEEEE10hipError_tPvRmT1_T2_T3_mmT4_T5_P12ihipStream_tbEUlRKxE_EEST_SX_SY_mSZ_S12_bEUlT_E_NS1_11comp_targetILNS1_3genE4ELNS1_11target_archE910ELNS1_3gpuE8ELNS1_3repE0EEENS1_30default_config_static_selectorELNS0_4arch9wavefront6targetE0EEEvSW_.has_indirect_call, 0
	.section	.AMDGPU.csdata,"",@progbits
; Kernel info:
; codeLenInByte = 0
; TotalNumSgprs: 0
; NumVgprs: 0
; ScratchSize: 0
; MemoryBound: 0
; FloatMode: 240
; IeeeMode: 1
; LDSByteSize: 0 bytes/workgroup (compile time only)
; SGPRBlocks: 0
; VGPRBlocks: 0
; NumSGPRsForWavesPerEU: 1
; NumVGPRsForWavesPerEU: 1
; Occupancy: 16
; WaveLimiterHint : 0
; COMPUTE_PGM_RSRC2:SCRATCH_EN: 0
; COMPUTE_PGM_RSRC2:USER_SGPR: 6
; COMPUTE_PGM_RSRC2:TRAP_HANDLER: 0
; COMPUTE_PGM_RSRC2:TGID_X_EN: 1
; COMPUTE_PGM_RSRC2:TGID_Y_EN: 0
; COMPUTE_PGM_RSRC2:TGID_Z_EN: 0
; COMPUTE_PGM_RSRC2:TIDIG_COMP_CNT: 0
	.section	.text._ZN7rocprim17ROCPRIM_400000_NS6detail17trampoline_kernelINS0_14default_configENS1_27lower_bound_config_selectorIxlEEZNS1_14transform_implILb0ES3_S5_N6thrust23THRUST_200600_302600_NS6detail15normal_iteratorINS8_7pointerIxNS8_11hip_rocprim5par_tENS8_11use_defaultESE_EEEENSA_INSB_IlSD_SE_SE_EEEEZNS1_13binary_searchIS3_S5_PxSG_SI_NS1_21lower_bound_search_opENS9_16wrapped_functionINS8_6system6detail7generic6detail18binary_search_lessEbEEEE10hipError_tPvRmT1_T2_T3_mmT4_T5_P12ihipStream_tbEUlRKxE_EEST_SX_SY_mSZ_S12_bEUlT_E_NS1_11comp_targetILNS1_3genE3ELNS1_11target_archE908ELNS1_3gpuE7ELNS1_3repE0EEENS1_30default_config_static_selectorELNS0_4arch9wavefront6targetE0EEEvSW_,"axG",@progbits,_ZN7rocprim17ROCPRIM_400000_NS6detail17trampoline_kernelINS0_14default_configENS1_27lower_bound_config_selectorIxlEEZNS1_14transform_implILb0ES3_S5_N6thrust23THRUST_200600_302600_NS6detail15normal_iteratorINS8_7pointerIxNS8_11hip_rocprim5par_tENS8_11use_defaultESE_EEEENSA_INSB_IlSD_SE_SE_EEEEZNS1_13binary_searchIS3_S5_PxSG_SI_NS1_21lower_bound_search_opENS9_16wrapped_functionINS8_6system6detail7generic6detail18binary_search_lessEbEEEE10hipError_tPvRmT1_T2_T3_mmT4_T5_P12ihipStream_tbEUlRKxE_EEST_SX_SY_mSZ_S12_bEUlT_E_NS1_11comp_targetILNS1_3genE3ELNS1_11target_archE908ELNS1_3gpuE7ELNS1_3repE0EEENS1_30default_config_static_selectorELNS0_4arch9wavefront6targetE0EEEvSW_,comdat
	.protected	_ZN7rocprim17ROCPRIM_400000_NS6detail17trampoline_kernelINS0_14default_configENS1_27lower_bound_config_selectorIxlEEZNS1_14transform_implILb0ES3_S5_N6thrust23THRUST_200600_302600_NS6detail15normal_iteratorINS8_7pointerIxNS8_11hip_rocprim5par_tENS8_11use_defaultESE_EEEENSA_INSB_IlSD_SE_SE_EEEEZNS1_13binary_searchIS3_S5_PxSG_SI_NS1_21lower_bound_search_opENS9_16wrapped_functionINS8_6system6detail7generic6detail18binary_search_lessEbEEEE10hipError_tPvRmT1_T2_T3_mmT4_T5_P12ihipStream_tbEUlRKxE_EEST_SX_SY_mSZ_S12_bEUlT_E_NS1_11comp_targetILNS1_3genE3ELNS1_11target_archE908ELNS1_3gpuE7ELNS1_3repE0EEENS1_30default_config_static_selectorELNS0_4arch9wavefront6targetE0EEEvSW_ ; -- Begin function _ZN7rocprim17ROCPRIM_400000_NS6detail17trampoline_kernelINS0_14default_configENS1_27lower_bound_config_selectorIxlEEZNS1_14transform_implILb0ES3_S5_N6thrust23THRUST_200600_302600_NS6detail15normal_iteratorINS8_7pointerIxNS8_11hip_rocprim5par_tENS8_11use_defaultESE_EEEENSA_INSB_IlSD_SE_SE_EEEEZNS1_13binary_searchIS3_S5_PxSG_SI_NS1_21lower_bound_search_opENS9_16wrapped_functionINS8_6system6detail7generic6detail18binary_search_lessEbEEEE10hipError_tPvRmT1_T2_T3_mmT4_T5_P12ihipStream_tbEUlRKxE_EEST_SX_SY_mSZ_S12_bEUlT_E_NS1_11comp_targetILNS1_3genE3ELNS1_11target_archE908ELNS1_3gpuE7ELNS1_3repE0EEENS1_30default_config_static_selectorELNS0_4arch9wavefront6targetE0EEEvSW_
	.globl	_ZN7rocprim17ROCPRIM_400000_NS6detail17trampoline_kernelINS0_14default_configENS1_27lower_bound_config_selectorIxlEEZNS1_14transform_implILb0ES3_S5_N6thrust23THRUST_200600_302600_NS6detail15normal_iteratorINS8_7pointerIxNS8_11hip_rocprim5par_tENS8_11use_defaultESE_EEEENSA_INSB_IlSD_SE_SE_EEEEZNS1_13binary_searchIS3_S5_PxSG_SI_NS1_21lower_bound_search_opENS9_16wrapped_functionINS8_6system6detail7generic6detail18binary_search_lessEbEEEE10hipError_tPvRmT1_T2_T3_mmT4_T5_P12ihipStream_tbEUlRKxE_EEST_SX_SY_mSZ_S12_bEUlT_E_NS1_11comp_targetILNS1_3genE3ELNS1_11target_archE908ELNS1_3gpuE7ELNS1_3repE0EEENS1_30default_config_static_selectorELNS0_4arch9wavefront6targetE0EEEvSW_
	.p2align	8
	.type	_ZN7rocprim17ROCPRIM_400000_NS6detail17trampoline_kernelINS0_14default_configENS1_27lower_bound_config_selectorIxlEEZNS1_14transform_implILb0ES3_S5_N6thrust23THRUST_200600_302600_NS6detail15normal_iteratorINS8_7pointerIxNS8_11hip_rocprim5par_tENS8_11use_defaultESE_EEEENSA_INSB_IlSD_SE_SE_EEEEZNS1_13binary_searchIS3_S5_PxSG_SI_NS1_21lower_bound_search_opENS9_16wrapped_functionINS8_6system6detail7generic6detail18binary_search_lessEbEEEE10hipError_tPvRmT1_T2_T3_mmT4_T5_P12ihipStream_tbEUlRKxE_EEST_SX_SY_mSZ_S12_bEUlT_E_NS1_11comp_targetILNS1_3genE3ELNS1_11target_archE908ELNS1_3gpuE7ELNS1_3repE0EEENS1_30default_config_static_selectorELNS0_4arch9wavefront6targetE0EEEvSW_,@function
_ZN7rocprim17ROCPRIM_400000_NS6detail17trampoline_kernelINS0_14default_configENS1_27lower_bound_config_selectorIxlEEZNS1_14transform_implILb0ES3_S5_N6thrust23THRUST_200600_302600_NS6detail15normal_iteratorINS8_7pointerIxNS8_11hip_rocprim5par_tENS8_11use_defaultESE_EEEENSA_INSB_IlSD_SE_SE_EEEEZNS1_13binary_searchIS3_S5_PxSG_SI_NS1_21lower_bound_search_opENS9_16wrapped_functionINS8_6system6detail7generic6detail18binary_search_lessEbEEEE10hipError_tPvRmT1_T2_T3_mmT4_T5_P12ihipStream_tbEUlRKxE_EEST_SX_SY_mSZ_S12_bEUlT_E_NS1_11comp_targetILNS1_3genE3ELNS1_11target_archE908ELNS1_3gpuE7ELNS1_3repE0EEENS1_30default_config_static_selectorELNS0_4arch9wavefront6targetE0EEEvSW_: ; @_ZN7rocprim17ROCPRIM_400000_NS6detail17trampoline_kernelINS0_14default_configENS1_27lower_bound_config_selectorIxlEEZNS1_14transform_implILb0ES3_S5_N6thrust23THRUST_200600_302600_NS6detail15normal_iteratorINS8_7pointerIxNS8_11hip_rocprim5par_tENS8_11use_defaultESE_EEEENSA_INSB_IlSD_SE_SE_EEEEZNS1_13binary_searchIS3_S5_PxSG_SI_NS1_21lower_bound_search_opENS9_16wrapped_functionINS8_6system6detail7generic6detail18binary_search_lessEbEEEE10hipError_tPvRmT1_T2_T3_mmT4_T5_P12ihipStream_tbEUlRKxE_EEST_SX_SY_mSZ_S12_bEUlT_E_NS1_11comp_targetILNS1_3genE3ELNS1_11target_archE908ELNS1_3gpuE7ELNS1_3repE0EEENS1_30default_config_static_selectorELNS0_4arch9wavefront6targetE0EEEvSW_
; %bb.0:
	.section	.rodata,"a",@progbits
	.p2align	6, 0x0
	.amdhsa_kernel _ZN7rocprim17ROCPRIM_400000_NS6detail17trampoline_kernelINS0_14default_configENS1_27lower_bound_config_selectorIxlEEZNS1_14transform_implILb0ES3_S5_N6thrust23THRUST_200600_302600_NS6detail15normal_iteratorINS8_7pointerIxNS8_11hip_rocprim5par_tENS8_11use_defaultESE_EEEENSA_INSB_IlSD_SE_SE_EEEEZNS1_13binary_searchIS3_S5_PxSG_SI_NS1_21lower_bound_search_opENS9_16wrapped_functionINS8_6system6detail7generic6detail18binary_search_lessEbEEEE10hipError_tPvRmT1_T2_T3_mmT4_T5_P12ihipStream_tbEUlRKxE_EEST_SX_SY_mSZ_S12_bEUlT_E_NS1_11comp_targetILNS1_3genE3ELNS1_11target_archE908ELNS1_3gpuE7ELNS1_3repE0EEENS1_30default_config_static_selectorELNS0_4arch9wavefront6targetE0EEEvSW_
		.amdhsa_group_segment_fixed_size 0
		.amdhsa_private_segment_fixed_size 0
		.amdhsa_kernarg_size 56
		.amdhsa_user_sgpr_count 6
		.amdhsa_user_sgpr_private_segment_buffer 1
		.amdhsa_user_sgpr_dispatch_ptr 0
		.amdhsa_user_sgpr_queue_ptr 0
		.amdhsa_user_sgpr_kernarg_segment_ptr 1
		.amdhsa_user_sgpr_dispatch_id 0
		.amdhsa_user_sgpr_flat_scratch_init 0
		.amdhsa_user_sgpr_private_segment_size 0
		.amdhsa_wavefront_size32 1
		.amdhsa_uses_dynamic_stack 0
		.amdhsa_system_sgpr_private_segment_wavefront_offset 0
		.amdhsa_system_sgpr_workgroup_id_x 1
		.amdhsa_system_sgpr_workgroup_id_y 0
		.amdhsa_system_sgpr_workgroup_id_z 0
		.amdhsa_system_sgpr_workgroup_info 0
		.amdhsa_system_vgpr_workitem_id 0
		.amdhsa_next_free_vgpr 1
		.amdhsa_next_free_sgpr 1
		.amdhsa_reserve_vcc 0
		.amdhsa_reserve_flat_scratch 0
		.amdhsa_float_round_mode_32 0
		.amdhsa_float_round_mode_16_64 0
		.amdhsa_float_denorm_mode_32 3
		.amdhsa_float_denorm_mode_16_64 3
		.amdhsa_dx10_clamp 1
		.amdhsa_ieee_mode 1
		.amdhsa_fp16_overflow 0
		.amdhsa_workgroup_processor_mode 1
		.amdhsa_memory_ordered 1
		.amdhsa_forward_progress 1
		.amdhsa_shared_vgpr_count 0
		.amdhsa_exception_fp_ieee_invalid_op 0
		.amdhsa_exception_fp_denorm_src 0
		.amdhsa_exception_fp_ieee_div_zero 0
		.amdhsa_exception_fp_ieee_overflow 0
		.amdhsa_exception_fp_ieee_underflow 0
		.amdhsa_exception_fp_ieee_inexact 0
		.amdhsa_exception_int_div_zero 0
	.end_amdhsa_kernel
	.section	.text._ZN7rocprim17ROCPRIM_400000_NS6detail17trampoline_kernelINS0_14default_configENS1_27lower_bound_config_selectorIxlEEZNS1_14transform_implILb0ES3_S5_N6thrust23THRUST_200600_302600_NS6detail15normal_iteratorINS8_7pointerIxNS8_11hip_rocprim5par_tENS8_11use_defaultESE_EEEENSA_INSB_IlSD_SE_SE_EEEEZNS1_13binary_searchIS3_S5_PxSG_SI_NS1_21lower_bound_search_opENS9_16wrapped_functionINS8_6system6detail7generic6detail18binary_search_lessEbEEEE10hipError_tPvRmT1_T2_T3_mmT4_T5_P12ihipStream_tbEUlRKxE_EEST_SX_SY_mSZ_S12_bEUlT_E_NS1_11comp_targetILNS1_3genE3ELNS1_11target_archE908ELNS1_3gpuE7ELNS1_3repE0EEENS1_30default_config_static_selectorELNS0_4arch9wavefront6targetE0EEEvSW_,"axG",@progbits,_ZN7rocprim17ROCPRIM_400000_NS6detail17trampoline_kernelINS0_14default_configENS1_27lower_bound_config_selectorIxlEEZNS1_14transform_implILb0ES3_S5_N6thrust23THRUST_200600_302600_NS6detail15normal_iteratorINS8_7pointerIxNS8_11hip_rocprim5par_tENS8_11use_defaultESE_EEEENSA_INSB_IlSD_SE_SE_EEEEZNS1_13binary_searchIS3_S5_PxSG_SI_NS1_21lower_bound_search_opENS9_16wrapped_functionINS8_6system6detail7generic6detail18binary_search_lessEbEEEE10hipError_tPvRmT1_T2_T3_mmT4_T5_P12ihipStream_tbEUlRKxE_EEST_SX_SY_mSZ_S12_bEUlT_E_NS1_11comp_targetILNS1_3genE3ELNS1_11target_archE908ELNS1_3gpuE7ELNS1_3repE0EEENS1_30default_config_static_selectorELNS0_4arch9wavefront6targetE0EEEvSW_,comdat
.Lfunc_end116:
	.size	_ZN7rocprim17ROCPRIM_400000_NS6detail17trampoline_kernelINS0_14default_configENS1_27lower_bound_config_selectorIxlEEZNS1_14transform_implILb0ES3_S5_N6thrust23THRUST_200600_302600_NS6detail15normal_iteratorINS8_7pointerIxNS8_11hip_rocprim5par_tENS8_11use_defaultESE_EEEENSA_INSB_IlSD_SE_SE_EEEEZNS1_13binary_searchIS3_S5_PxSG_SI_NS1_21lower_bound_search_opENS9_16wrapped_functionINS8_6system6detail7generic6detail18binary_search_lessEbEEEE10hipError_tPvRmT1_T2_T3_mmT4_T5_P12ihipStream_tbEUlRKxE_EEST_SX_SY_mSZ_S12_bEUlT_E_NS1_11comp_targetILNS1_3genE3ELNS1_11target_archE908ELNS1_3gpuE7ELNS1_3repE0EEENS1_30default_config_static_selectorELNS0_4arch9wavefront6targetE0EEEvSW_, .Lfunc_end116-_ZN7rocprim17ROCPRIM_400000_NS6detail17trampoline_kernelINS0_14default_configENS1_27lower_bound_config_selectorIxlEEZNS1_14transform_implILb0ES3_S5_N6thrust23THRUST_200600_302600_NS6detail15normal_iteratorINS8_7pointerIxNS8_11hip_rocprim5par_tENS8_11use_defaultESE_EEEENSA_INSB_IlSD_SE_SE_EEEEZNS1_13binary_searchIS3_S5_PxSG_SI_NS1_21lower_bound_search_opENS9_16wrapped_functionINS8_6system6detail7generic6detail18binary_search_lessEbEEEE10hipError_tPvRmT1_T2_T3_mmT4_T5_P12ihipStream_tbEUlRKxE_EEST_SX_SY_mSZ_S12_bEUlT_E_NS1_11comp_targetILNS1_3genE3ELNS1_11target_archE908ELNS1_3gpuE7ELNS1_3repE0EEENS1_30default_config_static_selectorELNS0_4arch9wavefront6targetE0EEEvSW_
                                        ; -- End function
	.set _ZN7rocprim17ROCPRIM_400000_NS6detail17trampoline_kernelINS0_14default_configENS1_27lower_bound_config_selectorIxlEEZNS1_14transform_implILb0ES3_S5_N6thrust23THRUST_200600_302600_NS6detail15normal_iteratorINS8_7pointerIxNS8_11hip_rocprim5par_tENS8_11use_defaultESE_EEEENSA_INSB_IlSD_SE_SE_EEEEZNS1_13binary_searchIS3_S5_PxSG_SI_NS1_21lower_bound_search_opENS9_16wrapped_functionINS8_6system6detail7generic6detail18binary_search_lessEbEEEE10hipError_tPvRmT1_T2_T3_mmT4_T5_P12ihipStream_tbEUlRKxE_EEST_SX_SY_mSZ_S12_bEUlT_E_NS1_11comp_targetILNS1_3genE3ELNS1_11target_archE908ELNS1_3gpuE7ELNS1_3repE0EEENS1_30default_config_static_selectorELNS0_4arch9wavefront6targetE0EEEvSW_.num_vgpr, 0
	.set _ZN7rocprim17ROCPRIM_400000_NS6detail17trampoline_kernelINS0_14default_configENS1_27lower_bound_config_selectorIxlEEZNS1_14transform_implILb0ES3_S5_N6thrust23THRUST_200600_302600_NS6detail15normal_iteratorINS8_7pointerIxNS8_11hip_rocprim5par_tENS8_11use_defaultESE_EEEENSA_INSB_IlSD_SE_SE_EEEEZNS1_13binary_searchIS3_S5_PxSG_SI_NS1_21lower_bound_search_opENS9_16wrapped_functionINS8_6system6detail7generic6detail18binary_search_lessEbEEEE10hipError_tPvRmT1_T2_T3_mmT4_T5_P12ihipStream_tbEUlRKxE_EEST_SX_SY_mSZ_S12_bEUlT_E_NS1_11comp_targetILNS1_3genE3ELNS1_11target_archE908ELNS1_3gpuE7ELNS1_3repE0EEENS1_30default_config_static_selectorELNS0_4arch9wavefront6targetE0EEEvSW_.num_agpr, 0
	.set _ZN7rocprim17ROCPRIM_400000_NS6detail17trampoline_kernelINS0_14default_configENS1_27lower_bound_config_selectorIxlEEZNS1_14transform_implILb0ES3_S5_N6thrust23THRUST_200600_302600_NS6detail15normal_iteratorINS8_7pointerIxNS8_11hip_rocprim5par_tENS8_11use_defaultESE_EEEENSA_INSB_IlSD_SE_SE_EEEEZNS1_13binary_searchIS3_S5_PxSG_SI_NS1_21lower_bound_search_opENS9_16wrapped_functionINS8_6system6detail7generic6detail18binary_search_lessEbEEEE10hipError_tPvRmT1_T2_T3_mmT4_T5_P12ihipStream_tbEUlRKxE_EEST_SX_SY_mSZ_S12_bEUlT_E_NS1_11comp_targetILNS1_3genE3ELNS1_11target_archE908ELNS1_3gpuE7ELNS1_3repE0EEENS1_30default_config_static_selectorELNS0_4arch9wavefront6targetE0EEEvSW_.numbered_sgpr, 0
	.set _ZN7rocprim17ROCPRIM_400000_NS6detail17trampoline_kernelINS0_14default_configENS1_27lower_bound_config_selectorIxlEEZNS1_14transform_implILb0ES3_S5_N6thrust23THRUST_200600_302600_NS6detail15normal_iteratorINS8_7pointerIxNS8_11hip_rocprim5par_tENS8_11use_defaultESE_EEEENSA_INSB_IlSD_SE_SE_EEEEZNS1_13binary_searchIS3_S5_PxSG_SI_NS1_21lower_bound_search_opENS9_16wrapped_functionINS8_6system6detail7generic6detail18binary_search_lessEbEEEE10hipError_tPvRmT1_T2_T3_mmT4_T5_P12ihipStream_tbEUlRKxE_EEST_SX_SY_mSZ_S12_bEUlT_E_NS1_11comp_targetILNS1_3genE3ELNS1_11target_archE908ELNS1_3gpuE7ELNS1_3repE0EEENS1_30default_config_static_selectorELNS0_4arch9wavefront6targetE0EEEvSW_.num_named_barrier, 0
	.set _ZN7rocprim17ROCPRIM_400000_NS6detail17trampoline_kernelINS0_14default_configENS1_27lower_bound_config_selectorIxlEEZNS1_14transform_implILb0ES3_S5_N6thrust23THRUST_200600_302600_NS6detail15normal_iteratorINS8_7pointerIxNS8_11hip_rocprim5par_tENS8_11use_defaultESE_EEEENSA_INSB_IlSD_SE_SE_EEEEZNS1_13binary_searchIS3_S5_PxSG_SI_NS1_21lower_bound_search_opENS9_16wrapped_functionINS8_6system6detail7generic6detail18binary_search_lessEbEEEE10hipError_tPvRmT1_T2_T3_mmT4_T5_P12ihipStream_tbEUlRKxE_EEST_SX_SY_mSZ_S12_bEUlT_E_NS1_11comp_targetILNS1_3genE3ELNS1_11target_archE908ELNS1_3gpuE7ELNS1_3repE0EEENS1_30default_config_static_selectorELNS0_4arch9wavefront6targetE0EEEvSW_.private_seg_size, 0
	.set _ZN7rocprim17ROCPRIM_400000_NS6detail17trampoline_kernelINS0_14default_configENS1_27lower_bound_config_selectorIxlEEZNS1_14transform_implILb0ES3_S5_N6thrust23THRUST_200600_302600_NS6detail15normal_iteratorINS8_7pointerIxNS8_11hip_rocprim5par_tENS8_11use_defaultESE_EEEENSA_INSB_IlSD_SE_SE_EEEEZNS1_13binary_searchIS3_S5_PxSG_SI_NS1_21lower_bound_search_opENS9_16wrapped_functionINS8_6system6detail7generic6detail18binary_search_lessEbEEEE10hipError_tPvRmT1_T2_T3_mmT4_T5_P12ihipStream_tbEUlRKxE_EEST_SX_SY_mSZ_S12_bEUlT_E_NS1_11comp_targetILNS1_3genE3ELNS1_11target_archE908ELNS1_3gpuE7ELNS1_3repE0EEENS1_30default_config_static_selectorELNS0_4arch9wavefront6targetE0EEEvSW_.uses_vcc, 0
	.set _ZN7rocprim17ROCPRIM_400000_NS6detail17trampoline_kernelINS0_14default_configENS1_27lower_bound_config_selectorIxlEEZNS1_14transform_implILb0ES3_S5_N6thrust23THRUST_200600_302600_NS6detail15normal_iteratorINS8_7pointerIxNS8_11hip_rocprim5par_tENS8_11use_defaultESE_EEEENSA_INSB_IlSD_SE_SE_EEEEZNS1_13binary_searchIS3_S5_PxSG_SI_NS1_21lower_bound_search_opENS9_16wrapped_functionINS8_6system6detail7generic6detail18binary_search_lessEbEEEE10hipError_tPvRmT1_T2_T3_mmT4_T5_P12ihipStream_tbEUlRKxE_EEST_SX_SY_mSZ_S12_bEUlT_E_NS1_11comp_targetILNS1_3genE3ELNS1_11target_archE908ELNS1_3gpuE7ELNS1_3repE0EEENS1_30default_config_static_selectorELNS0_4arch9wavefront6targetE0EEEvSW_.uses_flat_scratch, 0
	.set _ZN7rocprim17ROCPRIM_400000_NS6detail17trampoline_kernelINS0_14default_configENS1_27lower_bound_config_selectorIxlEEZNS1_14transform_implILb0ES3_S5_N6thrust23THRUST_200600_302600_NS6detail15normal_iteratorINS8_7pointerIxNS8_11hip_rocprim5par_tENS8_11use_defaultESE_EEEENSA_INSB_IlSD_SE_SE_EEEEZNS1_13binary_searchIS3_S5_PxSG_SI_NS1_21lower_bound_search_opENS9_16wrapped_functionINS8_6system6detail7generic6detail18binary_search_lessEbEEEE10hipError_tPvRmT1_T2_T3_mmT4_T5_P12ihipStream_tbEUlRKxE_EEST_SX_SY_mSZ_S12_bEUlT_E_NS1_11comp_targetILNS1_3genE3ELNS1_11target_archE908ELNS1_3gpuE7ELNS1_3repE0EEENS1_30default_config_static_selectorELNS0_4arch9wavefront6targetE0EEEvSW_.has_dyn_sized_stack, 0
	.set _ZN7rocprim17ROCPRIM_400000_NS6detail17trampoline_kernelINS0_14default_configENS1_27lower_bound_config_selectorIxlEEZNS1_14transform_implILb0ES3_S5_N6thrust23THRUST_200600_302600_NS6detail15normal_iteratorINS8_7pointerIxNS8_11hip_rocprim5par_tENS8_11use_defaultESE_EEEENSA_INSB_IlSD_SE_SE_EEEEZNS1_13binary_searchIS3_S5_PxSG_SI_NS1_21lower_bound_search_opENS9_16wrapped_functionINS8_6system6detail7generic6detail18binary_search_lessEbEEEE10hipError_tPvRmT1_T2_T3_mmT4_T5_P12ihipStream_tbEUlRKxE_EEST_SX_SY_mSZ_S12_bEUlT_E_NS1_11comp_targetILNS1_3genE3ELNS1_11target_archE908ELNS1_3gpuE7ELNS1_3repE0EEENS1_30default_config_static_selectorELNS0_4arch9wavefront6targetE0EEEvSW_.has_recursion, 0
	.set _ZN7rocprim17ROCPRIM_400000_NS6detail17trampoline_kernelINS0_14default_configENS1_27lower_bound_config_selectorIxlEEZNS1_14transform_implILb0ES3_S5_N6thrust23THRUST_200600_302600_NS6detail15normal_iteratorINS8_7pointerIxNS8_11hip_rocprim5par_tENS8_11use_defaultESE_EEEENSA_INSB_IlSD_SE_SE_EEEEZNS1_13binary_searchIS3_S5_PxSG_SI_NS1_21lower_bound_search_opENS9_16wrapped_functionINS8_6system6detail7generic6detail18binary_search_lessEbEEEE10hipError_tPvRmT1_T2_T3_mmT4_T5_P12ihipStream_tbEUlRKxE_EEST_SX_SY_mSZ_S12_bEUlT_E_NS1_11comp_targetILNS1_3genE3ELNS1_11target_archE908ELNS1_3gpuE7ELNS1_3repE0EEENS1_30default_config_static_selectorELNS0_4arch9wavefront6targetE0EEEvSW_.has_indirect_call, 0
	.section	.AMDGPU.csdata,"",@progbits
; Kernel info:
; codeLenInByte = 0
; TotalNumSgprs: 0
; NumVgprs: 0
; ScratchSize: 0
; MemoryBound: 0
; FloatMode: 240
; IeeeMode: 1
; LDSByteSize: 0 bytes/workgroup (compile time only)
; SGPRBlocks: 0
; VGPRBlocks: 0
; NumSGPRsForWavesPerEU: 1
; NumVGPRsForWavesPerEU: 1
; Occupancy: 16
; WaveLimiterHint : 0
; COMPUTE_PGM_RSRC2:SCRATCH_EN: 0
; COMPUTE_PGM_RSRC2:USER_SGPR: 6
; COMPUTE_PGM_RSRC2:TRAP_HANDLER: 0
; COMPUTE_PGM_RSRC2:TGID_X_EN: 1
; COMPUTE_PGM_RSRC2:TGID_Y_EN: 0
; COMPUTE_PGM_RSRC2:TGID_Z_EN: 0
; COMPUTE_PGM_RSRC2:TIDIG_COMP_CNT: 0
	.section	.text._ZN7rocprim17ROCPRIM_400000_NS6detail17trampoline_kernelINS0_14default_configENS1_27lower_bound_config_selectorIxlEEZNS1_14transform_implILb0ES3_S5_N6thrust23THRUST_200600_302600_NS6detail15normal_iteratorINS8_7pointerIxNS8_11hip_rocprim5par_tENS8_11use_defaultESE_EEEENSA_INSB_IlSD_SE_SE_EEEEZNS1_13binary_searchIS3_S5_PxSG_SI_NS1_21lower_bound_search_opENS9_16wrapped_functionINS8_6system6detail7generic6detail18binary_search_lessEbEEEE10hipError_tPvRmT1_T2_T3_mmT4_T5_P12ihipStream_tbEUlRKxE_EEST_SX_SY_mSZ_S12_bEUlT_E_NS1_11comp_targetILNS1_3genE2ELNS1_11target_archE906ELNS1_3gpuE6ELNS1_3repE0EEENS1_30default_config_static_selectorELNS0_4arch9wavefront6targetE0EEEvSW_,"axG",@progbits,_ZN7rocprim17ROCPRIM_400000_NS6detail17trampoline_kernelINS0_14default_configENS1_27lower_bound_config_selectorIxlEEZNS1_14transform_implILb0ES3_S5_N6thrust23THRUST_200600_302600_NS6detail15normal_iteratorINS8_7pointerIxNS8_11hip_rocprim5par_tENS8_11use_defaultESE_EEEENSA_INSB_IlSD_SE_SE_EEEEZNS1_13binary_searchIS3_S5_PxSG_SI_NS1_21lower_bound_search_opENS9_16wrapped_functionINS8_6system6detail7generic6detail18binary_search_lessEbEEEE10hipError_tPvRmT1_T2_T3_mmT4_T5_P12ihipStream_tbEUlRKxE_EEST_SX_SY_mSZ_S12_bEUlT_E_NS1_11comp_targetILNS1_3genE2ELNS1_11target_archE906ELNS1_3gpuE6ELNS1_3repE0EEENS1_30default_config_static_selectorELNS0_4arch9wavefront6targetE0EEEvSW_,comdat
	.protected	_ZN7rocprim17ROCPRIM_400000_NS6detail17trampoline_kernelINS0_14default_configENS1_27lower_bound_config_selectorIxlEEZNS1_14transform_implILb0ES3_S5_N6thrust23THRUST_200600_302600_NS6detail15normal_iteratorINS8_7pointerIxNS8_11hip_rocprim5par_tENS8_11use_defaultESE_EEEENSA_INSB_IlSD_SE_SE_EEEEZNS1_13binary_searchIS3_S5_PxSG_SI_NS1_21lower_bound_search_opENS9_16wrapped_functionINS8_6system6detail7generic6detail18binary_search_lessEbEEEE10hipError_tPvRmT1_T2_T3_mmT4_T5_P12ihipStream_tbEUlRKxE_EEST_SX_SY_mSZ_S12_bEUlT_E_NS1_11comp_targetILNS1_3genE2ELNS1_11target_archE906ELNS1_3gpuE6ELNS1_3repE0EEENS1_30default_config_static_selectorELNS0_4arch9wavefront6targetE0EEEvSW_ ; -- Begin function _ZN7rocprim17ROCPRIM_400000_NS6detail17trampoline_kernelINS0_14default_configENS1_27lower_bound_config_selectorIxlEEZNS1_14transform_implILb0ES3_S5_N6thrust23THRUST_200600_302600_NS6detail15normal_iteratorINS8_7pointerIxNS8_11hip_rocprim5par_tENS8_11use_defaultESE_EEEENSA_INSB_IlSD_SE_SE_EEEEZNS1_13binary_searchIS3_S5_PxSG_SI_NS1_21lower_bound_search_opENS9_16wrapped_functionINS8_6system6detail7generic6detail18binary_search_lessEbEEEE10hipError_tPvRmT1_T2_T3_mmT4_T5_P12ihipStream_tbEUlRKxE_EEST_SX_SY_mSZ_S12_bEUlT_E_NS1_11comp_targetILNS1_3genE2ELNS1_11target_archE906ELNS1_3gpuE6ELNS1_3repE0EEENS1_30default_config_static_selectorELNS0_4arch9wavefront6targetE0EEEvSW_
	.globl	_ZN7rocprim17ROCPRIM_400000_NS6detail17trampoline_kernelINS0_14default_configENS1_27lower_bound_config_selectorIxlEEZNS1_14transform_implILb0ES3_S5_N6thrust23THRUST_200600_302600_NS6detail15normal_iteratorINS8_7pointerIxNS8_11hip_rocprim5par_tENS8_11use_defaultESE_EEEENSA_INSB_IlSD_SE_SE_EEEEZNS1_13binary_searchIS3_S5_PxSG_SI_NS1_21lower_bound_search_opENS9_16wrapped_functionINS8_6system6detail7generic6detail18binary_search_lessEbEEEE10hipError_tPvRmT1_T2_T3_mmT4_T5_P12ihipStream_tbEUlRKxE_EEST_SX_SY_mSZ_S12_bEUlT_E_NS1_11comp_targetILNS1_3genE2ELNS1_11target_archE906ELNS1_3gpuE6ELNS1_3repE0EEENS1_30default_config_static_selectorELNS0_4arch9wavefront6targetE0EEEvSW_
	.p2align	8
	.type	_ZN7rocprim17ROCPRIM_400000_NS6detail17trampoline_kernelINS0_14default_configENS1_27lower_bound_config_selectorIxlEEZNS1_14transform_implILb0ES3_S5_N6thrust23THRUST_200600_302600_NS6detail15normal_iteratorINS8_7pointerIxNS8_11hip_rocprim5par_tENS8_11use_defaultESE_EEEENSA_INSB_IlSD_SE_SE_EEEEZNS1_13binary_searchIS3_S5_PxSG_SI_NS1_21lower_bound_search_opENS9_16wrapped_functionINS8_6system6detail7generic6detail18binary_search_lessEbEEEE10hipError_tPvRmT1_T2_T3_mmT4_T5_P12ihipStream_tbEUlRKxE_EEST_SX_SY_mSZ_S12_bEUlT_E_NS1_11comp_targetILNS1_3genE2ELNS1_11target_archE906ELNS1_3gpuE6ELNS1_3repE0EEENS1_30default_config_static_selectorELNS0_4arch9wavefront6targetE0EEEvSW_,@function
_ZN7rocprim17ROCPRIM_400000_NS6detail17trampoline_kernelINS0_14default_configENS1_27lower_bound_config_selectorIxlEEZNS1_14transform_implILb0ES3_S5_N6thrust23THRUST_200600_302600_NS6detail15normal_iteratorINS8_7pointerIxNS8_11hip_rocprim5par_tENS8_11use_defaultESE_EEEENSA_INSB_IlSD_SE_SE_EEEEZNS1_13binary_searchIS3_S5_PxSG_SI_NS1_21lower_bound_search_opENS9_16wrapped_functionINS8_6system6detail7generic6detail18binary_search_lessEbEEEE10hipError_tPvRmT1_T2_T3_mmT4_T5_P12ihipStream_tbEUlRKxE_EEST_SX_SY_mSZ_S12_bEUlT_E_NS1_11comp_targetILNS1_3genE2ELNS1_11target_archE906ELNS1_3gpuE6ELNS1_3repE0EEENS1_30default_config_static_selectorELNS0_4arch9wavefront6targetE0EEEvSW_: ; @_ZN7rocprim17ROCPRIM_400000_NS6detail17trampoline_kernelINS0_14default_configENS1_27lower_bound_config_selectorIxlEEZNS1_14transform_implILb0ES3_S5_N6thrust23THRUST_200600_302600_NS6detail15normal_iteratorINS8_7pointerIxNS8_11hip_rocprim5par_tENS8_11use_defaultESE_EEEENSA_INSB_IlSD_SE_SE_EEEEZNS1_13binary_searchIS3_S5_PxSG_SI_NS1_21lower_bound_search_opENS9_16wrapped_functionINS8_6system6detail7generic6detail18binary_search_lessEbEEEE10hipError_tPvRmT1_T2_T3_mmT4_T5_P12ihipStream_tbEUlRKxE_EEST_SX_SY_mSZ_S12_bEUlT_E_NS1_11comp_targetILNS1_3genE2ELNS1_11target_archE906ELNS1_3gpuE6ELNS1_3repE0EEENS1_30default_config_static_selectorELNS0_4arch9wavefront6targetE0EEEvSW_
; %bb.0:
	.section	.rodata,"a",@progbits
	.p2align	6, 0x0
	.amdhsa_kernel _ZN7rocprim17ROCPRIM_400000_NS6detail17trampoline_kernelINS0_14default_configENS1_27lower_bound_config_selectorIxlEEZNS1_14transform_implILb0ES3_S5_N6thrust23THRUST_200600_302600_NS6detail15normal_iteratorINS8_7pointerIxNS8_11hip_rocprim5par_tENS8_11use_defaultESE_EEEENSA_INSB_IlSD_SE_SE_EEEEZNS1_13binary_searchIS3_S5_PxSG_SI_NS1_21lower_bound_search_opENS9_16wrapped_functionINS8_6system6detail7generic6detail18binary_search_lessEbEEEE10hipError_tPvRmT1_T2_T3_mmT4_T5_P12ihipStream_tbEUlRKxE_EEST_SX_SY_mSZ_S12_bEUlT_E_NS1_11comp_targetILNS1_3genE2ELNS1_11target_archE906ELNS1_3gpuE6ELNS1_3repE0EEENS1_30default_config_static_selectorELNS0_4arch9wavefront6targetE0EEEvSW_
		.amdhsa_group_segment_fixed_size 0
		.amdhsa_private_segment_fixed_size 0
		.amdhsa_kernarg_size 56
		.amdhsa_user_sgpr_count 6
		.amdhsa_user_sgpr_private_segment_buffer 1
		.amdhsa_user_sgpr_dispatch_ptr 0
		.amdhsa_user_sgpr_queue_ptr 0
		.amdhsa_user_sgpr_kernarg_segment_ptr 1
		.amdhsa_user_sgpr_dispatch_id 0
		.amdhsa_user_sgpr_flat_scratch_init 0
		.amdhsa_user_sgpr_private_segment_size 0
		.amdhsa_wavefront_size32 1
		.amdhsa_uses_dynamic_stack 0
		.amdhsa_system_sgpr_private_segment_wavefront_offset 0
		.amdhsa_system_sgpr_workgroup_id_x 1
		.amdhsa_system_sgpr_workgroup_id_y 0
		.amdhsa_system_sgpr_workgroup_id_z 0
		.amdhsa_system_sgpr_workgroup_info 0
		.amdhsa_system_vgpr_workitem_id 0
		.amdhsa_next_free_vgpr 1
		.amdhsa_next_free_sgpr 1
		.amdhsa_reserve_vcc 0
		.amdhsa_reserve_flat_scratch 0
		.amdhsa_float_round_mode_32 0
		.amdhsa_float_round_mode_16_64 0
		.amdhsa_float_denorm_mode_32 3
		.amdhsa_float_denorm_mode_16_64 3
		.amdhsa_dx10_clamp 1
		.amdhsa_ieee_mode 1
		.amdhsa_fp16_overflow 0
		.amdhsa_workgroup_processor_mode 1
		.amdhsa_memory_ordered 1
		.amdhsa_forward_progress 1
		.amdhsa_shared_vgpr_count 0
		.amdhsa_exception_fp_ieee_invalid_op 0
		.amdhsa_exception_fp_denorm_src 0
		.amdhsa_exception_fp_ieee_div_zero 0
		.amdhsa_exception_fp_ieee_overflow 0
		.amdhsa_exception_fp_ieee_underflow 0
		.amdhsa_exception_fp_ieee_inexact 0
		.amdhsa_exception_int_div_zero 0
	.end_amdhsa_kernel
	.section	.text._ZN7rocprim17ROCPRIM_400000_NS6detail17trampoline_kernelINS0_14default_configENS1_27lower_bound_config_selectorIxlEEZNS1_14transform_implILb0ES3_S5_N6thrust23THRUST_200600_302600_NS6detail15normal_iteratorINS8_7pointerIxNS8_11hip_rocprim5par_tENS8_11use_defaultESE_EEEENSA_INSB_IlSD_SE_SE_EEEEZNS1_13binary_searchIS3_S5_PxSG_SI_NS1_21lower_bound_search_opENS9_16wrapped_functionINS8_6system6detail7generic6detail18binary_search_lessEbEEEE10hipError_tPvRmT1_T2_T3_mmT4_T5_P12ihipStream_tbEUlRKxE_EEST_SX_SY_mSZ_S12_bEUlT_E_NS1_11comp_targetILNS1_3genE2ELNS1_11target_archE906ELNS1_3gpuE6ELNS1_3repE0EEENS1_30default_config_static_selectorELNS0_4arch9wavefront6targetE0EEEvSW_,"axG",@progbits,_ZN7rocprim17ROCPRIM_400000_NS6detail17trampoline_kernelINS0_14default_configENS1_27lower_bound_config_selectorIxlEEZNS1_14transform_implILb0ES3_S5_N6thrust23THRUST_200600_302600_NS6detail15normal_iteratorINS8_7pointerIxNS8_11hip_rocprim5par_tENS8_11use_defaultESE_EEEENSA_INSB_IlSD_SE_SE_EEEEZNS1_13binary_searchIS3_S5_PxSG_SI_NS1_21lower_bound_search_opENS9_16wrapped_functionINS8_6system6detail7generic6detail18binary_search_lessEbEEEE10hipError_tPvRmT1_T2_T3_mmT4_T5_P12ihipStream_tbEUlRKxE_EEST_SX_SY_mSZ_S12_bEUlT_E_NS1_11comp_targetILNS1_3genE2ELNS1_11target_archE906ELNS1_3gpuE6ELNS1_3repE0EEENS1_30default_config_static_selectorELNS0_4arch9wavefront6targetE0EEEvSW_,comdat
.Lfunc_end117:
	.size	_ZN7rocprim17ROCPRIM_400000_NS6detail17trampoline_kernelINS0_14default_configENS1_27lower_bound_config_selectorIxlEEZNS1_14transform_implILb0ES3_S5_N6thrust23THRUST_200600_302600_NS6detail15normal_iteratorINS8_7pointerIxNS8_11hip_rocprim5par_tENS8_11use_defaultESE_EEEENSA_INSB_IlSD_SE_SE_EEEEZNS1_13binary_searchIS3_S5_PxSG_SI_NS1_21lower_bound_search_opENS9_16wrapped_functionINS8_6system6detail7generic6detail18binary_search_lessEbEEEE10hipError_tPvRmT1_T2_T3_mmT4_T5_P12ihipStream_tbEUlRKxE_EEST_SX_SY_mSZ_S12_bEUlT_E_NS1_11comp_targetILNS1_3genE2ELNS1_11target_archE906ELNS1_3gpuE6ELNS1_3repE0EEENS1_30default_config_static_selectorELNS0_4arch9wavefront6targetE0EEEvSW_, .Lfunc_end117-_ZN7rocprim17ROCPRIM_400000_NS6detail17trampoline_kernelINS0_14default_configENS1_27lower_bound_config_selectorIxlEEZNS1_14transform_implILb0ES3_S5_N6thrust23THRUST_200600_302600_NS6detail15normal_iteratorINS8_7pointerIxNS8_11hip_rocprim5par_tENS8_11use_defaultESE_EEEENSA_INSB_IlSD_SE_SE_EEEEZNS1_13binary_searchIS3_S5_PxSG_SI_NS1_21lower_bound_search_opENS9_16wrapped_functionINS8_6system6detail7generic6detail18binary_search_lessEbEEEE10hipError_tPvRmT1_T2_T3_mmT4_T5_P12ihipStream_tbEUlRKxE_EEST_SX_SY_mSZ_S12_bEUlT_E_NS1_11comp_targetILNS1_3genE2ELNS1_11target_archE906ELNS1_3gpuE6ELNS1_3repE0EEENS1_30default_config_static_selectorELNS0_4arch9wavefront6targetE0EEEvSW_
                                        ; -- End function
	.set _ZN7rocprim17ROCPRIM_400000_NS6detail17trampoline_kernelINS0_14default_configENS1_27lower_bound_config_selectorIxlEEZNS1_14transform_implILb0ES3_S5_N6thrust23THRUST_200600_302600_NS6detail15normal_iteratorINS8_7pointerIxNS8_11hip_rocprim5par_tENS8_11use_defaultESE_EEEENSA_INSB_IlSD_SE_SE_EEEEZNS1_13binary_searchIS3_S5_PxSG_SI_NS1_21lower_bound_search_opENS9_16wrapped_functionINS8_6system6detail7generic6detail18binary_search_lessEbEEEE10hipError_tPvRmT1_T2_T3_mmT4_T5_P12ihipStream_tbEUlRKxE_EEST_SX_SY_mSZ_S12_bEUlT_E_NS1_11comp_targetILNS1_3genE2ELNS1_11target_archE906ELNS1_3gpuE6ELNS1_3repE0EEENS1_30default_config_static_selectorELNS0_4arch9wavefront6targetE0EEEvSW_.num_vgpr, 0
	.set _ZN7rocprim17ROCPRIM_400000_NS6detail17trampoline_kernelINS0_14default_configENS1_27lower_bound_config_selectorIxlEEZNS1_14transform_implILb0ES3_S5_N6thrust23THRUST_200600_302600_NS6detail15normal_iteratorINS8_7pointerIxNS8_11hip_rocprim5par_tENS8_11use_defaultESE_EEEENSA_INSB_IlSD_SE_SE_EEEEZNS1_13binary_searchIS3_S5_PxSG_SI_NS1_21lower_bound_search_opENS9_16wrapped_functionINS8_6system6detail7generic6detail18binary_search_lessEbEEEE10hipError_tPvRmT1_T2_T3_mmT4_T5_P12ihipStream_tbEUlRKxE_EEST_SX_SY_mSZ_S12_bEUlT_E_NS1_11comp_targetILNS1_3genE2ELNS1_11target_archE906ELNS1_3gpuE6ELNS1_3repE0EEENS1_30default_config_static_selectorELNS0_4arch9wavefront6targetE0EEEvSW_.num_agpr, 0
	.set _ZN7rocprim17ROCPRIM_400000_NS6detail17trampoline_kernelINS0_14default_configENS1_27lower_bound_config_selectorIxlEEZNS1_14transform_implILb0ES3_S5_N6thrust23THRUST_200600_302600_NS6detail15normal_iteratorINS8_7pointerIxNS8_11hip_rocprim5par_tENS8_11use_defaultESE_EEEENSA_INSB_IlSD_SE_SE_EEEEZNS1_13binary_searchIS3_S5_PxSG_SI_NS1_21lower_bound_search_opENS9_16wrapped_functionINS8_6system6detail7generic6detail18binary_search_lessEbEEEE10hipError_tPvRmT1_T2_T3_mmT4_T5_P12ihipStream_tbEUlRKxE_EEST_SX_SY_mSZ_S12_bEUlT_E_NS1_11comp_targetILNS1_3genE2ELNS1_11target_archE906ELNS1_3gpuE6ELNS1_3repE0EEENS1_30default_config_static_selectorELNS0_4arch9wavefront6targetE0EEEvSW_.numbered_sgpr, 0
	.set _ZN7rocprim17ROCPRIM_400000_NS6detail17trampoline_kernelINS0_14default_configENS1_27lower_bound_config_selectorIxlEEZNS1_14transform_implILb0ES3_S5_N6thrust23THRUST_200600_302600_NS6detail15normal_iteratorINS8_7pointerIxNS8_11hip_rocprim5par_tENS8_11use_defaultESE_EEEENSA_INSB_IlSD_SE_SE_EEEEZNS1_13binary_searchIS3_S5_PxSG_SI_NS1_21lower_bound_search_opENS9_16wrapped_functionINS8_6system6detail7generic6detail18binary_search_lessEbEEEE10hipError_tPvRmT1_T2_T3_mmT4_T5_P12ihipStream_tbEUlRKxE_EEST_SX_SY_mSZ_S12_bEUlT_E_NS1_11comp_targetILNS1_3genE2ELNS1_11target_archE906ELNS1_3gpuE6ELNS1_3repE0EEENS1_30default_config_static_selectorELNS0_4arch9wavefront6targetE0EEEvSW_.num_named_barrier, 0
	.set _ZN7rocprim17ROCPRIM_400000_NS6detail17trampoline_kernelINS0_14default_configENS1_27lower_bound_config_selectorIxlEEZNS1_14transform_implILb0ES3_S5_N6thrust23THRUST_200600_302600_NS6detail15normal_iteratorINS8_7pointerIxNS8_11hip_rocprim5par_tENS8_11use_defaultESE_EEEENSA_INSB_IlSD_SE_SE_EEEEZNS1_13binary_searchIS3_S5_PxSG_SI_NS1_21lower_bound_search_opENS9_16wrapped_functionINS8_6system6detail7generic6detail18binary_search_lessEbEEEE10hipError_tPvRmT1_T2_T3_mmT4_T5_P12ihipStream_tbEUlRKxE_EEST_SX_SY_mSZ_S12_bEUlT_E_NS1_11comp_targetILNS1_3genE2ELNS1_11target_archE906ELNS1_3gpuE6ELNS1_3repE0EEENS1_30default_config_static_selectorELNS0_4arch9wavefront6targetE0EEEvSW_.private_seg_size, 0
	.set _ZN7rocprim17ROCPRIM_400000_NS6detail17trampoline_kernelINS0_14default_configENS1_27lower_bound_config_selectorIxlEEZNS1_14transform_implILb0ES3_S5_N6thrust23THRUST_200600_302600_NS6detail15normal_iteratorINS8_7pointerIxNS8_11hip_rocprim5par_tENS8_11use_defaultESE_EEEENSA_INSB_IlSD_SE_SE_EEEEZNS1_13binary_searchIS3_S5_PxSG_SI_NS1_21lower_bound_search_opENS9_16wrapped_functionINS8_6system6detail7generic6detail18binary_search_lessEbEEEE10hipError_tPvRmT1_T2_T3_mmT4_T5_P12ihipStream_tbEUlRKxE_EEST_SX_SY_mSZ_S12_bEUlT_E_NS1_11comp_targetILNS1_3genE2ELNS1_11target_archE906ELNS1_3gpuE6ELNS1_3repE0EEENS1_30default_config_static_selectorELNS0_4arch9wavefront6targetE0EEEvSW_.uses_vcc, 0
	.set _ZN7rocprim17ROCPRIM_400000_NS6detail17trampoline_kernelINS0_14default_configENS1_27lower_bound_config_selectorIxlEEZNS1_14transform_implILb0ES3_S5_N6thrust23THRUST_200600_302600_NS6detail15normal_iteratorINS8_7pointerIxNS8_11hip_rocprim5par_tENS8_11use_defaultESE_EEEENSA_INSB_IlSD_SE_SE_EEEEZNS1_13binary_searchIS3_S5_PxSG_SI_NS1_21lower_bound_search_opENS9_16wrapped_functionINS8_6system6detail7generic6detail18binary_search_lessEbEEEE10hipError_tPvRmT1_T2_T3_mmT4_T5_P12ihipStream_tbEUlRKxE_EEST_SX_SY_mSZ_S12_bEUlT_E_NS1_11comp_targetILNS1_3genE2ELNS1_11target_archE906ELNS1_3gpuE6ELNS1_3repE0EEENS1_30default_config_static_selectorELNS0_4arch9wavefront6targetE0EEEvSW_.uses_flat_scratch, 0
	.set _ZN7rocprim17ROCPRIM_400000_NS6detail17trampoline_kernelINS0_14default_configENS1_27lower_bound_config_selectorIxlEEZNS1_14transform_implILb0ES3_S5_N6thrust23THRUST_200600_302600_NS6detail15normal_iteratorINS8_7pointerIxNS8_11hip_rocprim5par_tENS8_11use_defaultESE_EEEENSA_INSB_IlSD_SE_SE_EEEEZNS1_13binary_searchIS3_S5_PxSG_SI_NS1_21lower_bound_search_opENS9_16wrapped_functionINS8_6system6detail7generic6detail18binary_search_lessEbEEEE10hipError_tPvRmT1_T2_T3_mmT4_T5_P12ihipStream_tbEUlRKxE_EEST_SX_SY_mSZ_S12_bEUlT_E_NS1_11comp_targetILNS1_3genE2ELNS1_11target_archE906ELNS1_3gpuE6ELNS1_3repE0EEENS1_30default_config_static_selectorELNS0_4arch9wavefront6targetE0EEEvSW_.has_dyn_sized_stack, 0
	.set _ZN7rocprim17ROCPRIM_400000_NS6detail17trampoline_kernelINS0_14default_configENS1_27lower_bound_config_selectorIxlEEZNS1_14transform_implILb0ES3_S5_N6thrust23THRUST_200600_302600_NS6detail15normal_iteratorINS8_7pointerIxNS8_11hip_rocprim5par_tENS8_11use_defaultESE_EEEENSA_INSB_IlSD_SE_SE_EEEEZNS1_13binary_searchIS3_S5_PxSG_SI_NS1_21lower_bound_search_opENS9_16wrapped_functionINS8_6system6detail7generic6detail18binary_search_lessEbEEEE10hipError_tPvRmT1_T2_T3_mmT4_T5_P12ihipStream_tbEUlRKxE_EEST_SX_SY_mSZ_S12_bEUlT_E_NS1_11comp_targetILNS1_3genE2ELNS1_11target_archE906ELNS1_3gpuE6ELNS1_3repE0EEENS1_30default_config_static_selectorELNS0_4arch9wavefront6targetE0EEEvSW_.has_recursion, 0
	.set _ZN7rocprim17ROCPRIM_400000_NS6detail17trampoline_kernelINS0_14default_configENS1_27lower_bound_config_selectorIxlEEZNS1_14transform_implILb0ES3_S5_N6thrust23THRUST_200600_302600_NS6detail15normal_iteratorINS8_7pointerIxNS8_11hip_rocprim5par_tENS8_11use_defaultESE_EEEENSA_INSB_IlSD_SE_SE_EEEEZNS1_13binary_searchIS3_S5_PxSG_SI_NS1_21lower_bound_search_opENS9_16wrapped_functionINS8_6system6detail7generic6detail18binary_search_lessEbEEEE10hipError_tPvRmT1_T2_T3_mmT4_T5_P12ihipStream_tbEUlRKxE_EEST_SX_SY_mSZ_S12_bEUlT_E_NS1_11comp_targetILNS1_3genE2ELNS1_11target_archE906ELNS1_3gpuE6ELNS1_3repE0EEENS1_30default_config_static_selectorELNS0_4arch9wavefront6targetE0EEEvSW_.has_indirect_call, 0
	.section	.AMDGPU.csdata,"",@progbits
; Kernel info:
; codeLenInByte = 0
; TotalNumSgprs: 0
; NumVgprs: 0
; ScratchSize: 0
; MemoryBound: 0
; FloatMode: 240
; IeeeMode: 1
; LDSByteSize: 0 bytes/workgroup (compile time only)
; SGPRBlocks: 0
; VGPRBlocks: 0
; NumSGPRsForWavesPerEU: 1
; NumVGPRsForWavesPerEU: 1
; Occupancy: 16
; WaveLimiterHint : 0
; COMPUTE_PGM_RSRC2:SCRATCH_EN: 0
; COMPUTE_PGM_RSRC2:USER_SGPR: 6
; COMPUTE_PGM_RSRC2:TRAP_HANDLER: 0
; COMPUTE_PGM_RSRC2:TGID_X_EN: 1
; COMPUTE_PGM_RSRC2:TGID_Y_EN: 0
; COMPUTE_PGM_RSRC2:TGID_Z_EN: 0
; COMPUTE_PGM_RSRC2:TIDIG_COMP_CNT: 0
	.section	.text._ZN7rocprim17ROCPRIM_400000_NS6detail17trampoline_kernelINS0_14default_configENS1_27lower_bound_config_selectorIxlEEZNS1_14transform_implILb0ES3_S5_N6thrust23THRUST_200600_302600_NS6detail15normal_iteratorINS8_7pointerIxNS8_11hip_rocprim5par_tENS8_11use_defaultESE_EEEENSA_INSB_IlSD_SE_SE_EEEEZNS1_13binary_searchIS3_S5_PxSG_SI_NS1_21lower_bound_search_opENS9_16wrapped_functionINS8_6system6detail7generic6detail18binary_search_lessEbEEEE10hipError_tPvRmT1_T2_T3_mmT4_T5_P12ihipStream_tbEUlRKxE_EEST_SX_SY_mSZ_S12_bEUlT_E_NS1_11comp_targetILNS1_3genE10ELNS1_11target_archE1201ELNS1_3gpuE5ELNS1_3repE0EEENS1_30default_config_static_selectorELNS0_4arch9wavefront6targetE0EEEvSW_,"axG",@progbits,_ZN7rocprim17ROCPRIM_400000_NS6detail17trampoline_kernelINS0_14default_configENS1_27lower_bound_config_selectorIxlEEZNS1_14transform_implILb0ES3_S5_N6thrust23THRUST_200600_302600_NS6detail15normal_iteratorINS8_7pointerIxNS8_11hip_rocprim5par_tENS8_11use_defaultESE_EEEENSA_INSB_IlSD_SE_SE_EEEEZNS1_13binary_searchIS3_S5_PxSG_SI_NS1_21lower_bound_search_opENS9_16wrapped_functionINS8_6system6detail7generic6detail18binary_search_lessEbEEEE10hipError_tPvRmT1_T2_T3_mmT4_T5_P12ihipStream_tbEUlRKxE_EEST_SX_SY_mSZ_S12_bEUlT_E_NS1_11comp_targetILNS1_3genE10ELNS1_11target_archE1201ELNS1_3gpuE5ELNS1_3repE0EEENS1_30default_config_static_selectorELNS0_4arch9wavefront6targetE0EEEvSW_,comdat
	.protected	_ZN7rocprim17ROCPRIM_400000_NS6detail17trampoline_kernelINS0_14default_configENS1_27lower_bound_config_selectorIxlEEZNS1_14transform_implILb0ES3_S5_N6thrust23THRUST_200600_302600_NS6detail15normal_iteratorINS8_7pointerIxNS8_11hip_rocprim5par_tENS8_11use_defaultESE_EEEENSA_INSB_IlSD_SE_SE_EEEEZNS1_13binary_searchIS3_S5_PxSG_SI_NS1_21lower_bound_search_opENS9_16wrapped_functionINS8_6system6detail7generic6detail18binary_search_lessEbEEEE10hipError_tPvRmT1_T2_T3_mmT4_T5_P12ihipStream_tbEUlRKxE_EEST_SX_SY_mSZ_S12_bEUlT_E_NS1_11comp_targetILNS1_3genE10ELNS1_11target_archE1201ELNS1_3gpuE5ELNS1_3repE0EEENS1_30default_config_static_selectorELNS0_4arch9wavefront6targetE0EEEvSW_ ; -- Begin function _ZN7rocprim17ROCPRIM_400000_NS6detail17trampoline_kernelINS0_14default_configENS1_27lower_bound_config_selectorIxlEEZNS1_14transform_implILb0ES3_S5_N6thrust23THRUST_200600_302600_NS6detail15normal_iteratorINS8_7pointerIxNS8_11hip_rocprim5par_tENS8_11use_defaultESE_EEEENSA_INSB_IlSD_SE_SE_EEEEZNS1_13binary_searchIS3_S5_PxSG_SI_NS1_21lower_bound_search_opENS9_16wrapped_functionINS8_6system6detail7generic6detail18binary_search_lessEbEEEE10hipError_tPvRmT1_T2_T3_mmT4_T5_P12ihipStream_tbEUlRKxE_EEST_SX_SY_mSZ_S12_bEUlT_E_NS1_11comp_targetILNS1_3genE10ELNS1_11target_archE1201ELNS1_3gpuE5ELNS1_3repE0EEENS1_30default_config_static_selectorELNS0_4arch9wavefront6targetE0EEEvSW_
	.globl	_ZN7rocprim17ROCPRIM_400000_NS6detail17trampoline_kernelINS0_14default_configENS1_27lower_bound_config_selectorIxlEEZNS1_14transform_implILb0ES3_S5_N6thrust23THRUST_200600_302600_NS6detail15normal_iteratorINS8_7pointerIxNS8_11hip_rocprim5par_tENS8_11use_defaultESE_EEEENSA_INSB_IlSD_SE_SE_EEEEZNS1_13binary_searchIS3_S5_PxSG_SI_NS1_21lower_bound_search_opENS9_16wrapped_functionINS8_6system6detail7generic6detail18binary_search_lessEbEEEE10hipError_tPvRmT1_T2_T3_mmT4_T5_P12ihipStream_tbEUlRKxE_EEST_SX_SY_mSZ_S12_bEUlT_E_NS1_11comp_targetILNS1_3genE10ELNS1_11target_archE1201ELNS1_3gpuE5ELNS1_3repE0EEENS1_30default_config_static_selectorELNS0_4arch9wavefront6targetE0EEEvSW_
	.p2align	8
	.type	_ZN7rocprim17ROCPRIM_400000_NS6detail17trampoline_kernelINS0_14default_configENS1_27lower_bound_config_selectorIxlEEZNS1_14transform_implILb0ES3_S5_N6thrust23THRUST_200600_302600_NS6detail15normal_iteratorINS8_7pointerIxNS8_11hip_rocprim5par_tENS8_11use_defaultESE_EEEENSA_INSB_IlSD_SE_SE_EEEEZNS1_13binary_searchIS3_S5_PxSG_SI_NS1_21lower_bound_search_opENS9_16wrapped_functionINS8_6system6detail7generic6detail18binary_search_lessEbEEEE10hipError_tPvRmT1_T2_T3_mmT4_T5_P12ihipStream_tbEUlRKxE_EEST_SX_SY_mSZ_S12_bEUlT_E_NS1_11comp_targetILNS1_3genE10ELNS1_11target_archE1201ELNS1_3gpuE5ELNS1_3repE0EEENS1_30default_config_static_selectorELNS0_4arch9wavefront6targetE0EEEvSW_,@function
_ZN7rocprim17ROCPRIM_400000_NS6detail17trampoline_kernelINS0_14default_configENS1_27lower_bound_config_selectorIxlEEZNS1_14transform_implILb0ES3_S5_N6thrust23THRUST_200600_302600_NS6detail15normal_iteratorINS8_7pointerIxNS8_11hip_rocprim5par_tENS8_11use_defaultESE_EEEENSA_INSB_IlSD_SE_SE_EEEEZNS1_13binary_searchIS3_S5_PxSG_SI_NS1_21lower_bound_search_opENS9_16wrapped_functionINS8_6system6detail7generic6detail18binary_search_lessEbEEEE10hipError_tPvRmT1_T2_T3_mmT4_T5_P12ihipStream_tbEUlRKxE_EEST_SX_SY_mSZ_S12_bEUlT_E_NS1_11comp_targetILNS1_3genE10ELNS1_11target_archE1201ELNS1_3gpuE5ELNS1_3repE0EEENS1_30default_config_static_selectorELNS0_4arch9wavefront6targetE0EEEvSW_: ; @_ZN7rocprim17ROCPRIM_400000_NS6detail17trampoline_kernelINS0_14default_configENS1_27lower_bound_config_selectorIxlEEZNS1_14transform_implILb0ES3_S5_N6thrust23THRUST_200600_302600_NS6detail15normal_iteratorINS8_7pointerIxNS8_11hip_rocprim5par_tENS8_11use_defaultESE_EEEENSA_INSB_IlSD_SE_SE_EEEEZNS1_13binary_searchIS3_S5_PxSG_SI_NS1_21lower_bound_search_opENS9_16wrapped_functionINS8_6system6detail7generic6detail18binary_search_lessEbEEEE10hipError_tPvRmT1_T2_T3_mmT4_T5_P12ihipStream_tbEUlRKxE_EEST_SX_SY_mSZ_S12_bEUlT_E_NS1_11comp_targetILNS1_3genE10ELNS1_11target_archE1201ELNS1_3gpuE5ELNS1_3repE0EEENS1_30default_config_static_selectorELNS0_4arch9wavefront6targetE0EEEvSW_
; %bb.0:
	.section	.rodata,"a",@progbits
	.p2align	6, 0x0
	.amdhsa_kernel _ZN7rocprim17ROCPRIM_400000_NS6detail17trampoline_kernelINS0_14default_configENS1_27lower_bound_config_selectorIxlEEZNS1_14transform_implILb0ES3_S5_N6thrust23THRUST_200600_302600_NS6detail15normal_iteratorINS8_7pointerIxNS8_11hip_rocprim5par_tENS8_11use_defaultESE_EEEENSA_INSB_IlSD_SE_SE_EEEEZNS1_13binary_searchIS3_S5_PxSG_SI_NS1_21lower_bound_search_opENS9_16wrapped_functionINS8_6system6detail7generic6detail18binary_search_lessEbEEEE10hipError_tPvRmT1_T2_T3_mmT4_T5_P12ihipStream_tbEUlRKxE_EEST_SX_SY_mSZ_S12_bEUlT_E_NS1_11comp_targetILNS1_3genE10ELNS1_11target_archE1201ELNS1_3gpuE5ELNS1_3repE0EEENS1_30default_config_static_selectorELNS0_4arch9wavefront6targetE0EEEvSW_
		.amdhsa_group_segment_fixed_size 0
		.amdhsa_private_segment_fixed_size 0
		.amdhsa_kernarg_size 56
		.amdhsa_user_sgpr_count 6
		.amdhsa_user_sgpr_private_segment_buffer 1
		.amdhsa_user_sgpr_dispatch_ptr 0
		.amdhsa_user_sgpr_queue_ptr 0
		.amdhsa_user_sgpr_kernarg_segment_ptr 1
		.amdhsa_user_sgpr_dispatch_id 0
		.amdhsa_user_sgpr_flat_scratch_init 0
		.amdhsa_user_sgpr_private_segment_size 0
		.amdhsa_wavefront_size32 1
		.amdhsa_uses_dynamic_stack 0
		.amdhsa_system_sgpr_private_segment_wavefront_offset 0
		.amdhsa_system_sgpr_workgroup_id_x 1
		.amdhsa_system_sgpr_workgroup_id_y 0
		.amdhsa_system_sgpr_workgroup_id_z 0
		.amdhsa_system_sgpr_workgroup_info 0
		.amdhsa_system_vgpr_workitem_id 0
		.amdhsa_next_free_vgpr 1
		.amdhsa_next_free_sgpr 1
		.amdhsa_reserve_vcc 0
		.amdhsa_reserve_flat_scratch 0
		.amdhsa_float_round_mode_32 0
		.amdhsa_float_round_mode_16_64 0
		.amdhsa_float_denorm_mode_32 3
		.amdhsa_float_denorm_mode_16_64 3
		.amdhsa_dx10_clamp 1
		.amdhsa_ieee_mode 1
		.amdhsa_fp16_overflow 0
		.amdhsa_workgroup_processor_mode 1
		.amdhsa_memory_ordered 1
		.amdhsa_forward_progress 1
		.amdhsa_shared_vgpr_count 0
		.amdhsa_exception_fp_ieee_invalid_op 0
		.amdhsa_exception_fp_denorm_src 0
		.amdhsa_exception_fp_ieee_div_zero 0
		.amdhsa_exception_fp_ieee_overflow 0
		.amdhsa_exception_fp_ieee_underflow 0
		.amdhsa_exception_fp_ieee_inexact 0
		.amdhsa_exception_int_div_zero 0
	.end_amdhsa_kernel
	.section	.text._ZN7rocprim17ROCPRIM_400000_NS6detail17trampoline_kernelINS0_14default_configENS1_27lower_bound_config_selectorIxlEEZNS1_14transform_implILb0ES3_S5_N6thrust23THRUST_200600_302600_NS6detail15normal_iteratorINS8_7pointerIxNS8_11hip_rocprim5par_tENS8_11use_defaultESE_EEEENSA_INSB_IlSD_SE_SE_EEEEZNS1_13binary_searchIS3_S5_PxSG_SI_NS1_21lower_bound_search_opENS9_16wrapped_functionINS8_6system6detail7generic6detail18binary_search_lessEbEEEE10hipError_tPvRmT1_T2_T3_mmT4_T5_P12ihipStream_tbEUlRKxE_EEST_SX_SY_mSZ_S12_bEUlT_E_NS1_11comp_targetILNS1_3genE10ELNS1_11target_archE1201ELNS1_3gpuE5ELNS1_3repE0EEENS1_30default_config_static_selectorELNS0_4arch9wavefront6targetE0EEEvSW_,"axG",@progbits,_ZN7rocprim17ROCPRIM_400000_NS6detail17trampoline_kernelINS0_14default_configENS1_27lower_bound_config_selectorIxlEEZNS1_14transform_implILb0ES3_S5_N6thrust23THRUST_200600_302600_NS6detail15normal_iteratorINS8_7pointerIxNS8_11hip_rocprim5par_tENS8_11use_defaultESE_EEEENSA_INSB_IlSD_SE_SE_EEEEZNS1_13binary_searchIS3_S5_PxSG_SI_NS1_21lower_bound_search_opENS9_16wrapped_functionINS8_6system6detail7generic6detail18binary_search_lessEbEEEE10hipError_tPvRmT1_T2_T3_mmT4_T5_P12ihipStream_tbEUlRKxE_EEST_SX_SY_mSZ_S12_bEUlT_E_NS1_11comp_targetILNS1_3genE10ELNS1_11target_archE1201ELNS1_3gpuE5ELNS1_3repE0EEENS1_30default_config_static_selectorELNS0_4arch9wavefront6targetE0EEEvSW_,comdat
.Lfunc_end118:
	.size	_ZN7rocprim17ROCPRIM_400000_NS6detail17trampoline_kernelINS0_14default_configENS1_27lower_bound_config_selectorIxlEEZNS1_14transform_implILb0ES3_S5_N6thrust23THRUST_200600_302600_NS6detail15normal_iteratorINS8_7pointerIxNS8_11hip_rocprim5par_tENS8_11use_defaultESE_EEEENSA_INSB_IlSD_SE_SE_EEEEZNS1_13binary_searchIS3_S5_PxSG_SI_NS1_21lower_bound_search_opENS9_16wrapped_functionINS8_6system6detail7generic6detail18binary_search_lessEbEEEE10hipError_tPvRmT1_T2_T3_mmT4_T5_P12ihipStream_tbEUlRKxE_EEST_SX_SY_mSZ_S12_bEUlT_E_NS1_11comp_targetILNS1_3genE10ELNS1_11target_archE1201ELNS1_3gpuE5ELNS1_3repE0EEENS1_30default_config_static_selectorELNS0_4arch9wavefront6targetE0EEEvSW_, .Lfunc_end118-_ZN7rocprim17ROCPRIM_400000_NS6detail17trampoline_kernelINS0_14default_configENS1_27lower_bound_config_selectorIxlEEZNS1_14transform_implILb0ES3_S5_N6thrust23THRUST_200600_302600_NS6detail15normal_iteratorINS8_7pointerIxNS8_11hip_rocprim5par_tENS8_11use_defaultESE_EEEENSA_INSB_IlSD_SE_SE_EEEEZNS1_13binary_searchIS3_S5_PxSG_SI_NS1_21lower_bound_search_opENS9_16wrapped_functionINS8_6system6detail7generic6detail18binary_search_lessEbEEEE10hipError_tPvRmT1_T2_T3_mmT4_T5_P12ihipStream_tbEUlRKxE_EEST_SX_SY_mSZ_S12_bEUlT_E_NS1_11comp_targetILNS1_3genE10ELNS1_11target_archE1201ELNS1_3gpuE5ELNS1_3repE0EEENS1_30default_config_static_selectorELNS0_4arch9wavefront6targetE0EEEvSW_
                                        ; -- End function
	.set _ZN7rocprim17ROCPRIM_400000_NS6detail17trampoline_kernelINS0_14default_configENS1_27lower_bound_config_selectorIxlEEZNS1_14transform_implILb0ES3_S5_N6thrust23THRUST_200600_302600_NS6detail15normal_iteratorINS8_7pointerIxNS8_11hip_rocprim5par_tENS8_11use_defaultESE_EEEENSA_INSB_IlSD_SE_SE_EEEEZNS1_13binary_searchIS3_S5_PxSG_SI_NS1_21lower_bound_search_opENS9_16wrapped_functionINS8_6system6detail7generic6detail18binary_search_lessEbEEEE10hipError_tPvRmT1_T2_T3_mmT4_T5_P12ihipStream_tbEUlRKxE_EEST_SX_SY_mSZ_S12_bEUlT_E_NS1_11comp_targetILNS1_3genE10ELNS1_11target_archE1201ELNS1_3gpuE5ELNS1_3repE0EEENS1_30default_config_static_selectorELNS0_4arch9wavefront6targetE0EEEvSW_.num_vgpr, 0
	.set _ZN7rocprim17ROCPRIM_400000_NS6detail17trampoline_kernelINS0_14default_configENS1_27lower_bound_config_selectorIxlEEZNS1_14transform_implILb0ES3_S5_N6thrust23THRUST_200600_302600_NS6detail15normal_iteratorINS8_7pointerIxNS8_11hip_rocprim5par_tENS8_11use_defaultESE_EEEENSA_INSB_IlSD_SE_SE_EEEEZNS1_13binary_searchIS3_S5_PxSG_SI_NS1_21lower_bound_search_opENS9_16wrapped_functionINS8_6system6detail7generic6detail18binary_search_lessEbEEEE10hipError_tPvRmT1_T2_T3_mmT4_T5_P12ihipStream_tbEUlRKxE_EEST_SX_SY_mSZ_S12_bEUlT_E_NS1_11comp_targetILNS1_3genE10ELNS1_11target_archE1201ELNS1_3gpuE5ELNS1_3repE0EEENS1_30default_config_static_selectorELNS0_4arch9wavefront6targetE0EEEvSW_.num_agpr, 0
	.set _ZN7rocprim17ROCPRIM_400000_NS6detail17trampoline_kernelINS0_14default_configENS1_27lower_bound_config_selectorIxlEEZNS1_14transform_implILb0ES3_S5_N6thrust23THRUST_200600_302600_NS6detail15normal_iteratorINS8_7pointerIxNS8_11hip_rocprim5par_tENS8_11use_defaultESE_EEEENSA_INSB_IlSD_SE_SE_EEEEZNS1_13binary_searchIS3_S5_PxSG_SI_NS1_21lower_bound_search_opENS9_16wrapped_functionINS8_6system6detail7generic6detail18binary_search_lessEbEEEE10hipError_tPvRmT1_T2_T3_mmT4_T5_P12ihipStream_tbEUlRKxE_EEST_SX_SY_mSZ_S12_bEUlT_E_NS1_11comp_targetILNS1_3genE10ELNS1_11target_archE1201ELNS1_3gpuE5ELNS1_3repE0EEENS1_30default_config_static_selectorELNS0_4arch9wavefront6targetE0EEEvSW_.numbered_sgpr, 0
	.set _ZN7rocprim17ROCPRIM_400000_NS6detail17trampoline_kernelINS0_14default_configENS1_27lower_bound_config_selectorIxlEEZNS1_14transform_implILb0ES3_S5_N6thrust23THRUST_200600_302600_NS6detail15normal_iteratorINS8_7pointerIxNS8_11hip_rocprim5par_tENS8_11use_defaultESE_EEEENSA_INSB_IlSD_SE_SE_EEEEZNS1_13binary_searchIS3_S5_PxSG_SI_NS1_21lower_bound_search_opENS9_16wrapped_functionINS8_6system6detail7generic6detail18binary_search_lessEbEEEE10hipError_tPvRmT1_T2_T3_mmT4_T5_P12ihipStream_tbEUlRKxE_EEST_SX_SY_mSZ_S12_bEUlT_E_NS1_11comp_targetILNS1_3genE10ELNS1_11target_archE1201ELNS1_3gpuE5ELNS1_3repE0EEENS1_30default_config_static_selectorELNS0_4arch9wavefront6targetE0EEEvSW_.num_named_barrier, 0
	.set _ZN7rocprim17ROCPRIM_400000_NS6detail17trampoline_kernelINS0_14default_configENS1_27lower_bound_config_selectorIxlEEZNS1_14transform_implILb0ES3_S5_N6thrust23THRUST_200600_302600_NS6detail15normal_iteratorINS8_7pointerIxNS8_11hip_rocprim5par_tENS8_11use_defaultESE_EEEENSA_INSB_IlSD_SE_SE_EEEEZNS1_13binary_searchIS3_S5_PxSG_SI_NS1_21lower_bound_search_opENS9_16wrapped_functionINS8_6system6detail7generic6detail18binary_search_lessEbEEEE10hipError_tPvRmT1_T2_T3_mmT4_T5_P12ihipStream_tbEUlRKxE_EEST_SX_SY_mSZ_S12_bEUlT_E_NS1_11comp_targetILNS1_3genE10ELNS1_11target_archE1201ELNS1_3gpuE5ELNS1_3repE0EEENS1_30default_config_static_selectorELNS0_4arch9wavefront6targetE0EEEvSW_.private_seg_size, 0
	.set _ZN7rocprim17ROCPRIM_400000_NS6detail17trampoline_kernelINS0_14default_configENS1_27lower_bound_config_selectorIxlEEZNS1_14transform_implILb0ES3_S5_N6thrust23THRUST_200600_302600_NS6detail15normal_iteratorINS8_7pointerIxNS8_11hip_rocprim5par_tENS8_11use_defaultESE_EEEENSA_INSB_IlSD_SE_SE_EEEEZNS1_13binary_searchIS3_S5_PxSG_SI_NS1_21lower_bound_search_opENS9_16wrapped_functionINS8_6system6detail7generic6detail18binary_search_lessEbEEEE10hipError_tPvRmT1_T2_T3_mmT4_T5_P12ihipStream_tbEUlRKxE_EEST_SX_SY_mSZ_S12_bEUlT_E_NS1_11comp_targetILNS1_3genE10ELNS1_11target_archE1201ELNS1_3gpuE5ELNS1_3repE0EEENS1_30default_config_static_selectorELNS0_4arch9wavefront6targetE0EEEvSW_.uses_vcc, 0
	.set _ZN7rocprim17ROCPRIM_400000_NS6detail17trampoline_kernelINS0_14default_configENS1_27lower_bound_config_selectorIxlEEZNS1_14transform_implILb0ES3_S5_N6thrust23THRUST_200600_302600_NS6detail15normal_iteratorINS8_7pointerIxNS8_11hip_rocprim5par_tENS8_11use_defaultESE_EEEENSA_INSB_IlSD_SE_SE_EEEEZNS1_13binary_searchIS3_S5_PxSG_SI_NS1_21lower_bound_search_opENS9_16wrapped_functionINS8_6system6detail7generic6detail18binary_search_lessEbEEEE10hipError_tPvRmT1_T2_T3_mmT4_T5_P12ihipStream_tbEUlRKxE_EEST_SX_SY_mSZ_S12_bEUlT_E_NS1_11comp_targetILNS1_3genE10ELNS1_11target_archE1201ELNS1_3gpuE5ELNS1_3repE0EEENS1_30default_config_static_selectorELNS0_4arch9wavefront6targetE0EEEvSW_.uses_flat_scratch, 0
	.set _ZN7rocprim17ROCPRIM_400000_NS6detail17trampoline_kernelINS0_14default_configENS1_27lower_bound_config_selectorIxlEEZNS1_14transform_implILb0ES3_S5_N6thrust23THRUST_200600_302600_NS6detail15normal_iteratorINS8_7pointerIxNS8_11hip_rocprim5par_tENS8_11use_defaultESE_EEEENSA_INSB_IlSD_SE_SE_EEEEZNS1_13binary_searchIS3_S5_PxSG_SI_NS1_21lower_bound_search_opENS9_16wrapped_functionINS8_6system6detail7generic6detail18binary_search_lessEbEEEE10hipError_tPvRmT1_T2_T3_mmT4_T5_P12ihipStream_tbEUlRKxE_EEST_SX_SY_mSZ_S12_bEUlT_E_NS1_11comp_targetILNS1_3genE10ELNS1_11target_archE1201ELNS1_3gpuE5ELNS1_3repE0EEENS1_30default_config_static_selectorELNS0_4arch9wavefront6targetE0EEEvSW_.has_dyn_sized_stack, 0
	.set _ZN7rocprim17ROCPRIM_400000_NS6detail17trampoline_kernelINS0_14default_configENS1_27lower_bound_config_selectorIxlEEZNS1_14transform_implILb0ES3_S5_N6thrust23THRUST_200600_302600_NS6detail15normal_iteratorINS8_7pointerIxNS8_11hip_rocprim5par_tENS8_11use_defaultESE_EEEENSA_INSB_IlSD_SE_SE_EEEEZNS1_13binary_searchIS3_S5_PxSG_SI_NS1_21lower_bound_search_opENS9_16wrapped_functionINS8_6system6detail7generic6detail18binary_search_lessEbEEEE10hipError_tPvRmT1_T2_T3_mmT4_T5_P12ihipStream_tbEUlRKxE_EEST_SX_SY_mSZ_S12_bEUlT_E_NS1_11comp_targetILNS1_3genE10ELNS1_11target_archE1201ELNS1_3gpuE5ELNS1_3repE0EEENS1_30default_config_static_selectorELNS0_4arch9wavefront6targetE0EEEvSW_.has_recursion, 0
	.set _ZN7rocprim17ROCPRIM_400000_NS6detail17trampoline_kernelINS0_14default_configENS1_27lower_bound_config_selectorIxlEEZNS1_14transform_implILb0ES3_S5_N6thrust23THRUST_200600_302600_NS6detail15normal_iteratorINS8_7pointerIxNS8_11hip_rocprim5par_tENS8_11use_defaultESE_EEEENSA_INSB_IlSD_SE_SE_EEEEZNS1_13binary_searchIS3_S5_PxSG_SI_NS1_21lower_bound_search_opENS9_16wrapped_functionINS8_6system6detail7generic6detail18binary_search_lessEbEEEE10hipError_tPvRmT1_T2_T3_mmT4_T5_P12ihipStream_tbEUlRKxE_EEST_SX_SY_mSZ_S12_bEUlT_E_NS1_11comp_targetILNS1_3genE10ELNS1_11target_archE1201ELNS1_3gpuE5ELNS1_3repE0EEENS1_30default_config_static_selectorELNS0_4arch9wavefront6targetE0EEEvSW_.has_indirect_call, 0
	.section	.AMDGPU.csdata,"",@progbits
; Kernel info:
; codeLenInByte = 0
; TotalNumSgprs: 0
; NumVgprs: 0
; ScratchSize: 0
; MemoryBound: 0
; FloatMode: 240
; IeeeMode: 1
; LDSByteSize: 0 bytes/workgroup (compile time only)
; SGPRBlocks: 0
; VGPRBlocks: 0
; NumSGPRsForWavesPerEU: 1
; NumVGPRsForWavesPerEU: 1
; Occupancy: 16
; WaveLimiterHint : 0
; COMPUTE_PGM_RSRC2:SCRATCH_EN: 0
; COMPUTE_PGM_RSRC2:USER_SGPR: 6
; COMPUTE_PGM_RSRC2:TRAP_HANDLER: 0
; COMPUTE_PGM_RSRC2:TGID_X_EN: 1
; COMPUTE_PGM_RSRC2:TGID_Y_EN: 0
; COMPUTE_PGM_RSRC2:TGID_Z_EN: 0
; COMPUTE_PGM_RSRC2:TIDIG_COMP_CNT: 0
	.section	.text._ZN7rocprim17ROCPRIM_400000_NS6detail17trampoline_kernelINS0_14default_configENS1_27lower_bound_config_selectorIxlEEZNS1_14transform_implILb0ES3_S5_N6thrust23THRUST_200600_302600_NS6detail15normal_iteratorINS8_7pointerIxNS8_11hip_rocprim5par_tENS8_11use_defaultESE_EEEENSA_INSB_IlSD_SE_SE_EEEEZNS1_13binary_searchIS3_S5_PxSG_SI_NS1_21lower_bound_search_opENS9_16wrapped_functionINS8_6system6detail7generic6detail18binary_search_lessEbEEEE10hipError_tPvRmT1_T2_T3_mmT4_T5_P12ihipStream_tbEUlRKxE_EEST_SX_SY_mSZ_S12_bEUlT_E_NS1_11comp_targetILNS1_3genE10ELNS1_11target_archE1200ELNS1_3gpuE4ELNS1_3repE0EEENS1_30default_config_static_selectorELNS0_4arch9wavefront6targetE0EEEvSW_,"axG",@progbits,_ZN7rocprim17ROCPRIM_400000_NS6detail17trampoline_kernelINS0_14default_configENS1_27lower_bound_config_selectorIxlEEZNS1_14transform_implILb0ES3_S5_N6thrust23THRUST_200600_302600_NS6detail15normal_iteratorINS8_7pointerIxNS8_11hip_rocprim5par_tENS8_11use_defaultESE_EEEENSA_INSB_IlSD_SE_SE_EEEEZNS1_13binary_searchIS3_S5_PxSG_SI_NS1_21lower_bound_search_opENS9_16wrapped_functionINS8_6system6detail7generic6detail18binary_search_lessEbEEEE10hipError_tPvRmT1_T2_T3_mmT4_T5_P12ihipStream_tbEUlRKxE_EEST_SX_SY_mSZ_S12_bEUlT_E_NS1_11comp_targetILNS1_3genE10ELNS1_11target_archE1200ELNS1_3gpuE4ELNS1_3repE0EEENS1_30default_config_static_selectorELNS0_4arch9wavefront6targetE0EEEvSW_,comdat
	.protected	_ZN7rocprim17ROCPRIM_400000_NS6detail17trampoline_kernelINS0_14default_configENS1_27lower_bound_config_selectorIxlEEZNS1_14transform_implILb0ES3_S5_N6thrust23THRUST_200600_302600_NS6detail15normal_iteratorINS8_7pointerIxNS8_11hip_rocprim5par_tENS8_11use_defaultESE_EEEENSA_INSB_IlSD_SE_SE_EEEEZNS1_13binary_searchIS3_S5_PxSG_SI_NS1_21lower_bound_search_opENS9_16wrapped_functionINS8_6system6detail7generic6detail18binary_search_lessEbEEEE10hipError_tPvRmT1_T2_T3_mmT4_T5_P12ihipStream_tbEUlRKxE_EEST_SX_SY_mSZ_S12_bEUlT_E_NS1_11comp_targetILNS1_3genE10ELNS1_11target_archE1200ELNS1_3gpuE4ELNS1_3repE0EEENS1_30default_config_static_selectorELNS0_4arch9wavefront6targetE0EEEvSW_ ; -- Begin function _ZN7rocprim17ROCPRIM_400000_NS6detail17trampoline_kernelINS0_14default_configENS1_27lower_bound_config_selectorIxlEEZNS1_14transform_implILb0ES3_S5_N6thrust23THRUST_200600_302600_NS6detail15normal_iteratorINS8_7pointerIxNS8_11hip_rocprim5par_tENS8_11use_defaultESE_EEEENSA_INSB_IlSD_SE_SE_EEEEZNS1_13binary_searchIS3_S5_PxSG_SI_NS1_21lower_bound_search_opENS9_16wrapped_functionINS8_6system6detail7generic6detail18binary_search_lessEbEEEE10hipError_tPvRmT1_T2_T3_mmT4_T5_P12ihipStream_tbEUlRKxE_EEST_SX_SY_mSZ_S12_bEUlT_E_NS1_11comp_targetILNS1_3genE10ELNS1_11target_archE1200ELNS1_3gpuE4ELNS1_3repE0EEENS1_30default_config_static_selectorELNS0_4arch9wavefront6targetE0EEEvSW_
	.globl	_ZN7rocprim17ROCPRIM_400000_NS6detail17trampoline_kernelINS0_14default_configENS1_27lower_bound_config_selectorIxlEEZNS1_14transform_implILb0ES3_S5_N6thrust23THRUST_200600_302600_NS6detail15normal_iteratorINS8_7pointerIxNS8_11hip_rocprim5par_tENS8_11use_defaultESE_EEEENSA_INSB_IlSD_SE_SE_EEEEZNS1_13binary_searchIS3_S5_PxSG_SI_NS1_21lower_bound_search_opENS9_16wrapped_functionINS8_6system6detail7generic6detail18binary_search_lessEbEEEE10hipError_tPvRmT1_T2_T3_mmT4_T5_P12ihipStream_tbEUlRKxE_EEST_SX_SY_mSZ_S12_bEUlT_E_NS1_11comp_targetILNS1_3genE10ELNS1_11target_archE1200ELNS1_3gpuE4ELNS1_3repE0EEENS1_30default_config_static_selectorELNS0_4arch9wavefront6targetE0EEEvSW_
	.p2align	8
	.type	_ZN7rocprim17ROCPRIM_400000_NS6detail17trampoline_kernelINS0_14default_configENS1_27lower_bound_config_selectorIxlEEZNS1_14transform_implILb0ES3_S5_N6thrust23THRUST_200600_302600_NS6detail15normal_iteratorINS8_7pointerIxNS8_11hip_rocprim5par_tENS8_11use_defaultESE_EEEENSA_INSB_IlSD_SE_SE_EEEEZNS1_13binary_searchIS3_S5_PxSG_SI_NS1_21lower_bound_search_opENS9_16wrapped_functionINS8_6system6detail7generic6detail18binary_search_lessEbEEEE10hipError_tPvRmT1_T2_T3_mmT4_T5_P12ihipStream_tbEUlRKxE_EEST_SX_SY_mSZ_S12_bEUlT_E_NS1_11comp_targetILNS1_3genE10ELNS1_11target_archE1200ELNS1_3gpuE4ELNS1_3repE0EEENS1_30default_config_static_selectorELNS0_4arch9wavefront6targetE0EEEvSW_,@function
_ZN7rocprim17ROCPRIM_400000_NS6detail17trampoline_kernelINS0_14default_configENS1_27lower_bound_config_selectorIxlEEZNS1_14transform_implILb0ES3_S5_N6thrust23THRUST_200600_302600_NS6detail15normal_iteratorINS8_7pointerIxNS8_11hip_rocprim5par_tENS8_11use_defaultESE_EEEENSA_INSB_IlSD_SE_SE_EEEEZNS1_13binary_searchIS3_S5_PxSG_SI_NS1_21lower_bound_search_opENS9_16wrapped_functionINS8_6system6detail7generic6detail18binary_search_lessEbEEEE10hipError_tPvRmT1_T2_T3_mmT4_T5_P12ihipStream_tbEUlRKxE_EEST_SX_SY_mSZ_S12_bEUlT_E_NS1_11comp_targetILNS1_3genE10ELNS1_11target_archE1200ELNS1_3gpuE4ELNS1_3repE0EEENS1_30default_config_static_selectorELNS0_4arch9wavefront6targetE0EEEvSW_: ; @_ZN7rocprim17ROCPRIM_400000_NS6detail17trampoline_kernelINS0_14default_configENS1_27lower_bound_config_selectorIxlEEZNS1_14transform_implILb0ES3_S5_N6thrust23THRUST_200600_302600_NS6detail15normal_iteratorINS8_7pointerIxNS8_11hip_rocprim5par_tENS8_11use_defaultESE_EEEENSA_INSB_IlSD_SE_SE_EEEEZNS1_13binary_searchIS3_S5_PxSG_SI_NS1_21lower_bound_search_opENS9_16wrapped_functionINS8_6system6detail7generic6detail18binary_search_lessEbEEEE10hipError_tPvRmT1_T2_T3_mmT4_T5_P12ihipStream_tbEUlRKxE_EEST_SX_SY_mSZ_S12_bEUlT_E_NS1_11comp_targetILNS1_3genE10ELNS1_11target_archE1200ELNS1_3gpuE4ELNS1_3repE0EEENS1_30default_config_static_selectorELNS0_4arch9wavefront6targetE0EEEvSW_
; %bb.0:
	.section	.rodata,"a",@progbits
	.p2align	6, 0x0
	.amdhsa_kernel _ZN7rocprim17ROCPRIM_400000_NS6detail17trampoline_kernelINS0_14default_configENS1_27lower_bound_config_selectorIxlEEZNS1_14transform_implILb0ES3_S5_N6thrust23THRUST_200600_302600_NS6detail15normal_iteratorINS8_7pointerIxNS8_11hip_rocprim5par_tENS8_11use_defaultESE_EEEENSA_INSB_IlSD_SE_SE_EEEEZNS1_13binary_searchIS3_S5_PxSG_SI_NS1_21lower_bound_search_opENS9_16wrapped_functionINS8_6system6detail7generic6detail18binary_search_lessEbEEEE10hipError_tPvRmT1_T2_T3_mmT4_T5_P12ihipStream_tbEUlRKxE_EEST_SX_SY_mSZ_S12_bEUlT_E_NS1_11comp_targetILNS1_3genE10ELNS1_11target_archE1200ELNS1_3gpuE4ELNS1_3repE0EEENS1_30default_config_static_selectorELNS0_4arch9wavefront6targetE0EEEvSW_
		.amdhsa_group_segment_fixed_size 0
		.amdhsa_private_segment_fixed_size 0
		.amdhsa_kernarg_size 56
		.amdhsa_user_sgpr_count 6
		.amdhsa_user_sgpr_private_segment_buffer 1
		.amdhsa_user_sgpr_dispatch_ptr 0
		.amdhsa_user_sgpr_queue_ptr 0
		.amdhsa_user_sgpr_kernarg_segment_ptr 1
		.amdhsa_user_sgpr_dispatch_id 0
		.amdhsa_user_sgpr_flat_scratch_init 0
		.amdhsa_user_sgpr_private_segment_size 0
		.amdhsa_wavefront_size32 1
		.amdhsa_uses_dynamic_stack 0
		.amdhsa_system_sgpr_private_segment_wavefront_offset 0
		.amdhsa_system_sgpr_workgroup_id_x 1
		.amdhsa_system_sgpr_workgroup_id_y 0
		.amdhsa_system_sgpr_workgroup_id_z 0
		.amdhsa_system_sgpr_workgroup_info 0
		.amdhsa_system_vgpr_workitem_id 0
		.amdhsa_next_free_vgpr 1
		.amdhsa_next_free_sgpr 1
		.amdhsa_reserve_vcc 0
		.amdhsa_reserve_flat_scratch 0
		.amdhsa_float_round_mode_32 0
		.amdhsa_float_round_mode_16_64 0
		.amdhsa_float_denorm_mode_32 3
		.amdhsa_float_denorm_mode_16_64 3
		.amdhsa_dx10_clamp 1
		.amdhsa_ieee_mode 1
		.amdhsa_fp16_overflow 0
		.amdhsa_workgroup_processor_mode 1
		.amdhsa_memory_ordered 1
		.amdhsa_forward_progress 1
		.amdhsa_shared_vgpr_count 0
		.amdhsa_exception_fp_ieee_invalid_op 0
		.amdhsa_exception_fp_denorm_src 0
		.amdhsa_exception_fp_ieee_div_zero 0
		.amdhsa_exception_fp_ieee_overflow 0
		.amdhsa_exception_fp_ieee_underflow 0
		.amdhsa_exception_fp_ieee_inexact 0
		.amdhsa_exception_int_div_zero 0
	.end_amdhsa_kernel
	.section	.text._ZN7rocprim17ROCPRIM_400000_NS6detail17trampoline_kernelINS0_14default_configENS1_27lower_bound_config_selectorIxlEEZNS1_14transform_implILb0ES3_S5_N6thrust23THRUST_200600_302600_NS6detail15normal_iteratorINS8_7pointerIxNS8_11hip_rocprim5par_tENS8_11use_defaultESE_EEEENSA_INSB_IlSD_SE_SE_EEEEZNS1_13binary_searchIS3_S5_PxSG_SI_NS1_21lower_bound_search_opENS9_16wrapped_functionINS8_6system6detail7generic6detail18binary_search_lessEbEEEE10hipError_tPvRmT1_T2_T3_mmT4_T5_P12ihipStream_tbEUlRKxE_EEST_SX_SY_mSZ_S12_bEUlT_E_NS1_11comp_targetILNS1_3genE10ELNS1_11target_archE1200ELNS1_3gpuE4ELNS1_3repE0EEENS1_30default_config_static_selectorELNS0_4arch9wavefront6targetE0EEEvSW_,"axG",@progbits,_ZN7rocprim17ROCPRIM_400000_NS6detail17trampoline_kernelINS0_14default_configENS1_27lower_bound_config_selectorIxlEEZNS1_14transform_implILb0ES3_S5_N6thrust23THRUST_200600_302600_NS6detail15normal_iteratorINS8_7pointerIxNS8_11hip_rocprim5par_tENS8_11use_defaultESE_EEEENSA_INSB_IlSD_SE_SE_EEEEZNS1_13binary_searchIS3_S5_PxSG_SI_NS1_21lower_bound_search_opENS9_16wrapped_functionINS8_6system6detail7generic6detail18binary_search_lessEbEEEE10hipError_tPvRmT1_T2_T3_mmT4_T5_P12ihipStream_tbEUlRKxE_EEST_SX_SY_mSZ_S12_bEUlT_E_NS1_11comp_targetILNS1_3genE10ELNS1_11target_archE1200ELNS1_3gpuE4ELNS1_3repE0EEENS1_30default_config_static_selectorELNS0_4arch9wavefront6targetE0EEEvSW_,comdat
.Lfunc_end119:
	.size	_ZN7rocprim17ROCPRIM_400000_NS6detail17trampoline_kernelINS0_14default_configENS1_27lower_bound_config_selectorIxlEEZNS1_14transform_implILb0ES3_S5_N6thrust23THRUST_200600_302600_NS6detail15normal_iteratorINS8_7pointerIxNS8_11hip_rocprim5par_tENS8_11use_defaultESE_EEEENSA_INSB_IlSD_SE_SE_EEEEZNS1_13binary_searchIS3_S5_PxSG_SI_NS1_21lower_bound_search_opENS9_16wrapped_functionINS8_6system6detail7generic6detail18binary_search_lessEbEEEE10hipError_tPvRmT1_T2_T3_mmT4_T5_P12ihipStream_tbEUlRKxE_EEST_SX_SY_mSZ_S12_bEUlT_E_NS1_11comp_targetILNS1_3genE10ELNS1_11target_archE1200ELNS1_3gpuE4ELNS1_3repE0EEENS1_30default_config_static_selectorELNS0_4arch9wavefront6targetE0EEEvSW_, .Lfunc_end119-_ZN7rocprim17ROCPRIM_400000_NS6detail17trampoline_kernelINS0_14default_configENS1_27lower_bound_config_selectorIxlEEZNS1_14transform_implILb0ES3_S5_N6thrust23THRUST_200600_302600_NS6detail15normal_iteratorINS8_7pointerIxNS8_11hip_rocprim5par_tENS8_11use_defaultESE_EEEENSA_INSB_IlSD_SE_SE_EEEEZNS1_13binary_searchIS3_S5_PxSG_SI_NS1_21lower_bound_search_opENS9_16wrapped_functionINS8_6system6detail7generic6detail18binary_search_lessEbEEEE10hipError_tPvRmT1_T2_T3_mmT4_T5_P12ihipStream_tbEUlRKxE_EEST_SX_SY_mSZ_S12_bEUlT_E_NS1_11comp_targetILNS1_3genE10ELNS1_11target_archE1200ELNS1_3gpuE4ELNS1_3repE0EEENS1_30default_config_static_selectorELNS0_4arch9wavefront6targetE0EEEvSW_
                                        ; -- End function
	.set _ZN7rocprim17ROCPRIM_400000_NS6detail17trampoline_kernelINS0_14default_configENS1_27lower_bound_config_selectorIxlEEZNS1_14transform_implILb0ES3_S5_N6thrust23THRUST_200600_302600_NS6detail15normal_iteratorINS8_7pointerIxNS8_11hip_rocprim5par_tENS8_11use_defaultESE_EEEENSA_INSB_IlSD_SE_SE_EEEEZNS1_13binary_searchIS3_S5_PxSG_SI_NS1_21lower_bound_search_opENS9_16wrapped_functionINS8_6system6detail7generic6detail18binary_search_lessEbEEEE10hipError_tPvRmT1_T2_T3_mmT4_T5_P12ihipStream_tbEUlRKxE_EEST_SX_SY_mSZ_S12_bEUlT_E_NS1_11comp_targetILNS1_3genE10ELNS1_11target_archE1200ELNS1_3gpuE4ELNS1_3repE0EEENS1_30default_config_static_selectorELNS0_4arch9wavefront6targetE0EEEvSW_.num_vgpr, 0
	.set _ZN7rocprim17ROCPRIM_400000_NS6detail17trampoline_kernelINS0_14default_configENS1_27lower_bound_config_selectorIxlEEZNS1_14transform_implILb0ES3_S5_N6thrust23THRUST_200600_302600_NS6detail15normal_iteratorINS8_7pointerIxNS8_11hip_rocprim5par_tENS8_11use_defaultESE_EEEENSA_INSB_IlSD_SE_SE_EEEEZNS1_13binary_searchIS3_S5_PxSG_SI_NS1_21lower_bound_search_opENS9_16wrapped_functionINS8_6system6detail7generic6detail18binary_search_lessEbEEEE10hipError_tPvRmT1_T2_T3_mmT4_T5_P12ihipStream_tbEUlRKxE_EEST_SX_SY_mSZ_S12_bEUlT_E_NS1_11comp_targetILNS1_3genE10ELNS1_11target_archE1200ELNS1_3gpuE4ELNS1_3repE0EEENS1_30default_config_static_selectorELNS0_4arch9wavefront6targetE0EEEvSW_.num_agpr, 0
	.set _ZN7rocprim17ROCPRIM_400000_NS6detail17trampoline_kernelINS0_14default_configENS1_27lower_bound_config_selectorIxlEEZNS1_14transform_implILb0ES3_S5_N6thrust23THRUST_200600_302600_NS6detail15normal_iteratorINS8_7pointerIxNS8_11hip_rocprim5par_tENS8_11use_defaultESE_EEEENSA_INSB_IlSD_SE_SE_EEEEZNS1_13binary_searchIS3_S5_PxSG_SI_NS1_21lower_bound_search_opENS9_16wrapped_functionINS8_6system6detail7generic6detail18binary_search_lessEbEEEE10hipError_tPvRmT1_T2_T3_mmT4_T5_P12ihipStream_tbEUlRKxE_EEST_SX_SY_mSZ_S12_bEUlT_E_NS1_11comp_targetILNS1_3genE10ELNS1_11target_archE1200ELNS1_3gpuE4ELNS1_3repE0EEENS1_30default_config_static_selectorELNS0_4arch9wavefront6targetE0EEEvSW_.numbered_sgpr, 0
	.set _ZN7rocprim17ROCPRIM_400000_NS6detail17trampoline_kernelINS0_14default_configENS1_27lower_bound_config_selectorIxlEEZNS1_14transform_implILb0ES3_S5_N6thrust23THRUST_200600_302600_NS6detail15normal_iteratorINS8_7pointerIxNS8_11hip_rocprim5par_tENS8_11use_defaultESE_EEEENSA_INSB_IlSD_SE_SE_EEEEZNS1_13binary_searchIS3_S5_PxSG_SI_NS1_21lower_bound_search_opENS9_16wrapped_functionINS8_6system6detail7generic6detail18binary_search_lessEbEEEE10hipError_tPvRmT1_T2_T3_mmT4_T5_P12ihipStream_tbEUlRKxE_EEST_SX_SY_mSZ_S12_bEUlT_E_NS1_11comp_targetILNS1_3genE10ELNS1_11target_archE1200ELNS1_3gpuE4ELNS1_3repE0EEENS1_30default_config_static_selectorELNS0_4arch9wavefront6targetE0EEEvSW_.num_named_barrier, 0
	.set _ZN7rocprim17ROCPRIM_400000_NS6detail17trampoline_kernelINS0_14default_configENS1_27lower_bound_config_selectorIxlEEZNS1_14transform_implILb0ES3_S5_N6thrust23THRUST_200600_302600_NS6detail15normal_iteratorINS8_7pointerIxNS8_11hip_rocprim5par_tENS8_11use_defaultESE_EEEENSA_INSB_IlSD_SE_SE_EEEEZNS1_13binary_searchIS3_S5_PxSG_SI_NS1_21lower_bound_search_opENS9_16wrapped_functionINS8_6system6detail7generic6detail18binary_search_lessEbEEEE10hipError_tPvRmT1_T2_T3_mmT4_T5_P12ihipStream_tbEUlRKxE_EEST_SX_SY_mSZ_S12_bEUlT_E_NS1_11comp_targetILNS1_3genE10ELNS1_11target_archE1200ELNS1_3gpuE4ELNS1_3repE0EEENS1_30default_config_static_selectorELNS0_4arch9wavefront6targetE0EEEvSW_.private_seg_size, 0
	.set _ZN7rocprim17ROCPRIM_400000_NS6detail17trampoline_kernelINS0_14default_configENS1_27lower_bound_config_selectorIxlEEZNS1_14transform_implILb0ES3_S5_N6thrust23THRUST_200600_302600_NS6detail15normal_iteratorINS8_7pointerIxNS8_11hip_rocprim5par_tENS8_11use_defaultESE_EEEENSA_INSB_IlSD_SE_SE_EEEEZNS1_13binary_searchIS3_S5_PxSG_SI_NS1_21lower_bound_search_opENS9_16wrapped_functionINS8_6system6detail7generic6detail18binary_search_lessEbEEEE10hipError_tPvRmT1_T2_T3_mmT4_T5_P12ihipStream_tbEUlRKxE_EEST_SX_SY_mSZ_S12_bEUlT_E_NS1_11comp_targetILNS1_3genE10ELNS1_11target_archE1200ELNS1_3gpuE4ELNS1_3repE0EEENS1_30default_config_static_selectorELNS0_4arch9wavefront6targetE0EEEvSW_.uses_vcc, 0
	.set _ZN7rocprim17ROCPRIM_400000_NS6detail17trampoline_kernelINS0_14default_configENS1_27lower_bound_config_selectorIxlEEZNS1_14transform_implILb0ES3_S5_N6thrust23THRUST_200600_302600_NS6detail15normal_iteratorINS8_7pointerIxNS8_11hip_rocprim5par_tENS8_11use_defaultESE_EEEENSA_INSB_IlSD_SE_SE_EEEEZNS1_13binary_searchIS3_S5_PxSG_SI_NS1_21lower_bound_search_opENS9_16wrapped_functionINS8_6system6detail7generic6detail18binary_search_lessEbEEEE10hipError_tPvRmT1_T2_T3_mmT4_T5_P12ihipStream_tbEUlRKxE_EEST_SX_SY_mSZ_S12_bEUlT_E_NS1_11comp_targetILNS1_3genE10ELNS1_11target_archE1200ELNS1_3gpuE4ELNS1_3repE0EEENS1_30default_config_static_selectorELNS0_4arch9wavefront6targetE0EEEvSW_.uses_flat_scratch, 0
	.set _ZN7rocprim17ROCPRIM_400000_NS6detail17trampoline_kernelINS0_14default_configENS1_27lower_bound_config_selectorIxlEEZNS1_14transform_implILb0ES3_S5_N6thrust23THRUST_200600_302600_NS6detail15normal_iteratorINS8_7pointerIxNS8_11hip_rocprim5par_tENS8_11use_defaultESE_EEEENSA_INSB_IlSD_SE_SE_EEEEZNS1_13binary_searchIS3_S5_PxSG_SI_NS1_21lower_bound_search_opENS9_16wrapped_functionINS8_6system6detail7generic6detail18binary_search_lessEbEEEE10hipError_tPvRmT1_T2_T3_mmT4_T5_P12ihipStream_tbEUlRKxE_EEST_SX_SY_mSZ_S12_bEUlT_E_NS1_11comp_targetILNS1_3genE10ELNS1_11target_archE1200ELNS1_3gpuE4ELNS1_3repE0EEENS1_30default_config_static_selectorELNS0_4arch9wavefront6targetE0EEEvSW_.has_dyn_sized_stack, 0
	.set _ZN7rocprim17ROCPRIM_400000_NS6detail17trampoline_kernelINS0_14default_configENS1_27lower_bound_config_selectorIxlEEZNS1_14transform_implILb0ES3_S5_N6thrust23THRUST_200600_302600_NS6detail15normal_iteratorINS8_7pointerIxNS8_11hip_rocprim5par_tENS8_11use_defaultESE_EEEENSA_INSB_IlSD_SE_SE_EEEEZNS1_13binary_searchIS3_S5_PxSG_SI_NS1_21lower_bound_search_opENS9_16wrapped_functionINS8_6system6detail7generic6detail18binary_search_lessEbEEEE10hipError_tPvRmT1_T2_T3_mmT4_T5_P12ihipStream_tbEUlRKxE_EEST_SX_SY_mSZ_S12_bEUlT_E_NS1_11comp_targetILNS1_3genE10ELNS1_11target_archE1200ELNS1_3gpuE4ELNS1_3repE0EEENS1_30default_config_static_selectorELNS0_4arch9wavefront6targetE0EEEvSW_.has_recursion, 0
	.set _ZN7rocprim17ROCPRIM_400000_NS6detail17trampoline_kernelINS0_14default_configENS1_27lower_bound_config_selectorIxlEEZNS1_14transform_implILb0ES3_S5_N6thrust23THRUST_200600_302600_NS6detail15normal_iteratorINS8_7pointerIxNS8_11hip_rocprim5par_tENS8_11use_defaultESE_EEEENSA_INSB_IlSD_SE_SE_EEEEZNS1_13binary_searchIS3_S5_PxSG_SI_NS1_21lower_bound_search_opENS9_16wrapped_functionINS8_6system6detail7generic6detail18binary_search_lessEbEEEE10hipError_tPvRmT1_T2_T3_mmT4_T5_P12ihipStream_tbEUlRKxE_EEST_SX_SY_mSZ_S12_bEUlT_E_NS1_11comp_targetILNS1_3genE10ELNS1_11target_archE1200ELNS1_3gpuE4ELNS1_3repE0EEENS1_30default_config_static_selectorELNS0_4arch9wavefront6targetE0EEEvSW_.has_indirect_call, 0
	.section	.AMDGPU.csdata,"",@progbits
; Kernel info:
; codeLenInByte = 0
; TotalNumSgprs: 0
; NumVgprs: 0
; ScratchSize: 0
; MemoryBound: 0
; FloatMode: 240
; IeeeMode: 1
; LDSByteSize: 0 bytes/workgroup (compile time only)
; SGPRBlocks: 0
; VGPRBlocks: 0
; NumSGPRsForWavesPerEU: 1
; NumVGPRsForWavesPerEU: 1
; Occupancy: 16
; WaveLimiterHint : 0
; COMPUTE_PGM_RSRC2:SCRATCH_EN: 0
; COMPUTE_PGM_RSRC2:USER_SGPR: 6
; COMPUTE_PGM_RSRC2:TRAP_HANDLER: 0
; COMPUTE_PGM_RSRC2:TGID_X_EN: 1
; COMPUTE_PGM_RSRC2:TGID_Y_EN: 0
; COMPUTE_PGM_RSRC2:TGID_Z_EN: 0
; COMPUTE_PGM_RSRC2:TIDIG_COMP_CNT: 0
	.section	.text._ZN7rocprim17ROCPRIM_400000_NS6detail17trampoline_kernelINS0_14default_configENS1_27lower_bound_config_selectorIxlEEZNS1_14transform_implILb0ES3_S5_N6thrust23THRUST_200600_302600_NS6detail15normal_iteratorINS8_7pointerIxNS8_11hip_rocprim5par_tENS8_11use_defaultESE_EEEENSA_INSB_IlSD_SE_SE_EEEEZNS1_13binary_searchIS3_S5_PxSG_SI_NS1_21lower_bound_search_opENS9_16wrapped_functionINS8_6system6detail7generic6detail18binary_search_lessEbEEEE10hipError_tPvRmT1_T2_T3_mmT4_T5_P12ihipStream_tbEUlRKxE_EEST_SX_SY_mSZ_S12_bEUlT_E_NS1_11comp_targetILNS1_3genE9ELNS1_11target_archE1100ELNS1_3gpuE3ELNS1_3repE0EEENS1_30default_config_static_selectorELNS0_4arch9wavefront6targetE0EEEvSW_,"axG",@progbits,_ZN7rocprim17ROCPRIM_400000_NS6detail17trampoline_kernelINS0_14default_configENS1_27lower_bound_config_selectorIxlEEZNS1_14transform_implILb0ES3_S5_N6thrust23THRUST_200600_302600_NS6detail15normal_iteratorINS8_7pointerIxNS8_11hip_rocprim5par_tENS8_11use_defaultESE_EEEENSA_INSB_IlSD_SE_SE_EEEEZNS1_13binary_searchIS3_S5_PxSG_SI_NS1_21lower_bound_search_opENS9_16wrapped_functionINS8_6system6detail7generic6detail18binary_search_lessEbEEEE10hipError_tPvRmT1_T2_T3_mmT4_T5_P12ihipStream_tbEUlRKxE_EEST_SX_SY_mSZ_S12_bEUlT_E_NS1_11comp_targetILNS1_3genE9ELNS1_11target_archE1100ELNS1_3gpuE3ELNS1_3repE0EEENS1_30default_config_static_selectorELNS0_4arch9wavefront6targetE0EEEvSW_,comdat
	.protected	_ZN7rocprim17ROCPRIM_400000_NS6detail17trampoline_kernelINS0_14default_configENS1_27lower_bound_config_selectorIxlEEZNS1_14transform_implILb0ES3_S5_N6thrust23THRUST_200600_302600_NS6detail15normal_iteratorINS8_7pointerIxNS8_11hip_rocprim5par_tENS8_11use_defaultESE_EEEENSA_INSB_IlSD_SE_SE_EEEEZNS1_13binary_searchIS3_S5_PxSG_SI_NS1_21lower_bound_search_opENS9_16wrapped_functionINS8_6system6detail7generic6detail18binary_search_lessEbEEEE10hipError_tPvRmT1_T2_T3_mmT4_T5_P12ihipStream_tbEUlRKxE_EEST_SX_SY_mSZ_S12_bEUlT_E_NS1_11comp_targetILNS1_3genE9ELNS1_11target_archE1100ELNS1_3gpuE3ELNS1_3repE0EEENS1_30default_config_static_selectorELNS0_4arch9wavefront6targetE0EEEvSW_ ; -- Begin function _ZN7rocprim17ROCPRIM_400000_NS6detail17trampoline_kernelINS0_14default_configENS1_27lower_bound_config_selectorIxlEEZNS1_14transform_implILb0ES3_S5_N6thrust23THRUST_200600_302600_NS6detail15normal_iteratorINS8_7pointerIxNS8_11hip_rocprim5par_tENS8_11use_defaultESE_EEEENSA_INSB_IlSD_SE_SE_EEEEZNS1_13binary_searchIS3_S5_PxSG_SI_NS1_21lower_bound_search_opENS9_16wrapped_functionINS8_6system6detail7generic6detail18binary_search_lessEbEEEE10hipError_tPvRmT1_T2_T3_mmT4_T5_P12ihipStream_tbEUlRKxE_EEST_SX_SY_mSZ_S12_bEUlT_E_NS1_11comp_targetILNS1_3genE9ELNS1_11target_archE1100ELNS1_3gpuE3ELNS1_3repE0EEENS1_30default_config_static_selectorELNS0_4arch9wavefront6targetE0EEEvSW_
	.globl	_ZN7rocprim17ROCPRIM_400000_NS6detail17trampoline_kernelINS0_14default_configENS1_27lower_bound_config_selectorIxlEEZNS1_14transform_implILb0ES3_S5_N6thrust23THRUST_200600_302600_NS6detail15normal_iteratorINS8_7pointerIxNS8_11hip_rocprim5par_tENS8_11use_defaultESE_EEEENSA_INSB_IlSD_SE_SE_EEEEZNS1_13binary_searchIS3_S5_PxSG_SI_NS1_21lower_bound_search_opENS9_16wrapped_functionINS8_6system6detail7generic6detail18binary_search_lessEbEEEE10hipError_tPvRmT1_T2_T3_mmT4_T5_P12ihipStream_tbEUlRKxE_EEST_SX_SY_mSZ_S12_bEUlT_E_NS1_11comp_targetILNS1_3genE9ELNS1_11target_archE1100ELNS1_3gpuE3ELNS1_3repE0EEENS1_30default_config_static_selectorELNS0_4arch9wavefront6targetE0EEEvSW_
	.p2align	8
	.type	_ZN7rocprim17ROCPRIM_400000_NS6detail17trampoline_kernelINS0_14default_configENS1_27lower_bound_config_selectorIxlEEZNS1_14transform_implILb0ES3_S5_N6thrust23THRUST_200600_302600_NS6detail15normal_iteratorINS8_7pointerIxNS8_11hip_rocprim5par_tENS8_11use_defaultESE_EEEENSA_INSB_IlSD_SE_SE_EEEEZNS1_13binary_searchIS3_S5_PxSG_SI_NS1_21lower_bound_search_opENS9_16wrapped_functionINS8_6system6detail7generic6detail18binary_search_lessEbEEEE10hipError_tPvRmT1_T2_T3_mmT4_T5_P12ihipStream_tbEUlRKxE_EEST_SX_SY_mSZ_S12_bEUlT_E_NS1_11comp_targetILNS1_3genE9ELNS1_11target_archE1100ELNS1_3gpuE3ELNS1_3repE0EEENS1_30default_config_static_selectorELNS0_4arch9wavefront6targetE0EEEvSW_,@function
_ZN7rocprim17ROCPRIM_400000_NS6detail17trampoline_kernelINS0_14default_configENS1_27lower_bound_config_selectorIxlEEZNS1_14transform_implILb0ES3_S5_N6thrust23THRUST_200600_302600_NS6detail15normal_iteratorINS8_7pointerIxNS8_11hip_rocprim5par_tENS8_11use_defaultESE_EEEENSA_INSB_IlSD_SE_SE_EEEEZNS1_13binary_searchIS3_S5_PxSG_SI_NS1_21lower_bound_search_opENS9_16wrapped_functionINS8_6system6detail7generic6detail18binary_search_lessEbEEEE10hipError_tPvRmT1_T2_T3_mmT4_T5_P12ihipStream_tbEUlRKxE_EEST_SX_SY_mSZ_S12_bEUlT_E_NS1_11comp_targetILNS1_3genE9ELNS1_11target_archE1100ELNS1_3gpuE3ELNS1_3repE0EEENS1_30default_config_static_selectorELNS0_4arch9wavefront6targetE0EEEvSW_: ; @_ZN7rocprim17ROCPRIM_400000_NS6detail17trampoline_kernelINS0_14default_configENS1_27lower_bound_config_selectorIxlEEZNS1_14transform_implILb0ES3_S5_N6thrust23THRUST_200600_302600_NS6detail15normal_iteratorINS8_7pointerIxNS8_11hip_rocprim5par_tENS8_11use_defaultESE_EEEENSA_INSB_IlSD_SE_SE_EEEEZNS1_13binary_searchIS3_S5_PxSG_SI_NS1_21lower_bound_search_opENS9_16wrapped_functionINS8_6system6detail7generic6detail18binary_search_lessEbEEEE10hipError_tPvRmT1_T2_T3_mmT4_T5_P12ihipStream_tbEUlRKxE_EEST_SX_SY_mSZ_S12_bEUlT_E_NS1_11comp_targetILNS1_3genE9ELNS1_11target_archE1100ELNS1_3gpuE3ELNS1_3repE0EEENS1_30default_config_static_selectorELNS0_4arch9wavefront6targetE0EEEvSW_
; %bb.0:
	.section	.rodata,"a",@progbits
	.p2align	6, 0x0
	.amdhsa_kernel _ZN7rocprim17ROCPRIM_400000_NS6detail17trampoline_kernelINS0_14default_configENS1_27lower_bound_config_selectorIxlEEZNS1_14transform_implILb0ES3_S5_N6thrust23THRUST_200600_302600_NS6detail15normal_iteratorINS8_7pointerIxNS8_11hip_rocprim5par_tENS8_11use_defaultESE_EEEENSA_INSB_IlSD_SE_SE_EEEEZNS1_13binary_searchIS3_S5_PxSG_SI_NS1_21lower_bound_search_opENS9_16wrapped_functionINS8_6system6detail7generic6detail18binary_search_lessEbEEEE10hipError_tPvRmT1_T2_T3_mmT4_T5_P12ihipStream_tbEUlRKxE_EEST_SX_SY_mSZ_S12_bEUlT_E_NS1_11comp_targetILNS1_3genE9ELNS1_11target_archE1100ELNS1_3gpuE3ELNS1_3repE0EEENS1_30default_config_static_selectorELNS0_4arch9wavefront6targetE0EEEvSW_
		.amdhsa_group_segment_fixed_size 0
		.amdhsa_private_segment_fixed_size 0
		.amdhsa_kernarg_size 56
		.amdhsa_user_sgpr_count 6
		.amdhsa_user_sgpr_private_segment_buffer 1
		.amdhsa_user_sgpr_dispatch_ptr 0
		.amdhsa_user_sgpr_queue_ptr 0
		.amdhsa_user_sgpr_kernarg_segment_ptr 1
		.amdhsa_user_sgpr_dispatch_id 0
		.amdhsa_user_sgpr_flat_scratch_init 0
		.amdhsa_user_sgpr_private_segment_size 0
		.amdhsa_wavefront_size32 1
		.amdhsa_uses_dynamic_stack 0
		.amdhsa_system_sgpr_private_segment_wavefront_offset 0
		.amdhsa_system_sgpr_workgroup_id_x 1
		.amdhsa_system_sgpr_workgroup_id_y 0
		.amdhsa_system_sgpr_workgroup_id_z 0
		.amdhsa_system_sgpr_workgroup_info 0
		.amdhsa_system_vgpr_workitem_id 0
		.amdhsa_next_free_vgpr 1
		.amdhsa_next_free_sgpr 1
		.amdhsa_reserve_vcc 0
		.amdhsa_reserve_flat_scratch 0
		.amdhsa_float_round_mode_32 0
		.amdhsa_float_round_mode_16_64 0
		.amdhsa_float_denorm_mode_32 3
		.amdhsa_float_denorm_mode_16_64 3
		.amdhsa_dx10_clamp 1
		.amdhsa_ieee_mode 1
		.amdhsa_fp16_overflow 0
		.amdhsa_workgroup_processor_mode 1
		.amdhsa_memory_ordered 1
		.amdhsa_forward_progress 1
		.amdhsa_shared_vgpr_count 0
		.amdhsa_exception_fp_ieee_invalid_op 0
		.amdhsa_exception_fp_denorm_src 0
		.amdhsa_exception_fp_ieee_div_zero 0
		.amdhsa_exception_fp_ieee_overflow 0
		.amdhsa_exception_fp_ieee_underflow 0
		.amdhsa_exception_fp_ieee_inexact 0
		.amdhsa_exception_int_div_zero 0
	.end_amdhsa_kernel
	.section	.text._ZN7rocprim17ROCPRIM_400000_NS6detail17trampoline_kernelINS0_14default_configENS1_27lower_bound_config_selectorIxlEEZNS1_14transform_implILb0ES3_S5_N6thrust23THRUST_200600_302600_NS6detail15normal_iteratorINS8_7pointerIxNS8_11hip_rocprim5par_tENS8_11use_defaultESE_EEEENSA_INSB_IlSD_SE_SE_EEEEZNS1_13binary_searchIS3_S5_PxSG_SI_NS1_21lower_bound_search_opENS9_16wrapped_functionINS8_6system6detail7generic6detail18binary_search_lessEbEEEE10hipError_tPvRmT1_T2_T3_mmT4_T5_P12ihipStream_tbEUlRKxE_EEST_SX_SY_mSZ_S12_bEUlT_E_NS1_11comp_targetILNS1_3genE9ELNS1_11target_archE1100ELNS1_3gpuE3ELNS1_3repE0EEENS1_30default_config_static_selectorELNS0_4arch9wavefront6targetE0EEEvSW_,"axG",@progbits,_ZN7rocprim17ROCPRIM_400000_NS6detail17trampoline_kernelINS0_14default_configENS1_27lower_bound_config_selectorIxlEEZNS1_14transform_implILb0ES3_S5_N6thrust23THRUST_200600_302600_NS6detail15normal_iteratorINS8_7pointerIxNS8_11hip_rocprim5par_tENS8_11use_defaultESE_EEEENSA_INSB_IlSD_SE_SE_EEEEZNS1_13binary_searchIS3_S5_PxSG_SI_NS1_21lower_bound_search_opENS9_16wrapped_functionINS8_6system6detail7generic6detail18binary_search_lessEbEEEE10hipError_tPvRmT1_T2_T3_mmT4_T5_P12ihipStream_tbEUlRKxE_EEST_SX_SY_mSZ_S12_bEUlT_E_NS1_11comp_targetILNS1_3genE9ELNS1_11target_archE1100ELNS1_3gpuE3ELNS1_3repE0EEENS1_30default_config_static_selectorELNS0_4arch9wavefront6targetE0EEEvSW_,comdat
.Lfunc_end120:
	.size	_ZN7rocprim17ROCPRIM_400000_NS6detail17trampoline_kernelINS0_14default_configENS1_27lower_bound_config_selectorIxlEEZNS1_14transform_implILb0ES3_S5_N6thrust23THRUST_200600_302600_NS6detail15normal_iteratorINS8_7pointerIxNS8_11hip_rocprim5par_tENS8_11use_defaultESE_EEEENSA_INSB_IlSD_SE_SE_EEEEZNS1_13binary_searchIS3_S5_PxSG_SI_NS1_21lower_bound_search_opENS9_16wrapped_functionINS8_6system6detail7generic6detail18binary_search_lessEbEEEE10hipError_tPvRmT1_T2_T3_mmT4_T5_P12ihipStream_tbEUlRKxE_EEST_SX_SY_mSZ_S12_bEUlT_E_NS1_11comp_targetILNS1_3genE9ELNS1_11target_archE1100ELNS1_3gpuE3ELNS1_3repE0EEENS1_30default_config_static_selectorELNS0_4arch9wavefront6targetE0EEEvSW_, .Lfunc_end120-_ZN7rocprim17ROCPRIM_400000_NS6detail17trampoline_kernelINS0_14default_configENS1_27lower_bound_config_selectorIxlEEZNS1_14transform_implILb0ES3_S5_N6thrust23THRUST_200600_302600_NS6detail15normal_iteratorINS8_7pointerIxNS8_11hip_rocprim5par_tENS8_11use_defaultESE_EEEENSA_INSB_IlSD_SE_SE_EEEEZNS1_13binary_searchIS3_S5_PxSG_SI_NS1_21lower_bound_search_opENS9_16wrapped_functionINS8_6system6detail7generic6detail18binary_search_lessEbEEEE10hipError_tPvRmT1_T2_T3_mmT4_T5_P12ihipStream_tbEUlRKxE_EEST_SX_SY_mSZ_S12_bEUlT_E_NS1_11comp_targetILNS1_3genE9ELNS1_11target_archE1100ELNS1_3gpuE3ELNS1_3repE0EEENS1_30default_config_static_selectorELNS0_4arch9wavefront6targetE0EEEvSW_
                                        ; -- End function
	.set _ZN7rocprim17ROCPRIM_400000_NS6detail17trampoline_kernelINS0_14default_configENS1_27lower_bound_config_selectorIxlEEZNS1_14transform_implILb0ES3_S5_N6thrust23THRUST_200600_302600_NS6detail15normal_iteratorINS8_7pointerIxNS8_11hip_rocprim5par_tENS8_11use_defaultESE_EEEENSA_INSB_IlSD_SE_SE_EEEEZNS1_13binary_searchIS3_S5_PxSG_SI_NS1_21lower_bound_search_opENS9_16wrapped_functionINS8_6system6detail7generic6detail18binary_search_lessEbEEEE10hipError_tPvRmT1_T2_T3_mmT4_T5_P12ihipStream_tbEUlRKxE_EEST_SX_SY_mSZ_S12_bEUlT_E_NS1_11comp_targetILNS1_3genE9ELNS1_11target_archE1100ELNS1_3gpuE3ELNS1_3repE0EEENS1_30default_config_static_selectorELNS0_4arch9wavefront6targetE0EEEvSW_.num_vgpr, 0
	.set _ZN7rocprim17ROCPRIM_400000_NS6detail17trampoline_kernelINS0_14default_configENS1_27lower_bound_config_selectorIxlEEZNS1_14transform_implILb0ES3_S5_N6thrust23THRUST_200600_302600_NS6detail15normal_iteratorINS8_7pointerIxNS8_11hip_rocprim5par_tENS8_11use_defaultESE_EEEENSA_INSB_IlSD_SE_SE_EEEEZNS1_13binary_searchIS3_S5_PxSG_SI_NS1_21lower_bound_search_opENS9_16wrapped_functionINS8_6system6detail7generic6detail18binary_search_lessEbEEEE10hipError_tPvRmT1_T2_T3_mmT4_T5_P12ihipStream_tbEUlRKxE_EEST_SX_SY_mSZ_S12_bEUlT_E_NS1_11comp_targetILNS1_3genE9ELNS1_11target_archE1100ELNS1_3gpuE3ELNS1_3repE0EEENS1_30default_config_static_selectorELNS0_4arch9wavefront6targetE0EEEvSW_.num_agpr, 0
	.set _ZN7rocprim17ROCPRIM_400000_NS6detail17trampoline_kernelINS0_14default_configENS1_27lower_bound_config_selectorIxlEEZNS1_14transform_implILb0ES3_S5_N6thrust23THRUST_200600_302600_NS6detail15normal_iteratorINS8_7pointerIxNS8_11hip_rocprim5par_tENS8_11use_defaultESE_EEEENSA_INSB_IlSD_SE_SE_EEEEZNS1_13binary_searchIS3_S5_PxSG_SI_NS1_21lower_bound_search_opENS9_16wrapped_functionINS8_6system6detail7generic6detail18binary_search_lessEbEEEE10hipError_tPvRmT1_T2_T3_mmT4_T5_P12ihipStream_tbEUlRKxE_EEST_SX_SY_mSZ_S12_bEUlT_E_NS1_11comp_targetILNS1_3genE9ELNS1_11target_archE1100ELNS1_3gpuE3ELNS1_3repE0EEENS1_30default_config_static_selectorELNS0_4arch9wavefront6targetE0EEEvSW_.numbered_sgpr, 0
	.set _ZN7rocprim17ROCPRIM_400000_NS6detail17trampoline_kernelINS0_14default_configENS1_27lower_bound_config_selectorIxlEEZNS1_14transform_implILb0ES3_S5_N6thrust23THRUST_200600_302600_NS6detail15normal_iteratorINS8_7pointerIxNS8_11hip_rocprim5par_tENS8_11use_defaultESE_EEEENSA_INSB_IlSD_SE_SE_EEEEZNS1_13binary_searchIS3_S5_PxSG_SI_NS1_21lower_bound_search_opENS9_16wrapped_functionINS8_6system6detail7generic6detail18binary_search_lessEbEEEE10hipError_tPvRmT1_T2_T3_mmT4_T5_P12ihipStream_tbEUlRKxE_EEST_SX_SY_mSZ_S12_bEUlT_E_NS1_11comp_targetILNS1_3genE9ELNS1_11target_archE1100ELNS1_3gpuE3ELNS1_3repE0EEENS1_30default_config_static_selectorELNS0_4arch9wavefront6targetE0EEEvSW_.num_named_barrier, 0
	.set _ZN7rocprim17ROCPRIM_400000_NS6detail17trampoline_kernelINS0_14default_configENS1_27lower_bound_config_selectorIxlEEZNS1_14transform_implILb0ES3_S5_N6thrust23THRUST_200600_302600_NS6detail15normal_iteratorINS8_7pointerIxNS8_11hip_rocprim5par_tENS8_11use_defaultESE_EEEENSA_INSB_IlSD_SE_SE_EEEEZNS1_13binary_searchIS3_S5_PxSG_SI_NS1_21lower_bound_search_opENS9_16wrapped_functionINS8_6system6detail7generic6detail18binary_search_lessEbEEEE10hipError_tPvRmT1_T2_T3_mmT4_T5_P12ihipStream_tbEUlRKxE_EEST_SX_SY_mSZ_S12_bEUlT_E_NS1_11comp_targetILNS1_3genE9ELNS1_11target_archE1100ELNS1_3gpuE3ELNS1_3repE0EEENS1_30default_config_static_selectorELNS0_4arch9wavefront6targetE0EEEvSW_.private_seg_size, 0
	.set _ZN7rocprim17ROCPRIM_400000_NS6detail17trampoline_kernelINS0_14default_configENS1_27lower_bound_config_selectorIxlEEZNS1_14transform_implILb0ES3_S5_N6thrust23THRUST_200600_302600_NS6detail15normal_iteratorINS8_7pointerIxNS8_11hip_rocprim5par_tENS8_11use_defaultESE_EEEENSA_INSB_IlSD_SE_SE_EEEEZNS1_13binary_searchIS3_S5_PxSG_SI_NS1_21lower_bound_search_opENS9_16wrapped_functionINS8_6system6detail7generic6detail18binary_search_lessEbEEEE10hipError_tPvRmT1_T2_T3_mmT4_T5_P12ihipStream_tbEUlRKxE_EEST_SX_SY_mSZ_S12_bEUlT_E_NS1_11comp_targetILNS1_3genE9ELNS1_11target_archE1100ELNS1_3gpuE3ELNS1_3repE0EEENS1_30default_config_static_selectorELNS0_4arch9wavefront6targetE0EEEvSW_.uses_vcc, 0
	.set _ZN7rocprim17ROCPRIM_400000_NS6detail17trampoline_kernelINS0_14default_configENS1_27lower_bound_config_selectorIxlEEZNS1_14transform_implILb0ES3_S5_N6thrust23THRUST_200600_302600_NS6detail15normal_iteratorINS8_7pointerIxNS8_11hip_rocprim5par_tENS8_11use_defaultESE_EEEENSA_INSB_IlSD_SE_SE_EEEEZNS1_13binary_searchIS3_S5_PxSG_SI_NS1_21lower_bound_search_opENS9_16wrapped_functionINS8_6system6detail7generic6detail18binary_search_lessEbEEEE10hipError_tPvRmT1_T2_T3_mmT4_T5_P12ihipStream_tbEUlRKxE_EEST_SX_SY_mSZ_S12_bEUlT_E_NS1_11comp_targetILNS1_3genE9ELNS1_11target_archE1100ELNS1_3gpuE3ELNS1_3repE0EEENS1_30default_config_static_selectorELNS0_4arch9wavefront6targetE0EEEvSW_.uses_flat_scratch, 0
	.set _ZN7rocprim17ROCPRIM_400000_NS6detail17trampoline_kernelINS0_14default_configENS1_27lower_bound_config_selectorIxlEEZNS1_14transform_implILb0ES3_S5_N6thrust23THRUST_200600_302600_NS6detail15normal_iteratorINS8_7pointerIxNS8_11hip_rocprim5par_tENS8_11use_defaultESE_EEEENSA_INSB_IlSD_SE_SE_EEEEZNS1_13binary_searchIS3_S5_PxSG_SI_NS1_21lower_bound_search_opENS9_16wrapped_functionINS8_6system6detail7generic6detail18binary_search_lessEbEEEE10hipError_tPvRmT1_T2_T3_mmT4_T5_P12ihipStream_tbEUlRKxE_EEST_SX_SY_mSZ_S12_bEUlT_E_NS1_11comp_targetILNS1_3genE9ELNS1_11target_archE1100ELNS1_3gpuE3ELNS1_3repE0EEENS1_30default_config_static_selectorELNS0_4arch9wavefront6targetE0EEEvSW_.has_dyn_sized_stack, 0
	.set _ZN7rocprim17ROCPRIM_400000_NS6detail17trampoline_kernelINS0_14default_configENS1_27lower_bound_config_selectorIxlEEZNS1_14transform_implILb0ES3_S5_N6thrust23THRUST_200600_302600_NS6detail15normal_iteratorINS8_7pointerIxNS8_11hip_rocprim5par_tENS8_11use_defaultESE_EEEENSA_INSB_IlSD_SE_SE_EEEEZNS1_13binary_searchIS3_S5_PxSG_SI_NS1_21lower_bound_search_opENS9_16wrapped_functionINS8_6system6detail7generic6detail18binary_search_lessEbEEEE10hipError_tPvRmT1_T2_T3_mmT4_T5_P12ihipStream_tbEUlRKxE_EEST_SX_SY_mSZ_S12_bEUlT_E_NS1_11comp_targetILNS1_3genE9ELNS1_11target_archE1100ELNS1_3gpuE3ELNS1_3repE0EEENS1_30default_config_static_selectorELNS0_4arch9wavefront6targetE0EEEvSW_.has_recursion, 0
	.set _ZN7rocprim17ROCPRIM_400000_NS6detail17trampoline_kernelINS0_14default_configENS1_27lower_bound_config_selectorIxlEEZNS1_14transform_implILb0ES3_S5_N6thrust23THRUST_200600_302600_NS6detail15normal_iteratorINS8_7pointerIxNS8_11hip_rocprim5par_tENS8_11use_defaultESE_EEEENSA_INSB_IlSD_SE_SE_EEEEZNS1_13binary_searchIS3_S5_PxSG_SI_NS1_21lower_bound_search_opENS9_16wrapped_functionINS8_6system6detail7generic6detail18binary_search_lessEbEEEE10hipError_tPvRmT1_T2_T3_mmT4_T5_P12ihipStream_tbEUlRKxE_EEST_SX_SY_mSZ_S12_bEUlT_E_NS1_11comp_targetILNS1_3genE9ELNS1_11target_archE1100ELNS1_3gpuE3ELNS1_3repE0EEENS1_30default_config_static_selectorELNS0_4arch9wavefront6targetE0EEEvSW_.has_indirect_call, 0
	.section	.AMDGPU.csdata,"",@progbits
; Kernel info:
; codeLenInByte = 0
; TotalNumSgprs: 0
; NumVgprs: 0
; ScratchSize: 0
; MemoryBound: 0
; FloatMode: 240
; IeeeMode: 1
; LDSByteSize: 0 bytes/workgroup (compile time only)
; SGPRBlocks: 0
; VGPRBlocks: 0
; NumSGPRsForWavesPerEU: 1
; NumVGPRsForWavesPerEU: 1
; Occupancy: 16
; WaveLimiterHint : 0
; COMPUTE_PGM_RSRC2:SCRATCH_EN: 0
; COMPUTE_PGM_RSRC2:USER_SGPR: 6
; COMPUTE_PGM_RSRC2:TRAP_HANDLER: 0
; COMPUTE_PGM_RSRC2:TGID_X_EN: 1
; COMPUTE_PGM_RSRC2:TGID_Y_EN: 0
; COMPUTE_PGM_RSRC2:TGID_Z_EN: 0
; COMPUTE_PGM_RSRC2:TIDIG_COMP_CNT: 0
	.section	.text._ZN7rocprim17ROCPRIM_400000_NS6detail17trampoline_kernelINS0_14default_configENS1_27lower_bound_config_selectorIxlEEZNS1_14transform_implILb0ES3_S5_N6thrust23THRUST_200600_302600_NS6detail15normal_iteratorINS8_7pointerIxNS8_11hip_rocprim5par_tENS8_11use_defaultESE_EEEENSA_INSB_IlSD_SE_SE_EEEEZNS1_13binary_searchIS3_S5_PxSG_SI_NS1_21lower_bound_search_opENS9_16wrapped_functionINS8_6system6detail7generic6detail18binary_search_lessEbEEEE10hipError_tPvRmT1_T2_T3_mmT4_T5_P12ihipStream_tbEUlRKxE_EEST_SX_SY_mSZ_S12_bEUlT_E_NS1_11comp_targetILNS1_3genE8ELNS1_11target_archE1030ELNS1_3gpuE2ELNS1_3repE0EEENS1_30default_config_static_selectorELNS0_4arch9wavefront6targetE0EEEvSW_,"axG",@progbits,_ZN7rocprim17ROCPRIM_400000_NS6detail17trampoline_kernelINS0_14default_configENS1_27lower_bound_config_selectorIxlEEZNS1_14transform_implILb0ES3_S5_N6thrust23THRUST_200600_302600_NS6detail15normal_iteratorINS8_7pointerIxNS8_11hip_rocprim5par_tENS8_11use_defaultESE_EEEENSA_INSB_IlSD_SE_SE_EEEEZNS1_13binary_searchIS3_S5_PxSG_SI_NS1_21lower_bound_search_opENS9_16wrapped_functionINS8_6system6detail7generic6detail18binary_search_lessEbEEEE10hipError_tPvRmT1_T2_T3_mmT4_T5_P12ihipStream_tbEUlRKxE_EEST_SX_SY_mSZ_S12_bEUlT_E_NS1_11comp_targetILNS1_3genE8ELNS1_11target_archE1030ELNS1_3gpuE2ELNS1_3repE0EEENS1_30default_config_static_selectorELNS0_4arch9wavefront6targetE0EEEvSW_,comdat
	.protected	_ZN7rocprim17ROCPRIM_400000_NS6detail17trampoline_kernelINS0_14default_configENS1_27lower_bound_config_selectorIxlEEZNS1_14transform_implILb0ES3_S5_N6thrust23THRUST_200600_302600_NS6detail15normal_iteratorINS8_7pointerIxNS8_11hip_rocprim5par_tENS8_11use_defaultESE_EEEENSA_INSB_IlSD_SE_SE_EEEEZNS1_13binary_searchIS3_S5_PxSG_SI_NS1_21lower_bound_search_opENS9_16wrapped_functionINS8_6system6detail7generic6detail18binary_search_lessEbEEEE10hipError_tPvRmT1_T2_T3_mmT4_T5_P12ihipStream_tbEUlRKxE_EEST_SX_SY_mSZ_S12_bEUlT_E_NS1_11comp_targetILNS1_3genE8ELNS1_11target_archE1030ELNS1_3gpuE2ELNS1_3repE0EEENS1_30default_config_static_selectorELNS0_4arch9wavefront6targetE0EEEvSW_ ; -- Begin function _ZN7rocprim17ROCPRIM_400000_NS6detail17trampoline_kernelINS0_14default_configENS1_27lower_bound_config_selectorIxlEEZNS1_14transform_implILb0ES3_S5_N6thrust23THRUST_200600_302600_NS6detail15normal_iteratorINS8_7pointerIxNS8_11hip_rocprim5par_tENS8_11use_defaultESE_EEEENSA_INSB_IlSD_SE_SE_EEEEZNS1_13binary_searchIS3_S5_PxSG_SI_NS1_21lower_bound_search_opENS9_16wrapped_functionINS8_6system6detail7generic6detail18binary_search_lessEbEEEE10hipError_tPvRmT1_T2_T3_mmT4_T5_P12ihipStream_tbEUlRKxE_EEST_SX_SY_mSZ_S12_bEUlT_E_NS1_11comp_targetILNS1_3genE8ELNS1_11target_archE1030ELNS1_3gpuE2ELNS1_3repE0EEENS1_30default_config_static_selectorELNS0_4arch9wavefront6targetE0EEEvSW_
	.globl	_ZN7rocprim17ROCPRIM_400000_NS6detail17trampoline_kernelINS0_14default_configENS1_27lower_bound_config_selectorIxlEEZNS1_14transform_implILb0ES3_S5_N6thrust23THRUST_200600_302600_NS6detail15normal_iteratorINS8_7pointerIxNS8_11hip_rocprim5par_tENS8_11use_defaultESE_EEEENSA_INSB_IlSD_SE_SE_EEEEZNS1_13binary_searchIS3_S5_PxSG_SI_NS1_21lower_bound_search_opENS9_16wrapped_functionINS8_6system6detail7generic6detail18binary_search_lessEbEEEE10hipError_tPvRmT1_T2_T3_mmT4_T5_P12ihipStream_tbEUlRKxE_EEST_SX_SY_mSZ_S12_bEUlT_E_NS1_11comp_targetILNS1_3genE8ELNS1_11target_archE1030ELNS1_3gpuE2ELNS1_3repE0EEENS1_30default_config_static_selectorELNS0_4arch9wavefront6targetE0EEEvSW_
	.p2align	8
	.type	_ZN7rocprim17ROCPRIM_400000_NS6detail17trampoline_kernelINS0_14default_configENS1_27lower_bound_config_selectorIxlEEZNS1_14transform_implILb0ES3_S5_N6thrust23THRUST_200600_302600_NS6detail15normal_iteratorINS8_7pointerIxNS8_11hip_rocprim5par_tENS8_11use_defaultESE_EEEENSA_INSB_IlSD_SE_SE_EEEEZNS1_13binary_searchIS3_S5_PxSG_SI_NS1_21lower_bound_search_opENS9_16wrapped_functionINS8_6system6detail7generic6detail18binary_search_lessEbEEEE10hipError_tPvRmT1_T2_T3_mmT4_T5_P12ihipStream_tbEUlRKxE_EEST_SX_SY_mSZ_S12_bEUlT_E_NS1_11comp_targetILNS1_3genE8ELNS1_11target_archE1030ELNS1_3gpuE2ELNS1_3repE0EEENS1_30default_config_static_selectorELNS0_4arch9wavefront6targetE0EEEvSW_,@function
_ZN7rocprim17ROCPRIM_400000_NS6detail17trampoline_kernelINS0_14default_configENS1_27lower_bound_config_selectorIxlEEZNS1_14transform_implILb0ES3_S5_N6thrust23THRUST_200600_302600_NS6detail15normal_iteratorINS8_7pointerIxNS8_11hip_rocprim5par_tENS8_11use_defaultESE_EEEENSA_INSB_IlSD_SE_SE_EEEEZNS1_13binary_searchIS3_S5_PxSG_SI_NS1_21lower_bound_search_opENS9_16wrapped_functionINS8_6system6detail7generic6detail18binary_search_lessEbEEEE10hipError_tPvRmT1_T2_T3_mmT4_T5_P12ihipStream_tbEUlRKxE_EEST_SX_SY_mSZ_S12_bEUlT_E_NS1_11comp_targetILNS1_3genE8ELNS1_11target_archE1030ELNS1_3gpuE2ELNS1_3repE0EEENS1_30default_config_static_selectorELNS0_4arch9wavefront6targetE0EEEvSW_: ; @_ZN7rocprim17ROCPRIM_400000_NS6detail17trampoline_kernelINS0_14default_configENS1_27lower_bound_config_selectorIxlEEZNS1_14transform_implILb0ES3_S5_N6thrust23THRUST_200600_302600_NS6detail15normal_iteratorINS8_7pointerIxNS8_11hip_rocprim5par_tENS8_11use_defaultESE_EEEENSA_INSB_IlSD_SE_SE_EEEEZNS1_13binary_searchIS3_S5_PxSG_SI_NS1_21lower_bound_search_opENS9_16wrapped_functionINS8_6system6detail7generic6detail18binary_search_lessEbEEEE10hipError_tPvRmT1_T2_T3_mmT4_T5_P12ihipStream_tbEUlRKxE_EEST_SX_SY_mSZ_S12_bEUlT_E_NS1_11comp_targetILNS1_3genE8ELNS1_11target_archE1030ELNS1_3gpuE2ELNS1_3repE0EEENS1_30default_config_static_selectorELNS0_4arch9wavefront6targetE0EEEvSW_
; %bb.0:
	s_clause 0x3
	s_load_dwordx4 s[16:19], s[4:5], 0x0
	s_load_dwordx4 s[0:3], s[4:5], 0x18
	s_load_dword s15, s[4:5], 0x38
	s_load_dwordx2 s[10:11], s[4:5], 0x28
	s_waitcnt lgkmcnt(0)
	s_lshl_b64 s[8:9], s[18:19], 3
	s_add_u32 s13, s16, s8
	s_addc_u32 s14, s17, s9
	s_add_u32 s7, s0, s8
	s_addc_u32 s12, s1, s9
	s_add_i32 s15, s15, -1
	s_lshl_b32 s8, s6, 8
	s_mov_b32 s9, 0
	s_cmp_lg_u32 s6, s15
	s_mov_b32 s0, -1
	s_cbranch_scc0 .LBB121_7
; %bb.1:
	s_cmp_eq_u64 s[10:11], 0
	s_cbranch_scc1 .LBB121_5
; %bb.2:
	v_lshlrev_b32_e32 v1, 3, v0
	s_lshl_b64 s[0:1], s[8:9], 3
	v_mov_b32_e32 v5, s10
	s_add_u32 s0, s13, s0
	s_addc_u32 s1, s14, s1
	v_add_co_u32 v1, s0, s0, v1
	v_add_co_ci_u32_e64 v2, null, s1, 0, s0
	v_mov_b32_e32 v6, s11
	s_mov_b32 s1, 0
	flat_load_dwordx2 v[3:4], v[1:2]
	v_mov_b32_e32 v1, 0
	v_mov_b32_e32 v2, 0
	s_inst_prefetch 0x1
	.p2align	6
.LBB121_3:                              ; =>This Inner Loop Header: Depth=1
	v_sub_co_u32 v7, vcc_lo, v5, v1
	v_sub_co_ci_u32_e64 v8, null, v6, v2, vcc_lo
	v_lshrrev_b64 v[9:10], 1, v[7:8]
	v_lshrrev_b64 v[7:8], 6, v[7:8]
	v_add_co_u32 v9, vcc_lo, v9, v1
	v_add_co_ci_u32_e64 v10, null, v10, v2, vcc_lo
	v_add_co_u32 v7, vcc_lo, v9, v7
	v_add_co_ci_u32_e64 v8, null, v10, v8, vcc_lo
	v_lshlrev_b64 v[9:10], 3, v[7:8]
	v_add_co_u32 v9, vcc_lo, s2, v9
	v_add_co_ci_u32_e64 v10, null, s3, v10, vcc_lo
	v_add_co_u32 v11, vcc_lo, v7, 1
	global_load_dwordx2 v[9:10], v[9:10], off
	s_waitcnt vmcnt(0) lgkmcnt(0)
	v_cmp_lt_i64_e64 s0, v[9:10], v[3:4]
	v_add_co_ci_u32_e64 v9, null, 0, v8, vcc_lo
	v_cndmask_b32_e64 v6, v8, v6, s0
	v_cndmask_b32_e64 v5, v7, v5, s0
	;; [unrolled: 1-line block ×4, first 2 shown]
	v_cmp_ge_u64_e32 vcc_lo, v[1:2], v[5:6]
	s_or_b32 s1, vcc_lo, s1
	s_andn2_b32 exec_lo, exec_lo, s1
	s_cbranch_execnz .LBB121_3
; %bb.4:
	s_inst_prefetch 0x2
	s_or_b32 exec_lo, exec_lo, s1
	s_branch .LBB121_6
.LBB121_5:
	v_mov_b32_e32 v1, 0
	v_mov_b32_e32 v2, 0
.LBB121_6:
	v_lshlrev_b32_e32 v3, 3, v0
	s_lshl_b64 s[0:1], s[8:9], 3
	s_add_u32 s0, s7, s0
	s_addc_u32 s1, s12, s1
	v_add_co_u32 v3, s0, s0, v3
	v_add_co_ci_u32_e64 v4, null, s1, 0, s0
	s_mov_b32 s0, 0
	flat_store_dwordx2 v[3:4], v[1:2]
.LBB121_7:
	s_and_b32 vcc_lo, exec_lo, s0
	s_cbranch_vccz .LBB121_16
; %bb.8:
	s_load_dword s0, s[4:5], 0x10
                                        ; implicit-def: $vgpr3_vgpr4
	s_waitcnt lgkmcnt(0)
	s_sub_i32 s1, s0, s8
	v_cmp_le_u32_e64 s0, s1, v0
	v_cmp_gt_u32_e32 vcc_lo, s1, v0
	s_and_saveexec_b32 s1, vcc_lo
	s_cbranch_execz .LBB121_10
; %bb.9:
	v_lshlrev_b32_e32 v1, 3, v0
	s_lshl_b64 s[4:5], s[8:9], 3
	s_add_u32 s4, s13, s4
	s_addc_u32 s5, s14, s5
	v_add_co_u32 v1, s4, s4, v1
	v_add_co_ci_u32_e64 v2, null, s5, 0, s4
	flat_load_dwordx2 v[3:4], v[1:2]
.LBB121_10:
	s_or_b32 exec_lo, exec_lo, s1
	s_cmp_lg_u64 s[10:11], 0
	v_mov_b32_e32 v1, 0
	v_mov_b32_e32 v2, 0
	s_cselect_b32 s1, -1, 0
	s_xor_b32 s0, s0, -1
	s_and_b32 s0, s0, s1
	s_and_saveexec_b32 s4, s0
	s_cbranch_execz .LBB121_14
; %bb.11:
	v_mov_b32_e32 v1, 0
	v_mov_b32_e32 v5, s10
	;; [unrolled: 1-line block ×4, first 2 shown]
	s_mov_b32 s5, 0
	s_inst_prefetch 0x1
	.p2align	6
.LBB121_12:                             ; =>This Inner Loop Header: Depth=1
	v_sub_co_u32 v7, s0, v5, v1
	v_sub_co_ci_u32_e64 v8, null, v6, v2, s0
	v_lshrrev_b64 v[9:10], 1, v[7:8]
	v_lshrrev_b64 v[7:8], 6, v[7:8]
	v_add_co_u32 v9, s0, v9, v1
	v_add_co_ci_u32_e64 v10, null, v10, v2, s0
	v_add_co_u32 v7, s0, v9, v7
	v_add_co_ci_u32_e64 v8, null, v10, v8, s0
	v_lshlrev_b64 v[9:10], 3, v[7:8]
	v_add_co_u32 v9, s0, s2, v9
	v_add_co_ci_u32_e64 v10, null, s3, v10, s0
	v_add_co_u32 v11, s0, v7, 1
	global_load_dwordx2 v[9:10], v[9:10], off
	s_waitcnt vmcnt(0) lgkmcnt(0)
	v_cmp_lt_i64_e64 s1, v[9:10], v[3:4]
	v_add_co_ci_u32_e64 v9, null, 0, v8, s0
	v_cndmask_b32_e64 v6, v8, v6, s1
	v_cndmask_b32_e64 v5, v7, v5, s1
	;; [unrolled: 1-line block ×4, first 2 shown]
	v_cmp_ge_u64_e64 s0, v[1:2], v[5:6]
	s_or_b32 s5, s0, s5
	s_andn2_b32 exec_lo, exec_lo, s5
	s_cbranch_execnz .LBB121_12
; %bb.13:
	s_inst_prefetch 0x2
	s_or_b32 exec_lo, exec_lo, s5
.LBB121_14:
	s_or_b32 exec_lo, exec_lo, s4
	s_and_saveexec_b32 s0, vcc_lo
	s_cbranch_execz .LBB121_16
; %bb.15:
	v_lshlrev_b32_e32 v0, 3, v0
	s_lshl_b64 s[0:1], s[8:9], 3
	s_add_u32 s0, s7, s0
	s_addc_u32 s1, s12, s1
	s_waitcnt vmcnt(0) lgkmcnt(0)
	v_add_co_u32 v3, s0, s0, v0
	v_add_co_ci_u32_e64 v4, null, s1, 0, s0
	flat_store_dwordx2 v[3:4], v[1:2]
.LBB121_16:
	s_endpgm
	.section	.rodata,"a",@progbits
	.p2align	6, 0x0
	.amdhsa_kernel _ZN7rocprim17ROCPRIM_400000_NS6detail17trampoline_kernelINS0_14default_configENS1_27lower_bound_config_selectorIxlEEZNS1_14transform_implILb0ES3_S5_N6thrust23THRUST_200600_302600_NS6detail15normal_iteratorINS8_7pointerIxNS8_11hip_rocprim5par_tENS8_11use_defaultESE_EEEENSA_INSB_IlSD_SE_SE_EEEEZNS1_13binary_searchIS3_S5_PxSG_SI_NS1_21lower_bound_search_opENS9_16wrapped_functionINS8_6system6detail7generic6detail18binary_search_lessEbEEEE10hipError_tPvRmT1_T2_T3_mmT4_T5_P12ihipStream_tbEUlRKxE_EEST_SX_SY_mSZ_S12_bEUlT_E_NS1_11comp_targetILNS1_3genE8ELNS1_11target_archE1030ELNS1_3gpuE2ELNS1_3repE0EEENS1_30default_config_static_selectorELNS0_4arch9wavefront6targetE0EEEvSW_
		.amdhsa_group_segment_fixed_size 0
		.amdhsa_private_segment_fixed_size 0
		.amdhsa_kernarg_size 312
		.amdhsa_user_sgpr_count 6
		.amdhsa_user_sgpr_private_segment_buffer 1
		.amdhsa_user_sgpr_dispatch_ptr 0
		.amdhsa_user_sgpr_queue_ptr 0
		.amdhsa_user_sgpr_kernarg_segment_ptr 1
		.amdhsa_user_sgpr_dispatch_id 0
		.amdhsa_user_sgpr_flat_scratch_init 0
		.amdhsa_user_sgpr_private_segment_size 0
		.amdhsa_wavefront_size32 1
		.amdhsa_uses_dynamic_stack 0
		.amdhsa_system_sgpr_private_segment_wavefront_offset 0
		.amdhsa_system_sgpr_workgroup_id_x 1
		.amdhsa_system_sgpr_workgroup_id_y 0
		.amdhsa_system_sgpr_workgroup_id_z 0
		.amdhsa_system_sgpr_workgroup_info 0
		.amdhsa_system_vgpr_workitem_id 0
		.amdhsa_next_free_vgpr 12
		.amdhsa_next_free_sgpr 20
		.amdhsa_reserve_vcc 1
		.amdhsa_reserve_flat_scratch 0
		.amdhsa_float_round_mode_32 0
		.amdhsa_float_round_mode_16_64 0
		.amdhsa_float_denorm_mode_32 3
		.amdhsa_float_denorm_mode_16_64 3
		.amdhsa_dx10_clamp 1
		.amdhsa_ieee_mode 1
		.amdhsa_fp16_overflow 0
		.amdhsa_workgroup_processor_mode 1
		.amdhsa_memory_ordered 1
		.amdhsa_forward_progress 1
		.amdhsa_shared_vgpr_count 0
		.amdhsa_exception_fp_ieee_invalid_op 0
		.amdhsa_exception_fp_denorm_src 0
		.amdhsa_exception_fp_ieee_div_zero 0
		.amdhsa_exception_fp_ieee_overflow 0
		.amdhsa_exception_fp_ieee_underflow 0
		.amdhsa_exception_fp_ieee_inexact 0
		.amdhsa_exception_int_div_zero 0
	.end_amdhsa_kernel
	.section	.text._ZN7rocprim17ROCPRIM_400000_NS6detail17trampoline_kernelINS0_14default_configENS1_27lower_bound_config_selectorIxlEEZNS1_14transform_implILb0ES3_S5_N6thrust23THRUST_200600_302600_NS6detail15normal_iteratorINS8_7pointerIxNS8_11hip_rocprim5par_tENS8_11use_defaultESE_EEEENSA_INSB_IlSD_SE_SE_EEEEZNS1_13binary_searchIS3_S5_PxSG_SI_NS1_21lower_bound_search_opENS9_16wrapped_functionINS8_6system6detail7generic6detail18binary_search_lessEbEEEE10hipError_tPvRmT1_T2_T3_mmT4_T5_P12ihipStream_tbEUlRKxE_EEST_SX_SY_mSZ_S12_bEUlT_E_NS1_11comp_targetILNS1_3genE8ELNS1_11target_archE1030ELNS1_3gpuE2ELNS1_3repE0EEENS1_30default_config_static_selectorELNS0_4arch9wavefront6targetE0EEEvSW_,"axG",@progbits,_ZN7rocprim17ROCPRIM_400000_NS6detail17trampoline_kernelINS0_14default_configENS1_27lower_bound_config_selectorIxlEEZNS1_14transform_implILb0ES3_S5_N6thrust23THRUST_200600_302600_NS6detail15normal_iteratorINS8_7pointerIxNS8_11hip_rocprim5par_tENS8_11use_defaultESE_EEEENSA_INSB_IlSD_SE_SE_EEEEZNS1_13binary_searchIS3_S5_PxSG_SI_NS1_21lower_bound_search_opENS9_16wrapped_functionINS8_6system6detail7generic6detail18binary_search_lessEbEEEE10hipError_tPvRmT1_T2_T3_mmT4_T5_P12ihipStream_tbEUlRKxE_EEST_SX_SY_mSZ_S12_bEUlT_E_NS1_11comp_targetILNS1_3genE8ELNS1_11target_archE1030ELNS1_3gpuE2ELNS1_3repE0EEENS1_30default_config_static_selectorELNS0_4arch9wavefront6targetE0EEEvSW_,comdat
.Lfunc_end121:
	.size	_ZN7rocprim17ROCPRIM_400000_NS6detail17trampoline_kernelINS0_14default_configENS1_27lower_bound_config_selectorIxlEEZNS1_14transform_implILb0ES3_S5_N6thrust23THRUST_200600_302600_NS6detail15normal_iteratorINS8_7pointerIxNS8_11hip_rocprim5par_tENS8_11use_defaultESE_EEEENSA_INSB_IlSD_SE_SE_EEEEZNS1_13binary_searchIS3_S5_PxSG_SI_NS1_21lower_bound_search_opENS9_16wrapped_functionINS8_6system6detail7generic6detail18binary_search_lessEbEEEE10hipError_tPvRmT1_T2_T3_mmT4_T5_P12ihipStream_tbEUlRKxE_EEST_SX_SY_mSZ_S12_bEUlT_E_NS1_11comp_targetILNS1_3genE8ELNS1_11target_archE1030ELNS1_3gpuE2ELNS1_3repE0EEENS1_30default_config_static_selectorELNS0_4arch9wavefront6targetE0EEEvSW_, .Lfunc_end121-_ZN7rocprim17ROCPRIM_400000_NS6detail17trampoline_kernelINS0_14default_configENS1_27lower_bound_config_selectorIxlEEZNS1_14transform_implILb0ES3_S5_N6thrust23THRUST_200600_302600_NS6detail15normal_iteratorINS8_7pointerIxNS8_11hip_rocprim5par_tENS8_11use_defaultESE_EEEENSA_INSB_IlSD_SE_SE_EEEEZNS1_13binary_searchIS3_S5_PxSG_SI_NS1_21lower_bound_search_opENS9_16wrapped_functionINS8_6system6detail7generic6detail18binary_search_lessEbEEEE10hipError_tPvRmT1_T2_T3_mmT4_T5_P12ihipStream_tbEUlRKxE_EEST_SX_SY_mSZ_S12_bEUlT_E_NS1_11comp_targetILNS1_3genE8ELNS1_11target_archE1030ELNS1_3gpuE2ELNS1_3repE0EEENS1_30default_config_static_selectorELNS0_4arch9wavefront6targetE0EEEvSW_
                                        ; -- End function
	.set _ZN7rocprim17ROCPRIM_400000_NS6detail17trampoline_kernelINS0_14default_configENS1_27lower_bound_config_selectorIxlEEZNS1_14transform_implILb0ES3_S5_N6thrust23THRUST_200600_302600_NS6detail15normal_iteratorINS8_7pointerIxNS8_11hip_rocprim5par_tENS8_11use_defaultESE_EEEENSA_INSB_IlSD_SE_SE_EEEEZNS1_13binary_searchIS3_S5_PxSG_SI_NS1_21lower_bound_search_opENS9_16wrapped_functionINS8_6system6detail7generic6detail18binary_search_lessEbEEEE10hipError_tPvRmT1_T2_T3_mmT4_T5_P12ihipStream_tbEUlRKxE_EEST_SX_SY_mSZ_S12_bEUlT_E_NS1_11comp_targetILNS1_3genE8ELNS1_11target_archE1030ELNS1_3gpuE2ELNS1_3repE0EEENS1_30default_config_static_selectorELNS0_4arch9wavefront6targetE0EEEvSW_.num_vgpr, 12
	.set _ZN7rocprim17ROCPRIM_400000_NS6detail17trampoline_kernelINS0_14default_configENS1_27lower_bound_config_selectorIxlEEZNS1_14transform_implILb0ES3_S5_N6thrust23THRUST_200600_302600_NS6detail15normal_iteratorINS8_7pointerIxNS8_11hip_rocprim5par_tENS8_11use_defaultESE_EEEENSA_INSB_IlSD_SE_SE_EEEEZNS1_13binary_searchIS3_S5_PxSG_SI_NS1_21lower_bound_search_opENS9_16wrapped_functionINS8_6system6detail7generic6detail18binary_search_lessEbEEEE10hipError_tPvRmT1_T2_T3_mmT4_T5_P12ihipStream_tbEUlRKxE_EEST_SX_SY_mSZ_S12_bEUlT_E_NS1_11comp_targetILNS1_3genE8ELNS1_11target_archE1030ELNS1_3gpuE2ELNS1_3repE0EEENS1_30default_config_static_selectorELNS0_4arch9wavefront6targetE0EEEvSW_.num_agpr, 0
	.set _ZN7rocprim17ROCPRIM_400000_NS6detail17trampoline_kernelINS0_14default_configENS1_27lower_bound_config_selectorIxlEEZNS1_14transform_implILb0ES3_S5_N6thrust23THRUST_200600_302600_NS6detail15normal_iteratorINS8_7pointerIxNS8_11hip_rocprim5par_tENS8_11use_defaultESE_EEEENSA_INSB_IlSD_SE_SE_EEEEZNS1_13binary_searchIS3_S5_PxSG_SI_NS1_21lower_bound_search_opENS9_16wrapped_functionINS8_6system6detail7generic6detail18binary_search_lessEbEEEE10hipError_tPvRmT1_T2_T3_mmT4_T5_P12ihipStream_tbEUlRKxE_EEST_SX_SY_mSZ_S12_bEUlT_E_NS1_11comp_targetILNS1_3genE8ELNS1_11target_archE1030ELNS1_3gpuE2ELNS1_3repE0EEENS1_30default_config_static_selectorELNS0_4arch9wavefront6targetE0EEEvSW_.numbered_sgpr, 20
	.set _ZN7rocprim17ROCPRIM_400000_NS6detail17trampoline_kernelINS0_14default_configENS1_27lower_bound_config_selectorIxlEEZNS1_14transform_implILb0ES3_S5_N6thrust23THRUST_200600_302600_NS6detail15normal_iteratorINS8_7pointerIxNS8_11hip_rocprim5par_tENS8_11use_defaultESE_EEEENSA_INSB_IlSD_SE_SE_EEEEZNS1_13binary_searchIS3_S5_PxSG_SI_NS1_21lower_bound_search_opENS9_16wrapped_functionINS8_6system6detail7generic6detail18binary_search_lessEbEEEE10hipError_tPvRmT1_T2_T3_mmT4_T5_P12ihipStream_tbEUlRKxE_EEST_SX_SY_mSZ_S12_bEUlT_E_NS1_11comp_targetILNS1_3genE8ELNS1_11target_archE1030ELNS1_3gpuE2ELNS1_3repE0EEENS1_30default_config_static_selectorELNS0_4arch9wavefront6targetE0EEEvSW_.num_named_barrier, 0
	.set _ZN7rocprim17ROCPRIM_400000_NS6detail17trampoline_kernelINS0_14default_configENS1_27lower_bound_config_selectorIxlEEZNS1_14transform_implILb0ES3_S5_N6thrust23THRUST_200600_302600_NS6detail15normal_iteratorINS8_7pointerIxNS8_11hip_rocprim5par_tENS8_11use_defaultESE_EEEENSA_INSB_IlSD_SE_SE_EEEEZNS1_13binary_searchIS3_S5_PxSG_SI_NS1_21lower_bound_search_opENS9_16wrapped_functionINS8_6system6detail7generic6detail18binary_search_lessEbEEEE10hipError_tPvRmT1_T2_T3_mmT4_T5_P12ihipStream_tbEUlRKxE_EEST_SX_SY_mSZ_S12_bEUlT_E_NS1_11comp_targetILNS1_3genE8ELNS1_11target_archE1030ELNS1_3gpuE2ELNS1_3repE0EEENS1_30default_config_static_selectorELNS0_4arch9wavefront6targetE0EEEvSW_.private_seg_size, 0
	.set _ZN7rocprim17ROCPRIM_400000_NS6detail17trampoline_kernelINS0_14default_configENS1_27lower_bound_config_selectorIxlEEZNS1_14transform_implILb0ES3_S5_N6thrust23THRUST_200600_302600_NS6detail15normal_iteratorINS8_7pointerIxNS8_11hip_rocprim5par_tENS8_11use_defaultESE_EEEENSA_INSB_IlSD_SE_SE_EEEEZNS1_13binary_searchIS3_S5_PxSG_SI_NS1_21lower_bound_search_opENS9_16wrapped_functionINS8_6system6detail7generic6detail18binary_search_lessEbEEEE10hipError_tPvRmT1_T2_T3_mmT4_T5_P12ihipStream_tbEUlRKxE_EEST_SX_SY_mSZ_S12_bEUlT_E_NS1_11comp_targetILNS1_3genE8ELNS1_11target_archE1030ELNS1_3gpuE2ELNS1_3repE0EEENS1_30default_config_static_selectorELNS0_4arch9wavefront6targetE0EEEvSW_.uses_vcc, 1
	.set _ZN7rocprim17ROCPRIM_400000_NS6detail17trampoline_kernelINS0_14default_configENS1_27lower_bound_config_selectorIxlEEZNS1_14transform_implILb0ES3_S5_N6thrust23THRUST_200600_302600_NS6detail15normal_iteratorINS8_7pointerIxNS8_11hip_rocprim5par_tENS8_11use_defaultESE_EEEENSA_INSB_IlSD_SE_SE_EEEEZNS1_13binary_searchIS3_S5_PxSG_SI_NS1_21lower_bound_search_opENS9_16wrapped_functionINS8_6system6detail7generic6detail18binary_search_lessEbEEEE10hipError_tPvRmT1_T2_T3_mmT4_T5_P12ihipStream_tbEUlRKxE_EEST_SX_SY_mSZ_S12_bEUlT_E_NS1_11comp_targetILNS1_3genE8ELNS1_11target_archE1030ELNS1_3gpuE2ELNS1_3repE0EEENS1_30default_config_static_selectorELNS0_4arch9wavefront6targetE0EEEvSW_.uses_flat_scratch, 0
	.set _ZN7rocprim17ROCPRIM_400000_NS6detail17trampoline_kernelINS0_14default_configENS1_27lower_bound_config_selectorIxlEEZNS1_14transform_implILb0ES3_S5_N6thrust23THRUST_200600_302600_NS6detail15normal_iteratorINS8_7pointerIxNS8_11hip_rocprim5par_tENS8_11use_defaultESE_EEEENSA_INSB_IlSD_SE_SE_EEEEZNS1_13binary_searchIS3_S5_PxSG_SI_NS1_21lower_bound_search_opENS9_16wrapped_functionINS8_6system6detail7generic6detail18binary_search_lessEbEEEE10hipError_tPvRmT1_T2_T3_mmT4_T5_P12ihipStream_tbEUlRKxE_EEST_SX_SY_mSZ_S12_bEUlT_E_NS1_11comp_targetILNS1_3genE8ELNS1_11target_archE1030ELNS1_3gpuE2ELNS1_3repE0EEENS1_30default_config_static_selectorELNS0_4arch9wavefront6targetE0EEEvSW_.has_dyn_sized_stack, 0
	.set _ZN7rocprim17ROCPRIM_400000_NS6detail17trampoline_kernelINS0_14default_configENS1_27lower_bound_config_selectorIxlEEZNS1_14transform_implILb0ES3_S5_N6thrust23THRUST_200600_302600_NS6detail15normal_iteratorINS8_7pointerIxNS8_11hip_rocprim5par_tENS8_11use_defaultESE_EEEENSA_INSB_IlSD_SE_SE_EEEEZNS1_13binary_searchIS3_S5_PxSG_SI_NS1_21lower_bound_search_opENS9_16wrapped_functionINS8_6system6detail7generic6detail18binary_search_lessEbEEEE10hipError_tPvRmT1_T2_T3_mmT4_T5_P12ihipStream_tbEUlRKxE_EEST_SX_SY_mSZ_S12_bEUlT_E_NS1_11comp_targetILNS1_3genE8ELNS1_11target_archE1030ELNS1_3gpuE2ELNS1_3repE0EEENS1_30default_config_static_selectorELNS0_4arch9wavefront6targetE0EEEvSW_.has_recursion, 0
	.set _ZN7rocprim17ROCPRIM_400000_NS6detail17trampoline_kernelINS0_14default_configENS1_27lower_bound_config_selectorIxlEEZNS1_14transform_implILb0ES3_S5_N6thrust23THRUST_200600_302600_NS6detail15normal_iteratorINS8_7pointerIxNS8_11hip_rocprim5par_tENS8_11use_defaultESE_EEEENSA_INSB_IlSD_SE_SE_EEEEZNS1_13binary_searchIS3_S5_PxSG_SI_NS1_21lower_bound_search_opENS9_16wrapped_functionINS8_6system6detail7generic6detail18binary_search_lessEbEEEE10hipError_tPvRmT1_T2_T3_mmT4_T5_P12ihipStream_tbEUlRKxE_EEST_SX_SY_mSZ_S12_bEUlT_E_NS1_11comp_targetILNS1_3genE8ELNS1_11target_archE1030ELNS1_3gpuE2ELNS1_3repE0EEENS1_30default_config_static_selectorELNS0_4arch9wavefront6targetE0EEEvSW_.has_indirect_call, 0
	.section	.AMDGPU.csdata,"",@progbits
; Kernel info:
; codeLenInByte = 820
; TotalNumSgprs: 22
; NumVgprs: 12
; ScratchSize: 0
; MemoryBound: 0
; FloatMode: 240
; IeeeMode: 1
; LDSByteSize: 0 bytes/workgroup (compile time only)
; SGPRBlocks: 0
; VGPRBlocks: 1
; NumSGPRsForWavesPerEU: 22
; NumVGPRsForWavesPerEU: 12
; Occupancy: 16
; WaveLimiterHint : 0
; COMPUTE_PGM_RSRC2:SCRATCH_EN: 0
; COMPUTE_PGM_RSRC2:USER_SGPR: 6
; COMPUTE_PGM_RSRC2:TRAP_HANDLER: 0
; COMPUTE_PGM_RSRC2:TGID_X_EN: 1
; COMPUTE_PGM_RSRC2:TGID_Y_EN: 0
; COMPUTE_PGM_RSRC2:TGID_Z_EN: 0
; COMPUTE_PGM_RSRC2:TIDIG_COMP_CNT: 0
	.section	.text._Z18lower_bound_kernelIiEvmPT_Pl,"axG",@progbits,_Z18lower_bound_kernelIiEvmPT_Pl,comdat
	.protected	_Z18lower_bound_kernelIiEvmPT_Pl ; -- Begin function _Z18lower_bound_kernelIiEvmPT_Pl
	.globl	_Z18lower_bound_kernelIiEvmPT_Pl
	.p2align	8
	.type	_Z18lower_bound_kernelIiEvmPT_Pl,@function
_Z18lower_bound_kernelIiEvmPT_Pl:       ; @_Z18lower_bound_kernelIiEvmPT_Pl
; %bb.0:
	s_clause 0x1
	s_load_dwordx4 s[0:3], s[4:5], 0x0
	s_load_dwordx2 s[4:5], s[4:5], 0x10
	s_waitcnt lgkmcnt(0)
	s_lshl_b64 s[0:1], s[0:1], 2
	s_add_u32 s0, s2, s0
	s_addc_u32 s1, s3, s1
	s_sub_u32 s0, s0, s2
	s_subb_u32 s1, s1, s3
	s_ashr_i64 s[6:7], s[0:1], 2
	s_mov_b32 s1, -1
	v_cmp_lt_i64_e64 s0, s[6:7], 1
	s_and_b32 s0, exec_lo, s0
	s_mov_b32 vcc_lo, s0
	s_cbranch_vccz .LBB122_2
; %bb.1:
	v_mov_b32_e32 v0, 0
	s_mov_b32 s1, 0
	v_mov_b32_e32 v1, v0
	global_store_dwordx2 v0, v[0:1], s[4:5]
.LBB122_2:
	s_andn2_b32 vcc_lo, exec_lo, s1
	s_mov_b64 s[8:9], 0
	s_cbranch_vccnz .LBB122_7
; %bb.3:
	s_mov_b64 s[10:11], s[6:7]
	.p2align	6
.LBB122_4:                              ; =>This Inner Loop Header: Depth=1
	s_sub_u32 s12, s10, s8
	s_subb_u32 s13, s11, s9
	s_lshr_b64 s[12:13], s[12:13], 1
	s_add_u32 s12, s12, s8
	s_addc_u32 s13, s13, s9
	s_lshl_b64 s[14:15], s[12:13], 2
	s_add_u32 s14, s2, s14
	s_addc_u32 s15, s3, s15
	s_load_dword s1, s[14:15], 0x0
	s_add_u32 s14, s12, 1
	s_addc_u32 s15, s13, 0
	s_waitcnt lgkmcnt(0)
	s_cmp_lt_i32 s1, 0
	s_cselect_b32 s9, s15, s9
	s_cselect_b32 s8, s14, s8
	;; [unrolled: 1-line block ×4, first 2 shown]
	v_cmp_lt_i64_e64 s1, s[8:9], s[10:11]
	s_and_b32 vcc_lo, exec_lo, s1
	s_cbranch_vccnz .LBB122_4
; %bb.5:
	s_lshl_b64 s[8:9], s[8:9], 2
	v_mov_b32_e32 v2, 0
	s_add_u32 s1, s2, s8
	s_addc_u32 s9, s3, s9
	s_sub_u32 s8, s1, s2
	s_subb_u32 s9, s9, s3
	s_mov_b64 s[10:11], s[6:7]
	s_ashr_i64 s[8:9], s[8:9], 2
	v_mov_b32_e32 v0, s8
	v_mov_b32_e32 v1, s9
	s_mov_b64 s[8:9], 0
	global_store_dwordx2 v2, v[0:1], s[4:5]
	.p2align	6
.LBB122_6:                              ; =>This Inner Loop Header: Depth=1
	s_sub_u32 s12, s10, s8
	s_subb_u32 s13, s11, s9
	s_lshr_b64 s[12:13], s[12:13], 1
	s_add_u32 s12, s12, s8
	s_addc_u32 s13, s13, s9
	s_lshl_b64 s[14:15], s[12:13], 2
	s_add_u32 s14, s2, s14
	s_addc_u32 s15, s3, s15
	s_load_dword s1, s[14:15], 0x0
	s_add_u32 s14, s12, 1
	s_addc_u32 s15, s13, 0
	s_waitcnt lgkmcnt(0)
	s_cmp_lt_i32 s1, 1
	s_cselect_b32 s9, s15, s9
	s_cselect_b32 s8, s14, s8
	;; [unrolled: 1-line block ×4, first 2 shown]
	v_cmp_ge_i64_e64 s1, s[8:9], s[10:11]
	s_and_b32 vcc_lo, exec_lo, s1
	s_cbranch_vccz .LBB122_6
.LBB122_7:
	s_lshl_b64 s[8:9], s[8:9], 2
	v_mov_b32_e32 v0, 0
	s_add_u32 s1, s2, s8
	s_addc_u32 s9, s3, s9
	s_sub_u32 s8, s1, s2
	s_subb_u32 s9, s9, s3
	s_mov_b32 s1, -1
	s_ashr_i64 s[8:9], s[8:9], 2
	s_mov_b32 vcc_lo, s0
	v_mov_b32_e32 v1, s8
	v_mov_b32_e32 v2, s9
	global_store_dwordx2 v0, v[1:2], s[4:5] offset:8
	s_cbranch_vccz .LBB122_9
; %bb.8:
	v_mov_b32_e32 v1, v0
	s_mov_b32 s1, 0
	global_store_dwordx2 v0, v[0:1], s[4:5] offset:16
.LBB122_9:
	s_andn2_b32 vcc_lo, exec_lo, s1
	s_mov_b64 s[8:9], 0
	s_cbranch_vccnz .LBB122_14
; %bb.10:
	s_mov_b64 s[10:11], s[6:7]
	.p2align	6
.LBB122_11:                             ; =>This Inner Loop Header: Depth=1
	s_sub_u32 s12, s10, s8
	s_subb_u32 s13, s11, s9
	s_lshr_b64 s[12:13], s[12:13], 1
	s_add_u32 s12, s12, s8
	s_addc_u32 s13, s13, s9
	s_lshl_b64 s[14:15], s[12:13], 2
	s_add_u32 s14, s2, s14
	s_addc_u32 s15, s3, s15
	s_load_dword s1, s[14:15], 0x0
	s_add_u32 s14, s12, 1
	s_addc_u32 s15, s13, 0
	s_waitcnt lgkmcnt(0)
	s_cmp_lt_i32 s1, 2
	s_cselect_b32 s9, s15, s9
	s_cselect_b32 s8, s14, s8
	;; [unrolled: 1-line block ×4, first 2 shown]
	v_cmp_lt_i64_e64 s1, s[8:9], s[10:11]
	s_and_b32 vcc_lo, exec_lo, s1
	s_cbranch_vccnz .LBB122_11
; %bb.12:
	s_lshl_b64 s[8:9], s[8:9], 2
	v_mov_b32_e32 v2, 0
	s_add_u32 s1, s2, s8
	s_addc_u32 s9, s3, s9
	s_sub_u32 s8, s1, s2
	s_subb_u32 s9, s9, s3
	s_mov_b64 s[10:11], s[6:7]
	s_ashr_i64 s[8:9], s[8:9], 2
	v_mov_b32_e32 v0, s8
	v_mov_b32_e32 v1, s9
	s_mov_b64 s[8:9], 0
	global_store_dwordx2 v2, v[0:1], s[4:5] offset:16
	.p2align	6
.LBB122_13:                             ; =>This Inner Loop Header: Depth=1
	s_sub_u32 s12, s10, s8
	s_subb_u32 s13, s11, s9
	s_lshr_b64 s[12:13], s[12:13], 1
	s_add_u32 s12, s12, s8
	s_addc_u32 s13, s13, s9
	s_lshl_b64 s[14:15], s[12:13], 2
	s_add_u32 s14, s2, s14
	s_addc_u32 s15, s3, s15
	s_load_dword s1, s[14:15], 0x0
	s_add_u32 s14, s12, 1
	s_addc_u32 s15, s13, 0
	s_waitcnt lgkmcnt(0)
	s_cmp_lt_i32 s1, 3
	s_cselect_b32 s9, s15, s9
	s_cselect_b32 s8, s14, s8
	;; [unrolled: 1-line block ×4, first 2 shown]
	v_cmp_ge_i64_e64 s1, s[8:9], s[10:11]
	s_and_b32 vcc_lo, exec_lo, s1
	s_cbranch_vccz .LBB122_13
.LBB122_14:
	s_lshl_b64 s[8:9], s[8:9], 2
	v_mov_b32_e32 v0, 0
	s_add_u32 s1, s2, s8
	s_addc_u32 s9, s3, s9
	s_sub_u32 s8, s1, s2
	s_subb_u32 s9, s9, s3
	s_mov_b32 s1, -1
	s_ashr_i64 s[8:9], s[8:9], 2
	s_mov_b32 vcc_lo, s0
	v_mov_b32_e32 v1, s8
	v_mov_b32_e32 v2, s9
	global_store_dwordx2 v0, v[1:2], s[4:5] offset:24
	s_cbranch_vccz .LBB122_16
; %bb.15:
	v_mov_b32_e32 v1, v0
	s_mov_b32 s1, 0
	global_store_dwordx2 v0, v[0:1], s[4:5] offset:32
.LBB122_16:
	s_andn2_b32 vcc_lo, exec_lo, s1
	s_mov_b64 s[8:9], 0
	s_cbranch_vccnz .LBB122_21
; %bb.17:
	s_mov_b64 s[10:11], s[6:7]
	.p2align	6
.LBB122_18:                             ; =>This Inner Loop Header: Depth=1
	s_sub_u32 s12, s10, s8
	s_subb_u32 s13, s11, s9
	s_lshr_b64 s[12:13], s[12:13], 1
	s_add_u32 s12, s12, s8
	s_addc_u32 s13, s13, s9
	s_lshl_b64 s[14:15], s[12:13], 2
	s_add_u32 s14, s2, s14
	s_addc_u32 s15, s3, s15
	s_load_dword s1, s[14:15], 0x0
	s_add_u32 s14, s12, 1
	s_addc_u32 s15, s13, 0
	s_waitcnt lgkmcnt(0)
	s_cmp_lt_i32 s1, 4
	s_cselect_b32 s9, s15, s9
	s_cselect_b32 s8, s14, s8
	;; [unrolled: 1-line block ×4, first 2 shown]
	v_cmp_lt_i64_e64 s1, s[8:9], s[10:11]
	s_and_b32 vcc_lo, exec_lo, s1
	s_cbranch_vccnz .LBB122_18
; %bb.19:
	s_lshl_b64 s[8:9], s[8:9], 2
	v_mov_b32_e32 v2, 0
	s_add_u32 s1, s2, s8
	s_addc_u32 s9, s3, s9
	s_sub_u32 s8, s1, s2
	s_subb_u32 s9, s9, s3
	s_mov_b64 s[10:11], s[6:7]
	s_ashr_i64 s[8:9], s[8:9], 2
	v_mov_b32_e32 v0, s8
	v_mov_b32_e32 v1, s9
	s_mov_b64 s[8:9], 0
	global_store_dwordx2 v2, v[0:1], s[4:5] offset:32
	.p2align	6
.LBB122_20:                             ; =>This Inner Loop Header: Depth=1
	s_sub_u32 s12, s10, s8
	s_subb_u32 s13, s11, s9
	s_lshr_b64 s[12:13], s[12:13], 1
	s_add_u32 s12, s12, s8
	s_addc_u32 s13, s13, s9
	s_lshl_b64 s[14:15], s[12:13], 2
	s_add_u32 s14, s2, s14
	s_addc_u32 s15, s3, s15
	s_load_dword s1, s[14:15], 0x0
	s_add_u32 s14, s12, 1
	s_addc_u32 s15, s13, 0
	s_waitcnt lgkmcnt(0)
	s_cmp_lt_i32 s1, 5
	s_cselect_b32 s9, s15, s9
	s_cselect_b32 s8, s14, s8
	;; [unrolled: 1-line block ×4, first 2 shown]
	v_cmp_ge_i64_e64 s1, s[8:9], s[10:11]
	s_and_b32 vcc_lo, exec_lo, s1
	s_cbranch_vccz .LBB122_20
.LBB122_21:
	s_lshl_b64 s[8:9], s[8:9], 2
	v_mov_b32_e32 v0, 0
	s_add_u32 s1, s2, s8
	s_addc_u32 s9, s3, s9
	s_sub_u32 s8, s1, s2
	s_subb_u32 s9, s9, s3
	s_mov_b32 s1, -1
	s_ashr_i64 s[8:9], s[8:9], 2
	s_mov_b32 vcc_lo, s0
	v_mov_b32_e32 v1, s8
	v_mov_b32_e32 v2, s9
	global_store_dwordx2 v0, v[1:2], s[4:5] offset:40
	s_cbranch_vccz .LBB122_23
; %bb.22:
	v_mov_b32_e32 v1, v0
	s_mov_b32 s1, 0
	global_store_dwordx2 v0, v[0:1], s[4:5] offset:48
.LBB122_23:
	s_andn2_b32 vcc_lo, exec_lo, s1
	s_mov_b64 s[8:9], 0
	s_cbranch_vccnz .LBB122_28
; %bb.24:
	s_mov_b64 s[10:11], s[6:7]
	.p2align	6
.LBB122_25:                             ; =>This Inner Loop Header: Depth=1
	s_sub_u32 s12, s10, s8
	s_subb_u32 s13, s11, s9
	s_lshr_b64 s[12:13], s[12:13], 1
	s_add_u32 s12, s12, s8
	s_addc_u32 s13, s13, s9
	s_lshl_b64 s[14:15], s[12:13], 2
	s_add_u32 s14, s2, s14
	s_addc_u32 s15, s3, s15
	s_load_dword s1, s[14:15], 0x0
	s_add_u32 s14, s12, 1
	s_addc_u32 s15, s13, 0
	s_waitcnt lgkmcnt(0)
	s_cmp_lt_i32 s1, 6
	s_cselect_b32 s9, s15, s9
	s_cselect_b32 s8, s14, s8
	;; [unrolled: 1-line block ×4, first 2 shown]
	v_cmp_lt_i64_e64 s1, s[8:9], s[10:11]
	s_and_b32 vcc_lo, exec_lo, s1
	s_cbranch_vccnz .LBB122_25
; %bb.26:
	s_lshl_b64 s[8:9], s[8:9], 2
	v_mov_b32_e32 v2, 0
	s_add_u32 s1, s2, s8
	s_addc_u32 s9, s3, s9
	s_sub_u32 s8, s1, s2
	s_subb_u32 s9, s9, s3
	s_mov_b64 s[10:11], s[6:7]
	s_ashr_i64 s[8:9], s[8:9], 2
	v_mov_b32_e32 v0, s8
	v_mov_b32_e32 v1, s9
	s_mov_b64 s[8:9], 0
	global_store_dwordx2 v2, v[0:1], s[4:5] offset:48
	.p2align	6
.LBB122_27:                             ; =>This Inner Loop Header: Depth=1
	s_sub_u32 s12, s10, s8
	s_subb_u32 s13, s11, s9
	s_lshr_b64 s[12:13], s[12:13], 1
	s_add_u32 s12, s12, s8
	s_addc_u32 s13, s13, s9
	s_lshl_b64 s[14:15], s[12:13], 2
	s_add_u32 s14, s2, s14
	s_addc_u32 s15, s3, s15
	s_load_dword s1, s[14:15], 0x0
	s_add_u32 s14, s12, 1
	s_addc_u32 s15, s13, 0
	s_waitcnt lgkmcnt(0)
	s_cmp_lt_i32 s1, 7
	s_cselect_b32 s9, s15, s9
	s_cselect_b32 s8, s14, s8
	;; [unrolled: 1-line block ×4, first 2 shown]
	v_cmp_ge_i64_e64 s1, s[8:9], s[10:11]
	s_and_b32 vcc_lo, exec_lo, s1
	s_cbranch_vccz .LBB122_27
.LBB122_28:
	s_lshl_b64 s[8:9], s[8:9], 2
	v_mov_b32_e32 v0, 0
	s_add_u32 s1, s2, s8
	s_addc_u32 s9, s3, s9
	s_sub_u32 s8, s1, s2
	s_subb_u32 s9, s9, s3
	s_mov_b32 s1, -1
	s_ashr_i64 s[8:9], s[8:9], 2
	s_mov_b32 vcc_lo, s0
	v_mov_b32_e32 v1, s8
	v_mov_b32_e32 v2, s9
	global_store_dwordx2 v0, v[1:2], s[4:5] offset:56
	s_cbranch_vccz .LBB122_30
; %bb.29:
	v_mov_b32_e32 v1, v0
	s_mov_b32 s1, 0
	global_store_dwordx2 v0, v[0:1], s[4:5] offset:64
.LBB122_30:
	s_andn2_b32 vcc_lo, exec_lo, s1
	s_mov_b64 s[0:1], 0
	s_cbranch_vccnz .LBB122_35
; %bb.31:
	s_mov_b64 s[8:9], s[6:7]
	.p2align	6
.LBB122_32:                             ; =>This Inner Loop Header: Depth=1
	s_sub_u32 s10, s8, s0
	s_subb_u32 s11, s9, s1
	s_lshr_b64 s[10:11], s[10:11], 1
	s_add_u32 s10, s10, s0
	s_addc_u32 s11, s11, s1
	s_lshl_b64 s[12:13], s[10:11], 2
	s_add_u32 s12, s2, s12
	s_addc_u32 s13, s3, s13
	s_load_dword s12, s[12:13], 0x0
	s_add_u32 s13, s10, 1
	s_addc_u32 s14, s11, 0
	s_waitcnt lgkmcnt(0)
	s_cmp_lt_i32 s12, 8
	s_cselect_b32 s1, s14, s1
	s_cselect_b32 s0, s13, s0
	;; [unrolled: 1-line block ×4, first 2 shown]
	v_cmp_lt_i64_e64 s10, s[0:1], s[8:9]
	s_and_b32 vcc_lo, exec_lo, s10
	s_cbranch_vccnz .LBB122_32
; %bb.33:
	s_lshl_b64 s[0:1], s[0:1], 2
	v_mov_b32_e32 v2, 0
	s_add_u32 s0, s2, s0
	s_addc_u32 s1, s3, s1
	s_sub_u32 s0, s0, s2
	s_subb_u32 s1, s1, s3
	s_ashr_i64 s[0:1], s[0:1], 2
	v_mov_b32_e32 v0, s0
	v_mov_b32_e32 v1, s1
	s_mov_b64 s[0:1], 0
	global_store_dwordx2 v2, v[0:1], s[4:5] offset:64
	.p2align	6
.LBB122_34:                             ; =>This Inner Loop Header: Depth=1
	s_sub_u32 s8, s6, s0
	s_subb_u32 s9, s7, s1
	s_lshr_b64 s[8:9], s[8:9], 1
	s_add_u32 s8, s8, s0
	s_addc_u32 s9, s9, s1
	s_lshl_b64 s[10:11], s[8:9], 2
	s_add_u32 s10, s2, s10
	s_addc_u32 s11, s3, s11
	s_load_dword s10, s[10:11], 0x0
	s_add_u32 s11, s8, 1
	s_addc_u32 s12, s9, 0
	s_waitcnt lgkmcnt(0)
	s_cmp_lt_i32 s10, 9
	s_cselect_b32 s1, s12, s1
	s_cselect_b32 s0, s11, s0
	;; [unrolled: 1-line block ×4, first 2 shown]
	v_cmp_ge_i64_e64 s8, s[0:1], s[6:7]
	s_and_b32 vcc_lo, exec_lo, s8
	s_cbranch_vccz .LBB122_34
.LBB122_35:
	s_lshl_b64 s[0:1], s[0:1], 2
	v_mov_b32_e32 v2, 0
	s_add_u32 s0, s2, s0
	s_addc_u32 s1, s3, s1
	s_sub_u32 s0, s0, s2
	s_subb_u32 s1, s1, s3
	s_ashr_i64 s[0:1], s[0:1], 2
	v_mov_b32_e32 v0, s0
	v_mov_b32_e32 v1, s1
	global_store_dwordx2 v2, v[0:1], s[4:5] offset:72
	s_endpgm
	.section	.rodata,"a",@progbits
	.p2align	6, 0x0
	.amdhsa_kernel _Z18lower_bound_kernelIiEvmPT_Pl
		.amdhsa_group_segment_fixed_size 0
		.amdhsa_private_segment_fixed_size 0
		.amdhsa_kernarg_size 24
		.amdhsa_user_sgpr_count 6
		.amdhsa_user_sgpr_private_segment_buffer 1
		.amdhsa_user_sgpr_dispatch_ptr 0
		.amdhsa_user_sgpr_queue_ptr 0
		.amdhsa_user_sgpr_kernarg_segment_ptr 1
		.amdhsa_user_sgpr_dispatch_id 0
		.amdhsa_user_sgpr_flat_scratch_init 0
		.amdhsa_user_sgpr_private_segment_size 0
		.amdhsa_wavefront_size32 1
		.amdhsa_uses_dynamic_stack 0
		.amdhsa_system_sgpr_private_segment_wavefront_offset 0
		.amdhsa_system_sgpr_workgroup_id_x 1
		.amdhsa_system_sgpr_workgroup_id_y 0
		.amdhsa_system_sgpr_workgroup_id_z 0
		.amdhsa_system_sgpr_workgroup_info 0
		.amdhsa_system_vgpr_workitem_id 0
		.amdhsa_next_free_vgpr 3
		.amdhsa_next_free_sgpr 16
		.amdhsa_reserve_vcc 1
		.amdhsa_reserve_flat_scratch 0
		.amdhsa_float_round_mode_32 0
		.amdhsa_float_round_mode_16_64 0
		.amdhsa_float_denorm_mode_32 3
		.amdhsa_float_denorm_mode_16_64 3
		.amdhsa_dx10_clamp 1
		.amdhsa_ieee_mode 1
		.amdhsa_fp16_overflow 0
		.amdhsa_workgroup_processor_mode 1
		.amdhsa_memory_ordered 1
		.amdhsa_forward_progress 1
		.amdhsa_shared_vgpr_count 0
		.amdhsa_exception_fp_ieee_invalid_op 0
		.amdhsa_exception_fp_denorm_src 0
		.amdhsa_exception_fp_ieee_div_zero 0
		.amdhsa_exception_fp_ieee_overflow 0
		.amdhsa_exception_fp_ieee_underflow 0
		.amdhsa_exception_fp_ieee_inexact 0
		.amdhsa_exception_int_div_zero 0
	.end_amdhsa_kernel
	.section	.text._Z18lower_bound_kernelIiEvmPT_Pl,"axG",@progbits,_Z18lower_bound_kernelIiEvmPT_Pl,comdat
.Lfunc_end122:
	.size	_Z18lower_bound_kernelIiEvmPT_Pl, .Lfunc_end122-_Z18lower_bound_kernelIiEvmPT_Pl
                                        ; -- End function
	.set _Z18lower_bound_kernelIiEvmPT_Pl.num_vgpr, 3
	.set _Z18lower_bound_kernelIiEvmPT_Pl.num_agpr, 0
	.set _Z18lower_bound_kernelIiEvmPT_Pl.numbered_sgpr, 16
	.set _Z18lower_bound_kernelIiEvmPT_Pl.num_named_barrier, 0
	.set _Z18lower_bound_kernelIiEvmPT_Pl.private_seg_size, 0
	.set _Z18lower_bound_kernelIiEvmPT_Pl.uses_vcc, 1
	.set _Z18lower_bound_kernelIiEvmPT_Pl.uses_flat_scratch, 0
	.set _Z18lower_bound_kernelIiEvmPT_Pl.has_dyn_sized_stack, 0
	.set _Z18lower_bound_kernelIiEvmPT_Pl.has_recursion, 0
	.set _Z18lower_bound_kernelIiEvmPT_Pl.has_indirect_call, 0
	.section	.AMDGPU.csdata,"",@progbits
; Kernel info:
; codeLenInByte = 1992
; TotalNumSgprs: 18
; NumVgprs: 3
; ScratchSize: 0
; MemoryBound: 0
; FloatMode: 240
; IeeeMode: 1
; LDSByteSize: 0 bytes/workgroup (compile time only)
; SGPRBlocks: 0
; VGPRBlocks: 0
; NumSGPRsForWavesPerEU: 18
; NumVGPRsForWavesPerEU: 3
; Occupancy: 16
; WaveLimiterHint : 0
; COMPUTE_PGM_RSRC2:SCRATCH_EN: 0
; COMPUTE_PGM_RSRC2:USER_SGPR: 6
; COMPUTE_PGM_RSRC2:TRAP_HANDLER: 0
; COMPUTE_PGM_RSRC2:TGID_X_EN: 1
; COMPUTE_PGM_RSRC2:TGID_Y_EN: 0
; COMPUTE_PGM_RSRC2:TGID_Z_EN: 0
; COMPUTE_PGM_RSRC2:TIDIG_COMP_CNT: 0
	.section	.text._ZN7rocprim17ROCPRIM_400000_NS6detail17trampoline_kernelINS0_14default_configENS1_27lower_bound_config_selectorIilEEZNS1_14transform_implILb0ES3_S5_N6thrust23THRUST_200600_302600_NS6detail15normal_iteratorINS8_7pointerIiNS8_11hip_rocprim5par_tENS8_11use_defaultESE_EEEENSA_INSB_IlSD_SE_SE_EEEEZNS1_13binary_searchIS3_S5_PiSG_SI_NS1_21lower_bound_search_opENS9_16wrapped_functionI11custom_lessbEEEE10hipError_tPvRmT1_T2_T3_mmT4_T5_P12ihipStream_tbEUlRKiE_EESP_ST_SU_mSV_SY_bEUlT_E_NS1_11comp_targetILNS1_3genE0ELNS1_11target_archE4294967295ELNS1_3gpuE0ELNS1_3repE0EEENS1_30default_config_static_selectorELNS0_4arch9wavefront6targetE0EEEvSS_,"axG",@progbits,_ZN7rocprim17ROCPRIM_400000_NS6detail17trampoline_kernelINS0_14default_configENS1_27lower_bound_config_selectorIilEEZNS1_14transform_implILb0ES3_S5_N6thrust23THRUST_200600_302600_NS6detail15normal_iteratorINS8_7pointerIiNS8_11hip_rocprim5par_tENS8_11use_defaultESE_EEEENSA_INSB_IlSD_SE_SE_EEEEZNS1_13binary_searchIS3_S5_PiSG_SI_NS1_21lower_bound_search_opENS9_16wrapped_functionI11custom_lessbEEEE10hipError_tPvRmT1_T2_T3_mmT4_T5_P12ihipStream_tbEUlRKiE_EESP_ST_SU_mSV_SY_bEUlT_E_NS1_11comp_targetILNS1_3genE0ELNS1_11target_archE4294967295ELNS1_3gpuE0ELNS1_3repE0EEENS1_30default_config_static_selectorELNS0_4arch9wavefront6targetE0EEEvSS_,comdat
	.protected	_ZN7rocprim17ROCPRIM_400000_NS6detail17trampoline_kernelINS0_14default_configENS1_27lower_bound_config_selectorIilEEZNS1_14transform_implILb0ES3_S5_N6thrust23THRUST_200600_302600_NS6detail15normal_iteratorINS8_7pointerIiNS8_11hip_rocprim5par_tENS8_11use_defaultESE_EEEENSA_INSB_IlSD_SE_SE_EEEEZNS1_13binary_searchIS3_S5_PiSG_SI_NS1_21lower_bound_search_opENS9_16wrapped_functionI11custom_lessbEEEE10hipError_tPvRmT1_T2_T3_mmT4_T5_P12ihipStream_tbEUlRKiE_EESP_ST_SU_mSV_SY_bEUlT_E_NS1_11comp_targetILNS1_3genE0ELNS1_11target_archE4294967295ELNS1_3gpuE0ELNS1_3repE0EEENS1_30default_config_static_selectorELNS0_4arch9wavefront6targetE0EEEvSS_ ; -- Begin function _ZN7rocprim17ROCPRIM_400000_NS6detail17trampoline_kernelINS0_14default_configENS1_27lower_bound_config_selectorIilEEZNS1_14transform_implILb0ES3_S5_N6thrust23THRUST_200600_302600_NS6detail15normal_iteratorINS8_7pointerIiNS8_11hip_rocprim5par_tENS8_11use_defaultESE_EEEENSA_INSB_IlSD_SE_SE_EEEEZNS1_13binary_searchIS3_S5_PiSG_SI_NS1_21lower_bound_search_opENS9_16wrapped_functionI11custom_lessbEEEE10hipError_tPvRmT1_T2_T3_mmT4_T5_P12ihipStream_tbEUlRKiE_EESP_ST_SU_mSV_SY_bEUlT_E_NS1_11comp_targetILNS1_3genE0ELNS1_11target_archE4294967295ELNS1_3gpuE0ELNS1_3repE0EEENS1_30default_config_static_selectorELNS0_4arch9wavefront6targetE0EEEvSS_
	.globl	_ZN7rocprim17ROCPRIM_400000_NS6detail17trampoline_kernelINS0_14default_configENS1_27lower_bound_config_selectorIilEEZNS1_14transform_implILb0ES3_S5_N6thrust23THRUST_200600_302600_NS6detail15normal_iteratorINS8_7pointerIiNS8_11hip_rocprim5par_tENS8_11use_defaultESE_EEEENSA_INSB_IlSD_SE_SE_EEEEZNS1_13binary_searchIS3_S5_PiSG_SI_NS1_21lower_bound_search_opENS9_16wrapped_functionI11custom_lessbEEEE10hipError_tPvRmT1_T2_T3_mmT4_T5_P12ihipStream_tbEUlRKiE_EESP_ST_SU_mSV_SY_bEUlT_E_NS1_11comp_targetILNS1_3genE0ELNS1_11target_archE4294967295ELNS1_3gpuE0ELNS1_3repE0EEENS1_30default_config_static_selectorELNS0_4arch9wavefront6targetE0EEEvSS_
	.p2align	8
	.type	_ZN7rocprim17ROCPRIM_400000_NS6detail17trampoline_kernelINS0_14default_configENS1_27lower_bound_config_selectorIilEEZNS1_14transform_implILb0ES3_S5_N6thrust23THRUST_200600_302600_NS6detail15normal_iteratorINS8_7pointerIiNS8_11hip_rocprim5par_tENS8_11use_defaultESE_EEEENSA_INSB_IlSD_SE_SE_EEEEZNS1_13binary_searchIS3_S5_PiSG_SI_NS1_21lower_bound_search_opENS9_16wrapped_functionI11custom_lessbEEEE10hipError_tPvRmT1_T2_T3_mmT4_T5_P12ihipStream_tbEUlRKiE_EESP_ST_SU_mSV_SY_bEUlT_E_NS1_11comp_targetILNS1_3genE0ELNS1_11target_archE4294967295ELNS1_3gpuE0ELNS1_3repE0EEENS1_30default_config_static_selectorELNS0_4arch9wavefront6targetE0EEEvSS_,@function
_ZN7rocprim17ROCPRIM_400000_NS6detail17trampoline_kernelINS0_14default_configENS1_27lower_bound_config_selectorIilEEZNS1_14transform_implILb0ES3_S5_N6thrust23THRUST_200600_302600_NS6detail15normal_iteratorINS8_7pointerIiNS8_11hip_rocprim5par_tENS8_11use_defaultESE_EEEENSA_INSB_IlSD_SE_SE_EEEEZNS1_13binary_searchIS3_S5_PiSG_SI_NS1_21lower_bound_search_opENS9_16wrapped_functionI11custom_lessbEEEE10hipError_tPvRmT1_T2_T3_mmT4_T5_P12ihipStream_tbEUlRKiE_EESP_ST_SU_mSV_SY_bEUlT_E_NS1_11comp_targetILNS1_3genE0ELNS1_11target_archE4294967295ELNS1_3gpuE0ELNS1_3repE0EEENS1_30default_config_static_selectorELNS0_4arch9wavefront6targetE0EEEvSS_: ; @_ZN7rocprim17ROCPRIM_400000_NS6detail17trampoline_kernelINS0_14default_configENS1_27lower_bound_config_selectorIilEEZNS1_14transform_implILb0ES3_S5_N6thrust23THRUST_200600_302600_NS6detail15normal_iteratorINS8_7pointerIiNS8_11hip_rocprim5par_tENS8_11use_defaultESE_EEEENSA_INSB_IlSD_SE_SE_EEEEZNS1_13binary_searchIS3_S5_PiSG_SI_NS1_21lower_bound_search_opENS9_16wrapped_functionI11custom_lessbEEEE10hipError_tPvRmT1_T2_T3_mmT4_T5_P12ihipStream_tbEUlRKiE_EESP_ST_SU_mSV_SY_bEUlT_E_NS1_11comp_targetILNS1_3genE0ELNS1_11target_archE4294967295ELNS1_3gpuE0ELNS1_3repE0EEENS1_30default_config_static_selectorELNS0_4arch9wavefront6targetE0EEEvSS_
; %bb.0:
	.section	.rodata,"a",@progbits
	.p2align	6, 0x0
	.amdhsa_kernel _ZN7rocprim17ROCPRIM_400000_NS6detail17trampoline_kernelINS0_14default_configENS1_27lower_bound_config_selectorIilEEZNS1_14transform_implILb0ES3_S5_N6thrust23THRUST_200600_302600_NS6detail15normal_iteratorINS8_7pointerIiNS8_11hip_rocprim5par_tENS8_11use_defaultESE_EEEENSA_INSB_IlSD_SE_SE_EEEEZNS1_13binary_searchIS3_S5_PiSG_SI_NS1_21lower_bound_search_opENS9_16wrapped_functionI11custom_lessbEEEE10hipError_tPvRmT1_T2_T3_mmT4_T5_P12ihipStream_tbEUlRKiE_EESP_ST_SU_mSV_SY_bEUlT_E_NS1_11comp_targetILNS1_3genE0ELNS1_11target_archE4294967295ELNS1_3gpuE0ELNS1_3repE0EEENS1_30default_config_static_selectorELNS0_4arch9wavefront6targetE0EEEvSS_
		.amdhsa_group_segment_fixed_size 0
		.amdhsa_private_segment_fixed_size 0
		.amdhsa_kernarg_size 56
		.amdhsa_user_sgpr_count 6
		.amdhsa_user_sgpr_private_segment_buffer 1
		.amdhsa_user_sgpr_dispatch_ptr 0
		.amdhsa_user_sgpr_queue_ptr 0
		.amdhsa_user_sgpr_kernarg_segment_ptr 1
		.amdhsa_user_sgpr_dispatch_id 0
		.amdhsa_user_sgpr_flat_scratch_init 0
		.amdhsa_user_sgpr_private_segment_size 0
		.amdhsa_wavefront_size32 1
		.amdhsa_uses_dynamic_stack 0
		.amdhsa_system_sgpr_private_segment_wavefront_offset 0
		.amdhsa_system_sgpr_workgroup_id_x 1
		.amdhsa_system_sgpr_workgroup_id_y 0
		.amdhsa_system_sgpr_workgroup_id_z 0
		.amdhsa_system_sgpr_workgroup_info 0
		.amdhsa_system_vgpr_workitem_id 0
		.amdhsa_next_free_vgpr 1
		.amdhsa_next_free_sgpr 1
		.amdhsa_reserve_vcc 0
		.amdhsa_reserve_flat_scratch 0
		.amdhsa_float_round_mode_32 0
		.amdhsa_float_round_mode_16_64 0
		.amdhsa_float_denorm_mode_32 3
		.amdhsa_float_denorm_mode_16_64 3
		.amdhsa_dx10_clamp 1
		.amdhsa_ieee_mode 1
		.amdhsa_fp16_overflow 0
		.amdhsa_workgroup_processor_mode 1
		.amdhsa_memory_ordered 1
		.amdhsa_forward_progress 1
		.amdhsa_shared_vgpr_count 0
		.amdhsa_exception_fp_ieee_invalid_op 0
		.amdhsa_exception_fp_denorm_src 0
		.amdhsa_exception_fp_ieee_div_zero 0
		.amdhsa_exception_fp_ieee_overflow 0
		.amdhsa_exception_fp_ieee_underflow 0
		.amdhsa_exception_fp_ieee_inexact 0
		.amdhsa_exception_int_div_zero 0
	.end_amdhsa_kernel
	.section	.text._ZN7rocprim17ROCPRIM_400000_NS6detail17trampoline_kernelINS0_14default_configENS1_27lower_bound_config_selectorIilEEZNS1_14transform_implILb0ES3_S5_N6thrust23THRUST_200600_302600_NS6detail15normal_iteratorINS8_7pointerIiNS8_11hip_rocprim5par_tENS8_11use_defaultESE_EEEENSA_INSB_IlSD_SE_SE_EEEEZNS1_13binary_searchIS3_S5_PiSG_SI_NS1_21lower_bound_search_opENS9_16wrapped_functionI11custom_lessbEEEE10hipError_tPvRmT1_T2_T3_mmT4_T5_P12ihipStream_tbEUlRKiE_EESP_ST_SU_mSV_SY_bEUlT_E_NS1_11comp_targetILNS1_3genE0ELNS1_11target_archE4294967295ELNS1_3gpuE0ELNS1_3repE0EEENS1_30default_config_static_selectorELNS0_4arch9wavefront6targetE0EEEvSS_,"axG",@progbits,_ZN7rocprim17ROCPRIM_400000_NS6detail17trampoline_kernelINS0_14default_configENS1_27lower_bound_config_selectorIilEEZNS1_14transform_implILb0ES3_S5_N6thrust23THRUST_200600_302600_NS6detail15normal_iteratorINS8_7pointerIiNS8_11hip_rocprim5par_tENS8_11use_defaultESE_EEEENSA_INSB_IlSD_SE_SE_EEEEZNS1_13binary_searchIS3_S5_PiSG_SI_NS1_21lower_bound_search_opENS9_16wrapped_functionI11custom_lessbEEEE10hipError_tPvRmT1_T2_T3_mmT4_T5_P12ihipStream_tbEUlRKiE_EESP_ST_SU_mSV_SY_bEUlT_E_NS1_11comp_targetILNS1_3genE0ELNS1_11target_archE4294967295ELNS1_3gpuE0ELNS1_3repE0EEENS1_30default_config_static_selectorELNS0_4arch9wavefront6targetE0EEEvSS_,comdat
.Lfunc_end123:
	.size	_ZN7rocprim17ROCPRIM_400000_NS6detail17trampoline_kernelINS0_14default_configENS1_27lower_bound_config_selectorIilEEZNS1_14transform_implILb0ES3_S5_N6thrust23THRUST_200600_302600_NS6detail15normal_iteratorINS8_7pointerIiNS8_11hip_rocprim5par_tENS8_11use_defaultESE_EEEENSA_INSB_IlSD_SE_SE_EEEEZNS1_13binary_searchIS3_S5_PiSG_SI_NS1_21lower_bound_search_opENS9_16wrapped_functionI11custom_lessbEEEE10hipError_tPvRmT1_T2_T3_mmT4_T5_P12ihipStream_tbEUlRKiE_EESP_ST_SU_mSV_SY_bEUlT_E_NS1_11comp_targetILNS1_3genE0ELNS1_11target_archE4294967295ELNS1_3gpuE0ELNS1_3repE0EEENS1_30default_config_static_selectorELNS0_4arch9wavefront6targetE0EEEvSS_, .Lfunc_end123-_ZN7rocprim17ROCPRIM_400000_NS6detail17trampoline_kernelINS0_14default_configENS1_27lower_bound_config_selectorIilEEZNS1_14transform_implILb0ES3_S5_N6thrust23THRUST_200600_302600_NS6detail15normal_iteratorINS8_7pointerIiNS8_11hip_rocprim5par_tENS8_11use_defaultESE_EEEENSA_INSB_IlSD_SE_SE_EEEEZNS1_13binary_searchIS3_S5_PiSG_SI_NS1_21lower_bound_search_opENS9_16wrapped_functionI11custom_lessbEEEE10hipError_tPvRmT1_T2_T3_mmT4_T5_P12ihipStream_tbEUlRKiE_EESP_ST_SU_mSV_SY_bEUlT_E_NS1_11comp_targetILNS1_3genE0ELNS1_11target_archE4294967295ELNS1_3gpuE0ELNS1_3repE0EEENS1_30default_config_static_selectorELNS0_4arch9wavefront6targetE0EEEvSS_
                                        ; -- End function
	.set _ZN7rocprim17ROCPRIM_400000_NS6detail17trampoline_kernelINS0_14default_configENS1_27lower_bound_config_selectorIilEEZNS1_14transform_implILb0ES3_S5_N6thrust23THRUST_200600_302600_NS6detail15normal_iteratorINS8_7pointerIiNS8_11hip_rocprim5par_tENS8_11use_defaultESE_EEEENSA_INSB_IlSD_SE_SE_EEEEZNS1_13binary_searchIS3_S5_PiSG_SI_NS1_21lower_bound_search_opENS9_16wrapped_functionI11custom_lessbEEEE10hipError_tPvRmT1_T2_T3_mmT4_T5_P12ihipStream_tbEUlRKiE_EESP_ST_SU_mSV_SY_bEUlT_E_NS1_11comp_targetILNS1_3genE0ELNS1_11target_archE4294967295ELNS1_3gpuE0ELNS1_3repE0EEENS1_30default_config_static_selectorELNS0_4arch9wavefront6targetE0EEEvSS_.num_vgpr, 0
	.set _ZN7rocprim17ROCPRIM_400000_NS6detail17trampoline_kernelINS0_14default_configENS1_27lower_bound_config_selectorIilEEZNS1_14transform_implILb0ES3_S5_N6thrust23THRUST_200600_302600_NS6detail15normal_iteratorINS8_7pointerIiNS8_11hip_rocprim5par_tENS8_11use_defaultESE_EEEENSA_INSB_IlSD_SE_SE_EEEEZNS1_13binary_searchIS3_S5_PiSG_SI_NS1_21lower_bound_search_opENS9_16wrapped_functionI11custom_lessbEEEE10hipError_tPvRmT1_T2_T3_mmT4_T5_P12ihipStream_tbEUlRKiE_EESP_ST_SU_mSV_SY_bEUlT_E_NS1_11comp_targetILNS1_3genE0ELNS1_11target_archE4294967295ELNS1_3gpuE0ELNS1_3repE0EEENS1_30default_config_static_selectorELNS0_4arch9wavefront6targetE0EEEvSS_.num_agpr, 0
	.set _ZN7rocprim17ROCPRIM_400000_NS6detail17trampoline_kernelINS0_14default_configENS1_27lower_bound_config_selectorIilEEZNS1_14transform_implILb0ES3_S5_N6thrust23THRUST_200600_302600_NS6detail15normal_iteratorINS8_7pointerIiNS8_11hip_rocprim5par_tENS8_11use_defaultESE_EEEENSA_INSB_IlSD_SE_SE_EEEEZNS1_13binary_searchIS3_S5_PiSG_SI_NS1_21lower_bound_search_opENS9_16wrapped_functionI11custom_lessbEEEE10hipError_tPvRmT1_T2_T3_mmT4_T5_P12ihipStream_tbEUlRKiE_EESP_ST_SU_mSV_SY_bEUlT_E_NS1_11comp_targetILNS1_3genE0ELNS1_11target_archE4294967295ELNS1_3gpuE0ELNS1_3repE0EEENS1_30default_config_static_selectorELNS0_4arch9wavefront6targetE0EEEvSS_.numbered_sgpr, 0
	.set _ZN7rocprim17ROCPRIM_400000_NS6detail17trampoline_kernelINS0_14default_configENS1_27lower_bound_config_selectorIilEEZNS1_14transform_implILb0ES3_S5_N6thrust23THRUST_200600_302600_NS6detail15normal_iteratorINS8_7pointerIiNS8_11hip_rocprim5par_tENS8_11use_defaultESE_EEEENSA_INSB_IlSD_SE_SE_EEEEZNS1_13binary_searchIS3_S5_PiSG_SI_NS1_21lower_bound_search_opENS9_16wrapped_functionI11custom_lessbEEEE10hipError_tPvRmT1_T2_T3_mmT4_T5_P12ihipStream_tbEUlRKiE_EESP_ST_SU_mSV_SY_bEUlT_E_NS1_11comp_targetILNS1_3genE0ELNS1_11target_archE4294967295ELNS1_3gpuE0ELNS1_3repE0EEENS1_30default_config_static_selectorELNS0_4arch9wavefront6targetE0EEEvSS_.num_named_barrier, 0
	.set _ZN7rocprim17ROCPRIM_400000_NS6detail17trampoline_kernelINS0_14default_configENS1_27lower_bound_config_selectorIilEEZNS1_14transform_implILb0ES3_S5_N6thrust23THRUST_200600_302600_NS6detail15normal_iteratorINS8_7pointerIiNS8_11hip_rocprim5par_tENS8_11use_defaultESE_EEEENSA_INSB_IlSD_SE_SE_EEEEZNS1_13binary_searchIS3_S5_PiSG_SI_NS1_21lower_bound_search_opENS9_16wrapped_functionI11custom_lessbEEEE10hipError_tPvRmT1_T2_T3_mmT4_T5_P12ihipStream_tbEUlRKiE_EESP_ST_SU_mSV_SY_bEUlT_E_NS1_11comp_targetILNS1_3genE0ELNS1_11target_archE4294967295ELNS1_3gpuE0ELNS1_3repE0EEENS1_30default_config_static_selectorELNS0_4arch9wavefront6targetE0EEEvSS_.private_seg_size, 0
	.set _ZN7rocprim17ROCPRIM_400000_NS6detail17trampoline_kernelINS0_14default_configENS1_27lower_bound_config_selectorIilEEZNS1_14transform_implILb0ES3_S5_N6thrust23THRUST_200600_302600_NS6detail15normal_iteratorINS8_7pointerIiNS8_11hip_rocprim5par_tENS8_11use_defaultESE_EEEENSA_INSB_IlSD_SE_SE_EEEEZNS1_13binary_searchIS3_S5_PiSG_SI_NS1_21lower_bound_search_opENS9_16wrapped_functionI11custom_lessbEEEE10hipError_tPvRmT1_T2_T3_mmT4_T5_P12ihipStream_tbEUlRKiE_EESP_ST_SU_mSV_SY_bEUlT_E_NS1_11comp_targetILNS1_3genE0ELNS1_11target_archE4294967295ELNS1_3gpuE0ELNS1_3repE0EEENS1_30default_config_static_selectorELNS0_4arch9wavefront6targetE0EEEvSS_.uses_vcc, 0
	.set _ZN7rocprim17ROCPRIM_400000_NS6detail17trampoline_kernelINS0_14default_configENS1_27lower_bound_config_selectorIilEEZNS1_14transform_implILb0ES3_S5_N6thrust23THRUST_200600_302600_NS6detail15normal_iteratorINS8_7pointerIiNS8_11hip_rocprim5par_tENS8_11use_defaultESE_EEEENSA_INSB_IlSD_SE_SE_EEEEZNS1_13binary_searchIS3_S5_PiSG_SI_NS1_21lower_bound_search_opENS9_16wrapped_functionI11custom_lessbEEEE10hipError_tPvRmT1_T2_T3_mmT4_T5_P12ihipStream_tbEUlRKiE_EESP_ST_SU_mSV_SY_bEUlT_E_NS1_11comp_targetILNS1_3genE0ELNS1_11target_archE4294967295ELNS1_3gpuE0ELNS1_3repE0EEENS1_30default_config_static_selectorELNS0_4arch9wavefront6targetE0EEEvSS_.uses_flat_scratch, 0
	.set _ZN7rocprim17ROCPRIM_400000_NS6detail17trampoline_kernelINS0_14default_configENS1_27lower_bound_config_selectorIilEEZNS1_14transform_implILb0ES3_S5_N6thrust23THRUST_200600_302600_NS6detail15normal_iteratorINS8_7pointerIiNS8_11hip_rocprim5par_tENS8_11use_defaultESE_EEEENSA_INSB_IlSD_SE_SE_EEEEZNS1_13binary_searchIS3_S5_PiSG_SI_NS1_21lower_bound_search_opENS9_16wrapped_functionI11custom_lessbEEEE10hipError_tPvRmT1_T2_T3_mmT4_T5_P12ihipStream_tbEUlRKiE_EESP_ST_SU_mSV_SY_bEUlT_E_NS1_11comp_targetILNS1_3genE0ELNS1_11target_archE4294967295ELNS1_3gpuE0ELNS1_3repE0EEENS1_30default_config_static_selectorELNS0_4arch9wavefront6targetE0EEEvSS_.has_dyn_sized_stack, 0
	.set _ZN7rocprim17ROCPRIM_400000_NS6detail17trampoline_kernelINS0_14default_configENS1_27lower_bound_config_selectorIilEEZNS1_14transform_implILb0ES3_S5_N6thrust23THRUST_200600_302600_NS6detail15normal_iteratorINS8_7pointerIiNS8_11hip_rocprim5par_tENS8_11use_defaultESE_EEEENSA_INSB_IlSD_SE_SE_EEEEZNS1_13binary_searchIS3_S5_PiSG_SI_NS1_21lower_bound_search_opENS9_16wrapped_functionI11custom_lessbEEEE10hipError_tPvRmT1_T2_T3_mmT4_T5_P12ihipStream_tbEUlRKiE_EESP_ST_SU_mSV_SY_bEUlT_E_NS1_11comp_targetILNS1_3genE0ELNS1_11target_archE4294967295ELNS1_3gpuE0ELNS1_3repE0EEENS1_30default_config_static_selectorELNS0_4arch9wavefront6targetE0EEEvSS_.has_recursion, 0
	.set _ZN7rocprim17ROCPRIM_400000_NS6detail17trampoline_kernelINS0_14default_configENS1_27lower_bound_config_selectorIilEEZNS1_14transform_implILb0ES3_S5_N6thrust23THRUST_200600_302600_NS6detail15normal_iteratorINS8_7pointerIiNS8_11hip_rocprim5par_tENS8_11use_defaultESE_EEEENSA_INSB_IlSD_SE_SE_EEEEZNS1_13binary_searchIS3_S5_PiSG_SI_NS1_21lower_bound_search_opENS9_16wrapped_functionI11custom_lessbEEEE10hipError_tPvRmT1_T2_T3_mmT4_T5_P12ihipStream_tbEUlRKiE_EESP_ST_SU_mSV_SY_bEUlT_E_NS1_11comp_targetILNS1_3genE0ELNS1_11target_archE4294967295ELNS1_3gpuE0ELNS1_3repE0EEENS1_30default_config_static_selectorELNS0_4arch9wavefront6targetE0EEEvSS_.has_indirect_call, 0
	.section	.AMDGPU.csdata,"",@progbits
; Kernel info:
; codeLenInByte = 0
; TotalNumSgprs: 0
; NumVgprs: 0
; ScratchSize: 0
; MemoryBound: 0
; FloatMode: 240
; IeeeMode: 1
; LDSByteSize: 0 bytes/workgroup (compile time only)
; SGPRBlocks: 0
; VGPRBlocks: 0
; NumSGPRsForWavesPerEU: 1
; NumVGPRsForWavesPerEU: 1
; Occupancy: 16
; WaveLimiterHint : 0
; COMPUTE_PGM_RSRC2:SCRATCH_EN: 0
; COMPUTE_PGM_RSRC2:USER_SGPR: 6
; COMPUTE_PGM_RSRC2:TRAP_HANDLER: 0
; COMPUTE_PGM_RSRC2:TGID_X_EN: 1
; COMPUTE_PGM_RSRC2:TGID_Y_EN: 0
; COMPUTE_PGM_RSRC2:TGID_Z_EN: 0
; COMPUTE_PGM_RSRC2:TIDIG_COMP_CNT: 0
	.section	.text._ZN7rocprim17ROCPRIM_400000_NS6detail17trampoline_kernelINS0_14default_configENS1_27lower_bound_config_selectorIilEEZNS1_14transform_implILb0ES3_S5_N6thrust23THRUST_200600_302600_NS6detail15normal_iteratorINS8_7pointerIiNS8_11hip_rocprim5par_tENS8_11use_defaultESE_EEEENSA_INSB_IlSD_SE_SE_EEEEZNS1_13binary_searchIS3_S5_PiSG_SI_NS1_21lower_bound_search_opENS9_16wrapped_functionI11custom_lessbEEEE10hipError_tPvRmT1_T2_T3_mmT4_T5_P12ihipStream_tbEUlRKiE_EESP_ST_SU_mSV_SY_bEUlT_E_NS1_11comp_targetILNS1_3genE5ELNS1_11target_archE942ELNS1_3gpuE9ELNS1_3repE0EEENS1_30default_config_static_selectorELNS0_4arch9wavefront6targetE0EEEvSS_,"axG",@progbits,_ZN7rocprim17ROCPRIM_400000_NS6detail17trampoline_kernelINS0_14default_configENS1_27lower_bound_config_selectorIilEEZNS1_14transform_implILb0ES3_S5_N6thrust23THRUST_200600_302600_NS6detail15normal_iteratorINS8_7pointerIiNS8_11hip_rocprim5par_tENS8_11use_defaultESE_EEEENSA_INSB_IlSD_SE_SE_EEEEZNS1_13binary_searchIS3_S5_PiSG_SI_NS1_21lower_bound_search_opENS9_16wrapped_functionI11custom_lessbEEEE10hipError_tPvRmT1_T2_T3_mmT4_T5_P12ihipStream_tbEUlRKiE_EESP_ST_SU_mSV_SY_bEUlT_E_NS1_11comp_targetILNS1_3genE5ELNS1_11target_archE942ELNS1_3gpuE9ELNS1_3repE0EEENS1_30default_config_static_selectorELNS0_4arch9wavefront6targetE0EEEvSS_,comdat
	.protected	_ZN7rocprim17ROCPRIM_400000_NS6detail17trampoline_kernelINS0_14default_configENS1_27lower_bound_config_selectorIilEEZNS1_14transform_implILb0ES3_S5_N6thrust23THRUST_200600_302600_NS6detail15normal_iteratorINS8_7pointerIiNS8_11hip_rocprim5par_tENS8_11use_defaultESE_EEEENSA_INSB_IlSD_SE_SE_EEEEZNS1_13binary_searchIS3_S5_PiSG_SI_NS1_21lower_bound_search_opENS9_16wrapped_functionI11custom_lessbEEEE10hipError_tPvRmT1_T2_T3_mmT4_T5_P12ihipStream_tbEUlRKiE_EESP_ST_SU_mSV_SY_bEUlT_E_NS1_11comp_targetILNS1_3genE5ELNS1_11target_archE942ELNS1_3gpuE9ELNS1_3repE0EEENS1_30default_config_static_selectorELNS0_4arch9wavefront6targetE0EEEvSS_ ; -- Begin function _ZN7rocprim17ROCPRIM_400000_NS6detail17trampoline_kernelINS0_14default_configENS1_27lower_bound_config_selectorIilEEZNS1_14transform_implILb0ES3_S5_N6thrust23THRUST_200600_302600_NS6detail15normal_iteratorINS8_7pointerIiNS8_11hip_rocprim5par_tENS8_11use_defaultESE_EEEENSA_INSB_IlSD_SE_SE_EEEEZNS1_13binary_searchIS3_S5_PiSG_SI_NS1_21lower_bound_search_opENS9_16wrapped_functionI11custom_lessbEEEE10hipError_tPvRmT1_T2_T3_mmT4_T5_P12ihipStream_tbEUlRKiE_EESP_ST_SU_mSV_SY_bEUlT_E_NS1_11comp_targetILNS1_3genE5ELNS1_11target_archE942ELNS1_3gpuE9ELNS1_3repE0EEENS1_30default_config_static_selectorELNS0_4arch9wavefront6targetE0EEEvSS_
	.globl	_ZN7rocprim17ROCPRIM_400000_NS6detail17trampoline_kernelINS0_14default_configENS1_27lower_bound_config_selectorIilEEZNS1_14transform_implILb0ES3_S5_N6thrust23THRUST_200600_302600_NS6detail15normal_iteratorINS8_7pointerIiNS8_11hip_rocprim5par_tENS8_11use_defaultESE_EEEENSA_INSB_IlSD_SE_SE_EEEEZNS1_13binary_searchIS3_S5_PiSG_SI_NS1_21lower_bound_search_opENS9_16wrapped_functionI11custom_lessbEEEE10hipError_tPvRmT1_T2_T3_mmT4_T5_P12ihipStream_tbEUlRKiE_EESP_ST_SU_mSV_SY_bEUlT_E_NS1_11comp_targetILNS1_3genE5ELNS1_11target_archE942ELNS1_3gpuE9ELNS1_3repE0EEENS1_30default_config_static_selectorELNS0_4arch9wavefront6targetE0EEEvSS_
	.p2align	8
	.type	_ZN7rocprim17ROCPRIM_400000_NS6detail17trampoline_kernelINS0_14default_configENS1_27lower_bound_config_selectorIilEEZNS1_14transform_implILb0ES3_S5_N6thrust23THRUST_200600_302600_NS6detail15normal_iteratorINS8_7pointerIiNS8_11hip_rocprim5par_tENS8_11use_defaultESE_EEEENSA_INSB_IlSD_SE_SE_EEEEZNS1_13binary_searchIS3_S5_PiSG_SI_NS1_21lower_bound_search_opENS9_16wrapped_functionI11custom_lessbEEEE10hipError_tPvRmT1_T2_T3_mmT4_T5_P12ihipStream_tbEUlRKiE_EESP_ST_SU_mSV_SY_bEUlT_E_NS1_11comp_targetILNS1_3genE5ELNS1_11target_archE942ELNS1_3gpuE9ELNS1_3repE0EEENS1_30default_config_static_selectorELNS0_4arch9wavefront6targetE0EEEvSS_,@function
_ZN7rocprim17ROCPRIM_400000_NS6detail17trampoline_kernelINS0_14default_configENS1_27lower_bound_config_selectorIilEEZNS1_14transform_implILb0ES3_S5_N6thrust23THRUST_200600_302600_NS6detail15normal_iteratorINS8_7pointerIiNS8_11hip_rocprim5par_tENS8_11use_defaultESE_EEEENSA_INSB_IlSD_SE_SE_EEEEZNS1_13binary_searchIS3_S5_PiSG_SI_NS1_21lower_bound_search_opENS9_16wrapped_functionI11custom_lessbEEEE10hipError_tPvRmT1_T2_T3_mmT4_T5_P12ihipStream_tbEUlRKiE_EESP_ST_SU_mSV_SY_bEUlT_E_NS1_11comp_targetILNS1_3genE5ELNS1_11target_archE942ELNS1_3gpuE9ELNS1_3repE0EEENS1_30default_config_static_selectorELNS0_4arch9wavefront6targetE0EEEvSS_: ; @_ZN7rocprim17ROCPRIM_400000_NS6detail17trampoline_kernelINS0_14default_configENS1_27lower_bound_config_selectorIilEEZNS1_14transform_implILb0ES3_S5_N6thrust23THRUST_200600_302600_NS6detail15normal_iteratorINS8_7pointerIiNS8_11hip_rocprim5par_tENS8_11use_defaultESE_EEEENSA_INSB_IlSD_SE_SE_EEEEZNS1_13binary_searchIS3_S5_PiSG_SI_NS1_21lower_bound_search_opENS9_16wrapped_functionI11custom_lessbEEEE10hipError_tPvRmT1_T2_T3_mmT4_T5_P12ihipStream_tbEUlRKiE_EESP_ST_SU_mSV_SY_bEUlT_E_NS1_11comp_targetILNS1_3genE5ELNS1_11target_archE942ELNS1_3gpuE9ELNS1_3repE0EEENS1_30default_config_static_selectorELNS0_4arch9wavefront6targetE0EEEvSS_
; %bb.0:
	.section	.rodata,"a",@progbits
	.p2align	6, 0x0
	.amdhsa_kernel _ZN7rocprim17ROCPRIM_400000_NS6detail17trampoline_kernelINS0_14default_configENS1_27lower_bound_config_selectorIilEEZNS1_14transform_implILb0ES3_S5_N6thrust23THRUST_200600_302600_NS6detail15normal_iteratorINS8_7pointerIiNS8_11hip_rocprim5par_tENS8_11use_defaultESE_EEEENSA_INSB_IlSD_SE_SE_EEEEZNS1_13binary_searchIS3_S5_PiSG_SI_NS1_21lower_bound_search_opENS9_16wrapped_functionI11custom_lessbEEEE10hipError_tPvRmT1_T2_T3_mmT4_T5_P12ihipStream_tbEUlRKiE_EESP_ST_SU_mSV_SY_bEUlT_E_NS1_11comp_targetILNS1_3genE5ELNS1_11target_archE942ELNS1_3gpuE9ELNS1_3repE0EEENS1_30default_config_static_selectorELNS0_4arch9wavefront6targetE0EEEvSS_
		.amdhsa_group_segment_fixed_size 0
		.amdhsa_private_segment_fixed_size 0
		.amdhsa_kernarg_size 56
		.amdhsa_user_sgpr_count 6
		.amdhsa_user_sgpr_private_segment_buffer 1
		.amdhsa_user_sgpr_dispatch_ptr 0
		.amdhsa_user_sgpr_queue_ptr 0
		.amdhsa_user_sgpr_kernarg_segment_ptr 1
		.amdhsa_user_sgpr_dispatch_id 0
		.amdhsa_user_sgpr_flat_scratch_init 0
		.amdhsa_user_sgpr_private_segment_size 0
		.amdhsa_wavefront_size32 1
		.amdhsa_uses_dynamic_stack 0
		.amdhsa_system_sgpr_private_segment_wavefront_offset 0
		.amdhsa_system_sgpr_workgroup_id_x 1
		.amdhsa_system_sgpr_workgroup_id_y 0
		.amdhsa_system_sgpr_workgroup_id_z 0
		.amdhsa_system_sgpr_workgroup_info 0
		.amdhsa_system_vgpr_workitem_id 0
		.amdhsa_next_free_vgpr 1
		.amdhsa_next_free_sgpr 1
		.amdhsa_reserve_vcc 0
		.amdhsa_reserve_flat_scratch 0
		.amdhsa_float_round_mode_32 0
		.amdhsa_float_round_mode_16_64 0
		.amdhsa_float_denorm_mode_32 3
		.amdhsa_float_denorm_mode_16_64 3
		.amdhsa_dx10_clamp 1
		.amdhsa_ieee_mode 1
		.amdhsa_fp16_overflow 0
		.amdhsa_workgroup_processor_mode 1
		.amdhsa_memory_ordered 1
		.amdhsa_forward_progress 1
		.amdhsa_shared_vgpr_count 0
		.amdhsa_exception_fp_ieee_invalid_op 0
		.amdhsa_exception_fp_denorm_src 0
		.amdhsa_exception_fp_ieee_div_zero 0
		.amdhsa_exception_fp_ieee_overflow 0
		.amdhsa_exception_fp_ieee_underflow 0
		.amdhsa_exception_fp_ieee_inexact 0
		.amdhsa_exception_int_div_zero 0
	.end_amdhsa_kernel
	.section	.text._ZN7rocprim17ROCPRIM_400000_NS6detail17trampoline_kernelINS0_14default_configENS1_27lower_bound_config_selectorIilEEZNS1_14transform_implILb0ES3_S5_N6thrust23THRUST_200600_302600_NS6detail15normal_iteratorINS8_7pointerIiNS8_11hip_rocprim5par_tENS8_11use_defaultESE_EEEENSA_INSB_IlSD_SE_SE_EEEEZNS1_13binary_searchIS3_S5_PiSG_SI_NS1_21lower_bound_search_opENS9_16wrapped_functionI11custom_lessbEEEE10hipError_tPvRmT1_T2_T3_mmT4_T5_P12ihipStream_tbEUlRKiE_EESP_ST_SU_mSV_SY_bEUlT_E_NS1_11comp_targetILNS1_3genE5ELNS1_11target_archE942ELNS1_3gpuE9ELNS1_3repE0EEENS1_30default_config_static_selectorELNS0_4arch9wavefront6targetE0EEEvSS_,"axG",@progbits,_ZN7rocprim17ROCPRIM_400000_NS6detail17trampoline_kernelINS0_14default_configENS1_27lower_bound_config_selectorIilEEZNS1_14transform_implILb0ES3_S5_N6thrust23THRUST_200600_302600_NS6detail15normal_iteratorINS8_7pointerIiNS8_11hip_rocprim5par_tENS8_11use_defaultESE_EEEENSA_INSB_IlSD_SE_SE_EEEEZNS1_13binary_searchIS3_S5_PiSG_SI_NS1_21lower_bound_search_opENS9_16wrapped_functionI11custom_lessbEEEE10hipError_tPvRmT1_T2_T3_mmT4_T5_P12ihipStream_tbEUlRKiE_EESP_ST_SU_mSV_SY_bEUlT_E_NS1_11comp_targetILNS1_3genE5ELNS1_11target_archE942ELNS1_3gpuE9ELNS1_3repE0EEENS1_30default_config_static_selectorELNS0_4arch9wavefront6targetE0EEEvSS_,comdat
.Lfunc_end124:
	.size	_ZN7rocprim17ROCPRIM_400000_NS6detail17trampoline_kernelINS0_14default_configENS1_27lower_bound_config_selectorIilEEZNS1_14transform_implILb0ES3_S5_N6thrust23THRUST_200600_302600_NS6detail15normal_iteratorINS8_7pointerIiNS8_11hip_rocprim5par_tENS8_11use_defaultESE_EEEENSA_INSB_IlSD_SE_SE_EEEEZNS1_13binary_searchIS3_S5_PiSG_SI_NS1_21lower_bound_search_opENS9_16wrapped_functionI11custom_lessbEEEE10hipError_tPvRmT1_T2_T3_mmT4_T5_P12ihipStream_tbEUlRKiE_EESP_ST_SU_mSV_SY_bEUlT_E_NS1_11comp_targetILNS1_3genE5ELNS1_11target_archE942ELNS1_3gpuE9ELNS1_3repE0EEENS1_30default_config_static_selectorELNS0_4arch9wavefront6targetE0EEEvSS_, .Lfunc_end124-_ZN7rocprim17ROCPRIM_400000_NS6detail17trampoline_kernelINS0_14default_configENS1_27lower_bound_config_selectorIilEEZNS1_14transform_implILb0ES3_S5_N6thrust23THRUST_200600_302600_NS6detail15normal_iteratorINS8_7pointerIiNS8_11hip_rocprim5par_tENS8_11use_defaultESE_EEEENSA_INSB_IlSD_SE_SE_EEEEZNS1_13binary_searchIS3_S5_PiSG_SI_NS1_21lower_bound_search_opENS9_16wrapped_functionI11custom_lessbEEEE10hipError_tPvRmT1_T2_T3_mmT4_T5_P12ihipStream_tbEUlRKiE_EESP_ST_SU_mSV_SY_bEUlT_E_NS1_11comp_targetILNS1_3genE5ELNS1_11target_archE942ELNS1_3gpuE9ELNS1_3repE0EEENS1_30default_config_static_selectorELNS0_4arch9wavefront6targetE0EEEvSS_
                                        ; -- End function
	.set _ZN7rocprim17ROCPRIM_400000_NS6detail17trampoline_kernelINS0_14default_configENS1_27lower_bound_config_selectorIilEEZNS1_14transform_implILb0ES3_S5_N6thrust23THRUST_200600_302600_NS6detail15normal_iteratorINS8_7pointerIiNS8_11hip_rocprim5par_tENS8_11use_defaultESE_EEEENSA_INSB_IlSD_SE_SE_EEEEZNS1_13binary_searchIS3_S5_PiSG_SI_NS1_21lower_bound_search_opENS9_16wrapped_functionI11custom_lessbEEEE10hipError_tPvRmT1_T2_T3_mmT4_T5_P12ihipStream_tbEUlRKiE_EESP_ST_SU_mSV_SY_bEUlT_E_NS1_11comp_targetILNS1_3genE5ELNS1_11target_archE942ELNS1_3gpuE9ELNS1_3repE0EEENS1_30default_config_static_selectorELNS0_4arch9wavefront6targetE0EEEvSS_.num_vgpr, 0
	.set _ZN7rocprim17ROCPRIM_400000_NS6detail17trampoline_kernelINS0_14default_configENS1_27lower_bound_config_selectorIilEEZNS1_14transform_implILb0ES3_S5_N6thrust23THRUST_200600_302600_NS6detail15normal_iteratorINS8_7pointerIiNS8_11hip_rocprim5par_tENS8_11use_defaultESE_EEEENSA_INSB_IlSD_SE_SE_EEEEZNS1_13binary_searchIS3_S5_PiSG_SI_NS1_21lower_bound_search_opENS9_16wrapped_functionI11custom_lessbEEEE10hipError_tPvRmT1_T2_T3_mmT4_T5_P12ihipStream_tbEUlRKiE_EESP_ST_SU_mSV_SY_bEUlT_E_NS1_11comp_targetILNS1_3genE5ELNS1_11target_archE942ELNS1_3gpuE9ELNS1_3repE0EEENS1_30default_config_static_selectorELNS0_4arch9wavefront6targetE0EEEvSS_.num_agpr, 0
	.set _ZN7rocprim17ROCPRIM_400000_NS6detail17trampoline_kernelINS0_14default_configENS1_27lower_bound_config_selectorIilEEZNS1_14transform_implILb0ES3_S5_N6thrust23THRUST_200600_302600_NS6detail15normal_iteratorINS8_7pointerIiNS8_11hip_rocprim5par_tENS8_11use_defaultESE_EEEENSA_INSB_IlSD_SE_SE_EEEEZNS1_13binary_searchIS3_S5_PiSG_SI_NS1_21lower_bound_search_opENS9_16wrapped_functionI11custom_lessbEEEE10hipError_tPvRmT1_T2_T3_mmT4_T5_P12ihipStream_tbEUlRKiE_EESP_ST_SU_mSV_SY_bEUlT_E_NS1_11comp_targetILNS1_3genE5ELNS1_11target_archE942ELNS1_3gpuE9ELNS1_3repE0EEENS1_30default_config_static_selectorELNS0_4arch9wavefront6targetE0EEEvSS_.numbered_sgpr, 0
	.set _ZN7rocprim17ROCPRIM_400000_NS6detail17trampoline_kernelINS0_14default_configENS1_27lower_bound_config_selectorIilEEZNS1_14transform_implILb0ES3_S5_N6thrust23THRUST_200600_302600_NS6detail15normal_iteratorINS8_7pointerIiNS8_11hip_rocprim5par_tENS8_11use_defaultESE_EEEENSA_INSB_IlSD_SE_SE_EEEEZNS1_13binary_searchIS3_S5_PiSG_SI_NS1_21lower_bound_search_opENS9_16wrapped_functionI11custom_lessbEEEE10hipError_tPvRmT1_T2_T3_mmT4_T5_P12ihipStream_tbEUlRKiE_EESP_ST_SU_mSV_SY_bEUlT_E_NS1_11comp_targetILNS1_3genE5ELNS1_11target_archE942ELNS1_3gpuE9ELNS1_3repE0EEENS1_30default_config_static_selectorELNS0_4arch9wavefront6targetE0EEEvSS_.num_named_barrier, 0
	.set _ZN7rocprim17ROCPRIM_400000_NS6detail17trampoline_kernelINS0_14default_configENS1_27lower_bound_config_selectorIilEEZNS1_14transform_implILb0ES3_S5_N6thrust23THRUST_200600_302600_NS6detail15normal_iteratorINS8_7pointerIiNS8_11hip_rocprim5par_tENS8_11use_defaultESE_EEEENSA_INSB_IlSD_SE_SE_EEEEZNS1_13binary_searchIS3_S5_PiSG_SI_NS1_21lower_bound_search_opENS9_16wrapped_functionI11custom_lessbEEEE10hipError_tPvRmT1_T2_T3_mmT4_T5_P12ihipStream_tbEUlRKiE_EESP_ST_SU_mSV_SY_bEUlT_E_NS1_11comp_targetILNS1_3genE5ELNS1_11target_archE942ELNS1_3gpuE9ELNS1_3repE0EEENS1_30default_config_static_selectorELNS0_4arch9wavefront6targetE0EEEvSS_.private_seg_size, 0
	.set _ZN7rocprim17ROCPRIM_400000_NS6detail17trampoline_kernelINS0_14default_configENS1_27lower_bound_config_selectorIilEEZNS1_14transform_implILb0ES3_S5_N6thrust23THRUST_200600_302600_NS6detail15normal_iteratorINS8_7pointerIiNS8_11hip_rocprim5par_tENS8_11use_defaultESE_EEEENSA_INSB_IlSD_SE_SE_EEEEZNS1_13binary_searchIS3_S5_PiSG_SI_NS1_21lower_bound_search_opENS9_16wrapped_functionI11custom_lessbEEEE10hipError_tPvRmT1_T2_T3_mmT4_T5_P12ihipStream_tbEUlRKiE_EESP_ST_SU_mSV_SY_bEUlT_E_NS1_11comp_targetILNS1_3genE5ELNS1_11target_archE942ELNS1_3gpuE9ELNS1_3repE0EEENS1_30default_config_static_selectorELNS0_4arch9wavefront6targetE0EEEvSS_.uses_vcc, 0
	.set _ZN7rocprim17ROCPRIM_400000_NS6detail17trampoline_kernelINS0_14default_configENS1_27lower_bound_config_selectorIilEEZNS1_14transform_implILb0ES3_S5_N6thrust23THRUST_200600_302600_NS6detail15normal_iteratorINS8_7pointerIiNS8_11hip_rocprim5par_tENS8_11use_defaultESE_EEEENSA_INSB_IlSD_SE_SE_EEEEZNS1_13binary_searchIS3_S5_PiSG_SI_NS1_21lower_bound_search_opENS9_16wrapped_functionI11custom_lessbEEEE10hipError_tPvRmT1_T2_T3_mmT4_T5_P12ihipStream_tbEUlRKiE_EESP_ST_SU_mSV_SY_bEUlT_E_NS1_11comp_targetILNS1_3genE5ELNS1_11target_archE942ELNS1_3gpuE9ELNS1_3repE0EEENS1_30default_config_static_selectorELNS0_4arch9wavefront6targetE0EEEvSS_.uses_flat_scratch, 0
	.set _ZN7rocprim17ROCPRIM_400000_NS6detail17trampoline_kernelINS0_14default_configENS1_27lower_bound_config_selectorIilEEZNS1_14transform_implILb0ES3_S5_N6thrust23THRUST_200600_302600_NS6detail15normal_iteratorINS8_7pointerIiNS8_11hip_rocprim5par_tENS8_11use_defaultESE_EEEENSA_INSB_IlSD_SE_SE_EEEEZNS1_13binary_searchIS3_S5_PiSG_SI_NS1_21lower_bound_search_opENS9_16wrapped_functionI11custom_lessbEEEE10hipError_tPvRmT1_T2_T3_mmT4_T5_P12ihipStream_tbEUlRKiE_EESP_ST_SU_mSV_SY_bEUlT_E_NS1_11comp_targetILNS1_3genE5ELNS1_11target_archE942ELNS1_3gpuE9ELNS1_3repE0EEENS1_30default_config_static_selectorELNS0_4arch9wavefront6targetE0EEEvSS_.has_dyn_sized_stack, 0
	.set _ZN7rocprim17ROCPRIM_400000_NS6detail17trampoline_kernelINS0_14default_configENS1_27lower_bound_config_selectorIilEEZNS1_14transform_implILb0ES3_S5_N6thrust23THRUST_200600_302600_NS6detail15normal_iteratorINS8_7pointerIiNS8_11hip_rocprim5par_tENS8_11use_defaultESE_EEEENSA_INSB_IlSD_SE_SE_EEEEZNS1_13binary_searchIS3_S5_PiSG_SI_NS1_21lower_bound_search_opENS9_16wrapped_functionI11custom_lessbEEEE10hipError_tPvRmT1_T2_T3_mmT4_T5_P12ihipStream_tbEUlRKiE_EESP_ST_SU_mSV_SY_bEUlT_E_NS1_11comp_targetILNS1_3genE5ELNS1_11target_archE942ELNS1_3gpuE9ELNS1_3repE0EEENS1_30default_config_static_selectorELNS0_4arch9wavefront6targetE0EEEvSS_.has_recursion, 0
	.set _ZN7rocprim17ROCPRIM_400000_NS6detail17trampoline_kernelINS0_14default_configENS1_27lower_bound_config_selectorIilEEZNS1_14transform_implILb0ES3_S5_N6thrust23THRUST_200600_302600_NS6detail15normal_iteratorINS8_7pointerIiNS8_11hip_rocprim5par_tENS8_11use_defaultESE_EEEENSA_INSB_IlSD_SE_SE_EEEEZNS1_13binary_searchIS3_S5_PiSG_SI_NS1_21lower_bound_search_opENS9_16wrapped_functionI11custom_lessbEEEE10hipError_tPvRmT1_T2_T3_mmT4_T5_P12ihipStream_tbEUlRKiE_EESP_ST_SU_mSV_SY_bEUlT_E_NS1_11comp_targetILNS1_3genE5ELNS1_11target_archE942ELNS1_3gpuE9ELNS1_3repE0EEENS1_30default_config_static_selectorELNS0_4arch9wavefront6targetE0EEEvSS_.has_indirect_call, 0
	.section	.AMDGPU.csdata,"",@progbits
; Kernel info:
; codeLenInByte = 0
; TotalNumSgprs: 0
; NumVgprs: 0
; ScratchSize: 0
; MemoryBound: 0
; FloatMode: 240
; IeeeMode: 1
; LDSByteSize: 0 bytes/workgroup (compile time only)
; SGPRBlocks: 0
; VGPRBlocks: 0
; NumSGPRsForWavesPerEU: 1
; NumVGPRsForWavesPerEU: 1
; Occupancy: 16
; WaveLimiterHint : 0
; COMPUTE_PGM_RSRC2:SCRATCH_EN: 0
; COMPUTE_PGM_RSRC2:USER_SGPR: 6
; COMPUTE_PGM_RSRC2:TRAP_HANDLER: 0
; COMPUTE_PGM_RSRC2:TGID_X_EN: 1
; COMPUTE_PGM_RSRC2:TGID_Y_EN: 0
; COMPUTE_PGM_RSRC2:TGID_Z_EN: 0
; COMPUTE_PGM_RSRC2:TIDIG_COMP_CNT: 0
	.section	.text._ZN7rocprim17ROCPRIM_400000_NS6detail17trampoline_kernelINS0_14default_configENS1_27lower_bound_config_selectorIilEEZNS1_14transform_implILb0ES3_S5_N6thrust23THRUST_200600_302600_NS6detail15normal_iteratorINS8_7pointerIiNS8_11hip_rocprim5par_tENS8_11use_defaultESE_EEEENSA_INSB_IlSD_SE_SE_EEEEZNS1_13binary_searchIS3_S5_PiSG_SI_NS1_21lower_bound_search_opENS9_16wrapped_functionI11custom_lessbEEEE10hipError_tPvRmT1_T2_T3_mmT4_T5_P12ihipStream_tbEUlRKiE_EESP_ST_SU_mSV_SY_bEUlT_E_NS1_11comp_targetILNS1_3genE4ELNS1_11target_archE910ELNS1_3gpuE8ELNS1_3repE0EEENS1_30default_config_static_selectorELNS0_4arch9wavefront6targetE0EEEvSS_,"axG",@progbits,_ZN7rocprim17ROCPRIM_400000_NS6detail17trampoline_kernelINS0_14default_configENS1_27lower_bound_config_selectorIilEEZNS1_14transform_implILb0ES3_S5_N6thrust23THRUST_200600_302600_NS6detail15normal_iteratorINS8_7pointerIiNS8_11hip_rocprim5par_tENS8_11use_defaultESE_EEEENSA_INSB_IlSD_SE_SE_EEEEZNS1_13binary_searchIS3_S5_PiSG_SI_NS1_21lower_bound_search_opENS9_16wrapped_functionI11custom_lessbEEEE10hipError_tPvRmT1_T2_T3_mmT4_T5_P12ihipStream_tbEUlRKiE_EESP_ST_SU_mSV_SY_bEUlT_E_NS1_11comp_targetILNS1_3genE4ELNS1_11target_archE910ELNS1_3gpuE8ELNS1_3repE0EEENS1_30default_config_static_selectorELNS0_4arch9wavefront6targetE0EEEvSS_,comdat
	.protected	_ZN7rocprim17ROCPRIM_400000_NS6detail17trampoline_kernelINS0_14default_configENS1_27lower_bound_config_selectorIilEEZNS1_14transform_implILb0ES3_S5_N6thrust23THRUST_200600_302600_NS6detail15normal_iteratorINS8_7pointerIiNS8_11hip_rocprim5par_tENS8_11use_defaultESE_EEEENSA_INSB_IlSD_SE_SE_EEEEZNS1_13binary_searchIS3_S5_PiSG_SI_NS1_21lower_bound_search_opENS9_16wrapped_functionI11custom_lessbEEEE10hipError_tPvRmT1_T2_T3_mmT4_T5_P12ihipStream_tbEUlRKiE_EESP_ST_SU_mSV_SY_bEUlT_E_NS1_11comp_targetILNS1_3genE4ELNS1_11target_archE910ELNS1_3gpuE8ELNS1_3repE0EEENS1_30default_config_static_selectorELNS0_4arch9wavefront6targetE0EEEvSS_ ; -- Begin function _ZN7rocprim17ROCPRIM_400000_NS6detail17trampoline_kernelINS0_14default_configENS1_27lower_bound_config_selectorIilEEZNS1_14transform_implILb0ES3_S5_N6thrust23THRUST_200600_302600_NS6detail15normal_iteratorINS8_7pointerIiNS8_11hip_rocprim5par_tENS8_11use_defaultESE_EEEENSA_INSB_IlSD_SE_SE_EEEEZNS1_13binary_searchIS3_S5_PiSG_SI_NS1_21lower_bound_search_opENS9_16wrapped_functionI11custom_lessbEEEE10hipError_tPvRmT1_T2_T3_mmT4_T5_P12ihipStream_tbEUlRKiE_EESP_ST_SU_mSV_SY_bEUlT_E_NS1_11comp_targetILNS1_3genE4ELNS1_11target_archE910ELNS1_3gpuE8ELNS1_3repE0EEENS1_30default_config_static_selectorELNS0_4arch9wavefront6targetE0EEEvSS_
	.globl	_ZN7rocprim17ROCPRIM_400000_NS6detail17trampoline_kernelINS0_14default_configENS1_27lower_bound_config_selectorIilEEZNS1_14transform_implILb0ES3_S5_N6thrust23THRUST_200600_302600_NS6detail15normal_iteratorINS8_7pointerIiNS8_11hip_rocprim5par_tENS8_11use_defaultESE_EEEENSA_INSB_IlSD_SE_SE_EEEEZNS1_13binary_searchIS3_S5_PiSG_SI_NS1_21lower_bound_search_opENS9_16wrapped_functionI11custom_lessbEEEE10hipError_tPvRmT1_T2_T3_mmT4_T5_P12ihipStream_tbEUlRKiE_EESP_ST_SU_mSV_SY_bEUlT_E_NS1_11comp_targetILNS1_3genE4ELNS1_11target_archE910ELNS1_3gpuE8ELNS1_3repE0EEENS1_30default_config_static_selectorELNS0_4arch9wavefront6targetE0EEEvSS_
	.p2align	8
	.type	_ZN7rocprim17ROCPRIM_400000_NS6detail17trampoline_kernelINS0_14default_configENS1_27lower_bound_config_selectorIilEEZNS1_14transform_implILb0ES3_S5_N6thrust23THRUST_200600_302600_NS6detail15normal_iteratorINS8_7pointerIiNS8_11hip_rocprim5par_tENS8_11use_defaultESE_EEEENSA_INSB_IlSD_SE_SE_EEEEZNS1_13binary_searchIS3_S5_PiSG_SI_NS1_21lower_bound_search_opENS9_16wrapped_functionI11custom_lessbEEEE10hipError_tPvRmT1_T2_T3_mmT4_T5_P12ihipStream_tbEUlRKiE_EESP_ST_SU_mSV_SY_bEUlT_E_NS1_11comp_targetILNS1_3genE4ELNS1_11target_archE910ELNS1_3gpuE8ELNS1_3repE0EEENS1_30default_config_static_selectorELNS0_4arch9wavefront6targetE0EEEvSS_,@function
_ZN7rocprim17ROCPRIM_400000_NS6detail17trampoline_kernelINS0_14default_configENS1_27lower_bound_config_selectorIilEEZNS1_14transform_implILb0ES3_S5_N6thrust23THRUST_200600_302600_NS6detail15normal_iteratorINS8_7pointerIiNS8_11hip_rocprim5par_tENS8_11use_defaultESE_EEEENSA_INSB_IlSD_SE_SE_EEEEZNS1_13binary_searchIS3_S5_PiSG_SI_NS1_21lower_bound_search_opENS9_16wrapped_functionI11custom_lessbEEEE10hipError_tPvRmT1_T2_T3_mmT4_T5_P12ihipStream_tbEUlRKiE_EESP_ST_SU_mSV_SY_bEUlT_E_NS1_11comp_targetILNS1_3genE4ELNS1_11target_archE910ELNS1_3gpuE8ELNS1_3repE0EEENS1_30default_config_static_selectorELNS0_4arch9wavefront6targetE0EEEvSS_: ; @_ZN7rocprim17ROCPRIM_400000_NS6detail17trampoline_kernelINS0_14default_configENS1_27lower_bound_config_selectorIilEEZNS1_14transform_implILb0ES3_S5_N6thrust23THRUST_200600_302600_NS6detail15normal_iteratorINS8_7pointerIiNS8_11hip_rocprim5par_tENS8_11use_defaultESE_EEEENSA_INSB_IlSD_SE_SE_EEEEZNS1_13binary_searchIS3_S5_PiSG_SI_NS1_21lower_bound_search_opENS9_16wrapped_functionI11custom_lessbEEEE10hipError_tPvRmT1_T2_T3_mmT4_T5_P12ihipStream_tbEUlRKiE_EESP_ST_SU_mSV_SY_bEUlT_E_NS1_11comp_targetILNS1_3genE4ELNS1_11target_archE910ELNS1_3gpuE8ELNS1_3repE0EEENS1_30default_config_static_selectorELNS0_4arch9wavefront6targetE0EEEvSS_
; %bb.0:
	.section	.rodata,"a",@progbits
	.p2align	6, 0x0
	.amdhsa_kernel _ZN7rocprim17ROCPRIM_400000_NS6detail17trampoline_kernelINS0_14default_configENS1_27lower_bound_config_selectorIilEEZNS1_14transform_implILb0ES3_S5_N6thrust23THRUST_200600_302600_NS6detail15normal_iteratorINS8_7pointerIiNS8_11hip_rocprim5par_tENS8_11use_defaultESE_EEEENSA_INSB_IlSD_SE_SE_EEEEZNS1_13binary_searchIS3_S5_PiSG_SI_NS1_21lower_bound_search_opENS9_16wrapped_functionI11custom_lessbEEEE10hipError_tPvRmT1_T2_T3_mmT4_T5_P12ihipStream_tbEUlRKiE_EESP_ST_SU_mSV_SY_bEUlT_E_NS1_11comp_targetILNS1_3genE4ELNS1_11target_archE910ELNS1_3gpuE8ELNS1_3repE0EEENS1_30default_config_static_selectorELNS0_4arch9wavefront6targetE0EEEvSS_
		.amdhsa_group_segment_fixed_size 0
		.amdhsa_private_segment_fixed_size 0
		.amdhsa_kernarg_size 56
		.amdhsa_user_sgpr_count 6
		.amdhsa_user_sgpr_private_segment_buffer 1
		.amdhsa_user_sgpr_dispatch_ptr 0
		.amdhsa_user_sgpr_queue_ptr 0
		.amdhsa_user_sgpr_kernarg_segment_ptr 1
		.amdhsa_user_sgpr_dispatch_id 0
		.amdhsa_user_sgpr_flat_scratch_init 0
		.amdhsa_user_sgpr_private_segment_size 0
		.amdhsa_wavefront_size32 1
		.amdhsa_uses_dynamic_stack 0
		.amdhsa_system_sgpr_private_segment_wavefront_offset 0
		.amdhsa_system_sgpr_workgroup_id_x 1
		.amdhsa_system_sgpr_workgroup_id_y 0
		.amdhsa_system_sgpr_workgroup_id_z 0
		.amdhsa_system_sgpr_workgroup_info 0
		.amdhsa_system_vgpr_workitem_id 0
		.amdhsa_next_free_vgpr 1
		.amdhsa_next_free_sgpr 1
		.amdhsa_reserve_vcc 0
		.amdhsa_reserve_flat_scratch 0
		.amdhsa_float_round_mode_32 0
		.amdhsa_float_round_mode_16_64 0
		.amdhsa_float_denorm_mode_32 3
		.amdhsa_float_denorm_mode_16_64 3
		.amdhsa_dx10_clamp 1
		.amdhsa_ieee_mode 1
		.amdhsa_fp16_overflow 0
		.amdhsa_workgroup_processor_mode 1
		.amdhsa_memory_ordered 1
		.amdhsa_forward_progress 1
		.amdhsa_shared_vgpr_count 0
		.amdhsa_exception_fp_ieee_invalid_op 0
		.amdhsa_exception_fp_denorm_src 0
		.amdhsa_exception_fp_ieee_div_zero 0
		.amdhsa_exception_fp_ieee_overflow 0
		.amdhsa_exception_fp_ieee_underflow 0
		.amdhsa_exception_fp_ieee_inexact 0
		.amdhsa_exception_int_div_zero 0
	.end_amdhsa_kernel
	.section	.text._ZN7rocprim17ROCPRIM_400000_NS6detail17trampoline_kernelINS0_14default_configENS1_27lower_bound_config_selectorIilEEZNS1_14transform_implILb0ES3_S5_N6thrust23THRUST_200600_302600_NS6detail15normal_iteratorINS8_7pointerIiNS8_11hip_rocprim5par_tENS8_11use_defaultESE_EEEENSA_INSB_IlSD_SE_SE_EEEEZNS1_13binary_searchIS3_S5_PiSG_SI_NS1_21lower_bound_search_opENS9_16wrapped_functionI11custom_lessbEEEE10hipError_tPvRmT1_T2_T3_mmT4_T5_P12ihipStream_tbEUlRKiE_EESP_ST_SU_mSV_SY_bEUlT_E_NS1_11comp_targetILNS1_3genE4ELNS1_11target_archE910ELNS1_3gpuE8ELNS1_3repE0EEENS1_30default_config_static_selectorELNS0_4arch9wavefront6targetE0EEEvSS_,"axG",@progbits,_ZN7rocprim17ROCPRIM_400000_NS6detail17trampoline_kernelINS0_14default_configENS1_27lower_bound_config_selectorIilEEZNS1_14transform_implILb0ES3_S5_N6thrust23THRUST_200600_302600_NS6detail15normal_iteratorINS8_7pointerIiNS8_11hip_rocprim5par_tENS8_11use_defaultESE_EEEENSA_INSB_IlSD_SE_SE_EEEEZNS1_13binary_searchIS3_S5_PiSG_SI_NS1_21lower_bound_search_opENS9_16wrapped_functionI11custom_lessbEEEE10hipError_tPvRmT1_T2_T3_mmT4_T5_P12ihipStream_tbEUlRKiE_EESP_ST_SU_mSV_SY_bEUlT_E_NS1_11comp_targetILNS1_3genE4ELNS1_11target_archE910ELNS1_3gpuE8ELNS1_3repE0EEENS1_30default_config_static_selectorELNS0_4arch9wavefront6targetE0EEEvSS_,comdat
.Lfunc_end125:
	.size	_ZN7rocprim17ROCPRIM_400000_NS6detail17trampoline_kernelINS0_14default_configENS1_27lower_bound_config_selectorIilEEZNS1_14transform_implILb0ES3_S5_N6thrust23THRUST_200600_302600_NS6detail15normal_iteratorINS8_7pointerIiNS8_11hip_rocprim5par_tENS8_11use_defaultESE_EEEENSA_INSB_IlSD_SE_SE_EEEEZNS1_13binary_searchIS3_S5_PiSG_SI_NS1_21lower_bound_search_opENS9_16wrapped_functionI11custom_lessbEEEE10hipError_tPvRmT1_T2_T3_mmT4_T5_P12ihipStream_tbEUlRKiE_EESP_ST_SU_mSV_SY_bEUlT_E_NS1_11comp_targetILNS1_3genE4ELNS1_11target_archE910ELNS1_3gpuE8ELNS1_3repE0EEENS1_30default_config_static_selectorELNS0_4arch9wavefront6targetE0EEEvSS_, .Lfunc_end125-_ZN7rocprim17ROCPRIM_400000_NS6detail17trampoline_kernelINS0_14default_configENS1_27lower_bound_config_selectorIilEEZNS1_14transform_implILb0ES3_S5_N6thrust23THRUST_200600_302600_NS6detail15normal_iteratorINS8_7pointerIiNS8_11hip_rocprim5par_tENS8_11use_defaultESE_EEEENSA_INSB_IlSD_SE_SE_EEEEZNS1_13binary_searchIS3_S5_PiSG_SI_NS1_21lower_bound_search_opENS9_16wrapped_functionI11custom_lessbEEEE10hipError_tPvRmT1_T2_T3_mmT4_T5_P12ihipStream_tbEUlRKiE_EESP_ST_SU_mSV_SY_bEUlT_E_NS1_11comp_targetILNS1_3genE4ELNS1_11target_archE910ELNS1_3gpuE8ELNS1_3repE0EEENS1_30default_config_static_selectorELNS0_4arch9wavefront6targetE0EEEvSS_
                                        ; -- End function
	.set _ZN7rocprim17ROCPRIM_400000_NS6detail17trampoline_kernelINS0_14default_configENS1_27lower_bound_config_selectorIilEEZNS1_14transform_implILb0ES3_S5_N6thrust23THRUST_200600_302600_NS6detail15normal_iteratorINS8_7pointerIiNS8_11hip_rocprim5par_tENS8_11use_defaultESE_EEEENSA_INSB_IlSD_SE_SE_EEEEZNS1_13binary_searchIS3_S5_PiSG_SI_NS1_21lower_bound_search_opENS9_16wrapped_functionI11custom_lessbEEEE10hipError_tPvRmT1_T2_T3_mmT4_T5_P12ihipStream_tbEUlRKiE_EESP_ST_SU_mSV_SY_bEUlT_E_NS1_11comp_targetILNS1_3genE4ELNS1_11target_archE910ELNS1_3gpuE8ELNS1_3repE0EEENS1_30default_config_static_selectorELNS0_4arch9wavefront6targetE0EEEvSS_.num_vgpr, 0
	.set _ZN7rocprim17ROCPRIM_400000_NS6detail17trampoline_kernelINS0_14default_configENS1_27lower_bound_config_selectorIilEEZNS1_14transform_implILb0ES3_S5_N6thrust23THRUST_200600_302600_NS6detail15normal_iteratorINS8_7pointerIiNS8_11hip_rocprim5par_tENS8_11use_defaultESE_EEEENSA_INSB_IlSD_SE_SE_EEEEZNS1_13binary_searchIS3_S5_PiSG_SI_NS1_21lower_bound_search_opENS9_16wrapped_functionI11custom_lessbEEEE10hipError_tPvRmT1_T2_T3_mmT4_T5_P12ihipStream_tbEUlRKiE_EESP_ST_SU_mSV_SY_bEUlT_E_NS1_11comp_targetILNS1_3genE4ELNS1_11target_archE910ELNS1_3gpuE8ELNS1_3repE0EEENS1_30default_config_static_selectorELNS0_4arch9wavefront6targetE0EEEvSS_.num_agpr, 0
	.set _ZN7rocprim17ROCPRIM_400000_NS6detail17trampoline_kernelINS0_14default_configENS1_27lower_bound_config_selectorIilEEZNS1_14transform_implILb0ES3_S5_N6thrust23THRUST_200600_302600_NS6detail15normal_iteratorINS8_7pointerIiNS8_11hip_rocprim5par_tENS8_11use_defaultESE_EEEENSA_INSB_IlSD_SE_SE_EEEEZNS1_13binary_searchIS3_S5_PiSG_SI_NS1_21lower_bound_search_opENS9_16wrapped_functionI11custom_lessbEEEE10hipError_tPvRmT1_T2_T3_mmT4_T5_P12ihipStream_tbEUlRKiE_EESP_ST_SU_mSV_SY_bEUlT_E_NS1_11comp_targetILNS1_3genE4ELNS1_11target_archE910ELNS1_3gpuE8ELNS1_3repE0EEENS1_30default_config_static_selectorELNS0_4arch9wavefront6targetE0EEEvSS_.numbered_sgpr, 0
	.set _ZN7rocprim17ROCPRIM_400000_NS6detail17trampoline_kernelINS0_14default_configENS1_27lower_bound_config_selectorIilEEZNS1_14transform_implILb0ES3_S5_N6thrust23THRUST_200600_302600_NS6detail15normal_iteratorINS8_7pointerIiNS8_11hip_rocprim5par_tENS8_11use_defaultESE_EEEENSA_INSB_IlSD_SE_SE_EEEEZNS1_13binary_searchIS3_S5_PiSG_SI_NS1_21lower_bound_search_opENS9_16wrapped_functionI11custom_lessbEEEE10hipError_tPvRmT1_T2_T3_mmT4_T5_P12ihipStream_tbEUlRKiE_EESP_ST_SU_mSV_SY_bEUlT_E_NS1_11comp_targetILNS1_3genE4ELNS1_11target_archE910ELNS1_3gpuE8ELNS1_3repE0EEENS1_30default_config_static_selectorELNS0_4arch9wavefront6targetE0EEEvSS_.num_named_barrier, 0
	.set _ZN7rocprim17ROCPRIM_400000_NS6detail17trampoline_kernelINS0_14default_configENS1_27lower_bound_config_selectorIilEEZNS1_14transform_implILb0ES3_S5_N6thrust23THRUST_200600_302600_NS6detail15normal_iteratorINS8_7pointerIiNS8_11hip_rocprim5par_tENS8_11use_defaultESE_EEEENSA_INSB_IlSD_SE_SE_EEEEZNS1_13binary_searchIS3_S5_PiSG_SI_NS1_21lower_bound_search_opENS9_16wrapped_functionI11custom_lessbEEEE10hipError_tPvRmT1_T2_T3_mmT4_T5_P12ihipStream_tbEUlRKiE_EESP_ST_SU_mSV_SY_bEUlT_E_NS1_11comp_targetILNS1_3genE4ELNS1_11target_archE910ELNS1_3gpuE8ELNS1_3repE0EEENS1_30default_config_static_selectorELNS0_4arch9wavefront6targetE0EEEvSS_.private_seg_size, 0
	.set _ZN7rocprim17ROCPRIM_400000_NS6detail17trampoline_kernelINS0_14default_configENS1_27lower_bound_config_selectorIilEEZNS1_14transform_implILb0ES3_S5_N6thrust23THRUST_200600_302600_NS6detail15normal_iteratorINS8_7pointerIiNS8_11hip_rocprim5par_tENS8_11use_defaultESE_EEEENSA_INSB_IlSD_SE_SE_EEEEZNS1_13binary_searchIS3_S5_PiSG_SI_NS1_21lower_bound_search_opENS9_16wrapped_functionI11custom_lessbEEEE10hipError_tPvRmT1_T2_T3_mmT4_T5_P12ihipStream_tbEUlRKiE_EESP_ST_SU_mSV_SY_bEUlT_E_NS1_11comp_targetILNS1_3genE4ELNS1_11target_archE910ELNS1_3gpuE8ELNS1_3repE0EEENS1_30default_config_static_selectorELNS0_4arch9wavefront6targetE0EEEvSS_.uses_vcc, 0
	.set _ZN7rocprim17ROCPRIM_400000_NS6detail17trampoline_kernelINS0_14default_configENS1_27lower_bound_config_selectorIilEEZNS1_14transform_implILb0ES3_S5_N6thrust23THRUST_200600_302600_NS6detail15normal_iteratorINS8_7pointerIiNS8_11hip_rocprim5par_tENS8_11use_defaultESE_EEEENSA_INSB_IlSD_SE_SE_EEEEZNS1_13binary_searchIS3_S5_PiSG_SI_NS1_21lower_bound_search_opENS9_16wrapped_functionI11custom_lessbEEEE10hipError_tPvRmT1_T2_T3_mmT4_T5_P12ihipStream_tbEUlRKiE_EESP_ST_SU_mSV_SY_bEUlT_E_NS1_11comp_targetILNS1_3genE4ELNS1_11target_archE910ELNS1_3gpuE8ELNS1_3repE0EEENS1_30default_config_static_selectorELNS0_4arch9wavefront6targetE0EEEvSS_.uses_flat_scratch, 0
	.set _ZN7rocprim17ROCPRIM_400000_NS6detail17trampoline_kernelINS0_14default_configENS1_27lower_bound_config_selectorIilEEZNS1_14transform_implILb0ES3_S5_N6thrust23THRUST_200600_302600_NS6detail15normal_iteratorINS8_7pointerIiNS8_11hip_rocprim5par_tENS8_11use_defaultESE_EEEENSA_INSB_IlSD_SE_SE_EEEEZNS1_13binary_searchIS3_S5_PiSG_SI_NS1_21lower_bound_search_opENS9_16wrapped_functionI11custom_lessbEEEE10hipError_tPvRmT1_T2_T3_mmT4_T5_P12ihipStream_tbEUlRKiE_EESP_ST_SU_mSV_SY_bEUlT_E_NS1_11comp_targetILNS1_3genE4ELNS1_11target_archE910ELNS1_3gpuE8ELNS1_3repE0EEENS1_30default_config_static_selectorELNS0_4arch9wavefront6targetE0EEEvSS_.has_dyn_sized_stack, 0
	.set _ZN7rocprim17ROCPRIM_400000_NS6detail17trampoline_kernelINS0_14default_configENS1_27lower_bound_config_selectorIilEEZNS1_14transform_implILb0ES3_S5_N6thrust23THRUST_200600_302600_NS6detail15normal_iteratorINS8_7pointerIiNS8_11hip_rocprim5par_tENS8_11use_defaultESE_EEEENSA_INSB_IlSD_SE_SE_EEEEZNS1_13binary_searchIS3_S5_PiSG_SI_NS1_21lower_bound_search_opENS9_16wrapped_functionI11custom_lessbEEEE10hipError_tPvRmT1_T2_T3_mmT4_T5_P12ihipStream_tbEUlRKiE_EESP_ST_SU_mSV_SY_bEUlT_E_NS1_11comp_targetILNS1_3genE4ELNS1_11target_archE910ELNS1_3gpuE8ELNS1_3repE0EEENS1_30default_config_static_selectorELNS0_4arch9wavefront6targetE0EEEvSS_.has_recursion, 0
	.set _ZN7rocprim17ROCPRIM_400000_NS6detail17trampoline_kernelINS0_14default_configENS1_27lower_bound_config_selectorIilEEZNS1_14transform_implILb0ES3_S5_N6thrust23THRUST_200600_302600_NS6detail15normal_iteratorINS8_7pointerIiNS8_11hip_rocprim5par_tENS8_11use_defaultESE_EEEENSA_INSB_IlSD_SE_SE_EEEEZNS1_13binary_searchIS3_S5_PiSG_SI_NS1_21lower_bound_search_opENS9_16wrapped_functionI11custom_lessbEEEE10hipError_tPvRmT1_T2_T3_mmT4_T5_P12ihipStream_tbEUlRKiE_EESP_ST_SU_mSV_SY_bEUlT_E_NS1_11comp_targetILNS1_3genE4ELNS1_11target_archE910ELNS1_3gpuE8ELNS1_3repE0EEENS1_30default_config_static_selectorELNS0_4arch9wavefront6targetE0EEEvSS_.has_indirect_call, 0
	.section	.AMDGPU.csdata,"",@progbits
; Kernel info:
; codeLenInByte = 0
; TotalNumSgprs: 0
; NumVgprs: 0
; ScratchSize: 0
; MemoryBound: 0
; FloatMode: 240
; IeeeMode: 1
; LDSByteSize: 0 bytes/workgroup (compile time only)
; SGPRBlocks: 0
; VGPRBlocks: 0
; NumSGPRsForWavesPerEU: 1
; NumVGPRsForWavesPerEU: 1
; Occupancy: 16
; WaveLimiterHint : 0
; COMPUTE_PGM_RSRC2:SCRATCH_EN: 0
; COMPUTE_PGM_RSRC2:USER_SGPR: 6
; COMPUTE_PGM_RSRC2:TRAP_HANDLER: 0
; COMPUTE_PGM_RSRC2:TGID_X_EN: 1
; COMPUTE_PGM_RSRC2:TGID_Y_EN: 0
; COMPUTE_PGM_RSRC2:TGID_Z_EN: 0
; COMPUTE_PGM_RSRC2:TIDIG_COMP_CNT: 0
	.section	.text._ZN7rocprim17ROCPRIM_400000_NS6detail17trampoline_kernelINS0_14default_configENS1_27lower_bound_config_selectorIilEEZNS1_14transform_implILb0ES3_S5_N6thrust23THRUST_200600_302600_NS6detail15normal_iteratorINS8_7pointerIiNS8_11hip_rocprim5par_tENS8_11use_defaultESE_EEEENSA_INSB_IlSD_SE_SE_EEEEZNS1_13binary_searchIS3_S5_PiSG_SI_NS1_21lower_bound_search_opENS9_16wrapped_functionI11custom_lessbEEEE10hipError_tPvRmT1_T2_T3_mmT4_T5_P12ihipStream_tbEUlRKiE_EESP_ST_SU_mSV_SY_bEUlT_E_NS1_11comp_targetILNS1_3genE3ELNS1_11target_archE908ELNS1_3gpuE7ELNS1_3repE0EEENS1_30default_config_static_selectorELNS0_4arch9wavefront6targetE0EEEvSS_,"axG",@progbits,_ZN7rocprim17ROCPRIM_400000_NS6detail17trampoline_kernelINS0_14default_configENS1_27lower_bound_config_selectorIilEEZNS1_14transform_implILb0ES3_S5_N6thrust23THRUST_200600_302600_NS6detail15normal_iteratorINS8_7pointerIiNS8_11hip_rocprim5par_tENS8_11use_defaultESE_EEEENSA_INSB_IlSD_SE_SE_EEEEZNS1_13binary_searchIS3_S5_PiSG_SI_NS1_21lower_bound_search_opENS9_16wrapped_functionI11custom_lessbEEEE10hipError_tPvRmT1_T2_T3_mmT4_T5_P12ihipStream_tbEUlRKiE_EESP_ST_SU_mSV_SY_bEUlT_E_NS1_11comp_targetILNS1_3genE3ELNS1_11target_archE908ELNS1_3gpuE7ELNS1_3repE0EEENS1_30default_config_static_selectorELNS0_4arch9wavefront6targetE0EEEvSS_,comdat
	.protected	_ZN7rocprim17ROCPRIM_400000_NS6detail17trampoline_kernelINS0_14default_configENS1_27lower_bound_config_selectorIilEEZNS1_14transform_implILb0ES3_S5_N6thrust23THRUST_200600_302600_NS6detail15normal_iteratorINS8_7pointerIiNS8_11hip_rocprim5par_tENS8_11use_defaultESE_EEEENSA_INSB_IlSD_SE_SE_EEEEZNS1_13binary_searchIS3_S5_PiSG_SI_NS1_21lower_bound_search_opENS9_16wrapped_functionI11custom_lessbEEEE10hipError_tPvRmT1_T2_T3_mmT4_T5_P12ihipStream_tbEUlRKiE_EESP_ST_SU_mSV_SY_bEUlT_E_NS1_11comp_targetILNS1_3genE3ELNS1_11target_archE908ELNS1_3gpuE7ELNS1_3repE0EEENS1_30default_config_static_selectorELNS0_4arch9wavefront6targetE0EEEvSS_ ; -- Begin function _ZN7rocprim17ROCPRIM_400000_NS6detail17trampoline_kernelINS0_14default_configENS1_27lower_bound_config_selectorIilEEZNS1_14transform_implILb0ES3_S5_N6thrust23THRUST_200600_302600_NS6detail15normal_iteratorINS8_7pointerIiNS8_11hip_rocprim5par_tENS8_11use_defaultESE_EEEENSA_INSB_IlSD_SE_SE_EEEEZNS1_13binary_searchIS3_S5_PiSG_SI_NS1_21lower_bound_search_opENS9_16wrapped_functionI11custom_lessbEEEE10hipError_tPvRmT1_T2_T3_mmT4_T5_P12ihipStream_tbEUlRKiE_EESP_ST_SU_mSV_SY_bEUlT_E_NS1_11comp_targetILNS1_3genE3ELNS1_11target_archE908ELNS1_3gpuE7ELNS1_3repE0EEENS1_30default_config_static_selectorELNS0_4arch9wavefront6targetE0EEEvSS_
	.globl	_ZN7rocprim17ROCPRIM_400000_NS6detail17trampoline_kernelINS0_14default_configENS1_27lower_bound_config_selectorIilEEZNS1_14transform_implILb0ES3_S5_N6thrust23THRUST_200600_302600_NS6detail15normal_iteratorINS8_7pointerIiNS8_11hip_rocprim5par_tENS8_11use_defaultESE_EEEENSA_INSB_IlSD_SE_SE_EEEEZNS1_13binary_searchIS3_S5_PiSG_SI_NS1_21lower_bound_search_opENS9_16wrapped_functionI11custom_lessbEEEE10hipError_tPvRmT1_T2_T3_mmT4_T5_P12ihipStream_tbEUlRKiE_EESP_ST_SU_mSV_SY_bEUlT_E_NS1_11comp_targetILNS1_3genE3ELNS1_11target_archE908ELNS1_3gpuE7ELNS1_3repE0EEENS1_30default_config_static_selectorELNS0_4arch9wavefront6targetE0EEEvSS_
	.p2align	8
	.type	_ZN7rocprim17ROCPRIM_400000_NS6detail17trampoline_kernelINS0_14default_configENS1_27lower_bound_config_selectorIilEEZNS1_14transform_implILb0ES3_S5_N6thrust23THRUST_200600_302600_NS6detail15normal_iteratorINS8_7pointerIiNS8_11hip_rocprim5par_tENS8_11use_defaultESE_EEEENSA_INSB_IlSD_SE_SE_EEEEZNS1_13binary_searchIS3_S5_PiSG_SI_NS1_21lower_bound_search_opENS9_16wrapped_functionI11custom_lessbEEEE10hipError_tPvRmT1_T2_T3_mmT4_T5_P12ihipStream_tbEUlRKiE_EESP_ST_SU_mSV_SY_bEUlT_E_NS1_11comp_targetILNS1_3genE3ELNS1_11target_archE908ELNS1_3gpuE7ELNS1_3repE0EEENS1_30default_config_static_selectorELNS0_4arch9wavefront6targetE0EEEvSS_,@function
_ZN7rocprim17ROCPRIM_400000_NS6detail17trampoline_kernelINS0_14default_configENS1_27lower_bound_config_selectorIilEEZNS1_14transform_implILb0ES3_S5_N6thrust23THRUST_200600_302600_NS6detail15normal_iteratorINS8_7pointerIiNS8_11hip_rocprim5par_tENS8_11use_defaultESE_EEEENSA_INSB_IlSD_SE_SE_EEEEZNS1_13binary_searchIS3_S5_PiSG_SI_NS1_21lower_bound_search_opENS9_16wrapped_functionI11custom_lessbEEEE10hipError_tPvRmT1_T2_T3_mmT4_T5_P12ihipStream_tbEUlRKiE_EESP_ST_SU_mSV_SY_bEUlT_E_NS1_11comp_targetILNS1_3genE3ELNS1_11target_archE908ELNS1_3gpuE7ELNS1_3repE0EEENS1_30default_config_static_selectorELNS0_4arch9wavefront6targetE0EEEvSS_: ; @_ZN7rocprim17ROCPRIM_400000_NS6detail17trampoline_kernelINS0_14default_configENS1_27lower_bound_config_selectorIilEEZNS1_14transform_implILb0ES3_S5_N6thrust23THRUST_200600_302600_NS6detail15normal_iteratorINS8_7pointerIiNS8_11hip_rocprim5par_tENS8_11use_defaultESE_EEEENSA_INSB_IlSD_SE_SE_EEEEZNS1_13binary_searchIS3_S5_PiSG_SI_NS1_21lower_bound_search_opENS9_16wrapped_functionI11custom_lessbEEEE10hipError_tPvRmT1_T2_T3_mmT4_T5_P12ihipStream_tbEUlRKiE_EESP_ST_SU_mSV_SY_bEUlT_E_NS1_11comp_targetILNS1_3genE3ELNS1_11target_archE908ELNS1_3gpuE7ELNS1_3repE0EEENS1_30default_config_static_selectorELNS0_4arch9wavefront6targetE0EEEvSS_
; %bb.0:
	.section	.rodata,"a",@progbits
	.p2align	6, 0x0
	.amdhsa_kernel _ZN7rocprim17ROCPRIM_400000_NS6detail17trampoline_kernelINS0_14default_configENS1_27lower_bound_config_selectorIilEEZNS1_14transform_implILb0ES3_S5_N6thrust23THRUST_200600_302600_NS6detail15normal_iteratorINS8_7pointerIiNS8_11hip_rocprim5par_tENS8_11use_defaultESE_EEEENSA_INSB_IlSD_SE_SE_EEEEZNS1_13binary_searchIS3_S5_PiSG_SI_NS1_21lower_bound_search_opENS9_16wrapped_functionI11custom_lessbEEEE10hipError_tPvRmT1_T2_T3_mmT4_T5_P12ihipStream_tbEUlRKiE_EESP_ST_SU_mSV_SY_bEUlT_E_NS1_11comp_targetILNS1_3genE3ELNS1_11target_archE908ELNS1_3gpuE7ELNS1_3repE0EEENS1_30default_config_static_selectorELNS0_4arch9wavefront6targetE0EEEvSS_
		.amdhsa_group_segment_fixed_size 0
		.amdhsa_private_segment_fixed_size 0
		.amdhsa_kernarg_size 56
		.amdhsa_user_sgpr_count 6
		.amdhsa_user_sgpr_private_segment_buffer 1
		.amdhsa_user_sgpr_dispatch_ptr 0
		.amdhsa_user_sgpr_queue_ptr 0
		.amdhsa_user_sgpr_kernarg_segment_ptr 1
		.amdhsa_user_sgpr_dispatch_id 0
		.amdhsa_user_sgpr_flat_scratch_init 0
		.amdhsa_user_sgpr_private_segment_size 0
		.amdhsa_wavefront_size32 1
		.amdhsa_uses_dynamic_stack 0
		.amdhsa_system_sgpr_private_segment_wavefront_offset 0
		.amdhsa_system_sgpr_workgroup_id_x 1
		.amdhsa_system_sgpr_workgroup_id_y 0
		.amdhsa_system_sgpr_workgroup_id_z 0
		.amdhsa_system_sgpr_workgroup_info 0
		.amdhsa_system_vgpr_workitem_id 0
		.amdhsa_next_free_vgpr 1
		.amdhsa_next_free_sgpr 1
		.amdhsa_reserve_vcc 0
		.amdhsa_reserve_flat_scratch 0
		.amdhsa_float_round_mode_32 0
		.amdhsa_float_round_mode_16_64 0
		.amdhsa_float_denorm_mode_32 3
		.amdhsa_float_denorm_mode_16_64 3
		.amdhsa_dx10_clamp 1
		.amdhsa_ieee_mode 1
		.amdhsa_fp16_overflow 0
		.amdhsa_workgroup_processor_mode 1
		.amdhsa_memory_ordered 1
		.amdhsa_forward_progress 1
		.amdhsa_shared_vgpr_count 0
		.amdhsa_exception_fp_ieee_invalid_op 0
		.amdhsa_exception_fp_denorm_src 0
		.amdhsa_exception_fp_ieee_div_zero 0
		.amdhsa_exception_fp_ieee_overflow 0
		.amdhsa_exception_fp_ieee_underflow 0
		.amdhsa_exception_fp_ieee_inexact 0
		.amdhsa_exception_int_div_zero 0
	.end_amdhsa_kernel
	.section	.text._ZN7rocprim17ROCPRIM_400000_NS6detail17trampoline_kernelINS0_14default_configENS1_27lower_bound_config_selectorIilEEZNS1_14transform_implILb0ES3_S5_N6thrust23THRUST_200600_302600_NS6detail15normal_iteratorINS8_7pointerIiNS8_11hip_rocprim5par_tENS8_11use_defaultESE_EEEENSA_INSB_IlSD_SE_SE_EEEEZNS1_13binary_searchIS3_S5_PiSG_SI_NS1_21lower_bound_search_opENS9_16wrapped_functionI11custom_lessbEEEE10hipError_tPvRmT1_T2_T3_mmT4_T5_P12ihipStream_tbEUlRKiE_EESP_ST_SU_mSV_SY_bEUlT_E_NS1_11comp_targetILNS1_3genE3ELNS1_11target_archE908ELNS1_3gpuE7ELNS1_3repE0EEENS1_30default_config_static_selectorELNS0_4arch9wavefront6targetE0EEEvSS_,"axG",@progbits,_ZN7rocprim17ROCPRIM_400000_NS6detail17trampoline_kernelINS0_14default_configENS1_27lower_bound_config_selectorIilEEZNS1_14transform_implILb0ES3_S5_N6thrust23THRUST_200600_302600_NS6detail15normal_iteratorINS8_7pointerIiNS8_11hip_rocprim5par_tENS8_11use_defaultESE_EEEENSA_INSB_IlSD_SE_SE_EEEEZNS1_13binary_searchIS3_S5_PiSG_SI_NS1_21lower_bound_search_opENS9_16wrapped_functionI11custom_lessbEEEE10hipError_tPvRmT1_T2_T3_mmT4_T5_P12ihipStream_tbEUlRKiE_EESP_ST_SU_mSV_SY_bEUlT_E_NS1_11comp_targetILNS1_3genE3ELNS1_11target_archE908ELNS1_3gpuE7ELNS1_3repE0EEENS1_30default_config_static_selectorELNS0_4arch9wavefront6targetE0EEEvSS_,comdat
.Lfunc_end126:
	.size	_ZN7rocprim17ROCPRIM_400000_NS6detail17trampoline_kernelINS0_14default_configENS1_27lower_bound_config_selectorIilEEZNS1_14transform_implILb0ES3_S5_N6thrust23THRUST_200600_302600_NS6detail15normal_iteratorINS8_7pointerIiNS8_11hip_rocprim5par_tENS8_11use_defaultESE_EEEENSA_INSB_IlSD_SE_SE_EEEEZNS1_13binary_searchIS3_S5_PiSG_SI_NS1_21lower_bound_search_opENS9_16wrapped_functionI11custom_lessbEEEE10hipError_tPvRmT1_T2_T3_mmT4_T5_P12ihipStream_tbEUlRKiE_EESP_ST_SU_mSV_SY_bEUlT_E_NS1_11comp_targetILNS1_3genE3ELNS1_11target_archE908ELNS1_3gpuE7ELNS1_3repE0EEENS1_30default_config_static_selectorELNS0_4arch9wavefront6targetE0EEEvSS_, .Lfunc_end126-_ZN7rocprim17ROCPRIM_400000_NS6detail17trampoline_kernelINS0_14default_configENS1_27lower_bound_config_selectorIilEEZNS1_14transform_implILb0ES3_S5_N6thrust23THRUST_200600_302600_NS6detail15normal_iteratorINS8_7pointerIiNS8_11hip_rocprim5par_tENS8_11use_defaultESE_EEEENSA_INSB_IlSD_SE_SE_EEEEZNS1_13binary_searchIS3_S5_PiSG_SI_NS1_21lower_bound_search_opENS9_16wrapped_functionI11custom_lessbEEEE10hipError_tPvRmT1_T2_T3_mmT4_T5_P12ihipStream_tbEUlRKiE_EESP_ST_SU_mSV_SY_bEUlT_E_NS1_11comp_targetILNS1_3genE3ELNS1_11target_archE908ELNS1_3gpuE7ELNS1_3repE0EEENS1_30default_config_static_selectorELNS0_4arch9wavefront6targetE0EEEvSS_
                                        ; -- End function
	.set _ZN7rocprim17ROCPRIM_400000_NS6detail17trampoline_kernelINS0_14default_configENS1_27lower_bound_config_selectorIilEEZNS1_14transform_implILb0ES3_S5_N6thrust23THRUST_200600_302600_NS6detail15normal_iteratorINS8_7pointerIiNS8_11hip_rocprim5par_tENS8_11use_defaultESE_EEEENSA_INSB_IlSD_SE_SE_EEEEZNS1_13binary_searchIS3_S5_PiSG_SI_NS1_21lower_bound_search_opENS9_16wrapped_functionI11custom_lessbEEEE10hipError_tPvRmT1_T2_T3_mmT4_T5_P12ihipStream_tbEUlRKiE_EESP_ST_SU_mSV_SY_bEUlT_E_NS1_11comp_targetILNS1_3genE3ELNS1_11target_archE908ELNS1_3gpuE7ELNS1_3repE0EEENS1_30default_config_static_selectorELNS0_4arch9wavefront6targetE0EEEvSS_.num_vgpr, 0
	.set _ZN7rocprim17ROCPRIM_400000_NS6detail17trampoline_kernelINS0_14default_configENS1_27lower_bound_config_selectorIilEEZNS1_14transform_implILb0ES3_S5_N6thrust23THRUST_200600_302600_NS6detail15normal_iteratorINS8_7pointerIiNS8_11hip_rocprim5par_tENS8_11use_defaultESE_EEEENSA_INSB_IlSD_SE_SE_EEEEZNS1_13binary_searchIS3_S5_PiSG_SI_NS1_21lower_bound_search_opENS9_16wrapped_functionI11custom_lessbEEEE10hipError_tPvRmT1_T2_T3_mmT4_T5_P12ihipStream_tbEUlRKiE_EESP_ST_SU_mSV_SY_bEUlT_E_NS1_11comp_targetILNS1_3genE3ELNS1_11target_archE908ELNS1_3gpuE7ELNS1_3repE0EEENS1_30default_config_static_selectorELNS0_4arch9wavefront6targetE0EEEvSS_.num_agpr, 0
	.set _ZN7rocprim17ROCPRIM_400000_NS6detail17trampoline_kernelINS0_14default_configENS1_27lower_bound_config_selectorIilEEZNS1_14transform_implILb0ES3_S5_N6thrust23THRUST_200600_302600_NS6detail15normal_iteratorINS8_7pointerIiNS8_11hip_rocprim5par_tENS8_11use_defaultESE_EEEENSA_INSB_IlSD_SE_SE_EEEEZNS1_13binary_searchIS3_S5_PiSG_SI_NS1_21lower_bound_search_opENS9_16wrapped_functionI11custom_lessbEEEE10hipError_tPvRmT1_T2_T3_mmT4_T5_P12ihipStream_tbEUlRKiE_EESP_ST_SU_mSV_SY_bEUlT_E_NS1_11comp_targetILNS1_3genE3ELNS1_11target_archE908ELNS1_3gpuE7ELNS1_3repE0EEENS1_30default_config_static_selectorELNS0_4arch9wavefront6targetE0EEEvSS_.numbered_sgpr, 0
	.set _ZN7rocprim17ROCPRIM_400000_NS6detail17trampoline_kernelINS0_14default_configENS1_27lower_bound_config_selectorIilEEZNS1_14transform_implILb0ES3_S5_N6thrust23THRUST_200600_302600_NS6detail15normal_iteratorINS8_7pointerIiNS8_11hip_rocprim5par_tENS8_11use_defaultESE_EEEENSA_INSB_IlSD_SE_SE_EEEEZNS1_13binary_searchIS3_S5_PiSG_SI_NS1_21lower_bound_search_opENS9_16wrapped_functionI11custom_lessbEEEE10hipError_tPvRmT1_T2_T3_mmT4_T5_P12ihipStream_tbEUlRKiE_EESP_ST_SU_mSV_SY_bEUlT_E_NS1_11comp_targetILNS1_3genE3ELNS1_11target_archE908ELNS1_3gpuE7ELNS1_3repE0EEENS1_30default_config_static_selectorELNS0_4arch9wavefront6targetE0EEEvSS_.num_named_barrier, 0
	.set _ZN7rocprim17ROCPRIM_400000_NS6detail17trampoline_kernelINS0_14default_configENS1_27lower_bound_config_selectorIilEEZNS1_14transform_implILb0ES3_S5_N6thrust23THRUST_200600_302600_NS6detail15normal_iteratorINS8_7pointerIiNS8_11hip_rocprim5par_tENS8_11use_defaultESE_EEEENSA_INSB_IlSD_SE_SE_EEEEZNS1_13binary_searchIS3_S5_PiSG_SI_NS1_21lower_bound_search_opENS9_16wrapped_functionI11custom_lessbEEEE10hipError_tPvRmT1_T2_T3_mmT4_T5_P12ihipStream_tbEUlRKiE_EESP_ST_SU_mSV_SY_bEUlT_E_NS1_11comp_targetILNS1_3genE3ELNS1_11target_archE908ELNS1_3gpuE7ELNS1_3repE0EEENS1_30default_config_static_selectorELNS0_4arch9wavefront6targetE0EEEvSS_.private_seg_size, 0
	.set _ZN7rocprim17ROCPRIM_400000_NS6detail17trampoline_kernelINS0_14default_configENS1_27lower_bound_config_selectorIilEEZNS1_14transform_implILb0ES3_S5_N6thrust23THRUST_200600_302600_NS6detail15normal_iteratorINS8_7pointerIiNS8_11hip_rocprim5par_tENS8_11use_defaultESE_EEEENSA_INSB_IlSD_SE_SE_EEEEZNS1_13binary_searchIS3_S5_PiSG_SI_NS1_21lower_bound_search_opENS9_16wrapped_functionI11custom_lessbEEEE10hipError_tPvRmT1_T2_T3_mmT4_T5_P12ihipStream_tbEUlRKiE_EESP_ST_SU_mSV_SY_bEUlT_E_NS1_11comp_targetILNS1_3genE3ELNS1_11target_archE908ELNS1_3gpuE7ELNS1_3repE0EEENS1_30default_config_static_selectorELNS0_4arch9wavefront6targetE0EEEvSS_.uses_vcc, 0
	.set _ZN7rocprim17ROCPRIM_400000_NS6detail17trampoline_kernelINS0_14default_configENS1_27lower_bound_config_selectorIilEEZNS1_14transform_implILb0ES3_S5_N6thrust23THRUST_200600_302600_NS6detail15normal_iteratorINS8_7pointerIiNS8_11hip_rocprim5par_tENS8_11use_defaultESE_EEEENSA_INSB_IlSD_SE_SE_EEEEZNS1_13binary_searchIS3_S5_PiSG_SI_NS1_21lower_bound_search_opENS9_16wrapped_functionI11custom_lessbEEEE10hipError_tPvRmT1_T2_T3_mmT4_T5_P12ihipStream_tbEUlRKiE_EESP_ST_SU_mSV_SY_bEUlT_E_NS1_11comp_targetILNS1_3genE3ELNS1_11target_archE908ELNS1_3gpuE7ELNS1_3repE0EEENS1_30default_config_static_selectorELNS0_4arch9wavefront6targetE0EEEvSS_.uses_flat_scratch, 0
	.set _ZN7rocprim17ROCPRIM_400000_NS6detail17trampoline_kernelINS0_14default_configENS1_27lower_bound_config_selectorIilEEZNS1_14transform_implILb0ES3_S5_N6thrust23THRUST_200600_302600_NS6detail15normal_iteratorINS8_7pointerIiNS8_11hip_rocprim5par_tENS8_11use_defaultESE_EEEENSA_INSB_IlSD_SE_SE_EEEEZNS1_13binary_searchIS3_S5_PiSG_SI_NS1_21lower_bound_search_opENS9_16wrapped_functionI11custom_lessbEEEE10hipError_tPvRmT1_T2_T3_mmT4_T5_P12ihipStream_tbEUlRKiE_EESP_ST_SU_mSV_SY_bEUlT_E_NS1_11comp_targetILNS1_3genE3ELNS1_11target_archE908ELNS1_3gpuE7ELNS1_3repE0EEENS1_30default_config_static_selectorELNS0_4arch9wavefront6targetE0EEEvSS_.has_dyn_sized_stack, 0
	.set _ZN7rocprim17ROCPRIM_400000_NS6detail17trampoline_kernelINS0_14default_configENS1_27lower_bound_config_selectorIilEEZNS1_14transform_implILb0ES3_S5_N6thrust23THRUST_200600_302600_NS6detail15normal_iteratorINS8_7pointerIiNS8_11hip_rocprim5par_tENS8_11use_defaultESE_EEEENSA_INSB_IlSD_SE_SE_EEEEZNS1_13binary_searchIS3_S5_PiSG_SI_NS1_21lower_bound_search_opENS9_16wrapped_functionI11custom_lessbEEEE10hipError_tPvRmT1_T2_T3_mmT4_T5_P12ihipStream_tbEUlRKiE_EESP_ST_SU_mSV_SY_bEUlT_E_NS1_11comp_targetILNS1_3genE3ELNS1_11target_archE908ELNS1_3gpuE7ELNS1_3repE0EEENS1_30default_config_static_selectorELNS0_4arch9wavefront6targetE0EEEvSS_.has_recursion, 0
	.set _ZN7rocprim17ROCPRIM_400000_NS6detail17trampoline_kernelINS0_14default_configENS1_27lower_bound_config_selectorIilEEZNS1_14transform_implILb0ES3_S5_N6thrust23THRUST_200600_302600_NS6detail15normal_iteratorINS8_7pointerIiNS8_11hip_rocprim5par_tENS8_11use_defaultESE_EEEENSA_INSB_IlSD_SE_SE_EEEEZNS1_13binary_searchIS3_S5_PiSG_SI_NS1_21lower_bound_search_opENS9_16wrapped_functionI11custom_lessbEEEE10hipError_tPvRmT1_T2_T3_mmT4_T5_P12ihipStream_tbEUlRKiE_EESP_ST_SU_mSV_SY_bEUlT_E_NS1_11comp_targetILNS1_3genE3ELNS1_11target_archE908ELNS1_3gpuE7ELNS1_3repE0EEENS1_30default_config_static_selectorELNS0_4arch9wavefront6targetE0EEEvSS_.has_indirect_call, 0
	.section	.AMDGPU.csdata,"",@progbits
; Kernel info:
; codeLenInByte = 0
; TotalNumSgprs: 0
; NumVgprs: 0
; ScratchSize: 0
; MemoryBound: 0
; FloatMode: 240
; IeeeMode: 1
; LDSByteSize: 0 bytes/workgroup (compile time only)
; SGPRBlocks: 0
; VGPRBlocks: 0
; NumSGPRsForWavesPerEU: 1
; NumVGPRsForWavesPerEU: 1
; Occupancy: 16
; WaveLimiterHint : 0
; COMPUTE_PGM_RSRC2:SCRATCH_EN: 0
; COMPUTE_PGM_RSRC2:USER_SGPR: 6
; COMPUTE_PGM_RSRC2:TRAP_HANDLER: 0
; COMPUTE_PGM_RSRC2:TGID_X_EN: 1
; COMPUTE_PGM_RSRC2:TGID_Y_EN: 0
; COMPUTE_PGM_RSRC2:TGID_Z_EN: 0
; COMPUTE_PGM_RSRC2:TIDIG_COMP_CNT: 0
	.section	.text._ZN7rocprim17ROCPRIM_400000_NS6detail17trampoline_kernelINS0_14default_configENS1_27lower_bound_config_selectorIilEEZNS1_14transform_implILb0ES3_S5_N6thrust23THRUST_200600_302600_NS6detail15normal_iteratorINS8_7pointerIiNS8_11hip_rocprim5par_tENS8_11use_defaultESE_EEEENSA_INSB_IlSD_SE_SE_EEEEZNS1_13binary_searchIS3_S5_PiSG_SI_NS1_21lower_bound_search_opENS9_16wrapped_functionI11custom_lessbEEEE10hipError_tPvRmT1_T2_T3_mmT4_T5_P12ihipStream_tbEUlRKiE_EESP_ST_SU_mSV_SY_bEUlT_E_NS1_11comp_targetILNS1_3genE2ELNS1_11target_archE906ELNS1_3gpuE6ELNS1_3repE0EEENS1_30default_config_static_selectorELNS0_4arch9wavefront6targetE0EEEvSS_,"axG",@progbits,_ZN7rocprim17ROCPRIM_400000_NS6detail17trampoline_kernelINS0_14default_configENS1_27lower_bound_config_selectorIilEEZNS1_14transform_implILb0ES3_S5_N6thrust23THRUST_200600_302600_NS6detail15normal_iteratorINS8_7pointerIiNS8_11hip_rocprim5par_tENS8_11use_defaultESE_EEEENSA_INSB_IlSD_SE_SE_EEEEZNS1_13binary_searchIS3_S5_PiSG_SI_NS1_21lower_bound_search_opENS9_16wrapped_functionI11custom_lessbEEEE10hipError_tPvRmT1_T2_T3_mmT4_T5_P12ihipStream_tbEUlRKiE_EESP_ST_SU_mSV_SY_bEUlT_E_NS1_11comp_targetILNS1_3genE2ELNS1_11target_archE906ELNS1_3gpuE6ELNS1_3repE0EEENS1_30default_config_static_selectorELNS0_4arch9wavefront6targetE0EEEvSS_,comdat
	.protected	_ZN7rocprim17ROCPRIM_400000_NS6detail17trampoline_kernelINS0_14default_configENS1_27lower_bound_config_selectorIilEEZNS1_14transform_implILb0ES3_S5_N6thrust23THRUST_200600_302600_NS6detail15normal_iteratorINS8_7pointerIiNS8_11hip_rocprim5par_tENS8_11use_defaultESE_EEEENSA_INSB_IlSD_SE_SE_EEEEZNS1_13binary_searchIS3_S5_PiSG_SI_NS1_21lower_bound_search_opENS9_16wrapped_functionI11custom_lessbEEEE10hipError_tPvRmT1_T2_T3_mmT4_T5_P12ihipStream_tbEUlRKiE_EESP_ST_SU_mSV_SY_bEUlT_E_NS1_11comp_targetILNS1_3genE2ELNS1_11target_archE906ELNS1_3gpuE6ELNS1_3repE0EEENS1_30default_config_static_selectorELNS0_4arch9wavefront6targetE0EEEvSS_ ; -- Begin function _ZN7rocprim17ROCPRIM_400000_NS6detail17trampoline_kernelINS0_14default_configENS1_27lower_bound_config_selectorIilEEZNS1_14transform_implILb0ES3_S5_N6thrust23THRUST_200600_302600_NS6detail15normal_iteratorINS8_7pointerIiNS8_11hip_rocprim5par_tENS8_11use_defaultESE_EEEENSA_INSB_IlSD_SE_SE_EEEEZNS1_13binary_searchIS3_S5_PiSG_SI_NS1_21lower_bound_search_opENS9_16wrapped_functionI11custom_lessbEEEE10hipError_tPvRmT1_T2_T3_mmT4_T5_P12ihipStream_tbEUlRKiE_EESP_ST_SU_mSV_SY_bEUlT_E_NS1_11comp_targetILNS1_3genE2ELNS1_11target_archE906ELNS1_3gpuE6ELNS1_3repE0EEENS1_30default_config_static_selectorELNS0_4arch9wavefront6targetE0EEEvSS_
	.globl	_ZN7rocprim17ROCPRIM_400000_NS6detail17trampoline_kernelINS0_14default_configENS1_27lower_bound_config_selectorIilEEZNS1_14transform_implILb0ES3_S5_N6thrust23THRUST_200600_302600_NS6detail15normal_iteratorINS8_7pointerIiNS8_11hip_rocprim5par_tENS8_11use_defaultESE_EEEENSA_INSB_IlSD_SE_SE_EEEEZNS1_13binary_searchIS3_S5_PiSG_SI_NS1_21lower_bound_search_opENS9_16wrapped_functionI11custom_lessbEEEE10hipError_tPvRmT1_T2_T3_mmT4_T5_P12ihipStream_tbEUlRKiE_EESP_ST_SU_mSV_SY_bEUlT_E_NS1_11comp_targetILNS1_3genE2ELNS1_11target_archE906ELNS1_3gpuE6ELNS1_3repE0EEENS1_30default_config_static_selectorELNS0_4arch9wavefront6targetE0EEEvSS_
	.p2align	8
	.type	_ZN7rocprim17ROCPRIM_400000_NS6detail17trampoline_kernelINS0_14default_configENS1_27lower_bound_config_selectorIilEEZNS1_14transform_implILb0ES3_S5_N6thrust23THRUST_200600_302600_NS6detail15normal_iteratorINS8_7pointerIiNS8_11hip_rocprim5par_tENS8_11use_defaultESE_EEEENSA_INSB_IlSD_SE_SE_EEEEZNS1_13binary_searchIS3_S5_PiSG_SI_NS1_21lower_bound_search_opENS9_16wrapped_functionI11custom_lessbEEEE10hipError_tPvRmT1_T2_T3_mmT4_T5_P12ihipStream_tbEUlRKiE_EESP_ST_SU_mSV_SY_bEUlT_E_NS1_11comp_targetILNS1_3genE2ELNS1_11target_archE906ELNS1_3gpuE6ELNS1_3repE0EEENS1_30default_config_static_selectorELNS0_4arch9wavefront6targetE0EEEvSS_,@function
_ZN7rocprim17ROCPRIM_400000_NS6detail17trampoline_kernelINS0_14default_configENS1_27lower_bound_config_selectorIilEEZNS1_14transform_implILb0ES3_S5_N6thrust23THRUST_200600_302600_NS6detail15normal_iteratorINS8_7pointerIiNS8_11hip_rocprim5par_tENS8_11use_defaultESE_EEEENSA_INSB_IlSD_SE_SE_EEEEZNS1_13binary_searchIS3_S5_PiSG_SI_NS1_21lower_bound_search_opENS9_16wrapped_functionI11custom_lessbEEEE10hipError_tPvRmT1_T2_T3_mmT4_T5_P12ihipStream_tbEUlRKiE_EESP_ST_SU_mSV_SY_bEUlT_E_NS1_11comp_targetILNS1_3genE2ELNS1_11target_archE906ELNS1_3gpuE6ELNS1_3repE0EEENS1_30default_config_static_selectorELNS0_4arch9wavefront6targetE0EEEvSS_: ; @_ZN7rocprim17ROCPRIM_400000_NS6detail17trampoline_kernelINS0_14default_configENS1_27lower_bound_config_selectorIilEEZNS1_14transform_implILb0ES3_S5_N6thrust23THRUST_200600_302600_NS6detail15normal_iteratorINS8_7pointerIiNS8_11hip_rocprim5par_tENS8_11use_defaultESE_EEEENSA_INSB_IlSD_SE_SE_EEEEZNS1_13binary_searchIS3_S5_PiSG_SI_NS1_21lower_bound_search_opENS9_16wrapped_functionI11custom_lessbEEEE10hipError_tPvRmT1_T2_T3_mmT4_T5_P12ihipStream_tbEUlRKiE_EESP_ST_SU_mSV_SY_bEUlT_E_NS1_11comp_targetILNS1_3genE2ELNS1_11target_archE906ELNS1_3gpuE6ELNS1_3repE0EEENS1_30default_config_static_selectorELNS0_4arch9wavefront6targetE0EEEvSS_
; %bb.0:
	.section	.rodata,"a",@progbits
	.p2align	6, 0x0
	.amdhsa_kernel _ZN7rocprim17ROCPRIM_400000_NS6detail17trampoline_kernelINS0_14default_configENS1_27lower_bound_config_selectorIilEEZNS1_14transform_implILb0ES3_S5_N6thrust23THRUST_200600_302600_NS6detail15normal_iteratorINS8_7pointerIiNS8_11hip_rocprim5par_tENS8_11use_defaultESE_EEEENSA_INSB_IlSD_SE_SE_EEEEZNS1_13binary_searchIS3_S5_PiSG_SI_NS1_21lower_bound_search_opENS9_16wrapped_functionI11custom_lessbEEEE10hipError_tPvRmT1_T2_T3_mmT4_T5_P12ihipStream_tbEUlRKiE_EESP_ST_SU_mSV_SY_bEUlT_E_NS1_11comp_targetILNS1_3genE2ELNS1_11target_archE906ELNS1_3gpuE6ELNS1_3repE0EEENS1_30default_config_static_selectorELNS0_4arch9wavefront6targetE0EEEvSS_
		.amdhsa_group_segment_fixed_size 0
		.amdhsa_private_segment_fixed_size 0
		.amdhsa_kernarg_size 56
		.amdhsa_user_sgpr_count 6
		.amdhsa_user_sgpr_private_segment_buffer 1
		.amdhsa_user_sgpr_dispatch_ptr 0
		.amdhsa_user_sgpr_queue_ptr 0
		.amdhsa_user_sgpr_kernarg_segment_ptr 1
		.amdhsa_user_sgpr_dispatch_id 0
		.amdhsa_user_sgpr_flat_scratch_init 0
		.amdhsa_user_sgpr_private_segment_size 0
		.amdhsa_wavefront_size32 1
		.amdhsa_uses_dynamic_stack 0
		.amdhsa_system_sgpr_private_segment_wavefront_offset 0
		.amdhsa_system_sgpr_workgroup_id_x 1
		.amdhsa_system_sgpr_workgroup_id_y 0
		.amdhsa_system_sgpr_workgroup_id_z 0
		.amdhsa_system_sgpr_workgroup_info 0
		.amdhsa_system_vgpr_workitem_id 0
		.amdhsa_next_free_vgpr 1
		.amdhsa_next_free_sgpr 1
		.amdhsa_reserve_vcc 0
		.amdhsa_reserve_flat_scratch 0
		.amdhsa_float_round_mode_32 0
		.amdhsa_float_round_mode_16_64 0
		.amdhsa_float_denorm_mode_32 3
		.amdhsa_float_denorm_mode_16_64 3
		.amdhsa_dx10_clamp 1
		.amdhsa_ieee_mode 1
		.amdhsa_fp16_overflow 0
		.amdhsa_workgroup_processor_mode 1
		.amdhsa_memory_ordered 1
		.amdhsa_forward_progress 1
		.amdhsa_shared_vgpr_count 0
		.amdhsa_exception_fp_ieee_invalid_op 0
		.amdhsa_exception_fp_denorm_src 0
		.amdhsa_exception_fp_ieee_div_zero 0
		.amdhsa_exception_fp_ieee_overflow 0
		.amdhsa_exception_fp_ieee_underflow 0
		.amdhsa_exception_fp_ieee_inexact 0
		.amdhsa_exception_int_div_zero 0
	.end_amdhsa_kernel
	.section	.text._ZN7rocprim17ROCPRIM_400000_NS6detail17trampoline_kernelINS0_14default_configENS1_27lower_bound_config_selectorIilEEZNS1_14transform_implILb0ES3_S5_N6thrust23THRUST_200600_302600_NS6detail15normal_iteratorINS8_7pointerIiNS8_11hip_rocprim5par_tENS8_11use_defaultESE_EEEENSA_INSB_IlSD_SE_SE_EEEEZNS1_13binary_searchIS3_S5_PiSG_SI_NS1_21lower_bound_search_opENS9_16wrapped_functionI11custom_lessbEEEE10hipError_tPvRmT1_T2_T3_mmT4_T5_P12ihipStream_tbEUlRKiE_EESP_ST_SU_mSV_SY_bEUlT_E_NS1_11comp_targetILNS1_3genE2ELNS1_11target_archE906ELNS1_3gpuE6ELNS1_3repE0EEENS1_30default_config_static_selectorELNS0_4arch9wavefront6targetE0EEEvSS_,"axG",@progbits,_ZN7rocprim17ROCPRIM_400000_NS6detail17trampoline_kernelINS0_14default_configENS1_27lower_bound_config_selectorIilEEZNS1_14transform_implILb0ES3_S5_N6thrust23THRUST_200600_302600_NS6detail15normal_iteratorINS8_7pointerIiNS8_11hip_rocprim5par_tENS8_11use_defaultESE_EEEENSA_INSB_IlSD_SE_SE_EEEEZNS1_13binary_searchIS3_S5_PiSG_SI_NS1_21lower_bound_search_opENS9_16wrapped_functionI11custom_lessbEEEE10hipError_tPvRmT1_T2_T3_mmT4_T5_P12ihipStream_tbEUlRKiE_EESP_ST_SU_mSV_SY_bEUlT_E_NS1_11comp_targetILNS1_3genE2ELNS1_11target_archE906ELNS1_3gpuE6ELNS1_3repE0EEENS1_30default_config_static_selectorELNS0_4arch9wavefront6targetE0EEEvSS_,comdat
.Lfunc_end127:
	.size	_ZN7rocprim17ROCPRIM_400000_NS6detail17trampoline_kernelINS0_14default_configENS1_27lower_bound_config_selectorIilEEZNS1_14transform_implILb0ES3_S5_N6thrust23THRUST_200600_302600_NS6detail15normal_iteratorINS8_7pointerIiNS8_11hip_rocprim5par_tENS8_11use_defaultESE_EEEENSA_INSB_IlSD_SE_SE_EEEEZNS1_13binary_searchIS3_S5_PiSG_SI_NS1_21lower_bound_search_opENS9_16wrapped_functionI11custom_lessbEEEE10hipError_tPvRmT1_T2_T3_mmT4_T5_P12ihipStream_tbEUlRKiE_EESP_ST_SU_mSV_SY_bEUlT_E_NS1_11comp_targetILNS1_3genE2ELNS1_11target_archE906ELNS1_3gpuE6ELNS1_3repE0EEENS1_30default_config_static_selectorELNS0_4arch9wavefront6targetE0EEEvSS_, .Lfunc_end127-_ZN7rocprim17ROCPRIM_400000_NS6detail17trampoline_kernelINS0_14default_configENS1_27lower_bound_config_selectorIilEEZNS1_14transform_implILb0ES3_S5_N6thrust23THRUST_200600_302600_NS6detail15normal_iteratorINS8_7pointerIiNS8_11hip_rocprim5par_tENS8_11use_defaultESE_EEEENSA_INSB_IlSD_SE_SE_EEEEZNS1_13binary_searchIS3_S5_PiSG_SI_NS1_21lower_bound_search_opENS9_16wrapped_functionI11custom_lessbEEEE10hipError_tPvRmT1_T2_T3_mmT4_T5_P12ihipStream_tbEUlRKiE_EESP_ST_SU_mSV_SY_bEUlT_E_NS1_11comp_targetILNS1_3genE2ELNS1_11target_archE906ELNS1_3gpuE6ELNS1_3repE0EEENS1_30default_config_static_selectorELNS0_4arch9wavefront6targetE0EEEvSS_
                                        ; -- End function
	.set _ZN7rocprim17ROCPRIM_400000_NS6detail17trampoline_kernelINS0_14default_configENS1_27lower_bound_config_selectorIilEEZNS1_14transform_implILb0ES3_S5_N6thrust23THRUST_200600_302600_NS6detail15normal_iteratorINS8_7pointerIiNS8_11hip_rocprim5par_tENS8_11use_defaultESE_EEEENSA_INSB_IlSD_SE_SE_EEEEZNS1_13binary_searchIS3_S5_PiSG_SI_NS1_21lower_bound_search_opENS9_16wrapped_functionI11custom_lessbEEEE10hipError_tPvRmT1_T2_T3_mmT4_T5_P12ihipStream_tbEUlRKiE_EESP_ST_SU_mSV_SY_bEUlT_E_NS1_11comp_targetILNS1_3genE2ELNS1_11target_archE906ELNS1_3gpuE6ELNS1_3repE0EEENS1_30default_config_static_selectorELNS0_4arch9wavefront6targetE0EEEvSS_.num_vgpr, 0
	.set _ZN7rocprim17ROCPRIM_400000_NS6detail17trampoline_kernelINS0_14default_configENS1_27lower_bound_config_selectorIilEEZNS1_14transform_implILb0ES3_S5_N6thrust23THRUST_200600_302600_NS6detail15normal_iteratorINS8_7pointerIiNS8_11hip_rocprim5par_tENS8_11use_defaultESE_EEEENSA_INSB_IlSD_SE_SE_EEEEZNS1_13binary_searchIS3_S5_PiSG_SI_NS1_21lower_bound_search_opENS9_16wrapped_functionI11custom_lessbEEEE10hipError_tPvRmT1_T2_T3_mmT4_T5_P12ihipStream_tbEUlRKiE_EESP_ST_SU_mSV_SY_bEUlT_E_NS1_11comp_targetILNS1_3genE2ELNS1_11target_archE906ELNS1_3gpuE6ELNS1_3repE0EEENS1_30default_config_static_selectorELNS0_4arch9wavefront6targetE0EEEvSS_.num_agpr, 0
	.set _ZN7rocprim17ROCPRIM_400000_NS6detail17trampoline_kernelINS0_14default_configENS1_27lower_bound_config_selectorIilEEZNS1_14transform_implILb0ES3_S5_N6thrust23THRUST_200600_302600_NS6detail15normal_iteratorINS8_7pointerIiNS8_11hip_rocprim5par_tENS8_11use_defaultESE_EEEENSA_INSB_IlSD_SE_SE_EEEEZNS1_13binary_searchIS3_S5_PiSG_SI_NS1_21lower_bound_search_opENS9_16wrapped_functionI11custom_lessbEEEE10hipError_tPvRmT1_T2_T3_mmT4_T5_P12ihipStream_tbEUlRKiE_EESP_ST_SU_mSV_SY_bEUlT_E_NS1_11comp_targetILNS1_3genE2ELNS1_11target_archE906ELNS1_3gpuE6ELNS1_3repE0EEENS1_30default_config_static_selectorELNS0_4arch9wavefront6targetE0EEEvSS_.numbered_sgpr, 0
	.set _ZN7rocprim17ROCPRIM_400000_NS6detail17trampoline_kernelINS0_14default_configENS1_27lower_bound_config_selectorIilEEZNS1_14transform_implILb0ES3_S5_N6thrust23THRUST_200600_302600_NS6detail15normal_iteratorINS8_7pointerIiNS8_11hip_rocprim5par_tENS8_11use_defaultESE_EEEENSA_INSB_IlSD_SE_SE_EEEEZNS1_13binary_searchIS3_S5_PiSG_SI_NS1_21lower_bound_search_opENS9_16wrapped_functionI11custom_lessbEEEE10hipError_tPvRmT1_T2_T3_mmT4_T5_P12ihipStream_tbEUlRKiE_EESP_ST_SU_mSV_SY_bEUlT_E_NS1_11comp_targetILNS1_3genE2ELNS1_11target_archE906ELNS1_3gpuE6ELNS1_3repE0EEENS1_30default_config_static_selectorELNS0_4arch9wavefront6targetE0EEEvSS_.num_named_barrier, 0
	.set _ZN7rocprim17ROCPRIM_400000_NS6detail17trampoline_kernelINS0_14default_configENS1_27lower_bound_config_selectorIilEEZNS1_14transform_implILb0ES3_S5_N6thrust23THRUST_200600_302600_NS6detail15normal_iteratorINS8_7pointerIiNS8_11hip_rocprim5par_tENS8_11use_defaultESE_EEEENSA_INSB_IlSD_SE_SE_EEEEZNS1_13binary_searchIS3_S5_PiSG_SI_NS1_21lower_bound_search_opENS9_16wrapped_functionI11custom_lessbEEEE10hipError_tPvRmT1_T2_T3_mmT4_T5_P12ihipStream_tbEUlRKiE_EESP_ST_SU_mSV_SY_bEUlT_E_NS1_11comp_targetILNS1_3genE2ELNS1_11target_archE906ELNS1_3gpuE6ELNS1_3repE0EEENS1_30default_config_static_selectorELNS0_4arch9wavefront6targetE0EEEvSS_.private_seg_size, 0
	.set _ZN7rocprim17ROCPRIM_400000_NS6detail17trampoline_kernelINS0_14default_configENS1_27lower_bound_config_selectorIilEEZNS1_14transform_implILb0ES3_S5_N6thrust23THRUST_200600_302600_NS6detail15normal_iteratorINS8_7pointerIiNS8_11hip_rocprim5par_tENS8_11use_defaultESE_EEEENSA_INSB_IlSD_SE_SE_EEEEZNS1_13binary_searchIS3_S5_PiSG_SI_NS1_21lower_bound_search_opENS9_16wrapped_functionI11custom_lessbEEEE10hipError_tPvRmT1_T2_T3_mmT4_T5_P12ihipStream_tbEUlRKiE_EESP_ST_SU_mSV_SY_bEUlT_E_NS1_11comp_targetILNS1_3genE2ELNS1_11target_archE906ELNS1_3gpuE6ELNS1_3repE0EEENS1_30default_config_static_selectorELNS0_4arch9wavefront6targetE0EEEvSS_.uses_vcc, 0
	.set _ZN7rocprim17ROCPRIM_400000_NS6detail17trampoline_kernelINS0_14default_configENS1_27lower_bound_config_selectorIilEEZNS1_14transform_implILb0ES3_S5_N6thrust23THRUST_200600_302600_NS6detail15normal_iteratorINS8_7pointerIiNS8_11hip_rocprim5par_tENS8_11use_defaultESE_EEEENSA_INSB_IlSD_SE_SE_EEEEZNS1_13binary_searchIS3_S5_PiSG_SI_NS1_21lower_bound_search_opENS9_16wrapped_functionI11custom_lessbEEEE10hipError_tPvRmT1_T2_T3_mmT4_T5_P12ihipStream_tbEUlRKiE_EESP_ST_SU_mSV_SY_bEUlT_E_NS1_11comp_targetILNS1_3genE2ELNS1_11target_archE906ELNS1_3gpuE6ELNS1_3repE0EEENS1_30default_config_static_selectorELNS0_4arch9wavefront6targetE0EEEvSS_.uses_flat_scratch, 0
	.set _ZN7rocprim17ROCPRIM_400000_NS6detail17trampoline_kernelINS0_14default_configENS1_27lower_bound_config_selectorIilEEZNS1_14transform_implILb0ES3_S5_N6thrust23THRUST_200600_302600_NS6detail15normal_iteratorINS8_7pointerIiNS8_11hip_rocprim5par_tENS8_11use_defaultESE_EEEENSA_INSB_IlSD_SE_SE_EEEEZNS1_13binary_searchIS3_S5_PiSG_SI_NS1_21lower_bound_search_opENS9_16wrapped_functionI11custom_lessbEEEE10hipError_tPvRmT1_T2_T3_mmT4_T5_P12ihipStream_tbEUlRKiE_EESP_ST_SU_mSV_SY_bEUlT_E_NS1_11comp_targetILNS1_3genE2ELNS1_11target_archE906ELNS1_3gpuE6ELNS1_3repE0EEENS1_30default_config_static_selectorELNS0_4arch9wavefront6targetE0EEEvSS_.has_dyn_sized_stack, 0
	.set _ZN7rocprim17ROCPRIM_400000_NS6detail17trampoline_kernelINS0_14default_configENS1_27lower_bound_config_selectorIilEEZNS1_14transform_implILb0ES3_S5_N6thrust23THRUST_200600_302600_NS6detail15normal_iteratorINS8_7pointerIiNS8_11hip_rocprim5par_tENS8_11use_defaultESE_EEEENSA_INSB_IlSD_SE_SE_EEEEZNS1_13binary_searchIS3_S5_PiSG_SI_NS1_21lower_bound_search_opENS9_16wrapped_functionI11custom_lessbEEEE10hipError_tPvRmT1_T2_T3_mmT4_T5_P12ihipStream_tbEUlRKiE_EESP_ST_SU_mSV_SY_bEUlT_E_NS1_11comp_targetILNS1_3genE2ELNS1_11target_archE906ELNS1_3gpuE6ELNS1_3repE0EEENS1_30default_config_static_selectorELNS0_4arch9wavefront6targetE0EEEvSS_.has_recursion, 0
	.set _ZN7rocprim17ROCPRIM_400000_NS6detail17trampoline_kernelINS0_14default_configENS1_27lower_bound_config_selectorIilEEZNS1_14transform_implILb0ES3_S5_N6thrust23THRUST_200600_302600_NS6detail15normal_iteratorINS8_7pointerIiNS8_11hip_rocprim5par_tENS8_11use_defaultESE_EEEENSA_INSB_IlSD_SE_SE_EEEEZNS1_13binary_searchIS3_S5_PiSG_SI_NS1_21lower_bound_search_opENS9_16wrapped_functionI11custom_lessbEEEE10hipError_tPvRmT1_T2_T3_mmT4_T5_P12ihipStream_tbEUlRKiE_EESP_ST_SU_mSV_SY_bEUlT_E_NS1_11comp_targetILNS1_3genE2ELNS1_11target_archE906ELNS1_3gpuE6ELNS1_3repE0EEENS1_30default_config_static_selectorELNS0_4arch9wavefront6targetE0EEEvSS_.has_indirect_call, 0
	.section	.AMDGPU.csdata,"",@progbits
; Kernel info:
; codeLenInByte = 0
; TotalNumSgprs: 0
; NumVgprs: 0
; ScratchSize: 0
; MemoryBound: 0
; FloatMode: 240
; IeeeMode: 1
; LDSByteSize: 0 bytes/workgroup (compile time only)
; SGPRBlocks: 0
; VGPRBlocks: 0
; NumSGPRsForWavesPerEU: 1
; NumVGPRsForWavesPerEU: 1
; Occupancy: 16
; WaveLimiterHint : 0
; COMPUTE_PGM_RSRC2:SCRATCH_EN: 0
; COMPUTE_PGM_RSRC2:USER_SGPR: 6
; COMPUTE_PGM_RSRC2:TRAP_HANDLER: 0
; COMPUTE_PGM_RSRC2:TGID_X_EN: 1
; COMPUTE_PGM_RSRC2:TGID_Y_EN: 0
; COMPUTE_PGM_RSRC2:TGID_Z_EN: 0
; COMPUTE_PGM_RSRC2:TIDIG_COMP_CNT: 0
	.section	.text._ZN7rocprim17ROCPRIM_400000_NS6detail17trampoline_kernelINS0_14default_configENS1_27lower_bound_config_selectorIilEEZNS1_14transform_implILb0ES3_S5_N6thrust23THRUST_200600_302600_NS6detail15normal_iteratorINS8_7pointerIiNS8_11hip_rocprim5par_tENS8_11use_defaultESE_EEEENSA_INSB_IlSD_SE_SE_EEEEZNS1_13binary_searchIS3_S5_PiSG_SI_NS1_21lower_bound_search_opENS9_16wrapped_functionI11custom_lessbEEEE10hipError_tPvRmT1_T2_T3_mmT4_T5_P12ihipStream_tbEUlRKiE_EESP_ST_SU_mSV_SY_bEUlT_E_NS1_11comp_targetILNS1_3genE10ELNS1_11target_archE1201ELNS1_3gpuE5ELNS1_3repE0EEENS1_30default_config_static_selectorELNS0_4arch9wavefront6targetE0EEEvSS_,"axG",@progbits,_ZN7rocprim17ROCPRIM_400000_NS6detail17trampoline_kernelINS0_14default_configENS1_27lower_bound_config_selectorIilEEZNS1_14transform_implILb0ES3_S5_N6thrust23THRUST_200600_302600_NS6detail15normal_iteratorINS8_7pointerIiNS8_11hip_rocprim5par_tENS8_11use_defaultESE_EEEENSA_INSB_IlSD_SE_SE_EEEEZNS1_13binary_searchIS3_S5_PiSG_SI_NS1_21lower_bound_search_opENS9_16wrapped_functionI11custom_lessbEEEE10hipError_tPvRmT1_T2_T3_mmT4_T5_P12ihipStream_tbEUlRKiE_EESP_ST_SU_mSV_SY_bEUlT_E_NS1_11comp_targetILNS1_3genE10ELNS1_11target_archE1201ELNS1_3gpuE5ELNS1_3repE0EEENS1_30default_config_static_selectorELNS0_4arch9wavefront6targetE0EEEvSS_,comdat
	.protected	_ZN7rocprim17ROCPRIM_400000_NS6detail17trampoline_kernelINS0_14default_configENS1_27lower_bound_config_selectorIilEEZNS1_14transform_implILb0ES3_S5_N6thrust23THRUST_200600_302600_NS6detail15normal_iteratorINS8_7pointerIiNS8_11hip_rocprim5par_tENS8_11use_defaultESE_EEEENSA_INSB_IlSD_SE_SE_EEEEZNS1_13binary_searchIS3_S5_PiSG_SI_NS1_21lower_bound_search_opENS9_16wrapped_functionI11custom_lessbEEEE10hipError_tPvRmT1_T2_T3_mmT4_T5_P12ihipStream_tbEUlRKiE_EESP_ST_SU_mSV_SY_bEUlT_E_NS1_11comp_targetILNS1_3genE10ELNS1_11target_archE1201ELNS1_3gpuE5ELNS1_3repE0EEENS1_30default_config_static_selectorELNS0_4arch9wavefront6targetE0EEEvSS_ ; -- Begin function _ZN7rocprim17ROCPRIM_400000_NS6detail17trampoline_kernelINS0_14default_configENS1_27lower_bound_config_selectorIilEEZNS1_14transform_implILb0ES3_S5_N6thrust23THRUST_200600_302600_NS6detail15normal_iteratorINS8_7pointerIiNS8_11hip_rocprim5par_tENS8_11use_defaultESE_EEEENSA_INSB_IlSD_SE_SE_EEEEZNS1_13binary_searchIS3_S5_PiSG_SI_NS1_21lower_bound_search_opENS9_16wrapped_functionI11custom_lessbEEEE10hipError_tPvRmT1_T2_T3_mmT4_T5_P12ihipStream_tbEUlRKiE_EESP_ST_SU_mSV_SY_bEUlT_E_NS1_11comp_targetILNS1_3genE10ELNS1_11target_archE1201ELNS1_3gpuE5ELNS1_3repE0EEENS1_30default_config_static_selectorELNS0_4arch9wavefront6targetE0EEEvSS_
	.globl	_ZN7rocprim17ROCPRIM_400000_NS6detail17trampoline_kernelINS0_14default_configENS1_27lower_bound_config_selectorIilEEZNS1_14transform_implILb0ES3_S5_N6thrust23THRUST_200600_302600_NS6detail15normal_iteratorINS8_7pointerIiNS8_11hip_rocprim5par_tENS8_11use_defaultESE_EEEENSA_INSB_IlSD_SE_SE_EEEEZNS1_13binary_searchIS3_S5_PiSG_SI_NS1_21lower_bound_search_opENS9_16wrapped_functionI11custom_lessbEEEE10hipError_tPvRmT1_T2_T3_mmT4_T5_P12ihipStream_tbEUlRKiE_EESP_ST_SU_mSV_SY_bEUlT_E_NS1_11comp_targetILNS1_3genE10ELNS1_11target_archE1201ELNS1_3gpuE5ELNS1_3repE0EEENS1_30default_config_static_selectorELNS0_4arch9wavefront6targetE0EEEvSS_
	.p2align	8
	.type	_ZN7rocprim17ROCPRIM_400000_NS6detail17trampoline_kernelINS0_14default_configENS1_27lower_bound_config_selectorIilEEZNS1_14transform_implILb0ES3_S5_N6thrust23THRUST_200600_302600_NS6detail15normal_iteratorINS8_7pointerIiNS8_11hip_rocprim5par_tENS8_11use_defaultESE_EEEENSA_INSB_IlSD_SE_SE_EEEEZNS1_13binary_searchIS3_S5_PiSG_SI_NS1_21lower_bound_search_opENS9_16wrapped_functionI11custom_lessbEEEE10hipError_tPvRmT1_T2_T3_mmT4_T5_P12ihipStream_tbEUlRKiE_EESP_ST_SU_mSV_SY_bEUlT_E_NS1_11comp_targetILNS1_3genE10ELNS1_11target_archE1201ELNS1_3gpuE5ELNS1_3repE0EEENS1_30default_config_static_selectorELNS0_4arch9wavefront6targetE0EEEvSS_,@function
_ZN7rocprim17ROCPRIM_400000_NS6detail17trampoline_kernelINS0_14default_configENS1_27lower_bound_config_selectorIilEEZNS1_14transform_implILb0ES3_S5_N6thrust23THRUST_200600_302600_NS6detail15normal_iteratorINS8_7pointerIiNS8_11hip_rocprim5par_tENS8_11use_defaultESE_EEEENSA_INSB_IlSD_SE_SE_EEEEZNS1_13binary_searchIS3_S5_PiSG_SI_NS1_21lower_bound_search_opENS9_16wrapped_functionI11custom_lessbEEEE10hipError_tPvRmT1_T2_T3_mmT4_T5_P12ihipStream_tbEUlRKiE_EESP_ST_SU_mSV_SY_bEUlT_E_NS1_11comp_targetILNS1_3genE10ELNS1_11target_archE1201ELNS1_3gpuE5ELNS1_3repE0EEENS1_30default_config_static_selectorELNS0_4arch9wavefront6targetE0EEEvSS_: ; @_ZN7rocprim17ROCPRIM_400000_NS6detail17trampoline_kernelINS0_14default_configENS1_27lower_bound_config_selectorIilEEZNS1_14transform_implILb0ES3_S5_N6thrust23THRUST_200600_302600_NS6detail15normal_iteratorINS8_7pointerIiNS8_11hip_rocprim5par_tENS8_11use_defaultESE_EEEENSA_INSB_IlSD_SE_SE_EEEEZNS1_13binary_searchIS3_S5_PiSG_SI_NS1_21lower_bound_search_opENS9_16wrapped_functionI11custom_lessbEEEE10hipError_tPvRmT1_T2_T3_mmT4_T5_P12ihipStream_tbEUlRKiE_EESP_ST_SU_mSV_SY_bEUlT_E_NS1_11comp_targetILNS1_3genE10ELNS1_11target_archE1201ELNS1_3gpuE5ELNS1_3repE0EEENS1_30default_config_static_selectorELNS0_4arch9wavefront6targetE0EEEvSS_
; %bb.0:
	.section	.rodata,"a",@progbits
	.p2align	6, 0x0
	.amdhsa_kernel _ZN7rocprim17ROCPRIM_400000_NS6detail17trampoline_kernelINS0_14default_configENS1_27lower_bound_config_selectorIilEEZNS1_14transform_implILb0ES3_S5_N6thrust23THRUST_200600_302600_NS6detail15normal_iteratorINS8_7pointerIiNS8_11hip_rocprim5par_tENS8_11use_defaultESE_EEEENSA_INSB_IlSD_SE_SE_EEEEZNS1_13binary_searchIS3_S5_PiSG_SI_NS1_21lower_bound_search_opENS9_16wrapped_functionI11custom_lessbEEEE10hipError_tPvRmT1_T2_T3_mmT4_T5_P12ihipStream_tbEUlRKiE_EESP_ST_SU_mSV_SY_bEUlT_E_NS1_11comp_targetILNS1_3genE10ELNS1_11target_archE1201ELNS1_3gpuE5ELNS1_3repE0EEENS1_30default_config_static_selectorELNS0_4arch9wavefront6targetE0EEEvSS_
		.amdhsa_group_segment_fixed_size 0
		.amdhsa_private_segment_fixed_size 0
		.amdhsa_kernarg_size 56
		.amdhsa_user_sgpr_count 6
		.amdhsa_user_sgpr_private_segment_buffer 1
		.amdhsa_user_sgpr_dispatch_ptr 0
		.amdhsa_user_sgpr_queue_ptr 0
		.amdhsa_user_sgpr_kernarg_segment_ptr 1
		.amdhsa_user_sgpr_dispatch_id 0
		.amdhsa_user_sgpr_flat_scratch_init 0
		.amdhsa_user_sgpr_private_segment_size 0
		.amdhsa_wavefront_size32 1
		.amdhsa_uses_dynamic_stack 0
		.amdhsa_system_sgpr_private_segment_wavefront_offset 0
		.amdhsa_system_sgpr_workgroup_id_x 1
		.amdhsa_system_sgpr_workgroup_id_y 0
		.amdhsa_system_sgpr_workgroup_id_z 0
		.amdhsa_system_sgpr_workgroup_info 0
		.amdhsa_system_vgpr_workitem_id 0
		.amdhsa_next_free_vgpr 1
		.amdhsa_next_free_sgpr 1
		.amdhsa_reserve_vcc 0
		.amdhsa_reserve_flat_scratch 0
		.amdhsa_float_round_mode_32 0
		.amdhsa_float_round_mode_16_64 0
		.amdhsa_float_denorm_mode_32 3
		.amdhsa_float_denorm_mode_16_64 3
		.amdhsa_dx10_clamp 1
		.amdhsa_ieee_mode 1
		.amdhsa_fp16_overflow 0
		.amdhsa_workgroup_processor_mode 1
		.amdhsa_memory_ordered 1
		.amdhsa_forward_progress 1
		.amdhsa_shared_vgpr_count 0
		.amdhsa_exception_fp_ieee_invalid_op 0
		.amdhsa_exception_fp_denorm_src 0
		.amdhsa_exception_fp_ieee_div_zero 0
		.amdhsa_exception_fp_ieee_overflow 0
		.amdhsa_exception_fp_ieee_underflow 0
		.amdhsa_exception_fp_ieee_inexact 0
		.amdhsa_exception_int_div_zero 0
	.end_amdhsa_kernel
	.section	.text._ZN7rocprim17ROCPRIM_400000_NS6detail17trampoline_kernelINS0_14default_configENS1_27lower_bound_config_selectorIilEEZNS1_14transform_implILb0ES3_S5_N6thrust23THRUST_200600_302600_NS6detail15normal_iteratorINS8_7pointerIiNS8_11hip_rocprim5par_tENS8_11use_defaultESE_EEEENSA_INSB_IlSD_SE_SE_EEEEZNS1_13binary_searchIS3_S5_PiSG_SI_NS1_21lower_bound_search_opENS9_16wrapped_functionI11custom_lessbEEEE10hipError_tPvRmT1_T2_T3_mmT4_T5_P12ihipStream_tbEUlRKiE_EESP_ST_SU_mSV_SY_bEUlT_E_NS1_11comp_targetILNS1_3genE10ELNS1_11target_archE1201ELNS1_3gpuE5ELNS1_3repE0EEENS1_30default_config_static_selectorELNS0_4arch9wavefront6targetE0EEEvSS_,"axG",@progbits,_ZN7rocprim17ROCPRIM_400000_NS6detail17trampoline_kernelINS0_14default_configENS1_27lower_bound_config_selectorIilEEZNS1_14transform_implILb0ES3_S5_N6thrust23THRUST_200600_302600_NS6detail15normal_iteratorINS8_7pointerIiNS8_11hip_rocprim5par_tENS8_11use_defaultESE_EEEENSA_INSB_IlSD_SE_SE_EEEEZNS1_13binary_searchIS3_S5_PiSG_SI_NS1_21lower_bound_search_opENS9_16wrapped_functionI11custom_lessbEEEE10hipError_tPvRmT1_T2_T3_mmT4_T5_P12ihipStream_tbEUlRKiE_EESP_ST_SU_mSV_SY_bEUlT_E_NS1_11comp_targetILNS1_3genE10ELNS1_11target_archE1201ELNS1_3gpuE5ELNS1_3repE0EEENS1_30default_config_static_selectorELNS0_4arch9wavefront6targetE0EEEvSS_,comdat
.Lfunc_end128:
	.size	_ZN7rocprim17ROCPRIM_400000_NS6detail17trampoline_kernelINS0_14default_configENS1_27lower_bound_config_selectorIilEEZNS1_14transform_implILb0ES3_S5_N6thrust23THRUST_200600_302600_NS6detail15normal_iteratorINS8_7pointerIiNS8_11hip_rocprim5par_tENS8_11use_defaultESE_EEEENSA_INSB_IlSD_SE_SE_EEEEZNS1_13binary_searchIS3_S5_PiSG_SI_NS1_21lower_bound_search_opENS9_16wrapped_functionI11custom_lessbEEEE10hipError_tPvRmT1_T2_T3_mmT4_T5_P12ihipStream_tbEUlRKiE_EESP_ST_SU_mSV_SY_bEUlT_E_NS1_11comp_targetILNS1_3genE10ELNS1_11target_archE1201ELNS1_3gpuE5ELNS1_3repE0EEENS1_30default_config_static_selectorELNS0_4arch9wavefront6targetE0EEEvSS_, .Lfunc_end128-_ZN7rocprim17ROCPRIM_400000_NS6detail17trampoline_kernelINS0_14default_configENS1_27lower_bound_config_selectorIilEEZNS1_14transform_implILb0ES3_S5_N6thrust23THRUST_200600_302600_NS6detail15normal_iteratorINS8_7pointerIiNS8_11hip_rocprim5par_tENS8_11use_defaultESE_EEEENSA_INSB_IlSD_SE_SE_EEEEZNS1_13binary_searchIS3_S5_PiSG_SI_NS1_21lower_bound_search_opENS9_16wrapped_functionI11custom_lessbEEEE10hipError_tPvRmT1_T2_T3_mmT4_T5_P12ihipStream_tbEUlRKiE_EESP_ST_SU_mSV_SY_bEUlT_E_NS1_11comp_targetILNS1_3genE10ELNS1_11target_archE1201ELNS1_3gpuE5ELNS1_3repE0EEENS1_30default_config_static_selectorELNS0_4arch9wavefront6targetE0EEEvSS_
                                        ; -- End function
	.set _ZN7rocprim17ROCPRIM_400000_NS6detail17trampoline_kernelINS0_14default_configENS1_27lower_bound_config_selectorIilEEZNS1_14transform_implILb0ES3_S5_N6thrust23THRUST_200600_302600_NS6detail15normal_iteratorINS8_7pointerIiNS8_11hip_rocprim5par_tENS8_11use_defaultESE_EEEENSA_INSB_IlSD_SE_SE_EEEEZNS1_13binary_searchIS3_S5_PiSG_SI_NS1_21lower_bound_search_opENS9_16wrapped_functionI11custom_lessbEEEE10hipError_tPvRmT1_T2_T3_mmT4_T5_P12ihipStream_tbEUlRKiE_EESP_ST_SU_mSV_SY_bEUlT_E_NS1_11comp_targetILNS1_3genE10ELNS1_11target_archE1201ELNS1_3gpuE5ELNS1_3repE0EEENS1_30default_config_static_selectorELNS0_4arch9wavefront6targetE0EEEvSS_.num_vgpr, 0
	.set _ZN7rocprim17ROCPRIM_400000_NS6detail17trampoline_kernelINS0_14default_configENS1_27lower_bound_config_selectorIilEEZNS1_14transform_implILb0ES3_S5_N6thrust23THRUST_200600_302600_NS6detail15normal_iteratorINS8_7pointerIiNS8_11hip_rocprim5par_tENS8_11use_defaultESE_EEEENSA_INSB_IlSD_SE_SE_EEEEZNS1_13binary_searchIS3_S5_PiSG_SI_NS1_21lower_bound_search_opENS9_16wrapped_functionI11custom_lessbEEEE10hipError_tPvRmT1_T2_T3_mmT4_T5_P12ihipStream_tbEUlRKiE_EESP_ST_SU_mSV_SY_bEUlT_E_NS1_11comp_targetILNS1_3genE10ELNS1_11target_archE1201ELNS1_3gpuE5ELNS1_3repE0EEENS1_30default_config_static_selectorELNS0_4arch9wavefront6targetE0EEEvSS_.num_agpr, 0
	.set _ZN7rocprim17ROCPRIM_400000_NS6detail17trampoline_kernelINS0_14default_configENS1_27lower_bound_config_selectorIilEEZNS1_14transform_implILb0ES3_S5_N6thrust23THRUST_200600_302600_NS6detail15normal_iteratorINS8_7pointerIiNS8_11hip_rocprim5par_tENS8_11use_defaultESE_EEEENSA_INSB_IlSD_SE_SE_EEEEZNS1_13binary_searchIS3_S5_PiSG_SI_NS1_21lower_bound_search_opENS9_16wrapped_functionI11custom_lessbEEEE10hipError_tPvRmT1_T2_T3_mmT4_T5_P12ihipStream_tbEUlRKiE_EESP_ST_SU_mSV_SY_bEUlT_E_NS1_11comp_targetILNS1_3genE10ELNS1_11target_archE1201ELNS1_3gpuE5ELNS1_3repE0EEENS1_30default_config_static_selectorELNS0_4arch9wavefront6targetE0EEEvSS_.numbered_sgpr, 0
	.set _ZN7rocprim17ROCPRIM_400000_NS6detail17trampoline_kernelINS0_14default_configENS1_27lower_bound_config_selectorIilEEZNS1_14transform_implILb0ES3_S5_N6thrust23THRUST_200600_302600_NS6detail15normal_iteratorINS8_7pointerIiNS8_11hip_rocprim5par_tENS8_11use_defaultESE_EEEENSA_INSB_IlSD_SE_SE_EEEEZNS1_13binary_searchIS3_S5_PiSG_SI_NS1_21lower_bound_search_opENS9_16wrapped_functionI11custom_lessbEEEE10hipError_tPvRmT1_T2_T3_mmT4_T5_P12ihipStream_tbEUlRKiE_EESP_ST_SU_mSV_SY_bEUlT_E_NS1_11comp_targetILNS1_3genE10ELNS1_11target_archE1201ELNS1_3gpuE5ELNS1_3repE0EEENS1_30default_config_static_selectorELNS0_4arch9wavefront6targetE0EEEvSS_.num_named_barrier, 0
	.set _ZN7rocprim17ROCPRIM_400000_NS6detail17trampoline_kernelINS0_14default_configENS1_27lower_bound_config_selectorIilEEZNS1_14transform_implILb0ES3_S5_N6thrust23THRUST_200600_302600_NS6detail15normal_iteratorINS8_7pointerIiNS8_11hip_rocprim5par_tENS8_11use_defaultESE_EEEENSA_INSB_IlSD_SE_SE_EEEEZNS1_13binary_searchIS3_S5_PiSG_SI_NS1_21lower_bound_search_opENS9_16wrapped_functionI11custom_lessbEEEE10hipError_tPvRmT1_T2_T3_mmT4_T5_P12ihipStream_tbEUlRKiE_EESP_ST_SU_mSV_SY_bEUlT_E_NS1_11comp_targetILNS1_3genE10ELNS1_11target_archE1201ELNS1_3gpuE5ELNS1_3repE0EEENS1_30default_config_static_selectorELNS0_4arch9wavefront6targetE0EEEvSS_.private_seg_size, 0
	.set _ZN7rocprim17ROCPRIM_400000_NS6detail17trampoline_kernelINS0_14default_configENS1_27lower_bound_config_selectorIilEEZNS1_14transform_implILb0ES3_S5_N6thrust23THRUST_200600_302600_NS6detail15normal_iteratorINS8_7pointerIiNS8_11hip_rocprim5par_tENS8_11use_defaultESE_EEEENSA_INSB_IlSD_SE_SE_EEEEZNS1_13binary_searchIS3_S5_PiSG_SI_NS1_21lower_bound_search_opENS9_16wrapped_functionI11custom_lessbEEEE10hipError_tPvRmT1_T2_T3_mmT4_T5_P12ihipStream_tbEUlRKiE_EESP_ST_SU_mSV_SY_bEUlT_E_NS1_11comp_targetILNS1_3genE10ELNS1_11target_archE1201ELNS1_3gpuE5ELNS1_3repE0EEENS1_30default_config_static_selectorELNS0_4arch9wavefront6targetE0EEEvSS_.uses_vcc, 0
	.set _ZN7rocprim17ROCPRIM_400000_NS6detail17trampoline_kernelINS0_14default_configENS1_27lower_bound_config_selectorIilEEZNS1_14transform_implILb0ES3_S5_N6thrust23THRUST_200600_302600_NS6detail15normal_iteratorINS8_7pointerIiNS8_11hip_rocprim5par_tENS8_11use_defaultESE_EEEENSA_INSB_IlSD_SE_SE_EEEEZNS1_13binary_searchIS3_S5_PiSG_SI_NS1_21lower_bound_search_opENS9_16wrapped_functionI11custom_lessbEEEE10hipError_tPvRmT1_T2_T3_mmT4_T5_P12ihipStream_tbEUlRKiE_EESP_ST_SU_mSV_SY_bEUlT_E_NS1_11comp_targetILNS1_3genE10ELNS1_11target_archE1201ELNS1_3gpuE5ELNS1_3repE0EEENS1_30default_config_static_selectorELNS0_4arch9wavefront6targetE0EEEvSS_.uses_flat_scratch, 0
	.set _ZN7rocprim17ROCPRIM_400000_NS6detail17trampoline_kernelINS0_14default_configENS1_27lower_bound_config_selectorIilEEZNS1_14transform_implILb0ES3_S5_N6thrust23THRUST_200600_302600_NS6detail15normal_iteratorINS8_7pointerIiNS8_11hip_rocprim5par_tENS8_11use_defaultESE_EEEENSA_INSB_IlSD_SE_SE_EEEEZNS1_13binary_searchIS3_S5_PiSG_SI_NS1_21lower_bound_search_opENS9_16wrapped_functionI11custom_lessbEEEE10hipError_tPvRmT1_T2_T3_mmT4_T5_P12ihipStream_tbEUlRKiE_EESP_ST_SU_mSV_SY_bEUlT_E_NS1_11comp_targetILNS1_3genE10ELNS1_11target_archE1201ELNS1_3gpuE5ELNS1_3repE0EEENS1_30default_config_static_selectorELNS0_4arch9wavefront6targetE0EEEvSS_.has_dyn_sized_stack, 0
	.set _ZN7rocprim17ROCPRIM_400000_NS6detail17trampoline_kernelINS0_14default_configENS1_27lower_bound_config_selectorIilEEZNS1_14transform_implILb0ES3_S5_N6thrust23THRUST_200600_302600_NS6detail15normal_iteratorINS8_7pointerIiNS8_11hip_rocprim5par_tENS8_11use_defaultESE_EEEENSA_INSB_IlSD_SE_SE_EEEEZNS1_13binary_searchIS3_S5_PiSG_SI_NS1_21lower_bound_search_opENS9_16wrapped_functionI11custom_lessbEEEE10hipError_tPvRmT1_T2_T3_mmT4_T5_P12ihipStream_tbEUlRKiE_EESP_ST_SU_mSV_SY_bEUlT_E_NS1_11comp_targetILNS1_3genE10ELNS1_11target_archE1201ELNS1_3gpuE5ELNS1_3repE0EEENS1_30default_config_static_selectorELNS0_4arch9wavefront6targetE0EEEvSS_.has_recursion, 0
	.set _ZN7rocprim17ROCPRIM_400000_NS6detail17trampoline_kernelINS0_14default_configENS1_27lower_bound_config_selectorIilEEZNS1_14transform_implILb0ES3_S5_N6thrust23THRUST_200600_302600_NS6detail15normal_iteratorINS8_7pointerIiNS8_11hip_rocprim5par_tENS8_11use_defaultESE_EEEENSA_INSB_IlSD_SE_SE_EEEEZNS1_13binary_searchIS3_S5_PiSG_SI_NS1_21lower_bound_search_opENS9_16wrapped_functionI11custom_lessbEEEE10hipError_tPvRmT1_T2_T3_mmT4_T5_P12ihipStream_tbEUlRKiE_EESP_ST_SU_mSV_SY_bEUlT_E_NS1_11comp_targetILNS1_3genE10ELNS1_11target_archE1201ELNS1_3gpuE5ELNS1_3repE0EEENS1_30default_config_static_selectorELNS0_4arch9wavefront6targetE0EEEvSS_.has_indirect_call, 0
	.section	.AMDGPU.csdata,"",@progbits
; Kernel info:
; codeLenInByte = 0
; TotalNumSgprs: 0
; NumVgprs: 0
; ScratchSize: 0
; MemoryBound: 0
; FloatMode: 240
; IeeeMode: 1
; LDSByteSize: 0 bytes/workgroup (compile time only)
; SGPRBlocks: 0
; VGPRBlocks: 0
; NumSGPRsForWavesPerEU: 1
; NumVGPRsForWavesPerEU: 1
; Occupancy: 16
; WaveLimiterHint : 0
; COMPUTE_PGM_RSRC2:SCRATCH_EN: 0
; COMPUTE_PGM_RSRC2:USER_SGPR: 6
; COMPUTE_PGM_RSRC2:TRAP_HANDLER: 0
; COMPUTE_PGM_RSRC2:TGID_X_EN: 1
; COMPUTE_PGM_RSRC2:TGID_Y_EN: 0
; COMPUTE_PGM_RSRC2:TGID_Z_EN: 0
; COMPUTE_PGM_RSRC2:TIDIG_COMP_CNT: 0
	.section	.text._ZN7rocprim17ROCPRIM_400000_NS6detail17trampoline_kernelINS0_14default_configENS1_27lower_bound_config_selectorIilEEZNS1_14transform_implILb0ES3_S5_N6thrust23THRUST_200600_302600_NS6detail15normal_iteratorINS8_7pointerIiNS8_11hip_rocprim5par_tENS8_11use_defaultESE_EEEENSA_INSB_IlSD_SE_SE_EEEEZNS1_13binary_searchIS3_S5_PiSG_SI_NS1_21lower_bound_search_opENS9_16wrapped_functionI11custom_lessbEEEE10hipError_tPvRmT1_T2_T3_mmT4_T5_P12ihipStream_tbEUlRKiE_EESP_ST_SU_mSV_SY_bEUlT_E_NS1_11comp_targetILNS1_3genE10ELNS1_11target_archE1200ELNS1_3gpuE4ELNS1_3repE0EEENS1_30default_config_static_selectorELNS0_4arch9wavefront6targetE0EEEvSS_,"axG",@progbits,_ZN7rocprim17ROCPRIM_400000_NS6detail17trampoline_kernelINS0_14default_configENS1_27lower_bound_config_selectorIilEEZNS1_14transform_implILb0ES3_S5_N6thrust23THRUST_200600_302600_NS6detail15normal_iteratorINS8_7pointerIiNS8_11hip_rocprim5par_tENS8_11use_defaultESE_EEEENSA_INSB_IlSD_SE_SE_EEEEZNS1_13binary_searchIS3_S5_PiSG_SI_NS1_21lower_bound_search_opENS9_16wrapped_functionI11custom_lessbEEEE10hipError_tPvRmT1_T2_T3_mmT4_T5_P12ihipStream_tbEUlRKiE_EESP_ST_SU_mSV_SY_bEUlT_E_NS1_11comp_targetILNS1_3genE10ELNS1_11target_archE1200ELNS1_3gpuE4ELNS1_3repE0EEENS1_30default_config_static_selectorELNS0_4arch9wavefront6targetE0EEEvSS_,comdat
	.protected	_ZN7rocprim17ROCPRIM_400000_NS6detail17trampoline_kernelINS0_14default_configENS1_27lower_bound_config_selectorIilEEZNS1_14transform_implILb0ES3_S5_N6thrust23THRUST_200600_302600_NS6detail15normal_iteratorINS8_7pointerIiNS8_11hip_rocprim5par_tENS8_11use_defaultESE_EEEENSA_INSB_IlSD_SE_SE_EEEEZNS1_13binary_searchIS3_S5_PiSG_SI_NS1_21lower_bound_search_opENS9_16wrapped_functionI11custom_lessbEEEE10hipError_tPvRmT1_T2_T3_mmT4_T5_P12ihipStream_tbEUlRKiE_EESP_ST_SU_mSV_SY_bEUlT_E_NS1_11comp_targetILNS1_3genE10ELNS1_11target_archE1200ELNS1_3gpuE4ELNS1_3repE0EEENS1_30default_config_static_selectorELNS0_4arch9wavefront6targetE0EEEvSS_ ; -- Begin function _ZN7rocprim17ROCPRIM_400000_NS6detail17trampoline_kernelINS0_14default_configENS1_27lower_bound_config_selectorIilEEZNS1_14transform_implILb0ES3_S5_N6thrust23THRUST_200600_302600_NS6detail15normal_iteratorINS8_7pointerIiNS8_11hip_rocprim5par_tENS8_11use_defaultESE_EEEENSA_INSB_IlSD_SE_SE_EEEEZNS1_13binary_searchIS3_S5_PiSG_SI_NS1_21lower_bound_search_opENS9_16wrapped_functionI11custom_lessbEEEE10hipError_tPvRmT1_T2_T3_mmT4_T5_P12ihipStream_tbEUlRKiE_EESP_ST_SU_mSV_SY_bEUlT_E_NS1_11comp_targetILNS1_3genE10ELNS1_11target_archE1200ELNS1_3gpuE4ELNS1_3repE0EEENS1_30default_config_static_selectorELNS0_4arch9wavefront6targetE0EEEvSS_
	.globl	_ZN7rocprim17ROCPRIM_400000_NS6detail17trampoline_kernelINS0_14default_configENS1_27lower_bound_config_selectorIilEEZNS1_14transform_implILb0ES3_S5_N6thrust23THRUST_200600_302600_NS6detail15normal_iteratorINS8_7pointerIiNS8_11hip_rocprim5par_tENS8_11use_defaultESE_EEEENSA_INSB_IlSD_SE_SE_EEEEZNS1_13binary_searchIS3_S5_PiSG_SI_NS1_21lower_bound_search_opENS9_16wrapped_functionI11custom_lessbEEEE10hipError_tPvRmT1_T2_T3_mmT4_T5_P12ihipStream_tbEUlRKiE_EESP_ST_SU_mSV_SY_bEUlT_E_NS1_11comp_targetILNS1_3genE10ELNS1_11target_archE1200ELNS1_3gpuE4ELNS1_3repE0EEENS1_30default_config_static_selectorELNS0_4arch9wavefront6targetE0EEEvSS_
	.p2align	8
	.type	_ZN7rocprim17ROCPRIM_400000_NS6detail17trampoline_kernelINS0_14default_configENS1_27lower_bound_config_selectorIilEEZNS1_14transform_implILb0ES3_S5_N6thrust23THRUST_200600_302600_NS6detail15normal_iteratorINS8_7pointerIiNS8_11hip_rocprim5par_tENS8_11use_defaultESE_EEEENSA_INSB_IlSD_SE_SE_EEEEZNS1_13binary_searchIS3_S5_PiSG_SI_NS1_21lower_bound_search_opENS9_16wrapped_functionI11custom_lessbEEEE10hipError_tPvRmT1_T2_T3_mmT4_T5_P12ihipStream_tbEUlRKiE_EESP_ST_SU_mSV_SY_bEUlT_E_NS1_11comp_targetILNS1_3genE10ELNS1_11target_archE1200ELNS1_3gpuE4ELNS1_3repE0EEENS1_30default_config_static_selectorELNS0_4arch9wavefront6targetE0EEEvSS_,@function
_ZN7rocprim17ROCPRIM_400000_NS6detail17trampoline_kernelINS0_14default_configENS1_27lower_bound_config_selectorIilEEZNS1_14transform_implILb0ES3_S5_N6thrust23THRUST_200600_302600_NS6detail15normal_iteratorINS8_7pointerIiNS8_11hip_rocprim5par_tENS8_11use_defaultESE_EEEENSA_INSB_IlSD_SE_SE_EEEEZNS1_13binary_searchIS3_S5_PiSG_SI_NS1_21lower_bound_search_opENS9_16wrapped_functionI11custom_lessbEEEE10hipError_tPvRmT1_T2_T3_mmT4_T5_P12ihipStream_tbEUlRKiE_EESP_ST_SU_mSV_SY_bEUlT_E_NS1_11comp_targetILNS1_3genE10ELNS1_11target_archE1200ELNS1_3gpuE4ELNS1_3repE0EEENS1_30default_config_static_selectorELNS0_4arch9wavefront6targetE0EEEvSS_: ; @_ZN7rocprim17ROCPRIM_400000_NS6detail17trampoline_kernelINS0_14default_configENS1_27lower_bound_config_selectorIilEEZNS1_14transform_implILb0ES3_S5_N6thrust23THRUST_200600_302600_NS6detail15normal_iteratorINS8_7pointerIiNS8_11hip_rocprim5par_tENS8_11use_defaultESE_EEEENSA_INSB_IlSD_SE_SE_EEEEZNS1_13binary_searchIS3_S5_PiSG_SI_NS1_21lower_bound_search_opENS9_16wrapped_functionI11custom_lessbEEEE10hipError_tPvRmT1_T2_T3_mmT4_T5_P12ihipStream_tbEUlRKiE_EESP_ST_SU_mSV_SY_bEUlT_E_NS1_11comp_targetILNS1_3genE10ELNS1_11target_archE1200ELNS1_3gpuE4ELNS1_3repE0EEENS1_30default_config_static_selectorELNS0_4arch9wavefront6targetE0EEEvSS_
; %bb.0:
	.section	.rodata,"a",@progbits
	.p2align	6, 0x0
	.amdhsa_kernel _ZN7rocprim17ROCPRIM_400000_NS6detail17trampoline_kernelINS0_14default_configENS1_27lower_bound_config_selectorIilEEZNS1_14transform_implILb0ES3_S5_N6thrust23THRUST_200600_302600_NS6detail15normal_iteratorINS8_7pointerIiNS8_11hip_rocprim5par_tENS8_11use_defaultESE_EEEENSA_INSB_IlSD_SE_SE_EEEEZNS1_13binary_searchIS3_S5_PiSG_SI_NS1_21lower_bound_search_opENS9_16wrapped_functionI11custom_lessbEEEE10hipError_tPvRmT1_T2_T3_mmT4_T5_P12ihipStream_tbEUlRKiE_EESP_ST_SU_mSV_SY_bEUlT_E_NS1_11comp_targetILNS1_3genE10ELNS1_11target_archE1200ELNS1_3gpuE4ELNS1_3repE0EEENS1_30default_config_static_selectorELNS0_4arch9wavefront6targetE0EEEvSS_
		.amdhsa_group_segment_fixed_size 0
		.amdhsa_private_segment_fixed_size 0
		.amdhsa_kernarg_size 56
		.amdhsa_user_sgpr_count 6
		.amdhsa_user_sgpr_private_segment_buffer 1
		.amdhsa_user_sgpr_dispatch_ptr 0
		.amdhsa_user_sgpr_queue_ptr 0
		.amdhsa_user_sgpr_kernarg_segment_ptr 1
		.amdhsa_user_sgpr_dispatch_id 0
		.amdhsa_user_sgpr_flat_scratch_init 0
		.amdhsa_user_sgpr_private_segment_size 0
		.amdhsa_wavefront_size32 1
		.amdhsa_uses_dynamic_stack 0
		.amdhsa_system_sgpr_private_segment_wavefront_offset 0
		.amdhsa_system_sgpr_workgroup_id_x 1
		.amdhsa_system_sgpr_workgroup_id_y 0
		.amdhsa_system_sgpr_workgroup_id_z 0
		.amdhsa_system_sgpr_workgroup_info 0
		.amdhsa_system_vgpr_workitem_id 0
		.amdhsa_next_free_vgpr 1
		.amdhsa_next_free_sgpr 1
		.amdhsa_reserve_vcc 0
		.amdhsa_reserve_flat_scratch 0
		.amdhsa_float_round_mode_32 0
		.amdhsa_float_round_mode_16_64 0
		.amdhsa_float_denorm_mode_32 3
		.amdhsa_float_denorm_mode_16_64 3
		.amdhsa_dx10_clamp 1
		.amdhsa_ieee_mode 1
		.amdhsa_fp16_overflow 0
		.amdhsa_workgroup_processor_mode 1
		.amdhsa_memory_ordered 1
		.amdhsa_forward_progress 1
		.amdhsa_shared_vgpr_count 0
		.amdhsa_exception_fp_ieee_invalid_op 0
		.amdhsa_exception_fp_denorm_src 0
		.amdhsa_exception_fp_ieee_div_zero 0
		.amdhsa_exception_fp_ieee_overflow 0
		.amdhsa_exception_fp_ieee_underflow 0
		.amdhsa_exception_fp_ieee_inexact 0
		.amdhsa_exception_int_div_zero 0
	.end_amdhsa_kernel
	.section	.text._ZN7rocprim17ROCPRIM_400000_NS6detail17trampoline_kernelINS0_14default_configENS1_27lower_bound_config_selectorIilEEZNS1_14transform_implILb0ES3_S5_N6thrust23THRUST_200600_302600_NS6detail15normal_iteratorINS8_7pointerIiNS8_11hip_rocprim5par_tENS8_11use_defaultESE_EEEENSA_INSB_IlSD_SE_SE_EEEEZNS1_13binary_searchIS3_S5_PiSG_SI_NS1_21lower_bound_search_opENS9_16wrapped_functionI11custom_lessbEEEE10hipError_tPvRmT1_T2_T3_mmT4_T5_P12ihipStream_tbEUlRKiE_EESP_ST_SU_mSV_SY_bEUlT_E_NS1_11comp_targetILNS1_3genE10ELNS1_11target_archE1200ELNS1_3gpuE4ELNS1_3repE0EEENS1_30default_config_static_selectorELNS0_4arch9wavefront6targetE0EEEvSS_,"axG",@progbits,_ZN7rocprim17ROCPRIM_400000_NS6detail17trampoline_kernelINS0_14default_configENS1_27lower_bound_config_selectorIilEEZNS1_14transform_implILb0ES3_S5_N6thrust23THRUST_200600_302600_NS6detail15normal_iteratorINS8_7pointerIiNS8_11hip_rocprim5par_tENS8_11use_defaultESE_EEEENSA_INSB_IlSD_SE_SE_EEEEZNS1_13binary_searchIS3_S5_PiSG_SI_NS1_21lower_bound_search_opENS9_16wrapped_functionI11custom_lessbEEEE10hipError_tPvRmT1_T2_T3_mmT4_T5_P12ihipStream_tbEUlRKiE_EESP_ST_SU_mSV_SY_bEUlT_E_NS1_11comp_targetILNS1_3genE10ELNS1_11target_archE1200ELNS1_3gpuE4ELNS1_3repE0EEENS1_30default_config_static_selectorELNS0_4arch9wavefront6targetE0EEEvSS_,comdat
.Lfunc_end129:
	.size	_ZN7rocprim17ROCPRIM_400000_NS6detail17trampoline_kernelINS0_14default_configENS1_27lower_bound_config_selectorIilEEZNS1_14transform_implILb0ES3_S5_N6thrust23THRUST_200600_302600_NS6detail15normal_iteratorINS8_7pointerIiNS8_11hip_rocprim5par_tENS8_11use_defaultESE_EEEENSA_INSB_IlSD_SE_SE_EEEEZNS1_13binary_searchIS3_S5_PiSG_SI_NS1_21lower_bound_search_opENS9_16wrapped_functionI11custom_lessbEEEE10hipError_tPvRmT1_T2_T3_mmT4_T5_P12ihipStream_tbEUlRKiE_EESP_ST_SU_mSV_SY_bEUlT_E_NS1_11comp_targetILNS1_3genE10ELNS1_11target_archE1200ELNS1_3gpuE4ELNS1_3repE0EEENS1_30default_config_static_selectorELNS0_4arch9wavefront6targetE0EEEvSS_, .Lfunc_end129-_ZN7rocprim17ROCPRIM_400000_NS6detail17trampoline_kernelINS0_14default_configENS1_27lower_bound_config_selectorIilEEZNS1_14transform_implILb0ES3_S5_N6thrust23THRUST_200600_302600_NS6detail15normal_iteratorINS8_7pointerIiNS8_11hip_rocprim5par_tENS8_11use_defaultESE_EEEENSA_INSB_IlSD_SE_SE_EEEEZNS1_13binary_searchIS3_S5_PiSG_SI_NS1_21lower_bound_search_opENS9_16wrapped_functionI11custom_lessbEEEE10hipError_tPvRmT1_T2_T3_mmT4_T5_P12ihipStream_tbEUlRKiE_EESP_ST_SU_mSV_SY_bEUlT_E_NS1_11comp_targetILNS1_3genE10ELNS1_11target_archE1200ELNS1_3gpuE4ELNS1_3repE0EEENS1_30default_config_static_selectorELNS0_4arch9wavefront6targetE0EEEvSS_
                                        ; -- End function
	.set _ZN7rocprim17ROCPRIM_400000_NS6detail17trampoline_kernelINS0_14default_configENS1_27lower_bound_config_selectorIilEEZNS1_14transform_implILb0ES3_S5_N6thrust23THRUST_200600_302600_NS6detail15normal_iteratorINS8_7pointerIiNS8_11hip_rocprim5par_tENS8_11use_defaultESE_EEEENSA_INSB_IlSD_SE_SE_EEEEZNS1_13binary_searchIS3_S5_PiSG_SI_NS1_21lower_bound_search_opENS9_16wrapped_functionI11custom_lessbEEEE10hipError_tPvRmT1_T2_T3_mmT4_T5_P12ihipStream_tbEUlRKiE_EESP_ST_SU_mSV_SY_bEUlT_E_NS1_11comp_targetILNS1_3genE10ELNS1_11target_archE1200ELNS1_3gpuE4ELNS1_3repE0EEENS1_30default_config_static_selectorELNS0_4arch9wavefront6targetE0EEEvSS_.num_vgpr, 0
	.set _ZN7rocprim17ROCPRIM_400000_NS6detail17trampoline_kernelINS0_14default_configENS1_27lower_bound_config_selectorIilEEZNS1_14transform_implILb0ES3_S5_N6thrust23THRUST_200600_302600_NS6detail15normal_iteratorINS8_7pointerIiNS8_11hip_rocprim5par_tENS8_11use_defaultESE_EEEENSA_INSB_IlSD_SE_SE_EEEEZNS1_13binary_searchIS3_S5_PiSG_SI_NS1_21lower_bound_search_opENS9_16wrapped_functionI11custom_lessbEEEE10hipError_tPvRmT1_T2_T3_mmT4_T5_P12ihipStream_tbEUlRKiE_EESP_ST_SU_mSV_SY_bEUlT_E_NS1_11comp_targetILNS1_3genE10ELNS1_11target_archE1200ELNS1_3gpuE4ELNS1_3repE0EEENS1_30default_config_static_selectorELNS0_4arch9wavefront6targetE0EEEvSS_.num_agpr, 0
	.set _ZN7rocprim17ROCPRIM_400000_NS6detail17trampoline_kernelINS0_14default_configENS1_27lower_bound_config_selectorIilEEZNS1_14transform_implILb0ES3_S5_N6thrust23THRUST_200600_302600_NS6detail15normal_iteratorINS8_7pointerIiNS8_11hip_rocprim5par_tENS8_11use_defaultESE_EEEENSA_INSB_IlSD_SE_SE_EEEEZNS1_13binary_searchIS3_S5_PiSG_SI_NS1_21lower_bound_search_opENS9_16wrapped_functionI11custom_lessbEEEE10hipError_tPvRmT1_T2_T3_mmT4_T5_P12ihipStream_tbEUlRKiE_EESP_ST_SU_mSV_SY_bEUlT_E_NS1_11comp_targetILNS1_3genE10ELNS1_11target_archE1200ELNS1_3gpuE4ELNS1_3repE0EEENS1_30default_config_static_selectorELNS0_4arch9wavefront6targetE0EEEvSS_.numbered_sgpr, 0
	.set _ZN7rocprim17ROCPRIM_400000_NS6detail17trampoline_kernelINS0_14default_configENS1_27lower_bound_config_selectorIilEEZNS1_14transform_implILb0ES3_S5_N6thrust23THRUST_200600_302600_NS6detail15normal_iteratorINS8_7pointerIiNS8_11hip_rocprim5par_tENS8_11use_defaultESE_EEEENSA_INSB_IlSD_SE_SE_EEEEZNS1_13binary_searchIS3_S5_PiSG_SI_NS1_21lower_bound_search_opENS9_16wrapped_functionI11custom_lessbEEEE10hipError_tPvRmT1_T2_T3_mmT4_T5_P12ihipStream_tbEUlRKiE_EESP_ST_SU_mSV_SY_bEUlT_E_NS1_11comp_targetILNS1_3genE10ELNS1_11target_archE1200ELNS1_3gpuE4ELNS1_3repE0EEENS1_30default_config_static_selectorELNS0_4arch9wavefront6targetE0EEEvSS_.num_named_barrier, 0
	.set _ZN7rocprim17ROCPRIM_400000_NS6detail17trampoline_kernelINS0_14default_configENS1_27lower_bound_config_selectorIilEEZNS1_14transform_implILb0ES3_S5_N6thrust23THRUST_200600_302600_NS6detail15normal_iteratorINS8_7pointerIiNS8_11hip_rocprim5par_tENS8_11use_defaultESE_EEEENSA_INSB_IlSD_SE_SE_EEEEZNS1_13binary_searchIS3_S5_PiSG_SI_NS1_21lower_bound_search_opENS9_16wrapped_functionI11custom_lessbEEEE10hipError_tPvRmT1_T2_T3_mmT4_T5_P12ihipStream_tbEUlRKiE_EESP_ST_SU_mSV_SY_bEUlT_E_NS1_11comp_targetILNS1_3genE10ELNS1_11target_archE1200ELNS1_3gpuE4ELNS1_3repE0EEENS1_30default_config_static_selectorELNS0_4arch9wavefront6targetE0EEEvSS_.private_seg_size, 0
	.set _ZN7rocprim17ROCPRIM_400000_NS6detail17trampoline_kernelINS0_14default_configENS1_27lower_bound_config_selectorIilEEZNS1_14transform_implILb0ES3_S5_N6thrust23THRUST_200600_302600_NS6detail15normal_iteratorINS8_7pointerIiNS8_11hip_rocprim5par_tENS8_11use_defaultESE_EEEENSA_INSB_IlSD_SE_SE_EEEEZNS1_13binary_searchIS3_S5_PiSG_SI_NS1_21lower_bound_search_opENS9_16wrapped_functionI11custom_lessbEEEE10hipError_tPvRmT1_T2_T3_mmT4_T5_P12ihipStream_tbEUlRKiE_EESP_ST_SU_mSV_SY_bEUlT_E_NS1_11comp_targetILNS1_3genE10ELNS1_11target_archE1200ELNS1_3gpuE4ELNS1_3repE0EEENS1_30default_config_static_selectorELNS0_4arch9wavefront6targetE0EEEvSS_.uses_vcc, 0
	.set _ZN7rocprim17ROCPRIM_400000_NS6detail17trampoline_kernelINS0_14default_configENS1_27lower_bound_config_selectorIilEEZNS1_14transform_implILb0ES3_S5_N6thrust23THRUST_200600_302600_NS6detail15normal_iteratorINS8_7pointerIiNS8_11hip_rocprim5par_tENS8_11use_defaultESE_EEEENSA_INSB_IlSD_SE_SE_EEEEZNS1_13binary_searchIS3_S5_PiSG_SI_NS1_21lower_bound_search_opENS9_16wrapped_functionI11custom_lessbEEEE10hipError_tPvRmT1_T2_T3_mmT4_T5_P12ihipStream_tbEUlRKiE_EESP_ST_SU_mSV_SY_bEUlT_E_NS1_11comp_targetILNS1_3genE10ELNS1_11target_archE1200ELNS1_3gpuE4ELNS1_3repE0EEENS1_30default_config_static_selectorELNS0_4arch9wavefront6targetE0EEEvSS_.uses_flat_scratch, 0
	.set _ZN7rocprim17ROCPRIM_400000_NS6detail17trampoline_kernelINS0_14default_configENS1_27lower_bound_config_selectorIilEEZNS1_14transform_implILb0ES3_S5_N6thrust23THRUST_200600_302600_NS6detail15normal_iteratorINS8_7pointerIiNS8_11hip_rocprim5par_tENS8_11use_defaultESE_EEEENSA_INSB_IlSD_SE_SE_EEEEZNS1_13binary_searchIS3_S5_PiSG_SI_NS1_21lower_bound_search_opENS9_16wrapped_functionI11custom_lessbEEEE10hipError_tPvRmT1_T2_T3_mmT4_T5_P12ihipStream_tbEUlRKiE_EESP_ST_SU_mSV_SY_bEUlT_E_NS1_11comp_targetILNS1_3genE10ELNS1_11target_archE1200ELNS1_3gpuE4ELNS1_3repE0EEENS1_30default_config_static_selectorELNS0_4arch9wavefront6targetE0EEEvSS_.has_dyn_sized_stack, 0
	.set _ZN7rocprim17ROCPRIM_400000_NS6detail17trampoline_kernelINS0_14default_configENS1_27lower_bound_config_selectorIilEEZNS1_14transform_implILb0ES3_S5_N6thrust23THRUST_200600_302600_NS6detail15normal_iteratorINS8_7pointerIiNS8_11hip_rocprim5par_tENS8_11use_defaultESE_EEEENSA_INSB_IlSD_SE_SE_EEEEZNS1_13binary_searchIS3_S5_PiSG_SI_NS1_21lower_bound_search_opENS9_16wrapped_functionI11custom_lessbEEEE10hipError_tPvRmT1_T2_T3_mmT4_T5_P12ihipStream_tbEUlRKiE_EESP_ST_SU_mSV_SY_bEUlT_E_NS1_11comp_targetILNS1_3genE10ELNS1_11target_archE1200ELNS1_3gpuE4ELNS1_3repE0EEENS1_30default_config_static_selectorELNS0_4arch9wavefront6targetE0EEEvSS_.has_recursion, 0
	.set _ZN7rocprim17ROCPRIM_400000_NS6detail17trampoline_kernelINS0_14default_configENS1_27lower_bound_config_selectorIilEEZNS1_14transform_implILb0ES3_S5_N6thrust23THRUST_200600_302600_NS6detail15normal_iteratorINS8_7pointerIiNS8_11hip_rocprim5par_tENS8_11use_defaultESE_EEEENSA_INSB_IlSD_SE_SE_EEEEZNS1_13binary_searchIS3_S5_PiSG_SI_NS1_21lower_bound_search_opENS9_16wrapped_functionI11custom_lessbEEEE10hipError_tPvRmT1_T2_T3_mmT4_T5_P12ihipStream_tbEUlRKiE_EESP_ST_SU_mSV_SY_bEUlT_E_NS1_11comp_targetILNS1_3genE10ELNS1_11target_archE1200ELNS1_3gpuE4ELNS1_3repE0EEENS1_30default_config_static_selectorELNS0_4arch9wavefront6targetE0EEEvSS_.has_indirect_call, 0
	.section	.AMDGPU.csdata,"",@progbits
; Kernel info:
; codeLenInByte = 0
; TotalNumSgprs: 0
; NumVgprs: 0
; ScratchSize: 0
; MemoryBound: 0
; FloatMode: 240
; IeeeMode: 1
; LDSByteSize: 0 bytes/workgroup (compile time only)
; SGPRBlocks: 0
; VGPRBlocks: 0
; NumSGPRsForWavesPerEU: 1
; NumVGPRsForWavesPerEU: 1
; Occupancy: 16
; WaveLimiterHint : 0
; COMPUTE_PGM_RSRC2:SCRATCH_EN: 0
; COMPUTE_PGM_RSRC2:USER_SGPR: 6
; COMPUTE_PGM_RSRC2:TRAP_HANDLER: 0
; COMPUTE_PGM_RSRC2:TGID_X_EN: 1
; COMPUTE_PGM_RSRC2:TGID_Y_EN: 0
; COMPUTE_PGM_RSRC2:TGID_Z_EN: 0
; COMPUTE_PGM_RSRC2:TIDIG_COMP_CNT: 0
	.section	.text._ZN7rocprim17ROCPRIM_400000_NS6detail17trampoline_kernelINS0_14default_configENS1_27lower_bound_config_selectorIilEEZNS1_14transform_implILb0ES3_S5_N6thrust23THRUST_200600_302600_NS6detail15normal_iteratorINS8_7pointerIiNS8_11hip_rocprim5par_tENS8_11use_defaultESE_EEEENSA_INSB_IlSD_SE_SE_EEEEZNS1_13binary_searchIS3_S5_PiSG_SI_NS1_21lower_bound_search_opENS9_16wrapped_functionI11custom_lessbEEEE10hipError_tPvRmT1_T2_T3_mmT4_T5_P12ihipStream_tbEUlRKiE_EESP_ST_SU_mSV_SY_bEUlT_E_NS1_11comp_targetILNS1_3genE9ELNS1_11target_archE1100ELNS1_3gpuE3ELNS1_3repE0EEENS1_30default_config_static_selectorELNS0_4arch9wavefront6targetE0EEEvSS_,"axG",@progbits,_ZN7rocprim17ROCPRIM_400000_NS6detail17trampoline_kernelINS0_14default_configENS1_27lower_bound_config_selectorIilEEZNS1_14transform_implILb0ES3_S5_N6thrust23THRUST_200600_302600_NS6detail15normal_iteratorINS8_7pointerIiNS8_11hip_rocprim5par_tENS8_11use_defaultESE_EEEENSA_INSB_IlSD_SE_SE_EEEEZNS1_13binary_searchIS3_S5_PiSG_SI_NS1_21lower_bound_search_opENS9_16wrapped_functionI11custom_lessbEEEE10hipError_tPvRmT1_T2_T3_mmT4_T5_P12ihipStream_tbEUlRKiE_EESP_ST_SU_mSV_SY_bEUlT_E_NS1_11comp_targetILNS1_3genE9ELNS1_11target_archE1100ELNS1_3gpuE3ELNS1_3repE0EEENS1_30default_config_static_selectorELNS0_4arch9wavefront6targetE0EEEvSS_,comdat
	.protected	_ZN7rocprim17ROCPRIM_400000_NS6detail17trampoline_kernelINS0_14default_configENS1_27lower_bound_config_selectorIilEEZNS1_14transform_implILb0ES3_S5_N6thrust23THRUST_200600_302600_NS6detail15normal_iteratorINS8_7pointerIiNS8_11hip_rocprim5par_tENS8_11use_defaultESE_EEEENSA_INSB_IlSD_SE_SE_EEEEZNS1_13binary_searchIS3_S5_PiSG_SI_NS1_21lower_bound_search_opENS9_16wrapped_functionI11custom_lessbEEEE10hipError_tPvRmT1_T2_T3_mmT4_T5_P12ihipStream_tbEUlRKiE_EESP_ST_SU_mSV_SY_bEUlT_E_NS1_11comp_targetILNS1_3genE9ELNS1_11target_archE1100ELNS1_3gpuE3ELNS1_3repE0EEENS1_30default_config_static_selectorELNS0_4arch9wavefront6targetE0EEEvSS_ ; -- Begin function _ZN7rocprim17ROCPRIM_400000_NS6detail17trampoline_kernelINS0_14default_configENS1_27lower_bound_config_selectorIilEEZNS1_14transform_implILb0ES3_S5_N6thrust23THRUST_200600_302600_NS6detail15normal_iteratorINS8_7pointerIiNS8_11hip_rocprim5par_tENS8_11use_defaultESE_EEEENSA_INSB_IlSD_SE_SE_EEEEZNS1_13binary_searchIS3_S5_PiSG_SI_NS1_21lower_bound_search_opENS9_16wrapped_functionI11custom_lessbEEEE10hipError_tPvRmT1_T2_T3_mmT4_T5_P12ihipStream_tbEUlRKiE_EESP_ST_SU_mSV_SY_bEUlT_E_NS1_11comp_targetILNS1_3genE9ELNS1_11target_archE1100ELNS1_3gpuE3ELNS1_3repE0EEENS1_30default_config_static_selectorELNS0_4arch9wavefront6targetE0EEEvSS_
	.globl	_ZN7rocprim17ROCPRIM_400000_NS6detail17trampoline_kernelINS0_14default_configENS1_27lower_bound_config_selectorIilEEZNS1_14transform_implILb0ES3_S5_N6thrust23THRUST_200600_302600_NS6detail15normal_iteratorINS8_7pointerIiNS8_11hip_rocprim5par_tENS8_11use_defaultESE_EEEENSA_INSB_IlSD_SE_SE_EEEEZNS1_13binary_searchIS3_S5_PiSG_SI_NS1_21lower_bound_search_opENS9_16wrapped_functionI11custom_lessbEEEE10hipError_tPvRmT1_T2_T3_mmT4_T5_P12ihipStream_tbEUlRKiE_EESP_ST_SU_mSV_SY_bEUlT_E_NS1_11comp_targetILNS1_3genE9ELNS1_11target_archE1100ELNS1_3gpuE3ELNS1_3repE0EEENS1_30default_config_static_selectorELNS0_4arch9wavefront6targetE0EEEvSS_
	.p2align	8
	.type	_ZN7rocprim17ROCPRIM_400000_NS6detail17trampoline_kernelINS0_14default_configENS1_27lower_bound_config_selectorIilEEZNS1_14transform_implILb0ES3_S5_N6thrust23THRUST_200600_302600_NS6detail15normal_iteratorINS8_7pointerIiNS8_11hip_rocprim5par_tENS8_11use_defaultESE_EEEENSA_INSB_IlSD_SE_SE_EEEEZNS1_13binary_searchIS3_S5_PiSG_SI_NS1_21lower_bound_search_opENS9_16wrapped_functionI11custom_lessbEEEE10hipError_tPvRmT1_T2_T3_mmT4_T5_P12ihipStream_tbEUlRKiE_EESP_ST_SU_mSV_SY_bEUlT_E_NS1_11comp_targetILNS1_3genE9ELNS1_11target_archE1100ELNS1_3gpuE3ELNS1_3repE0EEENS1_30default_config_static_selectorELNS0_4arch9wavefront6targetE0EEEvSS_,@function
_ZN7rocprim17ROCPRIM_400000_NS6detail17trampoline_kernelINS0_14default_configENS1_27lower_bound_config_selectorIilEEZNS1_14transform_implILb0ES3_S5_N6thrust23THRUST_200600_302600_NS6detail15normal_iteratorINS8_7pointerIiNS8_11hip_rocprim5par_tENS8_11use_defaultESE_EEEENSA_INSB_IlSD_SE_SE_EEEEZNS1_13binary_searchIS3_S5_PiSG_SI_NS1_21lower_bound_search_opENS9_16wrapped_functionI11custom_lessbEEEE10hipError_tPvRmT1_T2_T3_mmT4_T5_P12ihipStream_tbEUlRKiE_EESP_ST_SU_mSV_SY_bEUlT_E_NS1_11comp_targetILNS1_3genE9ELNS1_11target_archE1100ELNS1_3gpuE3ELNS1_3repE0EEENS1_30default_config_static_selectorELNS0_4arch9wavefront6targetE0EEEvSS_: ; @_ZN7rocprim17ROCPRIM_400000_NS6detail17trampoline_kernelINS0_14default_configENS1_27lower_bound_config_selectorIilEEZNS1_14transform_implILb0ES3_S5_N6thrust23THRUST_200600_302600_NS6detail15normal_iteratorINS8_7pointerIiNS8_11hip_rocprim5par_tENS8_11use_defaultESE_EEEENSA_INSB_IlSD_SE_SE_EEEEZNS1_13binary_searchIS3_S5_PiSG_SI_NS1_21lower_bound_search_opENS9_16wrapped_functionI11custom_lessbEEEE10hipError_tPvRmT1_T2_T3_mmT4_T5_P12ihipStream_tbEUlRKiE_EESP_ST_SU_mSV_SY_bEUlT_E_NS1_11comp_targetILNS1_3genE9ELNS1_11target_archE1100ELNS1_3gpuE3ELNS1_3repE0EEENS1_30default_config_static_selectorELNS0_4arch9wavefront6targetE0EEEvSS_
; %bb.0:
	.section	.rodata,"a",@progbits
	.p2align	6, 0x0
	.amdhsa_kernel _ZN7rocprim17ROCPRIM_400000_NS6detail17trampoline_kernelINS0_14default_configENS1_27lower_bound_config_selectorIilEEZNS1_14transform_implILb0ES3_S5_N6thrust23THRUST_200600_302600_NS6detail15normal_iteratorINS8_7pointerIiNS8_11hip_rocprim5par_tENS8_11use_defaultESE_EEEENSA_INSB_IlSD_SE_SE_EEEEZNS1_13binary_searchIS3_S5_PiSG_SI_NS1_21lower_bound_search_opENS9_16wrapped_functionI11custom_lessbEEEE10hipError_tPvRmT1_T2_T3_mmT4_T5_P12ihipStream_tbEUlRKiE_EESP_ST_SU_mSV_SY_bEUlT_E_NS1_11comp_targetILNS1_3genE9ELNS1_11target_archE1100ELNS1_3gpuE3ELNS1_3repE0EEENS1_30default_config_static_selectorELNS0_4arch9wavefront6targetE0EEEvSS_
		.amdhsa_group_segment_fixed_size 0
		.amdhsa_private_segment_fixed_size 0
		.amdhsa_kernarg_size 56
		.amdhsa_user_sgpr_count 6
		.amdhsa_user_sgpr_private_segment_buffer 1
		.amdhsa_user_sgpr_dispatch_ptr 0
		.amdhsa_user_sgpr_queue_ptr 0
		.amdhsa_user_sgpr_kernarg_segment_ptr 1
		.amdhsa_user_sgpr_dispatch_id 0
		.amdhsa_user_sgpr_flat_scratch_init 0
		.amdhsa_user_sgpr_private_segment_size 0
		.amdhsa_wavefront_size32 1
		.amdhsa_uses_dynamic_stack 0
		.amdhsa_system_sgpr_private_segment_wavefront_offset 0
		.amdhsa_system_sgpr_workgroup_id_x 1
		.amdhsa_system_sgpr_workgroup_id_y 0
		.amdhsa_system_sgpr_workgroup_id_z 0
		.amdhsa_system_sgpr_workgroup_info 0
		.amdhsa_system_vgpr_workitem_id 0
		.amdhsa_next_free_vgpr 1
		.amdhsa_next_free_sgpr 1
		.amdhsa_reserve_vcc 0
		.amdhsa_reserve_flat_scratch 0
		.amdhsa_float_round_mode_32 0
		.amdhsa_float_round_mode_16_64 0
		.amdhsa_float_denorm_mode_32 3
		.amdhsa_float_denorm_mode_16_64 3
		.amdhsa_dx10_clamp 1
		.amdhsa_ieee_mode 1
		.amdhsa_fp16_overflow 0
		.amdhsa_workgroup_processor_mode 1
		.amdhsa_memory_ordered 1
		.amdhsa_forward_progress 1
		.amdhsa_shared_vgpr_count 0
		.amdhsa_exception_fp_ieee_invalid_op 0
		.amdhsa_exception_fp_denorm_src 0
		.amdhsa_exception_fp_ieee_div_zero 0
		.amdhsa_exception_fp_ieee_overflow 0
		.amdhsa_exception_fp_ieee_underflow 0
		.amdhsa_exception_fp_ieee_inexact 0
		.amdhsa_exception_int_div_zero 0
	.end_amdhsa_kernel
	.section	.text._ZN7rocprim17ROCPRIM_400000_NS6detail17trampoline_kernelINS0_14default_configENS1_27lower_bound_config_selectorIilEEZNS1_14transform_implILb0ES3_S5_N6thrust23THRUST_200600_302600_NS6detail15normal_iteratorINS8_7pointerIiNS8_11hip_rocprim5par_tENS8_11use_defaultESE_EEEENSA_INSB_IlSD_SE_SE_EEEEZNS1_13binary_searchIS3_S5_PiSG_SI_NS1_21lower_bound_search_opENS9_16wrapped_functionI11custom_lessbEEEE10hipError_tPvRmT1_T2_T3_mmT4_T5_P12ihipStream_tbEUlRKiE_EESP_ST_SU_mSV_SY_bEUlT_E_NS1_11comp_targetILNS1_3genE9ELNS1_11target_archE1100ELNS1_3gpuE3ELNS1_3repE0EEENS1_30default_config_static_selectorELNS0_4arch9wavefront6targetE0EEEvSS_,"axG",@progbits,_ZN7rocprim17ROCPRIM_400000_NS6detail17trampoline_kernelINS0_14default_configENS1_27lower_bound_config_selectorIilEEZNS1_14transform_implILb0ES3_S5_N6thrust23THRUST_200600_302600_NS6detail15normal_iteratorINS8_7pointerIiNS8_11hip_rocprim5par_tENS8_11use_defaultESE_EEEENSA_INSB_IlSD_SE_SE_EEEEZNS1_13binary_searchIS3_S5_PiSG_SI_NS1_21lower_bound_search_opENS9_16wrapped_functionI11custom_lessbEEEE10hipError_tPvRmT1_T2_T3_mmT4_T5_P12ihipStream_tbEUlRKiE_EESP_ST_SU_mSV_SY_bEUlT_E_NS1_11comp_targetILNS1_3genE9ELNS1_11target_archE1100ELNS1_3gpuE3ELNS1_3repE0EEENS1_30default_config_static_selectorELNS0_4arch9wavefront6targetE0EEEvSS_,comdat
.Lfunc_end130:
	.size	_ZN7rocprim17ROCPRIM_400000_NS6detail17trampoline_kernelINS0_14default_configENS1_27lower_bound_config_selectorIilEEZNS1_14transform_implILb0ES3_S5_N6thrust23THRUST_200600_302600_NS6detail15normal_iteratorINS8_7pointerIiNS8_11hip_rocprim5par_tENS8_11use_defaultESE_EEEENSA_INSB_IlSD_SE_SE_EEEEZNS1_13binary_searchIS3_S5_PiSG_SI_NS1_21lower_bound_search_opENS9_16wrapped_functionI11custom_lessbEEEE10hipError_tPvRmT1_T2_T3_mmT4_T5_P12ihipStream_tbEUlRKiE_EESP_ST_SU_mSV_SY_bEUlT_E_NS1_11comp_targetILNS1_3genE9ELNS1_11target_archE1100ELNS1_3gpuE3ELNS1_3repE0EEENS1_30default_config_static_selectorELNS0_4arch9wavefront6targetE0EEEvSS_, .Lfunc_end130-_ZN7rocprim17ROCPRIM_400000_NS6detail17trampoline_kernelINS0_14default_configENS1_27lower_bound_config_selectorIilEEZNS1_14transform_implILb0ES3_S5_N6thrust23THRUST_200600_302600_NS6detail15normal_iteratorINS8_7pointerIiNS8_11hip_rocprim5par_tENS8_11use_defaultESE_EEEENSA_INSB_IlSD_SE_SE_EEEEZNS1_13binary_searchIS3_S5_PiSG_SI_NS1_21lower_bound_search_opENS9_16wrapped_functionI11custom_lessbEEEE10hipError_tPvRmT1_T2_T3_mmT4_T5_P12ihipStream_tbEUlRKiE_EESP_ST_SU_mSV_SY_bEUlT_E_NS1_11comp_targetILNS1_3genE9ELNS1_11target_archE1100ELNS1_3gpuE3ELNS1_3repE0EEENS1_30default_config_static_selectorELNS0_4arch9wavefront6targetE0EEEvSS_
                                        ; -- End function
	.set _ZN7rocprim17ROCPRIM_400000_NS6detail17trampoline_kernelINS0_14default_configENS1_27lower_bound_config_selectorIilEEZNS1_14transform_implILb0ES3_S5_N6thrust23THRUST_200600_302600_NS6detail15normal_iteratorINS8_7pointerIiNS8_11hip_rocprim5par_tENS8_11use_defaultESE_EEEENSA_INSB_IlSD_SE_SE_EEEEZNS1_13binary_searchIS3_S5_PiSG_SI_NS1_21lower_bound_search_opENS9_16wrapped_functionI11custom_lessbEEEE10hipError_tPvRmT1_T2_T3_mmT4_T5_P12ihipStream_tbEUlRKiE_EESP_ST_SU_mSV_SY_bEUlT_E_NS1_11comp_targetILNS1_3genE9ELNS1_11target_archE1100ELNS1_3gpuE3ELNS1_3repE0EEENS1_30default_config_static_selectorELNS0_4arch9wavefront6targetE0EEEvSS_.num_vgpr, 0
	.set _ZN7rocprim17ROCPRIM_400000_NS6detail17trampoline_kernelINS0_14default_configENS1_27lower_bound_config_selectorIilEEZNS1_14transform_implILb0ES3_S5_N6thrust23THRUST_200600_302600_NS6detail15normal_iteratorINS8_7pointerIiNS8_11hip_rocprim5par_tENS8_11use_defaultESE_EEEENSA_INSB_IlSD_SE_SE_EEEEZNS1_13binary_searchIS3_S5_PiSG_SI_NS1_21lower_bound_search_opENS9_16wrapped_functionI11custom_lessbEEEE10hipError_tPvRmT1_T2_T3_mmT4_T5_P12ihipStream_tbEUlRKiE_EESP_ST_SU_mSV_SY_bEUlT_E_NS1_11comp_targetILNS1_3genE9ELNS1_11target_archE1100ELNS1_3gpuE3ELNS1_3repE0EEENS1_30default_config_static_selectorELNS0_4arch9wavefront6targetE0EEEvSS_.num_agpr, 0
	.set _ZN7rocprim17ROCPRIM_400000_NS6detail17trampoline_kernelINS0_14default_configENS1_27lower_bound_config_selectorIilEEZNS1_14transform_implILb0ES3_S5_N6thrust23THRUST_200600_302600_NS6detail15normal_iteratorINS8_7pointerIiNS8_11hip_rocprim5par_tENS8_11use_defaultESE_EEEENSA_INSB_IlSD_SE_SE_EEEEZNS1_13binary_searchIS3_S5_PiSG_SI_NS1_21lower_bound_search_opENS9_16wrapped_functionI11custom_lessbEEEE10hipError_tPvRmT1_T2_T3_mmT4_T5_P12ihipStream_tbEUlRKiE_EESP_ST_SU_mSV_SY_bEUlT_E_NS1_11comp_targetILNS1_3genE9ELNS1_11target_archE1100ELNS1_3gpuE3ELNS1_3repE0EEENS1_30default_config_static_selectorELNS0_4arch9wavefront6targetE0EEEvSS_.numbered_sgpr, 0
	.set _ZN7rocprim17ROCPRIM_400000_NS6detail17trampoline_kernelINS0_14default_configENS1_27lower_bound_config_selectorIilEEZNS1_14transform_implILb0ES3_S5_N6thrust23THRUST_200600_302600_NS6detail15normal_iteratorINS8_7pointerIiNS8_11hip_rocprim5par_tENS8_11use_defaultESE_EEEENSA_INSB_IlSD_SE_SE_EEEEZNS1_13binary_searchIS3_S5_PiSG_SI_NS1_21lower_bound_search_opENS9_16wrapped_functionI11custom_lessbEEEE10hipError_tPvRmT1_T2_T3_mmT4_T5_P12ihipStream_tbEUlRKiE_EESP_ST_SU_mSV_SY_bEUlT_E_NS1_11comp_targetILNS1_3genE9ELNS1_11target_archE1100ELNS1_3gpuE3ELNS1_3repE0EEENS1_30default_config_static_selectorELNS0_4arch9wavefront6targetE0EEEvSS_.num_named_barrier, 0
	.set _ZN7rocprim17ROCPRIM_400000_NS6detail17trampoline_kernelINS0_14default_configENS1_27lower_bound_config_selectorIilEEZNS1_14transform_implILb0ES3_S5_N6thrust23THRUST_200600_302600_NS6detail15normal_iteratorINS8_7pointerIiNS8_11hip_rocprim5par_tENS8_11use_defaultESE_EEEENSA_INSB_IlSD_SE_SE_EEEEZNS1_13binary_searchIS3_S5_PiSG_SI_NS1_21lower_bound_search_opENS9_16wrapped_functionI11custom_lessbEEEE10hipError_tPvRmT1_T2_T3_mmT4_T5_P12ihipStream_tbEUlRKiE_EESP_ST_SU_mSV_SY_bEUlT_E_NS1_11comp_targetILNS1_3genE9ELNS1_11target_archE1100ELNS1_3gpuE3ELNS1_3repE0EEENS1_30default_config_static_selectorELNS0_4arch9wavefront6targetE0EEEvSS_.private_seg_size, 0
	.set _ZN7rocprim17ROCPRIM_400000_NS6detail17trampoline_kernelINS0_14default_configENS1_27lower_bound_config_selectorIilEEZNS1_14transform_implILb0ES3_S5_N6thrust23THRUST_200600_302600_NS6detail15normal_iteratorINS8_7pointerIiNS8_11hip_rocprim5par_tENS8_11use_defaultESE_EEEENSA_INSB_IlSD_SE_SE_EEEEZNS1_13binary_searchIS3_S5_PiSG_SI_NS1_21lower_bound_search_opENS9_16wrapped_functionI11custom_lessbEEEE10hipError_tPvRmT1_T2_T3_mmT4_T5_P12ihipStream_tbEUlRKiE_EESP_ST_SU_mSV_SY_bEUlT_E_NS1_11comp_targetILNS1_3genE9ELNS1_11target_archE1100ELNS1_3gpuE3ELNS1_3repE0EEENS1_30default_config_static_selectorELNS0_4arch9wavefront6targetE0EEEvSS_.uses_vcc, 0
	.set _ZN7rocprim17ROCPRIM_400000_NS6detail17trampoline_kernelINS0_14default_configENS1_27lower_bound_config_selectorIilEEZNS1_14transform_implILb0ES3_S5_N6thrust23THRUST_200600_302600_NS6detail15normal_iteratorINS8_7pointerIiNS8_11hip_rocprim5par_tENS8_11use_defaultESE_EEEENSA_INSB_IlSD_SE_SE_EEEEZNS1_13binary_searchIS3_S5_PiSG_SI_NS1_21lower_bound_search_opENS9_16wrapped_functionI11custom_lessbEEEE10hipError_tPvRmT1_T2_T3_mmT4_T5_P12ihipStream_tbEUlRKiE_EESP_ST_SU_mSV_SY_bEUlT_E_NS1_11comp_targetILNS1_3genE9ELNS1_11target_archE1100ELNS1_3gpuE3ELNS1_3repE0EEENS1_30default_config_static_selectorELNS0_4arch9wavefront6targetE0EEEvSS_.uses_flat_scratch, 0
	.set _ZN7rocprim17ROCPRIM_400000_NS6detail17trampoline_kernelINS0_14default_configENS1_27lower_bound_config_selectorIilEEZNS1_14transform_implILb0ES3_S5_N6thrust23THRUST_200600_302600_NS6detail15normal_iteratorINS8_7pointerIiNS8_11hip_rocprim5par_tENS8_11use_defaultESE_EEEENSA_INSB_IlSD_SE_SE_EEEEZNS1_13binary_searchIS3_S5_PiSG_SI_NS1_21lower_bound_search_opENS9_16wrapped_functionI11custom_lessbEEEE10hipError_tPvRmT1_T2_T3_mmT4_T5_P12ihipStream_tbEUlRKiE_EESP_ST_SU_mSV_SY_bEUlT_E_NS1_11comp_targetILNS1_3genE9ELNS1_11target_archE1100ELNS1_3gpuE3ELNS1_3repE0EEENS1_30default_config_static_selectorELNS0_4arch9wavefront6targetE0EEEvSS_.has_dyn_sized_stack, 0
	.set _ZN7rocprim17ROCPRIM_400000_NS6detail17trampoline_kernelINS0_14default_configENS1_27lower_bound_config_selectorIilEEZNS1_14transform_implILb0ES3_S5_N6thrust23THRUST_200600_302600_NS6detail15normal_iteratorINS8_7pointerIiNS8_11hip_rocprim5par_tENS8_11use_defaultESE_EEEENSA_INSB_IlSD_SE_SE_EEEEZNS1_13binary_searchIS3_S5_PiSG_SI_NS1_21lower_bound_search_opENS9_16wrapped_functionI11custom_lessbEEEE10hipError_tPvRmT1_T2_T3_mmT4_T5_P12ihipStream_tbEUlRKiE_EESP_ST_SU_mSV_SY_bEUlT_E_NS1_11comp_targetILNS1_3genE9ELNS1_11target_archE1100ELNS1_3gpuE3ELNS1_3repE0EEENS1_30default_config_static_selectorELNS0_4arch9wavefront6targetE0EEEvSS_.has_recursion, 0
	.set _ZN7rocprim17ROCPRIM_400000_NS6detail17trampoline_kernelINS0_14default_configENS1_27lower_bound_config_selectorIilEEZNS1_14transform_implILb0ES3_S5_N6thrust23THRUST_200600_302600_NS6detail15normal_iteratorINS8_7pointerIiNS8_11hip_rocprim5par_tENS8_11use_defaultESE_EEEENSA_INSB_IlSD_SE_SE_EEEEZNS1_13binary_searchIS3_S5_PiSG_SI_NS1_21lower_bound_search_opENS9_16wrapped_functionI11custom_lessbEEEE10hipError_tPvRmT1_T2_T3_mmT4_T5_P12ihipStream_tbEUlRKiE_EESP_ST_SU_mSV_SY_bEUlT_E_NS1_11comp_targetILNS1_3genE9ELNS1_11target_archE1100ELNS1_3gpuE3ELNS1_3repE0EEENS1_30default_config_static_selectorELNS0_4arch9wavefront6targetE0EEEvSS_.has_indirect_call, 0
	.section	.AMDGPU.csdata,"",@progbits
; Kernel info:
; codeLenInByte = 0
; TotalNumSgprs: 0
; NumVgprs: 0
; ScratchSize: 0
; MemoryBound: 0
; FloatMode: 240
; IeeeMode: 1
; LDSByteSize: 0 bytes/workgroup (compile time only)
; SGPRBlocks: 0
; VGPRBlocks: 0
; NumSGPRsForWavesPerEU: 1
; NumVGPRsForWavesPerEU: 1
; Occupancy: 16
; WaveLimiterHint : 0
; COMPUTE_PGM_RSRC2:SCRATCH_EN: 0
; COMPUTE_PGM_RSRC2:USER_SGPR: 6
; COMPUTE_PGM_RSRC2:TRAP_HANDLER: 0
; COMPUTE_PGM_RSRC2:TGID_X_EN: 1
; COMPUTE_PGM_RSRC2:TGID_Y_EN: 0
; COMPUTE_PGM_RSRC2:TGID_Z_EN: 0
; COMPUTE_PGM_RSRC2:TIDIG_COMP_CNT: 0
	.section	.text._ZN7rocprim17ROCPRIM_400000_NS6detail17trampoline_kernelINS0_14default_configENS1_27lower_bound_config_selectorIilEEZNS1_14transform_implILb0ES3_S5_N6thrust23THRUST_200600_302600_NS6detail15normal_iteratorINS8_7pointerIiNS8_11hip_rocprim5par_tENS8_11use_defaultESE_EEEENSA_INSB_IlSD_SE_SE_EEEEZNS1_13binary_searchIS3_S5_PiSG_SI_NS1_21lower_bound_search_opENS9_16wrapped_functionI11custom_lessbEEEE10hipError_tPvRmT1_T2_T3_mmT4_T5_P12ihipStream_tbEUlRKiE_EESP_ST_SU_mSV_SY_bEUlT_E_NS1_11comp_targetILNS1_3genE8ELNS1_11target_archE1030ELNS1_3gpuE2ELNS1_3repE0EEENS1_30default_config_static_selectorELNS0_4arch9wavefront6targetE0EEEvSS_,"axG",@progbits,_ZN7rocprim17ROCPRIM_400000_NS6detail17trampoline_kernelINS0_14default_configENS1_27lower_bound_config_selectorIilEEZNS1_14transform_implILb0ES3_S5_N6thrust23THRUST_200600_302600_NS6detail15normal_iteratorINS8_7pointerIiNS8_11hip_rocprim5par_tENS8_11use_defaultESE_EEEENSA_INSB_IlSD_SE_SE_EEEEZNS1_13binary_searchIS3_S5_PiSG_SI_NS1_21lower_bound_search_opENS9_16wrapped_functionI11custom_lessbEEEE10hipError_tPvRmT1_T2_T3_mmT4_T5_P12ihipStream_tbEUlRKiE_EESP_ST_SU_mSV_SY_bEUlT_E_NS1_11comp_targetILNS1_3genE8ELNS1_11target_archE1030ELNS1_3gpuE2ELNS1_3repE0EEENS1_30default_config_static_selectorELNS0_4arch9wavefront6targetE0EEEvSS_,comdat
	.protected	_ZN7rocprim17ROCPRIM_400000_NS6detail17trampoline_kernelINS0_14default_configENS1_27lower_bound_config_selectorIilEEZNS1_14transform_implILb0ES3_S5_N6thrust23THRUST_200600_302600_NS6detail15normal_iteratorINS8_7pointerIiNS8_11hip_rocprim5par_tENS8_11use_defaultESE_EEEENSA_INSB_IlSD_SE_SE_EEEEZNS1_13binary_searchIS3_S5_PiSG_SI_NS1_21lower_bound_search_opENS9_16wrapped_functionI11custom_lessbEEEE10hipError_tPvRmT1_T2_T3_mmT4_T5_P12ihipStream_tbEUlRKiE_EESP_ST_SU_mSV_SY_bEUlT_E_NS1_11comp_targetILNS1_3genE8ELNS1_11target_archE1030ELNS1_3gpuE2ELNS1_3repE0EEENS1_30default_config_static_selectorELNS0_4arch9wavefront6targetE0EEEvSS_ ; -- Begin function _ZN7rocprim17ROCPRIM_400000_NS6detail17trampoline_kernelINS0_14default_configENS1_27lower_bound_config_selectorIilEEZNS1_14transform_implILb0ES3_S5_N6thrust23THRUST_200600_302600_NS6detail15normal_iteratorINS8_7pointerIiNS8_11hip_rocprim5par_tENS8_11use_defaultESE_EEEENSA_INSB_IlSD_SE_SE_EEEEZNS1_13binary_searchIS3_S5_PiSG_SI_NS1_21lower_bound_search_opENS9_16wrapped_functionI11custom_lessbEEEE10hipError_tPvRmT1_T2_T3_mmT4_T5_P12ihipStream_tbEUlRKiE_EESP_ST_SU_mSV_SY_bEUlT_E_NS1_11comp_targetILNS1_3genE8ELNS1_11target_archE1030ELNS1_3gpuE2ELNS1_3repE0EEENS1_30default_config_static_selectorELNS0_4arch9wavefront6targetE0EEEvSS_
	.globl	_ZN7rocprim17ROCPRIM_400000_NS6detail17trampoline_kernelINS0_14default_configENS1_27lower_bound_config_selectorIilEEZNS1_14transform_implILb0ES3_S5_N6thrust23THRUST_200600_302600_NS6detail15normal_iteratorINS8_7pointerIiNS8_11hip_rocprim5par_tENS8_11use_defaultESE_EEEENSA_INSB_IlSD_SE_SE_EEEEZNS1_13binary_searchIS3_S5_PiSG_SI_NS1_21lower_bound_search_opENS9_16wrapped_functionI11custom_lessbEEEE10hipError_tPvRmT1_T2_T3_mmT4_T5_P12ihipStream_tbEUlRKiE_EESP_ST_SU_mSV_SY_bEUlT_E_NS1_11comp_targetILNS1_3genE8ELNS1_11target_archE1030ELNS1_3gpuE2ELNS1_3repE0EEENS1_30default_config_static_selectorELNS0_4arch9wavefront6targetE0EEEvSS_
	.p2align	8
	.type	_ZN7rocprim17ROCPRIM_400000_NS6detail17trampoline_kernelINS0_14default_configENS1_27lower_bound_config_selectorIilEEZNS1_14transform_implILb0ES3_S5_N6thrust23THRUST_200600_302600_NS6detail15normal_iteratorINS8_7pointerIiNS8_11hip_rocprim5par_tENS8_11use_defaultESE_EEEENSA_INSB_IlSD_SE_SE_EEEEZNS1_13binary_searchIS3_S5_PiSG_SI_NS1_21lower_bound_search_opENS9_16wrapped_functionI11custom_lessbEEEE10hipError_tPvRmT1_T2_T3_mmT4_T5_P12ihipStream_tbEUlRKiE_EESP_ST_SU_mSV_SY_bEUlT_E_NS1_11comp_targetILNS1_3genE8ELNS1_11target_archE1030ELNS1_3gpuE2ELNS1_3repE0EEENS1_30default_config_static_selectorELNS0_4arch9wavefront6targetE0EEEvSS_,@function
_ZN7rocprim17ROCPRIM_400000_NS6detail17trampoline_kernelINS0_14default_configENS1_27lower_bound_config_selectorIilEEZNS1_14transform_implILb0ES3_S5_N6thrust23THRUST_200600_302600_NS6detail15normal_iteratorINS8_7pointerIiNS8_11hip_rocprim5par_tENS8_11use_defaultESE_EEEENSA_INSB_IlSD_SE_SE_EEEEZNS1_13binary_searchIS3_S5_PiSG_SI_NS1_21lower_bound_search_opENS9_16wrapped_functionI11custom_lessbEEEE10hipError_tPvRmT1_T2_T3_mmT4_T5_P12ihipStream_tbEUlRKiE_EESP_ST_SU_mSV_SY_bEUlT_E_NS1_11comp_targetILNS1_3genE8ELNS1_11target_archE1030ELNS1_3gpuE2ELNS1_3repE0EEENS1_30default_config_static_selectorELNS0_4arch9wavefront6targetE0EEEvSS_: ; @_ZN7rocprim17ROCPRIM_400000_NS6detail17trampoline_kernelINS0_14default_configENS1_27lower_bound_config_selectorIilEEZNS1_14transform_implILb0ES3_S5_N6thrust23THRUST_200600_302600_NS6detail15normal_iteratorINS8_7pointerIiNS8_11hip_rocprim5par_tENS8_11use_defaultESE_EEEENSA_INSB_IlSD_SE_SE_EEEEZNS1_13binary_searchIS3_S5_PiSG_SI_NS1_21lower_bound_search_opENS9_16wrapped_functionI11custom_lessbEEEE10hipError_tPvRmT1_T2_T3_mmT4_T5_P12ihipStream_tbEUlRKiE_EESP_ST_SU_mSV_SY_bEUlT_E_NS1_11comp_targetILNS1_3genE8ELNS1_11target_archE1030ELNS1_3gpuE2ELNS1_3repE0EEENS1_30default_config_static_selectorELNS0_4arch9wavefront6targetE0EEEvSS_
; %bb.0:
	s_clause 0x3
	s_load_dwordx4 s[12:15], s[4:5], 0x0
	s_load_dwordx4 s[0:3], s[4:5], 0x18
	s_load_dword s16, s[4:5], 0x38
	s_load_dwordx2 s[10:11], s[4:5], 0x28
	s_waitcnt lgkmcnt(0)
	s_lshl_b64 s[8:9], s[14:15], 2
	s_add_u32 s12, s12, s8
	s_addc_u32 s13, s13, s9
	s_lshl_b64 s[8:9], s[14:15], 3
	s_add_u32 s7, s0, s8
	s_addc_u32 s1, s1, s9
	s_add_i32 s16, s16, -1
	s_lshl_b32 s8, s6, 8
	s_mov_b32 s9, 0
	s_cmp_lg_u32 s6, s16
	s_mov_b32 s0, -1
	s_cbranch_scc0 .LBB131_7
; %bb.1:
	s_cmp_eq_u64 s[10:11], 0
	s_cbranch_scc1 .LBB131_5
; %bb.2:
	v_lshlrev_b32_e32 v1, 2, v0
	s_lshl_b64 s[14:15], s[8:9], 2
	v_mov_b32_e32 v3, s10
	s_add_u32 s0, s12, s14
	s_addc_u32 s6, s13, s15
	v_add_co_u32 v1, s0, s0, v1
	v_add_co_ci_u32_e64 v2, null, s6, 0, s0
	v_mov_b32_e32 v4, s11
	s_mov_b32 s0, 0
	flat_load_dword v5, v[1:2]
	v_mov_b32_e32 v1, 0
	v_mov_b32_e32 v2, 0
	s_inst_prefetch 0x1
	.p2align	6
.LBB131_3:                              ; =>This Inner Loop Header: Depth=1
	v_sub_co_u32 v6, vcc_lo, v3, v1
	v_sub_co_ci_u32_e64 v7, null, v4, v2, vcc_lo
	v_lshrrev_b64 v[8:9], 1, v[6:7]
	v_lshrrev_b64 v[6:7], 6, v[6:7]
	v_add_co_u32 v8, vcc_lo, v8, v1
	v_add_co_ci_u32_e64 v9, null, v9, v2, vcc_lo
	v_add_co_u32 v6, vcc_lo, v8, v6
	v_add_co_ci_u32_e64 v7, null, v9, v7, vcc_lo
	v_lshlrev_b64 v[8:9], 2, v[6:7]
	v_add_co_u32 v8, vcc_lo, s2, v8
	v_add_co_ci_u32_e64 v9, null, s3, v9, vcc_lo
	global_load_dword v8, v[8:9], off
	v_add_co_u32 v9, vcc_lo, v6, 1
	v_add_co_ci_u32_e64 v10, null, 0, v7, vcc_lo
	s_waitcnt vmcnt(0) lgkmcnt(0)
	v_cmp_lt_i32_e32 vcc_lo, v8, v5
	v_cndmask_b32_e32 v4, v7, v4, vcc_lo
	v_cndmask_b32_e32 v3, v6, v3, vcc_lo
	;; [unrolled: 1-line block ×4, first 2 shown]
	v_cmp_ge_u64_e32 vcc_lo, v[1:2], v[3:4]
	s_or_b32 s0, vcc_lo, s0
	s_andn2_b32 exec_lo, exec_lo, s0
	s_cbranch_execnz .LBB131_3
; %bb.4:
	s_inst_prefetch 0x2
	s_or_b32 exec_lo, exec_lo, s0
	s_branch .LBB131_6
.LBB131_5:
	v_mov_b32_e32 v1, 0
	v_mov_b32_e32 v2, 0
.LBB131_6:
	v_lshlrev_b32_e32 v3, 3, v0
	s_lshl_b64 s[14:15], s[8:9], 3
	s_add_u32 s0, s7, s14
	s_addc_u32 s6, s1, s15
	v_add_co_u32 v3, s0, s0, v3
	v_add_co_ci_u32_e64 v4, null, s6, 0, s0
	s_mov_b32 s0, 0
	flat_store_dwordx2 v[3:4], v[1:2]
.LBB131_7:
	s_and_b32 vcc_lo, exec_lo, s0
	s_cbranch_vccz .LBB131_16
; %bb.8:
	s_load_dword s0, s[4:5], 0x10
                                        ; implicit-def: $vgpr5
	s_waitcnt lgkmcnt(0)
	s_sub_i32 s4, s0, s8
	v_cmp_le_u32_e64 s0, s4, v0
	v_cmp_gt_u32_e32 vcc_lo, s4, v0
	s_and_saveexec_b32 s4, vcc_lo
	s_cbranch_execz .LBB131_10
; %bb.9:
	v_lshlrev_b32_e32 v1, 2, v0
	s_lshl_b64 s[14:15], s[8:9], 2
	s_add_u32 s5, s12, s14
	s_addc_u32 s6, s13, s15
	v_add_co_u32 v1, s5, s5, v1
	v_add_co_ci_u32_e64 v2, null, s6, 0, s5
	flat_load_dword v5, v[1:2]
.LBB131_10:
	s_or_b32 exec_lo, exec_lo, s4
	s_cmp_lg_u64 s[10:11], 0
	v_mov_b32_e32 v1, 0
	v_mov_b32_e32 v2, 0
	s_cselect_b32 s4, -1, 0
	s_xor_b32 s0, s0, -1
	s_and_b32 s0, s0, s4
	s_and_saveexec_b32 s4, s0
	s_cbranch_execz .LBB131_14
; %bb.11:
	v_mov_b32_e32 v1, 0
	v_mov_b32_e32 v3, s10
	;; [unrolled: 1-line block ×4, first 2 shown]
	s_mov_b32 s5, 0
	s_inst_prefetch 0x1
	.p2align	6
.LBB131_12:                             ; =>This Inner Loop Header: Depth=1
	v_sub_co_u32 v6, s0, v3, v1
	v_sub_co_ci_u32_e64 v7, null, v4, v2, s0
	v_lshrrev_b64 v[8:9], 1, v[6:7]
	v_lshrrev_b64 v[6:7], 6, v[6:7]
	v_add_co_u32 v8, s0, v8, v1
	v_add_co_ci_u32_e64 v9, null, v9, v2, s0
	v_add_co_u32 v6, s0, v8, v6
	v_add_co_ci_u32_e64 v7, null, v9, v7, s0
	v_lshlrev_b64 v[8:9], 2, v[6:7]
	v_add_co_u32 v8, s0, s2, v8
	v_add_co_ci_u32_e64 v9, null, s3, v9, s0
	global_load_dword v8, v[8:9], off
	v_add_co_u32 v9, s0, v6, 1
	v_add_co_ci_u32_e64 v10, null, 0, v7, s0
	s_waitcnt vmcnt(0) lgkmcnt(0)
	v_cmp_lt_i32_e64 s0, v8, v5
	v_cndmask_b32_e64 v4, v7, v4, s0
	v_cndmask_b32_e64 v3, v6, v3, s0
	;; [unrolled: 1-line block ×4, first 2 shown]
	v_cmp_ge_u64_e64 s0, v[1:2], v[3:4]
	s_or_b32 s5, s0, s5
	s_andn2_b32 exec_lo, exec_lo, s5
	s_cbranch_execnz .LBB131_12
; %bb.13:
	s_inst_prefetch 0x2
	s_or_b32 exec_lo, exec_lo, s5
.LBB131_14:
	s_or_b32 exec_lo, exec_lo, s4
	s_and_saveexec_b32 s0, vcc_lo
	s_cbranch_execz .LBB131_16
; %bb.15:
	v_lshlrev_b32_e32 v0, 3, v0
	s_lshl_b64 s[2:3], s[8:9], 3
	s_add_u32 s0, s7, s2
	s_addc_u32 s1, s1, s3
	v_add_co_u32 v3, s0, s0, v0
	v_add_co_ci_u32_e64 v4, null, s1, 0, s0
	flat_store_dwordx2 v[3:4], v[1:2]
.LBB131_16:
	s_endpgm
	.section	.rodata,"a",@progbits
	.p2align	6, 0x0
	.amdhsa_kernel _ZN7rocprim17ROCPRIM_400000_NS6detail17trampoline_kernelINS0_14default_configENS1_27lower_bound_config_selectorIilEEZNS1_14transform_implILb0ES3_S5_N6thrust23THRUST_200600_302600_NS6detail15normal_iteratorINS8_7pointerIiNS8_11hip_rocprim5par_tENS8_11use_defaultESE_EEEENSA_INSB_IlSD_SE_SE_EEEEZNS1_13binary_searchIS3_S5_PiSG_SI_NS1_21lower_bound_search_opENS9_16wrapped_functionI11custom_lessbEEEE10hipError_tPvRmT1_T2_T3_mmT4_T5_P12ihipStream_tbEUlRKiE_EESP_ST_SU_mSV_SY_bEUlT_E_NS1_11comp_targetILNS1_3genE8ELNS1_11target_archE1030ELNS1_3gpuE2ELNS1_3repE0EEENS1_30default_config_static_selectorELNS0_4arch9wavefront6targetE0EEEvSS_
		.amdhsa_group_segment_fixed_size 0
		.amdhsa_private_segment_fixed_size 0
		.amdhsa_kernarg_size 312
		.amdhsa_user_sgpr_count 6
		.amdhsa_user_sgpr_private_segment_buffer 1
		.amdhsa_user_sgpr_dispatch_ptr 0
		.amdhsa_user_sgpr_queue_ptr 0
		.amdhsa_user_sgpr_kernarg_segment_ptr 1
		.amdhsa_user_sgpr_dispatch_id 0
		.amdhsa_user_sgpr_flat_scratch_init 0
		.amdhsa_user_sgpr_private_segment_size 0
		.amdhsa_wavefront_size32 1
		.amdhsa_uses_dynamic_stack 0
		.amdhsa_system_sgpr_private_segment_wavefront_offset 0
		.amdhsa_system_sgpr_workgroup_id_x 1
		.amdhsa_system_sgpr_workgroup_id_y 0
		.amdhsa_system_sgpr_workgroup_id_z 0
		.amdhsa_system_sgpr_workgroup_info 0
		.amdhsa_system_vgpr_workitem_id 0
		.amdhsa_next_free_vgpr 11
		.amdhsa_next_free_sgpr 17
		.amdhsa_reserve_vcc 1
		.amdhsa_reserve_flat_scratch 0
		.amdhsa_float_round_mode_32 0
		.amdhsa_float_round_mode_16_64 0
		.amdhsa_float_denorm_mode_32 3
		.amdhsa_float_denorm_mode_16_64 3
		.amdhsa_dx10_clamp 1
		.amdhsa_ieee_mode 1
		.amdhsa_fp16_overflow 0
		.amdhsa_workgroup_processor_mode 1
		.amdhsa_memory_ordered 1
		.amdhsa_forward_progress 1
		.amdhsa_shared_vgpr_count 0
		.amdhsa_exception_fp_ieee_invalid_op 0
		.amdhsa_exception_fp_denorm_src 0
		.amdhsa_exception_fp_ieee_div_zero 0
		.amdhsa_exception_fp_ieee_overflow 0
		.amdhsa_exception_fp_ieee_underflow 0
		.amdhsa_exception_fp_ieee_inexact 0
		.amdhsa_exception_int_div_zero 0
	.end_amdhsa_kernel
	.section	.text._ZN7rocprim17ROCPRIM_400000_NS6detail17trampoline_kernelINS0_14default_configENS1_27lower_bound_config_selectorIilEEZNS1_14transform_implILb0ES3_S5_N6thrust23THRUST_200600_302600_NS6detail15normal_iteratorINS8_7pointerIiNS8_11hip_rocprim5par_tENS8_11use_defaultESE_EEEENSA_INSB_IlSD_SE_SE_EEEEZNS1_13binary_searchIS3_S5_PiSG_SI_NS1_21lower_bound_search_opENS9_16wrapped_functionI11custom_lessbEEEE10hipError_tPvRmT1_T2_T3_mmT4_T5_P12ihipStream_tbEUlRKiE_EESP_ST_SU_mSV_SY_bEUlT_E_NS1_11comp_targetILNS1_3genE8ELNS1_11target_archE1030ELNS1_3gpuE2ELNS1_3repE0EEENS1_30default_config_static_selectorELNS0_4arch9wavefront6targetE0EEEvSS_,"axG",@progbits,_ZN7rocprim17ROCPRIM_400000_NS6detail17trampoline_kernelINS0_14default_configENS1_27lower_bound_config_selectorIilEEZNS1_14transform_implILb0ES3_S5_N6thrust23THRUST_200600_302600_NS6detail15normal_iteratorINS8_7pointerIiNS8_11hip_rocprim5par_tENS8_11use_defaultESE_EEEENSA_INSB_IlSD_SE_SE_EEEEZNS1_13binary_searchIS3_S5_PiSG_SI_NS1_21lower_bound_search_opENS9_16wrapped_functionI11custom_lessbEEEE10hipError_tPvRmT1_T2_T3_mmT4_T5_P12ihipStream_tbEUlRKiE_EESP_ST_SU_mSV_SY_bEUlT_E_NS1_11comp_targetILNS1_3genE8ELNS1_11target_archE1030ELNS1_3gpuE2ELNS1_3repE0EEENS1_30default_config_static_selectorELNS0_4arch9wavefront6targetE0EEEvSS_,comdat
.Lfunc_end131:
	.size	_ZN7rocprim17ROCPRIM_400000_NS6detail17trampoline_kernelINS0_14default_configENS1_27lower_bound_config_selectorIilEEZNS1_14transform_implILb0ES3_S5_N6thrust23THRUST_200600_302600_NS6detail15normal_iteratorINS8_7pointerIiNS8_11hip_rocprim5par_tENS8_11use_defaultESE_EEEENSA_INSB_IlSD_SE_SE_EEEEZNS1_13binary_searchIS3_S5_PiSG_SI_NS1_21lower_bound_search_opENS9_16wrapped_functionI11custom_lessbEEEE10hipError_tPvRmT1_T2_T3_mmT4_T5_P12ihipStream_tbEUlRKiE_EESP_ST_SU_mSV_SY_bEUlT_E_NS1_11comp_targetILNS1_3genE8ELNS1_11target_archE1030ELNS1_3gpuE2ELNS1_3repE0EEENS1_30default_config_static_selectorELNS0_4arch9wavefront6targetE0EEEvSS_, .Lfunc_end131-_ZN7rocprim17ROCPRIM_400000_NS6detail17trampoline_kernelINS0_14default_configENS1_27lower_bound_config_selectorIilEEZNS1_14transform_implILb0ES3_S5_N6thrust23THRUST_200600_302600_NS6detail15normal_iteratorINS8_7pointerIiNS8_11hip_rocprim5par_tENS8_11use_defaultESE_EEEENSA_INSB_IlSD_SE_SE_EEEEZNS1_13binary_searchIS3_S5_PiSG_SI_NS1_21lower_bound_search_opENS9_16wrapped_functionI11custom_lessbEEEE10hipError_tPvRmT1_T2_T3_mmT4_T5_P12ihipStream_tbEUlRKiE_EESP_ST_SU_mSV_SY_bEUlT_E_NS1_11comp_targetILNS1_3genE8ELNS1_11target_archE1030ELNS1_3gpuE2ELNS1_3repE0EEENS1_30default_config_static_selectorELNS0_4arch9wavefront6targetE0EEEvSS_
                                        ; -- End function
	.set _ZN7rocprim17ROCPRIM_400000_NS6detail17trampoline_kernelINS0_14default_configENS1_27lower_bound_config_selectorIilEEZNS1_14transform_implILb0ES3_S5_N6thrust23THRUST_200600_302600_NS6detail15normal_iteratorINS8_7pointerIiNS8_11hip_rocprim5par_tENS8_11use_defaultESE_EEEENSA_INSB_IlSD_SE_SE_EEEEZNS1_13binary_searchIS3_S5_PiSG_SI_NS1_21lower_bound_search_opENS9_16wrapped_functionI11custom_lessbEEEE10hipError_tPvRmT1_T2_T3_mmT4_T5_P12ihipStream_tbEUlRKiE_EESP_ST_SU_mSV_SY_bEUlT_E_NS1_11comp_targetILNS1_3genE8ELNS1_11target_archE1030ELNS1_3gpuE2ELNS1_3repE0EEENS1_30default_config_static_selectorELNS0_4arch9wavefront6targetE0EEEvSS_.num_vgpr, 11
	.set _ZN7rocprim17ROCPRIM_400000_NS6detail17trampoline_kernelINS0_14default_configENS1_27lower_bound_config_selectorIilEEZNS1_14transform_implILb0ES3_S5_N6thrust23THRUST_200600_302600_NS6detail15normal_iteratorINS8_7pointerIiNS8_11hip_rocprim5par_tENS8_11use_defaultESE_EEEENSA_INSB_IlSD_SE_SE_EEEEZNS1_13binary_searchIS3_S5_PiSG_SI_NS1_21lower_bound_search_opENS9_16wrapped_functionI11custom_lessbEEEE10hipError_tPvRmT1_T2_T3_mmT4_T5_P12ihipStream_tbEUlRKiE_EESP_ST_SU_mSV_SY_bEUlT_E_NS1_11comp_targetILNS1_3genE8ELNS1_11target_archE1030ELNS1_3gpuE2ELNS1_3repE0EEENS1_30default_config_static_selectorELNS0_4arch9wavefront6targetE0EEEvSS_.num_agpr, 0
	.set _ZN7rocprim17ROCPRIM_400000_NS6detail17trampoline_kernelINS0_14default_configENS1_27lower_bound_config_selectorIilEEZNS1_14transform_implILb0ES3_S5_N6thrust23THRUST_200600_302600_NS6detail15normal_iteratorINS8_7pointerIiNS8_11hip_rocprim5par_tENS8_11use_defaultESE_EEEENSA_INSB_IlSD_SE_SE_EEEEZNS1_13binary_searchIS3_S5_PiSG_SI_NS1_21lower_bound_search_opENS9_16wrapped_functionI11custom_lessbEEEE10hipError_tPvRmT1_T2_T3_mmT4_T5_P12ihipStream_tbEUlRKiE_EESP_ST_SU_mSV_SY_bEUlT_E_NS1_11comp_targetILNS1_3genE8ELNS1_11target_archE1030ELNS1_3gpuE2ELNS1_3repE0EEENS1_30default_config_static_selectorELNS0_4arch9wavefront6targetE0EEEvSS_.numbered_sgpr, 17
	.set _ZN7rocprim17ROCPRIM_400000_NS6detail17trampoline_kernelINS0_14default_configENS1_27lower_bound_config_selectorIilEEZNS1_14transform_implILb0ES3_S5_N6thrust23THRUST_200600_302600_NS6detail15normal_iteratorINS8_7pointerIiNS8_11hip_rocprim5par_tENS8_11use_defaultESE_EEEENSA_INSB_IlSD_SE_SE_EEEEZNS1_13binary_searchIS3_S5_PiSG_SI_NS1_21lower_bound_search_opENS9_16wrapped_functionI11custom_lessbEEEE10hipError_tPvRmT1_T2_T3_mmT4_T5_P12ihipStream_tbEUlRKiE_EESP_ST_SU_mSV_SY_bEUlT_E_NS1_11comp_targetILNS1_3genE8ELNS1_11target_archE1030ELNS1_3gpuE2ELNS1_3repE0EEENS1_30default_config_static_selectorELNS0_4arch9wavefront6targetE0EEEvSS_.num_named_barrier, 0
	.set _ZN7rocprim17ROCPRIM_400000_NS6detail17trampoline_kernelINS0_14default_configENS1_27lower_bound_config_selectorIilEEZNS1_14transform_implILb0ES3_S5_N6thrust23THRUST_200600_302600_NS6detail15normal_iteratorINS8_7pointerIiNS8_11hip_rocprim5par_tENS8_11use_defaultESE_EEEENSA_INSB_IlSD_SE_SE_EEEEZNS1_13binary_searchIS3_S5_PiSG_SI_NS1_21lower_bound_search_opENS9_16wrapped_functionI11custom_lessbEEEE10hipError_tPvRmT1_T2_T3_mmT4_T5_P12ihipStream_tbEUlRKiE_EESP_ST_SU_mSV_SY_bEUlT_E_NS1_11comp_targetILNS1_3genE8ELNS1_11target_archE1030ELNS1_3gpuE2ELNS1_3repE0EEENS1_30default_config_static_selectorELNS0_4arch9wavefront6targetE0EEEvSS_.private_seg_size, 0
	.set _ZN7rocprim17ROCPRIM_400000_NS6detail17trampoline_kernelINS0_14default_configENS1_27lower_bound_config_selectorIilEEZNS1_14transform_implILb0ES3_S5_N6thrust23THRUST_200600_302600_NS6detail15normal_iteratorINS8_7pointerIiNS8_11hip_rocprim5par_tENS8_11use_defaultESE_EEEENSA_INSB_IlSD_SE_SE_EEEEZNS1_13binary_searchIS3_S5_PiSG_SI_NS1_21lower_bound_search_opENS9_16wrapped_functionI11custom_lessbEEEE10hipError_tPvRmT1_T2_T3_mmT4_T5_P12ihipStream_tbEUlRKiE_EESP_ST_SU_mSV_SY_bEUlT_E_NS1_11comp_targetILNS1_3genE8ELNS1_11target_archE1030ELNS1_3gpuE2ELNS1_3repE0EEENS1_30default_config_static_selectorELNS0_4arch9wavefront6targetE0EEEvSS_.uses_vcc, 1
	.set _ZN7rocprim17ROCPRIM_400000_NS6detail17trampoline_kernelINS0_14default_configENS1_27lower_bound_config_selectorIilEEZNS1_14transform_implILb0ES3_S5_N6thrust23THRUST_200600_302600_NS6detail15normal_iteratorINS8_7pointerIiNS8_11hip_rocprim5par_tENS8_11use_defaultESE_EEEENSA_INSB_IlSD_SE_SE_EEEEZNS1_13binary_searchIS3_S5_PiSG_SI_NS1_21lower_bound_search_opENS9_16wrapped_functionI11custom_lessbEEEE10hipError_tPvRmT1_T2_T3_mmT4_T5_P12ihipStream_tbEUlRKiE_EESP_ST_SU_mSV_SY_bEUlT_E_NS1_11comp_targetILNS1_3genE8ELNS1_11target_archE1030ELNS1_3gpuE2ELNS1_3repE0EEENS1_30default_config_static_selectorELNS0_4arch9wavefront6targetE0EEEvSS_.uses_flat_scratch, 0
	.set _ZN7rocprim17ROCPRIM_400000_NS6detail17trampoline_kernelINS0_14default_configENS1_27lower_bound_config_selectorIilEEZNS1_14transform_implILb0ES3_S5_N6thrust23THRUST_200600_302600_NS6detail15normal_iteratorINS8_7pointerIiNS8_11hip_rocprim5par_tENS8_11use_defaultESE_EEEENSA_INSB_IlSD_SE_SE_EEEEZNS1_13binary_searchIS3_S5_PiSG_SI_NS1_21lower_bound_search_opENS9_16wrapped_functionI11custom_lessbEEEE10hipError_tPvRmT1_T2_T3_mmT4_T5_P12ihipStream_tbEUlRKiE_EESP_ST_SU_mSV_SY_bEUlT_E_NS1_11comp_targetILNS1_3genE8ELNS1_11target_archE1030ELNS1_3gpuE2ELNS1_3repE0EEENS1_30default_config_static_selectorELNS0_4arch9wavefront6targetE0EEEvSS_.has_dyn_sized_stack, 0
	.set _ZN7rocprim17ROCPRIM_400000_NS6detail17trampoline_kernelINS0_14default_configENS1_27lower_bound_config_selectorIilEEZNS1_14transform_implILb0ES3_S5_N6thrust23THRUST_200600_302600_NS6detail15normal_iteratorINS8_7pointerIiNS8_11hip_rocprim5par_tENS8_11use_defaultESE_EEEENSA_INSB_IlSD_SE_SE_EEEEZNS1_13binary_searchIS3_S5_PiSG_SI_NS1_21lower_bound_search_opENS9_16wrapped_functionI11custom_lessbEEEE10hipError_tPvRmT1_T2_T3_mmT4_T5_P12ihipStream_tbEUlRKiE_EESP_ST_SU_mSV_SY_bEUlT_E_NS1_11comp_targetILNS1_3genE8ELNS1_11target_archE1030ELNS1_3gpuE2ELNS1_3repE0EEENS1_30default_config_static_selectorELNS0_4arch9wavefront6targetE0EEEvSS_.has_recursion, 0
	.set _ZN7rocprim17ROCPRIM_400000_NS6detail17trampoline_kernelINS0_14default_configENS1_27lower_bound_config_selectorIilEEZNS1_14transform_implILb0ES3_S5_N6thrust23THRUST_200600_302600_NS6detail15normal_iteratorINS8_7pointerIiNS8_11hip_rocprim5par_tENS8_11use_defaultESE_EEEENSA_INSB_IlSD_SE_SE_EEEEZNS1_13binary_searchIS3_S5_PiSG_SI_NS1_21lower_bound_search_opENS9_16wrapped_functionI11custom_lessbEEEE10hipError_tPvRmT1_T2_T3_mmT4_T5_P12ihipStream_tbEUlRKiE_EESP_ST_SU_mSV_SY_bEUlT_E_NS1_11comp_targetILNS1_3genE8ELNS1_11target_archE1030ELNS1_3gpuE2ELNS1_3repE0EEENS1_30default_config_static_selectorELNS0_4arch9wavefront6targetE0EEEvSS_.has_indirect_call, 0
	.section	.AMDGPU.csdata,"",@progbits
; Kernel info:
; codeLenInByte = 816
; TotalNumSgprs: 19
; NumVgprs: 11
; ScratchSize: 0
; MemoryBound: 0
; FloatMode: 240
; IeeeMode: 1
; LDSByteSize: 0 bytes/workgroup (compile time only)
; SGPRBlocks: 0
; VGPRBlocks: 1
; NumSGPRsForWavesPerEU: 19
; NumVGPRsForWavesPerEU: 11
; Occupancy: 16
; WaveLimiterHint : 0
; COMPUTE_PGM_RSRC2:SCRATCH_EN: 0
; COMPUTE_PGM_RSRC2:USER_SGPR: 6
; COMPUTE_PGM_RSRC2:TRAP_HANDLER: 0
; COMPUTE_PGM_RSRC2:TGID_X_EN: 1
; COMPUTE_PGM_RSRC2:TGID_Y_EN: 0
; COMPUTE_PGM_RSRC2:TGID_Z_EN: 0
; COMPUTE_PGM_RSRC2:TIDIG_COMP_CNT: 0
	.section	.text._ZN7rocprim17ROCPRIM_400000_NS6detail17trampoline_kernelINS0_14default_configENS1_27lower_bound_config_selectorIilEEZNS1_14transform_implILb0ES3_S5_N6thrust23THRUST_200600_302600_NS6detail15normal_iteratorINS8_7pointerIiNS8_11hip_rocprim5par_tENS8_11use_defaultESE_EEEENSA_INSB_IlSD_SE_SE_EEEEZNS1_13binary_searchIS3_S5_PiSG_SI_NS1_21lower_bound_search_opENS9_16wrapped_functionINS8_6system6detail7generic6detail18binary_search_lessEbEEEE10hipError_tPvRmT1_T2_T3_mmT4_T5_P12ihipStream_tbEUlRKiE_EEST_SX_SY_mSZ_S12_bEUlT_E_NS1_11comp_targetILNS1_3genE0ELNS1_11target_archE4294967295ELNS1_3gpuE0ELNS1_3repE0EEENS1_30default_config_static_selectorELNS0_4arch9wavefront6targetE0EEEvSW_,"axG",@progbits,_ZN7rocprim17ROCPRIM_400000_NS6detail17trampoline_kernelINS0_14default_configENS1_27lower_bound_config_selectorIilEEZNS1_14transform_implILb0ES3_S5_N6thrust23THRUST_200600_302600_NS6detail15normal_iteratorINS8_7pointerIiNS8_11hip_rocprim5par_tENS8_11use_defaultESE_EEEENSA_INSB_IlSD_SE_SE_EEEEZNS1_13binary_searchIS3_S5_PiSG_SI_NS1_21lower_bound_search_opENS9_16wrapped_functionINS8_6system6detail7generic6detail18binary_search_lessEbEEEE10hipError_tPvRmT1_T2_T3_mmT4_T5_P12ihipStream_tbEUlRKiE_EEST_SX_SY_mSZ_S12_bEUlT_E_NS1_11comp_targetILNS1_3genE0ELNS1_11target_archE4294967295ELNS1_3gpuE0ELNS1_3repE0EEENS1_30default_config_static_selectorELNS0_4arch9wavefront6targetE0EEEvSW_,comdat
	.protected	_ZN7rocprim17ROCPRIM_400000_NS6detail17trampoline_kernelINS0_14default_configENS1_27lower_bound_config_selectorIilEEZNS1_14transform_implILb0ES3_S5_N6thrust23THRUST_200600_302600_NS6detail15normal_iteratorINS8_7pointerIiNS8_11hip_rocprim5par_tENS8_11use_defaultESE_EEEENSA_INSB_IlSD_SE_SE_EEEEZNS1_13binary_searchIS3_S5_PiSG_SI_NS1_21lower_bound_search_opENS9_16wrapped_functionINS8_6system6detail7generic6detail18binary_search_lessEbEEEE10hipError_tPvRmT1_T2_T3_mmT4_T5_P12ihipStream_tbEUlRKiE_EEST_SX_SY_mSZ_S12_bEUlT_E_NS1_11comp_targetILNS1_3genE0ELNS1_11target_archE4294967295ELNS1_3gpuE0ELNS1_3repE0EEENS1_30default_config_static_selectorELNS0_4arch9wavefront6targetE0EEEvSW_ ; -- Begin function _ZN7rocprim17ROCPRIM_400000_NS6detail17trampoline_kernelINS0_14default_configENS1_27lower_bound_config_selectorIilEEZNS1_14transform_implILb0ES3_S5_N6thrust23THRUST_200600_302600_NS6detail15normal_iteratorINS8_7pointerIiNS8_11hip_rocprim5par_tENS8_11use_defaultESE_EEEENSA_INSB_IlSD_SE_SE_EEEEZNS1_13binary_searchIS3_S5_PiSG_SI_NS1_21lower_bound_search_opENS9_16wrapped_functionINS8_6system6detail7generic6detail18binary_search_lessEbEEEE10hipError_tPvRmT1_T2_T3_mmT4_T5_P12ihipStream_tbEUlRKiE_EEST_SX_SY_mSZ_S12_bEUlT_E_NS1_11comp_targetILNS1_3genE0ELNS1_11target_archE4294967295ELNS1_3gpuE0ELNS1_3repE0EEENS1_30default_config_static_selectorELNS0_4arch9wavefront6targetE0EEEvSW_
	.globl	_ZN7rocprim17ROCPRIM_400000_NS6detail17trampoline_kernelINS0_14default_configENS1_27lower_bound_config_selectorIilEEZNS1_14transform_implILb0ES3_S5_N6thrust23THRUST_200600_302600_NS6detail15normal_iteratorINS8_7pointerIiNS8_11hip_rocprim5par_tENS8_11use_defaultESE_EEEENSA_INSB_IlSD_SE_SE_EEEEZNS1_13binary_searchIS3_S5_PiSG_SI_NS1_21lower_bound_search_opENS9_16wrapped_functionINS8_6system6detail7generic6detail18binary_search_lessEbEEEE10hipError_tPvRmT1_T2_T3_mmT4_T5_P12ihipStream_tbEUlRKiE_EEST_SX_SY_mSZ_S12_bEUlT_E_NS1_11comp_targetILNS1_3genE0ELNS1_11target_archE4294967295ELNS1_3gpuE0ELNS1_3repE0EEENS1_30default_config_static_selectorELNS0_4arch9wavefront6targetE0EEEvSW_
	.p2align	8
	.type	_ZN7rocprim17ROCPRIM_400000_NS6detail17trampoline_kernelINS0_14default_configENS1_27lower_bound_config_selectorIilEEZNS1_14transform_implILb0ES3_S5_N6thrust23THRUST_200600_302600_NS6detail15normal_iteratorINS8_7pointerIiNS8_11hip_rocprim5par_tENS8_11use_defaultESE_EEEENSA_INSB_IlSD_SE_SE_EEEEZNS1_13binary_searchIS3_S5_PiSG_SI_NS1_21lower_bound_search_opENS9_16wrapped_functionINS8_6system6detail7generic6detail18binary_search_lessEbEEEE10hipError_tPvRmT1_T2_T3_mmT4_T5_P12ihipStream_tbEUlRKiE_EEST_SX_SY_mSZ_S12_bEUlT_E_NS1_11comp_targetILNS1_3genE0ELNS1_11target_archE4294967295ELNS1_3gpuE0ELNS1_3repE0EEENS1_30default_config_static_selectorELNS0_4arch9wavefront6targetE0EEEvSW_,@function
_ZN7rocprim17ROCPRIM_400000_NS6detail17trampoline_kernelINS0_14default_configENS1_27lower_bound_config_selectorIilEEZNS1_14transform_implILb0ES3_S5_N6thrust23THRUST_200600_302600_NS6detail15normal_iteratorINS8_7pointerIiNS8_11hip_rocprim5par_tENS8_11use_defaultESE_EEEENSA_INSB_IlSD_SE_SE_EEEEZNS1_13binary_searchIS3_S5_PiSG_SI_NS1_21lower_bound_search_opENS9_16wrapped_functionINS8_6system6detail7generic6detail18binary_search_lessEbEEEE10hipError_tPvRmT1_T2_T3_mmT4_T5_P12ihipStream_tbEUlRKiE_EEST_SX_SY_mSZ_S12_bEUlT_E_NS1_11comp_targetILNS1_3genE0ELNS1_11target_archE4294967295ELNS1_3gpuE0ELNS1_3repE0EEENS1_30default_config_static_selectorELNS0_4arch9wavefront6targetE0EEEvSW_: ; @_ZN7rocprim17ROCPRIM_400000_NS6detail17trampoline_kernelINS0_14default_configENS1_27lower_bound_config_selectorIilEEZNS1_14transform_implILb0ES3_S5_N6thrust23THRUST_200600_302600_NS6detail15normal_iteratorINS8_7pointerIiNS8_11hip_rocprim5par_tENS8_11use_defaultESE_EEEENSA_INSB_IlSD_SE_SE_EEEEZNS1_13binary_searchIS3_S5_PiSG_SI_NS1_21lower_bound_search_opENS9_16wrapped_functionINS8_6system6detail7generic6detail18binary_search_lessEbEEEE10hipError_tPvRmT1_T2_T3_mmT4_T5_P12ihipStream_tbEUlRKiE_EEST_SX_SY_mSZ_S12_bEUlT_E_NS1_11comp_targetILNS1_3genE0ELNS1_11target_archE4294967295ELNS1_3gpuE0ELNS1_3repE0EEENS1_30default_config_static_selectorELNS0_4arch9wavefront6targetE0EEEvSW_
; %bb.0:
	.section	.rodata,"a",@progbits
	.p2align	6, 0x0
	.amdhsa_kernel _ZN7rocprim17ROCPRIM_400000_NS6detail17trampoline_kernelINS0_14default_configENS1_27lower_bound_config_selectorIilEEZNS1_14transform_implILb0ES3_S5_N6thrust23THRUST_200600_302600_NS6detail15normal_iteratorINS8_7pointerIiNS8_11hip_rocprim5par_tENS8_11use_defaultESE_EEEENSA_INSB_IlSD_SE_SE_EEEEZNS1_13binary_searchIS3_S5_PiSG_SI_NS1_21lower_bound_search_opENS9_16wrapped_functionINS8_6system6detail7generic6detail18binary_search_lessEbEEEE10hipError_tPvRmT1_T2_T3_mmT4_T5_P12ihipStream_tbEUlRKiE_EEST_SX_SY_mSZ_S12_bEUlT_E_NS1_11comp_targetILNS1_3genE0ELNS1_11target_archE4294967295ELNS1_3gpuE0ELNS1_3repE0EEENS1_30default_config_static_selectorELNS0_4arch9wavefront6targetE0EEEvSW_
		.amdhsa_group_segment_fixed_size 0
		.amdhsa_private_segment_fixed_size 0
		.amdhsa_kernarg_size 56
		.amdhsa_user_sgpr_count 6
		.amdhsa_user_sgpr_private_segment_buffer 1
		.amdhsa_user_sgpr_dispatch_ptr 0
		.amdhsa_user_sgpr_queue_ptr 0
		.amdhsa_user_sgpr_kernarg_segment_ptr 1
		.amdhsa_user_sgpr_dispatch_id 0
		.amdhsa_user_sgpr_flat_scratch_init 0
		.amdhsa_user_sgpr_private_segment_size 0
		.amdhsa_wavefront_size32 1
		.amdhsa_uses_dynamic_stack 0
		.amdhsa_system_sgpr_private_segment_wavefront_offset 0
		.amdhsa_system_sgpr_workgroup_id_x 1
		.amdhsa_system_sgpr_workgroup_id_y 0
		.amdhsa_system_sgpr_workgroup_id_z 0
		.amdhsa_system_sgpr_workgroup_info 0
		.amdhsa_system_vgpr_workitem_id 0
		.amdhsa_next_free_vgpr 1
		.amdhsa_next_free_sgpr 1
		.amdhsa_reserve_vcc 0
		.amdhsa_reserve_flat_scratch 0
		.amdhsa_float_round_mode_32 0
		.amdhsa_float_round_mode_16_64 0
		.amdhsa_float_denorm_mode_32 3
		.amdhsa_float_denorm_mode_16_64 3
		.amdhsa_dx10_clamp 1
		.amdhsa_ieee_mode 1
		.amdhsa_fp16_overflow 0
		.amdhsa_workgroup_processor_mode 1
		.amdhsa_memory_ordered 1
		.amdhsa_forward_progress 1
		.amdhsa_shared_vgpr_count 0
		.amdhsa_exception_fp_ieee_invalid_op 0
		.amdhsa_exception_fp_denorm_src 0
		.amdhsa_exception_fp_ieee_div_zero 0
		.amdhsa_exception_fp_ieee_overflow 0
		.amdhsa_exception_fp_ieee_underflow 0
		.amdhsa_exception_fp_ieee_inexact 0
		.amdhsa_exception_int_div_zero 0
	.end_amdhsa_kernel
	.section	.text._ZN7rocprim17ROCPRIM_400000_NS6detail17trampoline_kernelINS0_14default_configENS1_27lower_bound_config_selectorIilEEZNS1_14transform_implILb0ES3_S5_N6thrust23THRUST_200600_302600_NS6detail15normal_iteratorINS8_7pointerIiNS8_11hip_rocprim5par_tENS8_11use_defaultESE_EEEENSA_INSB_IlSD_SE_SE_EEEEZNS1_13binary_searchIS3_S5_PiSG_SI_NS1_21lower_bound_search_opENS9_16wrapped_functionINS8_6system6detail7generic6detail18binary_search_lessEbEEEE10hipError_tPvRmT1_T2_T3_mmT4_T5_P12ihipStream_tbEUlRKiE_EEST_SX_SY_mSZ_S12_bEUlT_E_NS1_11comp_targetILNS1_3genE0ELNS1_11target_archE4294967295ELNS1_3gpuE0ELNS1_3repE0EEENS1_30default_config_static_selectorELNS0_4arch9wavefront6targetE0EEEvSW_,"axG",@progbits,_ZN7rocprim17ROCPRIM_400000_NS6detail17trampoline_kernelINS0_14default_configENS1_27lower_bound_config_selectorIilEEZNS1_14transform_implILb0ES3_S5_N6thrust23THRUST_200600_302600_NS6detail15normal_iteratorINS8_7pointerIiNS8_11hip_rocprim5par_tENS8_11use_defaultESE_EEEENSA_INSB_IlSD_SE_SE_EEEEZNS1_13binary_searchIS3_S5_PiSG_SI_NS1_21lower_bound_search_opENS9_16wrapped_functionINS8_6system6detail7generic6detail18binary_search_lessEbEEEE10hipError_tPvRmT1_T2_T3_mmT4_T5_P12ihipStream_tbEUlRKiE_EEST_SX_SY_mSZ_S12_bEUlT_E_NS1_11comp_targetILNS1_3genE0ELNS1_11target_archE4294967295ELNS1_3gpuE0ELNS1_3repE0EEENS1_30default_config_static_selectorELNS0_4arch9wavefront6targetE0EEEvSW_,comdat
.Lfunc_end132:
	.size	_ZN7rocprim17ROCPRIM_400000_NS6detail17trampoline_kernelINS0_14default_configENS1_27lower_bound_config_selectorIilEEZNS1_14transform_implILb0ES3_S5_N6thrust23THRUST_200600_302600_NS6detail15normal_iteratorINS8_7pointerIiNS8_11hip_rocprim5par_tENS8_11use_defaultESE_EEEENSA_INSB_IlSD_SE_SE_EEEEZNS1_13binary_searchIS3_S5_PiSG_SI_NS1_21lower_bound_search_opENS9_16wrapped_functionINS8_6system6detail7generic6detail18binary_search_lessEbEEEE10hipError_tPvRmT1_T2_T3_mmT4_T5_P12ihipStream_tbEUlRKiE_EEST_SX_SY_mSZ_S12_bEUlT_E_NS1_11comp_targetILNS1_3genE0ELNS1_11target_archE4294967295ELNS1_3gpuE0ELNS1_3repE0EEENS1_30default_config_static_selectorELNS0_4arch9wavefront6targetE0EEEvSW_, .Lfunc_end132-_ZN7rocprim17ROCPRIM_400000_NS6detail17trampoline_kernelINS0_14default_configENS1_27lower_bound_config_selectorIilEEZNS1_14transform_implILb0ES3_S5_N6thrust23THRUST_200600_302600_NS6detail15normal_iteratorINS8_7pointerIiNS8_11hip_rocprim5par_tENS8_11use_defaultESE_EEEENSA_INSB_IlSD_SE_SE_EEEEZNS1_13binary_searchIS3_S5_PiSG_SI_NS1_21lower_bound_search_opENS9_16wrapped_functionINS8_6system6detail7generic6detail18binary_search_lessEbEEEE10hipError_tPvRmT1_T2_T3_mmT4_T5_P12ihipStream_tbEUlRKiE_EEST_SX_SY_mSZ_S12_bEUlT_E_NS1_11comp_targetILNS1_3genE0ELNS1_11target_archE4294967295ELNS1_3gpuE0ELNS1_3repE0EEENS1_30default_config_static_selectorELNS0_4arch9wavefront6targetE0EEEvSW_
                                        ; -- End function
	.set _ZN7rocprim17ROCPRIM_400000_NS6detail17trampoline_kernelINS0_14default_configENS1_27lower_bound_config_selectorIilEEZNS1_14transform_implILb0ES3_S5_N6thrust23THRUST_200600_302600_NS6detail15normal_iteratorINS8_7pointerIiNS8_11hip_rocprim5par_tENS8_11use_defaultESE_EEEENSA_INSB_IlSD_SE_SE_EEEEZNS1_13binary_searchIS3_S5_PiSG_SI_NS1_21lower_bound_search_opENS9_16wrapped_functionINS8_6system6detail7generic6detail18binary_search_lessEbEEEE10hipError_tPvRmT1_T2_T3_mmT4_T5_P12ihipStream_tbEUlRKiE_EEST_SX_SY_mSZ_S12_bEUlT_E_NS1_11comp_targetILNS1_3genE0ELNS1_11target_archE4294967295ELNS1_3gpuE0ELNS1_3repE0EEENS1_30default_config_static_selectorELNS0_4arch9wavefront6targetE0EEEvSW_.num_vgpr, 0
	.set _ZN7rocprim17ROCPRIM_400000_NS6detail17trampoline_kernelINS0_14default_configENS1_27lower_bound_config_selectorIilEEZNS1_14transform_implILb0ES3_S5_N6thrust23THRUST_200600_302600_NS6detail15normal_iteratorINS8_7pointerIiNS8_11hip_rocprim5par_tENS8_11use_defaultESE_EEEENSA_INSB_IlSD_SE_SE_EEEEZNS1_13binary_searchIS3_S5_PiSG_SI_NS1_21lower_bound_search_opENS9_16wrapped_functionINS8_6system6detail7generic6detail18binary_search_lessEbEEEE10hipError_tPvRmT1_T2_T3_mmT4_T5_P12ihipStream_tbEUlRKiE_EEST_SX_SY_mSZ_S12_bEUlT_E_NS1_11comp_targetILNS1_3genE0ELNS1_11target_archE4294967295ELNS1_3gpuE0ELNS1_3repE0EEENS1_30default_config_static_selectorELNS0_4arch9wavefront6targetE0EEEvSW_.num_agpr, 0
	.set _ZN7rocprim17ROCPRIM_400000_NS6detail17trampoline_kernelINS0_14default_configENS1_27lower_bound_config_selectorIilEEZNS1_14transform_implILb0ES3_S5_N6thrust23THRUST_200600_302600_NS6detail15normal_iteratorINS8_7pointerIiNS8_11hip_rocprim5par_tENS8_11use_defaultESE_EEEENSA_INSB_IlSD_SE_SE_EEEEZNS1_13binary_searchIS3_S5_PiSG_SI_NS1_21lower_bound_search_opENS9_16wrapped_functionINS8_6system6detail7generic6detail18binary_search_lessEbEEEE10hipError_tPvRmT1_T2_T3_mmT4_T5_P12ihipStream_tbEUlRKiE_EEST_SX_SY_mSZ_S12_bEUlT_E_NS1_11comp_targetILNS1_3genE0ELNS1_11target_archE4294967295ELNS1_3gpuE0ELNS1_3repE0EEENS1_30default_config_static_selectorELNS0_4arch9wavefront6targetE0EEEvSW_.numbered_sgpr, 0
	.set _ZN7rocprim17ROCPRIM_400000_NS6detail17trampoline_kernelINS0_14default_configENS1_27lower_bound_config_selectorIilEEZNS1_14transform_implILb0ES3_S5_N6thrust23THRUST_200600_302600_NS6detail15normal_iteratorINS8_7pointerIiNS8_11hip_rocprim5par_tENS8_11use_defaultESE_EEEENSA_INSB_IlSD_SE_SE_EEEEZNS1_13binary_searchIS3_S5_PiSG_SI_NS1_21lower_bound_search_opENS9_16wrapped_functionINS8_6system6detail7generic6detail18binary_search_lessEbEEEE10hipError_tPvRmT1_T2_T3_mmT4_T5_P12ihipStream_tbEUlRKiE_EEST_SX_SY_mSZ_S12_bEUlT_E_NS1_11comp_targetILNS1_3genE0ELNS1_11target_archE4294967295ELNS1_3gpuE0ELNS1_3repE0EEENS1_30default_config_static_selectorELNS0_4arch9wavefront6targetE0EEEvSW_.num_named_barrier, 0
	.set _ZN7rocprim17ROCPRIM_400000_NS6detail17trampoline_kernelINS0_14default_configENS1_27lower_bound_config_selectorIilEEZNS1_14transform_implILb0ES3_S5_N6thrust23THRUST_200600_302600_NS6detail15normal_iteratorINS8_7pointerIiNS8_11hip_rocprim5par_tENS8_11use_defaultESE_EEEENSA_INSB_IlSD_SE_SE_EEEEZNS1_13binary_searchIS3_S5_PiSG_SI_NS1_21lower_bound_search_opENS9_16wrapped_functionINS8_6system6detail7generic6detail18binary_search_lessEbEEEE10hipError_tPvRmT1_T2_T3_mmT4_T5_P12ihipStream_tbEUlRKiE_EEST_SX_SY_mSZ_S12_bEUlT_E_NS1_11comp_targetILNS1_3genE0ELNS1_11target_archE4294967295ELNS1_3gpuE0ELNS1_3repE0EEENS1_30default_config_static_selectorELNS0_4arch9wavefront6targetE0EEEvSW_.private_seg_size, 0
	.set _ZN7rocprim17ROCPRIM_400000_NS6detail17trampoline_kernelINS0_14default_configENS1_27lower_bound_config_selectorIilEEZNS1_14transform_implILb0ES3_S5_N6thrust23THRUST_200600_302600_NS6detail15normal_iteratorINS8_7pointerIiNS8_11hip_rocprim5par_tENS8_11use_defaultESE_EEEENSA_INSB_IlSD_SE_SE_EEEEZNS1_13binary_searchIS3_S5_PiSG_SI_NS1_21lower_bound_search_opENS9_16wrapped_functionINS8_6system6detail7generic6detail18binary_search_lessEbEEEE10hipError_tPvRmT1_T2_T3_mmT4_T5_P12ihipStream_tbEUlRKiE_EEST_SX_SY_mSZ_S12_bEUlT_E_NS1_11comp_targetILNS1_3genE0ELNS1_11target_archE4294967295ELNS1_3gpuE0ELNS1_3repE0EEENS1_30default_config_static_selectorELNS0_4arch9wavefront6targetE0EEEvSW_.uses_vcc, 0
	.set _ZN7rocprim17ROCPRIM_400000_NS6detail17trampoline_kernelINS0_14default_configENS1_27lower_bound_config_selectorIilEEZNS1_14transform_implILb0ES3_S5_N6thrust23THRUST_200600_302600_NS6detail15normal_iteratorINS8_7pointerIiNS8_11hip_rocprim5par_tENS8_11use_defaultESE_EEEENSA_INSB_IlSD_SE_SE_EEEEZNS1_13binary_searchIS3_S5_PiSG_SI_NS1_21lower_bound_search_opENS9_16wrapped_functionINS8_6system6detail7generic6detail18binary_search_lessEbEEEE10hipError_tPvRmT1_T2_T3_mmT4_T5_P12ihipStream_tbEUlRKiE_EEST_SX_SY_mSZ_S12_bEUlT_E_NS1_11comp_targetILNS1_3genE0ELNS1_11target_archE4294967295ELNS1_3gpuE0ELNS1_3repE0EEENS1_30default_config_static_selectorELNS0_4arch9wavefront6targetE0EEEvSW_.uses_flat_scratch, 0
	.set _ZN7rocprim17ROCPRIM_400000_NS6detail17trampoline_kernelINS0_14default_configENS1_27lower_bound_config_selectorIilEEZNS1_14transform_implILb0ES3_S5_N6thrust23THRUST_200600_302600_NS6detail15normal_iteratorINS8_7pointerIiNS8_11hip_rocprim5par_tENS8_11use_defaultESE_EEEENSA_INSB_IlSD_SE_SE_EEEEZNS1_13binary_searchIS3_S5_PiSG_SI_NS1_21lower_bound_search_opENS9_16wrapped_functionINS8_6system6detail7generic6detail18binary_search_lessEbEEEE10hipError_tPvRmT1_T2_T3_mmT4_T5_P12ihipStream_tbEUlRKiE_EEST_SX_SY_mSZ_S12_bEUlT_E_NS1_11comp_targetILNS1_3genE0ELNS1_11target_archE4294967295ELNS1_3gpuE0ELNS1_3repE0EEENS1_30default_config_static_selectorELNS0_4arch9wavefront6targetE0EEEvSW_.has_dyn_sized_stack, 0
	.set _ZN7rocprim17ROCPRIM_400000_NS6detail17trampoline_kernelINS0_14default_configENS1_27lower_bound_config_selectorIilEEZNS1_14transform_implILb0ES3_S5_N6thrust23THRUST_200600_302600_NS6detail15normal_iteratorINS8_7pointerIiNS8_11hip_rocprim5par_tENS8_11use_defaultESE_EEEENSA_INSB_IlSD_SE_SE_EEEEZNS1_13binary_searchIS3_S5_PiSG_SI_NS1_21lower_bound_search_opENS9_16wrapped_functionINS8_6system6detail7generic6detail18binary_search_lessEbEEEE10hipError_tPvRmT1_T2_T3_mmT4_T5_P12ihipStream_tbEUlRKiE_EEST_SX_SY_mSZ_S12_bEUlT_E_NS1_11comp_targetILNS1_3genE0ELNS1_11target_archE4294967295ELNS1_3gpuE0ELNS1_3repE0EEENS1_30default_config_static_selectorELNS0_4arch9wavefront6targetE0EEEvSW_.has_recursion, 0
	.set _ZN7rocprim17ROCPRIM_400000_NS6detail17trampoline_kernelINS0_14default_configENS1_27lower_bound_config_selectorIilEEZNS1_14transform_implILb0ES3_S5_N6thrust23THRUST_200600_302600_NS6detail15normal_iteratorINS8_7pointerIiNS8_11hip_rocprim5par_tENS8_11use_defaultESE_EEEENSA_INSB_IlSD_SE_SE_EEEEZNS1_13binary_searchIS3_S5_PiSG_SI_NS1_21lower_bound_search_opENS9_16wrapped_functionINS8_6system6detail7generic6detail18binary_search_lessEbEEEE10hipError_tPvRmT1_T2_T3_mmT4_T5_P12ihipStream_tbEUlRKiE_EEST_SX_SY_mSZ_S12_bEUlT_E_NS1_11comp_targetILNS1_3genE0ELNS1_11target_archE4294967295ELNS1_3gpuE0ELNS1_3repE0EEENS1_30default_config_static_selectorELNS0_4arch9wavefront6targetE0EEEvSW_.has_indirect_call, 0
	.section	.AMDGPU.csdata,"",@progbits
; Kernel info:
; codeLenInByte = 0
; TotalNumSgprs: 0
; NumVgprs: 0
; ScratchSize: 0
; MemoryBound: 0
; FloatMode: 240
; IeeeMode: 1
; LDSByteSize: 0 bytes/workgroup (compile time only)
; SGPRBlocks: 0
; VGPRBlocks: 0
; NumSGPRsForWavesPerEU: 1
; NumVGPRsForWavesPerEU: 1
; Occupancy: 16
; WaveLimiterHint : 0
; COMPUTE_PGM_RSRC2:SCRATCH_EN: 0
; COMPUTE_PGM_RSRC2:USER_SGPR: 6
; COMPUTE_PGM_RSRC2:TRAP_HANDLER: 0
; COMPUTE_PGM_RSRC2:TGID_X_EN: 1
; COMPUTE_PGM_RSRC2:TGID_Y_EN: 0
; COMPUTE_PGM_RSRC2:TGID_Z_EN: 0
; COMPUTE_PGM_RSRC2:TIDIG_COMP_CNT: 0
	.section	.text._ZN7rocprim17ROCPRIM_400000_NS6detail17trampoline_kernelINS0_14default_configENS1_27lower_bound_config_selectorIilEEZNS1_14transform_implILb0ES3_S5_N6thrust23THRUST_200600_302600_NS6detail15normal_iteratorINS8_7pointerIiNS8_11hip_rocprim5par_tENS8_11use_defaultESE_EEEENSA_INSB_IlSD_SE_SE_EEEEZNS1_13binary_searchIS3_S5_PiSG_SI_NS1_21lower_bound_search_opENS9_16wrapped_functionINS8_6system6detail7generic6detail18binary_search_lessEbEEEE10hipError_tPvRmT1_T2_T3_mmT4_T5_P12ihipStream_tbEUlRKiE_EEST_SX_SY_mSZ_S12_bEUlT_E_NS1_11comp_targetILNS1_3genE5ELNS1_11target_archE942ELNS1_3gpuE9ELNS1_3repE0EEENS1_30default_config_static_selectorELNS0_4arch9wavefront6targetE0EEEvSW_,"axG",@progbits,_ZN7rocprim17ROCPRIM_400000_NS6detail17trampoline_kernelINS0_14default_configENS1_27lower_bound_config_selectorIilEEZNS1_14transform_implILb0ES3_S5_N6thrust23THRUST_200600_302600_NS6detail15normal_iteratorINS8_7pointerIiNS8_11hip_rocprim5par_tENS8_11use_defaultESE_EEEENSA_INSB_IlSD_SE_SE_EEEEZNS1_13binary_searchIS3_S5_PiSG_SI_NS1_21lower_bound_search_opENS9_16wrapped_functionINS8_6system6detail7generic6detail18binary_search_lessEbEEEE10hipError_tPvRmT1_T2_T3_mmT4_T5_P12ihipStream_tbEUlRKiE_EEST_SX_SY_mSZ_S12_bEUlT_E_NS1_11comp_targetILNS1_3genE5ELNS1_11target_archE942ELNS1_3gpuE9ELNS1_3repE0EEENS1_30default_config_static_selectorELNS0_4arch9wavefront6targetE0EEEvSW_,comdat
	.protected	_ZN7rocprim17ROCPRIM_400000_NS6detail17trampoline_kernelINS0_14default_configENS1_27lower_bound_config_selectorIilEEZNS1_14transform_implILb0ES3_S5_N6thrust23THRUST_200600_302600_NS6detail15normal_iteratorINS8_7pointerIiNS8_11hip_rocprim5par_tENS8_11use_defaultESE_EEEENSA_INSB_IlSD_SE_SE_EEEEZNS1_13binary_searchIS3_S5_PiSG_SI_NS1_21lower_bound_search_opENS9_16wrapped_functionINS8_6system6detail7generic6detail18binary_search_lessEbEEEE10hipError_tPvRmT1_T2_T3_mmT4_T5_P12ihipStream_tbEUlRKiE_EEST_SX_SY_mSZ_S12_bEUlT_E_NS1_11comp_targetILNS1_3genE5ELNS1_11target_archE942ELNS1_3gpuE9ELNS1_3repE0EEENS1_30default_config_static_selectorELNS0_4arch9wavefront6targetE0EEEvSW_ ; -- Begin function _ZN7rocprim17ROCPRIM_400000_NS6detail17trampoline_kernelINS0_14default_configENS1_27lower_bound_config_selectorIilEEZNS1_14transform_implILb0ES3_S5_N6thrust23THRUST_200600_302600_NS6detail15normal_iteratorINS8_7pointerIiNS8_11hip_rocprim5par_tENS8_11use_defaultESE_EEEENSA_INSB_IlSD_SE_SE_EEEEZNS1_13binary_searchIS3_S5_PiSG_SI_NS1_21lower_bound_search_opENS9_16wrapped_functionINS8_6system6detail7generic6detail18binary_search_lessEbEEEE10hipError_tPvRmT1_T2_T3_mmT4_T5_P12ihipStream_tbEUlRKiE_EEST_SX_SY_mSZ_S12_bEUlT_E_NS1_11comp_targetILNS1_3genE5ELNS1_11target_archE942ELNS1_3gpuE9ELNS1_3repE0EEENS1_30default_config_static_selectorELNS0_4arch9wavefront6targetE0EEEvSW_
	.globl	_ZN7rocprim17ROCPRIM_400000_NS6detail17trampoline_kernelINS0_14default_configENS1_27lower_bound_config_selectorIilEEZNS1_14transform_implILb0ES3_S5_N6thrust23THRUST_200600_302600_NS6detail15normal_iteratorINS8_7pointerIiNS8_11hip_rocprim5par_tENS8_11use_defaultESE_EEEENSA_INSB_IlSD_SE_SE_EEEEZNS1_13binary_searchIS3_S5_PiSG_SI_NS1_21lower_bound_search_opENS9_16wrapped_functionINS8_6system6detail7generic6detail18binary_search_lessEbEEEE10hipError_tPvRmT1_T2_T3_mmT4_T5_P12ihipStream_tbEUlRKiE_EEST_SX_SY_mSZ_S12_bEUlT_E_NS1_11comp_targetILNS1_3genE5ELNS1_11target_archE942ELNS1_3gpuE9ELNS1_3repE0EEENS1_30default_config_static_selectorELNS0_4arch9wavefront6targetE0EEEvSW_
	.p2align	8
	.type	_ZN7rocprim17ROCPRIM_400000_NS6detail17trampoline_kernelINS0_14default_configENS1_27lower_bound_config_selectorIilEEZNS1_14transform_implILb0ES3_S5_N6thrust23THRUST_200600_302600_NS6detail15normal_iteratorINS8_7pointerIiNS8_11hip_rocprim5par_tENS8_11use_defaultESE_EEEENSA_INSB_IlSD_SE_SE_EEEEZNS1_13binary_searchIS3_S5_PiSG_SI_NS1_21lower_bound_search_opENS9_16wrapped_functionINS8_6system6detail7generic6detail18binary_search_lessEbEEEE10hipError_tPvRmT1_T2_T3_mmT4_T5_P12ihipStream_tbEUlRKiE_EEST_SX_SY_mSZ_S12_bEUlT_E_NS1_11comp_targetILNS1_3genE5ELNS1_11target_archE942ELNS1_3gpuE9ELNS1_3repE0EEENS1_30default_config_static_selectorELNS0_4arch9wavefront6targetE0EEEvSW_,@function
_ZN7rocprim17ROCPRIM_400000_NS6detail17trampoline_kernelINS0_14default_configENS1_27lower_bound_config_selectorIilEEZNS1_14transform_implILb0ES3_S5_N6thrust23THRUST_200600_302600_NS6detail15normal_iteratorINS8_7pointerIiNS8_11hip_rocprim5par_tENS8_11use_defaultESE_EEEENSA_INSB_IlSD_SE_SE_EEEEZNS1_13binary_searchIS3_S5_PiSG_SI_NS1_21lower_bound_search_opENS9_16wrapped_functionINS8_6system6detail7generic6detail18binary_search_lessEbEEEE10hipError_tPvRmT1_T2_T3_mmT4_T5_P12ihipStream_tbEUlRKiE_EEST_SX_SY_mSZ_S12_bEUlT_E_NS1_11comp_targetILNS1_3genE5ELNS1_11target_archE942ELNS1_3gpuE9ELNS1_3repE0EEENS1_30default_config_static_selectorELNS0_4arch9wavefront6targetE0EEEvSW_: ; @_ZN7rocprim17ROCPRIM_400000_NS6detail17trampoline_kernelINS0_14default_configENS1_27lower_bound_config_selectorIilEEZNS1_14transform_implILb0ES3_S5_N6thrust23THRUST_200600_302600_NS6detail15normal_iteratorINS8_7pointerIiNS8_11hip_rocprim5par_tENS8_11use_defaultESE_EEEENSA_INSB_IlSD_SE_SE_EEEEZNS1_13binary_searchIS3_S5_PiSG_SI_NS1_21lower_bound_search_opENS9_16wrapped_functionINS8_6system6detail7generic6detail18binary_search_lessEbEEEE10hipError_tPvRmT1_T2_T3_mmT4_T5_P12ihipStream_tbEUlRKiE_EEST_SX_SY_mSZ_S12_bEUlT_E_NS1_11comp_targetILNS1_3genE5ELNS1_11target_archE942ELNS1_3gpuE9ELNS1_3repE0EEENS1_30default_config_static_selectorELNS0_4arch9wavefront6targetE0EEEvSW_
; %bb.0:
	.section	.rodata,"a",@progbits
	.p2align	6, 0x0
	.amdhsa_kernel _ZN7rocprim17ROCPRIM_400000_NS6detail17trampoline_kernelINS0_14default_configENS1_27lower_bound_config_selectorIilEEZNS1_14transform_implILb0ES3_S5_N6thrust23THRUST_200600_302600_NS6detail15normal_iteratorINS8_7pointerIiNS8_11hip_rocprim5par_tENS8_11use_defaultESE_EEEENSA_INSB_IlSD_SE_SE_EEEEZNS1_13binary_searchIS3_S5_PiSG_SI_NS1_21lower_bound_search_opENS9_16wrapped_functionINS8_6system6detail7generic6detail18binary_search_lessEbEEEE10hipError_tPvRmT1_T2_T3_mmT4_T5_P12ihipStream_tbEUlRKiE_EEST_SX_SY_mSZ_S12_bEUlT_E_NS1_11comp_targetILNS1_3genE5ELNS1_11target_archE942ELNS1_3gpuE9ELNS1_3repE0EEENS1_30default_config_static_selectorELNS0_4arch9wavefront6targetE0EEEvSW_
		.amdhsa_group_segment_fixed_size 0
		.amdhsa_private_segment_fixed_size 0
		.amdhsa_kernarg_size 56
		.amdhsa_user_sgpr_count 6
		.amdhsa_user_sgpr_private_segment_buffer 1
		.amdhsa_user_sgpr_dispatch_ptr 0
		.amdhsa_user_sgpr_queue_ptr 0
		.amdhsa_user_sgpr_kernarg_segment_ptr 1
		.amdhsa_user_sgpr_dispatch_id 0
		.amdhsa_user_sgpr_flat_scratch_init 0
		.amdhsa_user_sgpr_private_segment_size 0
		.amdhsa_wavefront_size32 1
		.amdhsa_uses_dynamic_stack 0
		.amdhsa_system_sgpr_private_segment_wavefront_offset 0
		.amdhsa_system_sgpr_workgroup_id_x 1
		.amdhsa_system_sgpr_workgroup_id_y 0
		.amdhsa_system_sgpr_workgroup_id_z 0
		.amdhsa_system_sgpr_workgroup_info 0
		.amdhsa_system_vgpr_workitem_id 0
		.amdhsa_next_free_vgpr 1
		.amdhsa_next_free_sgpr 1
		.amdhsa_reserve_vcc 0
		.amdhsa_reserve_flat_scratch 0
		.amdhsa_float_round_mode_32 0
		.amdhsa_float_round_mode_16_64 0
		.amdhsa_float_denorm_mode_32 3
		.amdhsa_float_denorm_mode_16_64 3
		.amdhsa_dx10_clamp 1
		.amdhsa_ieee_mode 1
		.amdhsa_fp16_overflow 0
		.amdhsa_workgroup_processor_mode 1
		.amdhsa_memory_ordered 1
		.amdhsa_forward_progress 1
		.amdhsa_shared_vgpr_count 0
		.amdhsa_exception_fp_ieee_invalid_op 0
		.amdhsa_exception_fp_denorm_src 0
		.amdhsa_exception_fp_ieee_div_zero 0
		.amdhsa_exception_fp_ieee_overflow 0
		.amdhsa_exception_fp_ieee_underflow 0
		.amdhsa_exception_fp_ieee_inexact 0
		.amdhsa_exception_int_div_zero 0
	.end_amdhsa_kernel
	.section	.text._ZN7rocprim17ROCPRIM_400000_NS6detail17trampoline_kernelINS0_14default_configENS1_27lower_bound_config_selectorIilEEZNS1_14transform_implILb0ES3_S5_N6thrust23THRUST_200600_302600_NS6detail15normal_iteratorINS8_7pointerIiNS8_11hip_rocprim5par_tENS8_11use_defaultESE_EEEENSA_INSB_IlSD_SE_SE_EEEEZNS1_13binary_searchIS3_S5_PiSG_SI_NS1_21lower_bound_search_opENS9_16wrapped_functionINS8_6system6detail7generic6detail18binary_search_lessEbEEEE10hipError_tPvRmT1_T2_T3_mmT4_T5_P12ihipStream_tbEUlRKiE_EEST_SX_SY_mSZ_S12_bEUlT_E_NS1_11comp_targetILNS1_3genE5ELNS1_11target_archE942ELNS1_3gpuE9ELNS1_3repE0EEENS1_30default_config_static_selectorELNS0_4arch9wavefront6targetE0EEEvSW_,"axG",@progbits,_ZN7rocprim17ROCPRIM_400000_NS6detail17trampoline_kernelINS0_14default_configENS1_27lower_bound_config_selectorIilEEZNS1_14transform_implILb0ES3_S5_N6thrust23THRUST_200600_302600_NS6detail15normal_iteratorINS8_7pointerIiNS8_11hip_rocprim5par_tENS8_11use_defaultESE_EEEENSA_INSB_IlSD_SE_SE_EEEEZNS1_13binary_searchIS3_S5_PiSG_SI_NS1_21lower_bound_search_opENS9_16wrapped_functionINS8_6system6detail7generic6detail18binary_search_lessEbEEEE10hipError_tPvRmT1_T2_T3_mmT4_T5_P12ihipStream_tbEUlRKiE_EEST_SX_SY_mSZ_S12_bEUlT_E_NS1_11comp_targetILNS1_3genE5ELNS1_11target_archE942ELNS1_3gpuE9ELNS1_3repE0EEENS1_30default_config_static_selectorELNS0_4arch9wavefront6targetE0EEEvSW_,comdat
.Lfunc_end133:
	.size	_ZN7rocprim17ROCPRIM_400000_NS6detail17trampoline_kernelINS0_14default_configENS1_27lower_bound_config_selectorIilEEZNS1_14transform_implILb0ES3_S5_N6thrust23THRUST_200600_302600_NS6detail15normal_iteratorINS8_7pointerIiNS8_11hip_rocprim5par_tENS8_11use_defaultESE_EEEENSA_INSB_IlSD_SE_SE_EEEEZNS1_13binary_searchIS3_S5_PiSG_SI_NS1_21lower_bound_search_opENS9_16wrapped_functionINS8_6system6detail7generic6detail18binary_search_lessEbEEEE10hipError_tPvRmT1_T2_T3_mmT4_T5_P12ihipStream_tbEUlRKiE_EEST_SX_SY_mSZ_S12_bEUlT_E_NS1_11comp_targetILNS1_3genE5ELNS1_11target_archE942ELNS1_3gpuE9ELNS1_3repE0EEENS1_30default_config_static_selectorELNS0_4arch9wavefront6targetE0EEEvSW_, .Lfunc_end133-_ZN7rocprim17ROCPRIM_400000_NS6detail17trampoline_kernelINS0_14default_configENS1_27lower_bound_config_selectorIilEEZNS1_14transform_implILb0ES3_S5_N6thrust23THRUST_200600_302600_NS6detail15normal_iteratorINS8_7pointerIiNS8_11hip_rocprim5par_tENS8_11use_defaultESE_EEEENSA_INSB_IlSD_SE_SE_EEEEZNS1_13binary_searchIS3_S5_PiSG_SI_NS1_21lower_bound_search_opENS9_16wrapped_functionINS8_6system6detail7generic6detail18binary_search_lessEbEEEE10hipError_tPvRmT1_T2_T3_mmT4_T5_P12ihipStream_tbEUlRKiE_EEST_SX_SY_mSZ_S12_bEUlT_E_NS1_11comp_targetILNS1_3genE5ELNS1_11target_archE942ELNS1_3gpuE9ELNS1_3repE0EEENS1_30default_config_static_selectorELNS0_4arch9wavefront6targetE0EEEvSW_
                                        ; -- End function
	.set _ZN7rocprim17ROCPRIM_400000_NS6detail17trampoline_kernelINS0_14default_configENS1_27lower_bound_config_selectorIilEEZNS1_14transform_implILb0ES3_S5_N6thrust23THRUST_200600_302600_NS6detail15normal_iteratorINS8_7pointerIiNS8_11hip_rocprim5par_tENS8_11use_defaultESE_EEEENSA_INSB_IlSD_SE_SE_EEEEZNS1_13binary_searchIS3_S5_PiSG_SI_NS1_21lower_bound_search_opENS9_16wrapped_functionINS8_6system6detail7generic6detail18binary_search_lessEbEEEE10hipError_tPvRmT1_T2_T3_mmT4_T5_P12ihipStream_tbEUlRKiE_EEST_SX_SY_mSZ_S12_bEUlT_E_NS1_11comp_targetILNS1_3genE5ELNS1_11target_archE942ELNS1_3gpuE9ELNS1_3repE0EEENS1_30default_config_static_selectorELNS0_4arch9wavefront6targetE0EEEvSW_.num_vgpr, 0
	.set _ZN7rocprim17ROCPRIM_400000_NS6detail17trampoline_kernelINS0_14default_configENS1_27lower_bound_config_selectorIilEEZNS1_14transform_implILb0ES3_S5_N6thrust23THRUST_200600_302600_NS6detail15normal_iteratorINS8_7pointerIiNS8_11hip_rocprim5par_tENS8_11use_defaultESE_EEEENSA_INSB_IlSD_SE_SE_EEEEZNS1_13binary_searchIS3_S5_PiSG_SI_NS1_21lower_bound_search_opENS9_16wrapped_functionINS8_6system6detail7generic6detail18binary_search_lessEbEEEE10hipError_tPvRmT1_T2_T3_mmT4_T5_P12ihipStream_tbEUlRKiE_EEST_SX_SY_mSZ_S12_bEUlT_E_NS1_11comp_targetILNS1_3genE5ELNS1_11target_archE942ELNS1_3gpuE9ELNS1_3repE0EEENS1_30default_config_static_selectorELNS0_4arch9wavefront6targetE0EEEvSW_.num_agpr, 0
	.set _ZN7rocprim17ROCPRIM_400000_NS6detail17trampoline_kernelINS0_14default_configENS1_27lower_bound_config_selectorIilEEZNS1_14transform_implILb0ES3_S5_N6thrust23THRUST_200600_302600_NS6detail15normal_iteratorINS8_7pointerIiNS8_11hip_rocprim5par_tENS8_11use_defaultESE_EEEENSA_INSB_IlSD_SE_SE_EEEEZNS1_13binary_searchIS3_S5_PiSG_SI_NS1_21lower_bound_search_opENS9_16wrapped_functionINS8_6system6detail7generic6detail18binary_search_lessEbEEEE10hipError_tPvRmT1_T2_T3_mmT4_T5_P12ihipStream_tbEUlRKiE_EEST_SX_SY_mSZ_S12_bEUlT_E_NS1_11comp_targetILNS1_3genE5ELNS1_11target_archE942ELNS1_3gpuE9ELNS1_3repE0EEENS1_30default_config_static_selectorELNS0_4arch9wavefront6targetE0EEEvSW_.numbered_sgpr, 0
	.set _ZN7rocprim17ROCPRIM_400000_NS6detail17trampoline_kernelINS0_14default_configENS1_27lower_bound_config_selectorIilEEZNS1_14transform_implILb0ES3_S5_N6thrust23THRUST_200600_302600_NS6detail15normal_iteratorINS8_7pointerIiNS8_11hip_rocprim5par_tENS8_11use_defaultESE_EEEENSA_INSB_IlSD_SE_SE_EEEEZNS1_13binary_searchIS3_S5_PiSG_SI_NS1_21lower_bound_search_opENS9_16wrapped_functionINS8_6system6detail7generic6detail18binary_search_lessEbEEEE10hipError_tPvRmT1_T2_T3_mmT4_T5_P12ihipStream_tbEUlRKiE_EEST_SX_SY_mSZ_S12_bEUlT_E_NS1_11comp_targetILNS1_3genE5ELNS1_11target_archE942ELNS1_3gpuE9ELNS1_3repE0EEENS1_30default_config_static_selectorELNS0_4arch9wavefront6targetE0EEEvSW_.num_named_barrier, 0
	.set _ZN7rocprim17ROCPRIM_400000_NS6detail17trampoline_kernelINS0_14default_configENS1_27lower_bound_config_selectorIilEEZNS1_14transform_implILb0ES3_S5_N6thrust23THRUST_200600_302600_NS6detail15normal_iteratorINS8_7pointerIiNS8_11hip_rocprim5par_tENS8_11use_defaultESE_EEEENSA_INSB_IlSD_SE_SE_EEEEZNS1_13binary_searchIS3_S5_PiSG_SI_NS1_21lower_bound_search_opENS9_16wrapped_functionINS8_6system6detail7generic6detail18binary_search_lessEbEEEE10hipError_tPvRmT1_T2_T3_mmT4_T5_P12ihipStream_tbEUlRKiE_EEST_SX_SY_mSZ_S12_bEUlT_E_NS1_11comp_targetILNS1_3genE5ELNS1_11target_archE942ELNS1_3gpuE9ELNS1_3repE0EEENS1_30default_config_static_selectorELNS0_4arch9wavefront6targetE0EEEvSW_.private_seg_size, 0
	.set _ZN7rocprim17ROCPRIM_400000_NS6detail17trampoline_kernelINS0_14default_configENS1_27lower_bound_config_selectorIilEEZNS1_14transform_implILb0ES3_S5_N6thrust23THRUST_200600_302600_NS6detail15normal_iteratorINS8_7pointerIiNS8_11hip_rocprim5par_tENS8_11use_defaultESE_EEEENSA_INSB_IlSD_SE_SE_EEEEZNS1_13binary_searchIS3_S5_PiSG_SI_NS1_21lower_bound_search_opENS9_16wrapped_functionINS8_6system6detail7generic6detail18binary_search_lessEbEEEE10hipError_tPvRmT1_T2_T3_mmT4_T5_P12ihipStream_tbEUlRKiE_EEST_SX_SY_mSZ_S12_bEUlT_E_NS1_11comp_targetILNS1_3genE5ELNS1_11target_archE942ELNS1_3gpuE9ELNS1_3repE0EEENS1_30default_config_static_selectorELNS0_4arch9wavefront6targetE0EEEvSW_.uses_vcc, 0
	.set _ZN7rocprim17ROCPRIM_400000_NS6detail17trampoline_kernelINS0_14default_configENS1_27lower_bound_config_selectorIilEEZNS1_14transform_implILb0ES3_S5_N6thrust23THRUST_200600_302600_NS6detail15normal_iteratorINS8_7pointerIiNS8_11hip_rocprim5par_tENS8_11use_defaultESE_EEEENSA_INSB_IlSD_SE_SE_EEEEZNS1_13binary_searchIS3_S5_PiSG_SI_NS1_21lower_bound_search_opENS9_16wrapped_functionINS8_6system6detail7generic6detail18binary_search_lessEbEEEE10hipError_tPvRmT1_T2_T3_mmT4_T5_P12ihipStream_tbEUlRKiE_EEST_SX_SY_mSZ_S12_bEUlT_E_NS1_11comp_targetILNS1_3genE5ELNS1_11target_archE942ELNS1_3gpuE9ELNS1_3repE0EEENS1_30default_config_static_selectorELNS0_4arch9wavefront6targetE0EEEvSW_.uses_flat_scratch, 0
	.set _ZN7rocprim17ROCPRIM_400000_NS6detail17trampoline_kernelINS0_14default_configENS1_27lower_bound_config_selectorIilEEZNS1_14transform_implILb0ES3_S5_N6thrust23THRUST_200600_302600_NS6detail15normal_iteratorINS8_7pointerIiNS8_11hip_rocprim5par_tENS8_11use_defaultESE_EEEENSA_INSB_IlSD_SE_SE_EEEEZNS1_13binary_searchIS3_S5_PiSG_SI_NS1_21lower_bound_search_opENS9_16wrapped_functionINS8_6system6detail7generic6detail18binary_search_lessEbEEEE10hipError_tPvRmT1_T2_T3_mmT4_T5_P12ihipStream_tbEUlRKiE_EEST_SX_SY_mSZ_S12_bEUlT_E_NS1_11comp_targetILNS1_3genE5ELNS1_11target_archE942ELNS1_3gpuE9ELNS1_3repE0EEENS1_30default_config_static_selectorELNS0_4arch9wavefront6targetE0EEEvSW_.has_dyn_sized_stack, 0
	.set _ZN7rocprim17ROCPRIM_400000_NS6detail17trampoline_kernelINS0_14default_configENS1_27lower_bound_config_selectorIilEEZNS1_14transform_implILb0ES3_S5_N6thrust23THRUST_200600_302600_NS6detail15normal_iteratorINS8_7pointerIiNS8_11hip_rocprim5par_tENS8_11use_defaultESE_EEEENSA_INSB_IlSD_SE_SE_EEEEZNS1_13binary_searchIS3_S5_PiSG_SI_NS1_21lower_bound_search_opENS9_16wrapped_functionINS8_6system6detail7generic6detail18binary_search_lessEbEEEE10hipError_tPvRmT1_T2_T3_mmT4_T5_P12ihipStream_tbEUlRKiE_EEST_SX_SY_mSZ_S12_bEUlT_E_NS1_11comp_targetILNS1_3genE5ELNS1_11target_archE942ELNS1_3gpuE9ELNS1_3repE0EEENS1_30default_config_static_selectorELNS0_4arch9wavefront6targetE0EEEvSW_.has_recursion, 0
	.set _ZN7rocprim17ROCPRIM_400000_NS6detail17trampoline_kernelINS0_14default_configENS1_27lower_bound_config_selectorIilEEZNS1_14transform_implILb0ES3_S5_N6thrust23THRUST_200600_302600_NS6detail15normal_iteratorINS8_7pointerIiNS8_11hip_rocprim5par_tENS8_11use_defaultESE_EEEENSA_INSB_IlSD_SE_SE_EEEEZNS1_13binary_searchIS3_S5_PiSG_SI_NS1_21lower_bound_search_opENS9_16wrapped_functionINS8_6system6detail7generic6detail18binary_search_lessEbEEEE10hipError_tPvRmT1_T2_T3_mmT4_T5_P12ihipStream_tbEUlRKiE_EEST_SX_SY_mSZ_S12_bEUlT_E_NS1_11comp_targetILNS1_3genE5ELNS1_11target_archE942ELNS1_3gpuE9ELNS1_3repE0EEENS1_30default_config_static_selectorELNS0_4arch9wavefront6targetE0EEEvSW_.has_indirect_call, 0
	.section	.AMDGPU.csdata,"",@progbits
; Kernel info:
; codeLenInByte = 0
; TotalNumSgprs: 0
; NumVgprs: 0
; ScratchSize: 0
; MemoryBound: 0
; FloatMode: 240
; IeeeMode: 1
; LDSByteSize: 0 bytes/workgroup (compile time only)
; SGPRBlocks: 0
; VGPRBlocks: 0
; NumSGPRsForWavesPerEU: 1
; NumVGPRsForWavesPerEU: 1
; Occupancy: 16
; WaveLimiterHint : 0
; COMPUTE_PGM_RSRC2:SCRATCH_EN: 0
; COMPUTE_PGM_RSRC2:USER_SGPR: 6
; COMPUTE_PGM_RSRC2:TRAP_HANDLER: 0
; COMPUTE_PGM_RSRC2:TGID_X_EN: 1
; COMPUTE_PGM_RSRC2:TGID_Y_EN: 0
; COMPUTE_PGM_RSRC2:TGID_Z_EN: 0
; COMPUTE_PGM_RSRC2:TIDIG_COMP_CNT: 0
	.section	.text._ZN7rocprim17ROCPRIM_400000_NS6detail17trampoline_kernelINS0_14default_configENS1_27lower_bound_config_selectorIilEEZNS1_14transform_implILb0ES3_S5_N6thrust23THRUST_200600_302600_NS6detail15normal_iteratorINS8_7pointerIiNS8_11hip_rocprim5par_tENS8_11use_defaultESE_EEEENSA_INSB_IlSD_SE_SE_EEEEZNS1_13binary_searchIS3_S5_PiSG_SI_NS1_21lower_bound_search_opENS9_16wrapped_functionINS8_6system6detail7generic6detail18binary_search_lessEbEEEE10hipError_tPvRmT1_T2_T3_mmT4_T5_P12ihipStream_tbEUlRKiE_EEST_SX_SY_mSZ_S12_bEUlT_E_NS1_11comp_targetILNS1_3genE4ELNS1_11target_archE910ELNS1_3gpuE8ELNS1_3repE0EEENS1_30default_config_static_selectorELNS0_4arch9wavefront6targetE0EEEvSW_,"axG",@progbits,_ZN7rocprim17ROCPRIM_400000_NS6detail17trampoline_kernelINS0_14default_configENS1_27lower_bound_config_selectorIilEEZNS1_14transform_implILb0ES3_S5_N6thrust23THRUST_200600_302600_NS6detail15normal_iteratorINS8_7pointerIiNS8_11hip_rocprim5par_tENS8_11use_defaultESE_EEEENSA_INSB_IlSD_SE_SE_EEEEZNS1_13binary_searchIS3_S5_PiSG_SI_NS1_21lower_bound_search_opENS9_16wrapped_functionINS8_6system6detail7generic6detail18binary_search_lessEbEEEE10hipError_tPvRmT1_T2_T3_mmT4_T5_P12ihipStream_tbEUlRKiE_EEST_SX_SY_mSZ_S12_bEUlT_E_NS1_11comp_targetILNS1_3genE4ELNS1_11target_archE910ELNS1_3gpuE8ELNS1_3repE0EEENS1_30default_config_static_selectorELNS0_4arch9wavefront6targetE0EEEvSW_,comdat
	.protected	_ZN7rocprim17ROCPRIM_400000_NS6detail17trampoline_kernelINS0_14default_configENS1_27lower_bound_config_selectorIilEEZNS1_14transform_implILb0ES3_S5_N6thrust23THRUST_200600_302600_NS6detail15normal_iteratorINS8_7pointerIiNS8_11hip_rocprim5par_tENS8_11use_defaultESE_EEEENSA_INSB_IlSD_SE_SE_EEEEZNS1_13binary_searchIS3_S5_PiSG_SI_NS1_21lower_bound_search_opENS9_16wrapped_functionINS8_6system6detail7generic6detail18binary_search_lessEbEEEE10hipError_tPvRmT1_T2_T3_mmT4_T5_P12ihipStream_tbEUlRKiE_EEST_SX_SY_mSZ_S12_bEUlT_E_NS1_11comp_targetILNS1_3genE4ELNS1_11target_archE910ELNS1_3gpuE8ELNS1_3repE0EEENS1_30default_config_static_selectorELNS0_4arch9wavefront6targetE0EEEvSW_ ; -- Begin function _ZN7rocprim17ROCPRIM_400000_NS6detail17trampoline_kernelINS0_14default_configENS1_27lower_bound_config_selectorIilEEZNS1_14transform_implILb0ES3_S5_N6thrust23THRUST_200600_302600_NS6detail15normal_iteratorINS8_7pointerIiNS8_11hip_rocprim5par_tENS8_11use_defaultESE_EEEENSA_INSB_IlSD_SE_SE_EEEEZNS1_13binary_searchIS3_S5_PiSG_SI_NS1_21lower_bound_search_opENS9_16wrapped_functionINS8_6system6detail7generic6detail18binary_search_lessEbEEEE10hipError_tPvRmT1_T2_T3_mmT4_T5_P12ihipStream_tbEUlRKiE_EEST_SX_SY_mSZ_S12_bEUlT_E_NS1_11comp_targetILNS1_3genE4ELNS1_11target_archE910ELNS1_3gpuE8ELNS1_3repE0EEENS1_30default_config_static_selectorELNS0_4arch9wavefront6targetE0EEEvSW_
	.globl	_ZN7rocprim17ROCPRIM_400000_NS6detail17trampoline_kernelINS0_14default_configENS1_27lower_bound_config_selectorIilEEZNS1_14transform_implILb0ES3_S5_N6thrust23THRUST_200600_302600_NS6detail15normal_iteratorINS8_7pointerIiNS8_11hip_rocprim5par_tENS8_11use_defaultESE_EEEENSA_INSB_IlSD_SE_SE_EEEEZNS1_13binary_searchIS3_S5_PiSG_SI_NS1_21lower_bound_search_opENS9_16wrapped_functionINS8_6system6detail7generic6detail18binary_search_lessEbEEEE10hipError_tPvRmT1_T2_T3_mmT4_T5_P12ihipStream_tbEUlRKiE_EEST_SX_SY_mSZ_S12_bEUlT_E_NS1_11comp_targetILNS1_3genE4ELNS1_11target_archE910ELNS1_3gpuE8ELNS1_3repE0EEENS1_30default_config_static_selectorELNS0_4arch9wavefront6targetE0EEEvSW_
	.p2align	8
	.type	_ZN7rocprim17ROCPRIM_400000_NS6detail17trampoline_kernelINS0_14default_configENS1_27lower_bound_config_selectorIilEEZNS1_14transform_implILb0ES3_S5_N6thrust23THRUST_200600_302600_NS6detail15normal_iteratorINS8_7pointerIiNS8_11hip_rocprim5par_tENS8_11use_defaultESE_EEEENSA_INSB_IlSD_SE_SE_EEEEZNS1_13binary_searchIS3_S5_PiSG_SI_NS1_21lower_bound_search_opENS9_16wrapped_functionINS8_6system6detail7generic6detail18binary_search_lessEbEEEE10hipError_tPvRmT1_T2_T3_mmT4_T5_P12ihipStream_tbEUlRKiE_EEST_SX_SY_mSZ_S12_bEUlT_E_NS1_11comp_targetILNS1_3genE4ELNS1_11target_archE910ELNS1_3gpuE8ELNS1_3repE0EEENS1_30default_config_static_selectorELNS0_4arch9wavefront6targetE0EEEvSW_,@function
_ZN7rocprim17ROCPRIM_400000_NS6detail17trampoline_kernelINS0_14default_configENS1_27lower_bound_config_selectorIilEEZNS1_14transform_implILb0ES3_S5_N6thrust23THRUST_200600_302600_NS6detail15normal_iteratorINS8_7pointerIiNS8_11hip_rocprim5par_tENS8_11use_defaultESE_EEEENSA_INSB_IlSD_SE_SE_EEEEZNS1_13binary_searchIS3_S5_PiSG_SI_NS1_21lower_bound_search_opENS9_16wrapped_functionINS8_6system6detail7generic6detail18binary_search_lessEbEEEE10hipError_tPvRmT1_T2_T3_mmT4_T5_P12ihipStream_tbEUlRKiE_EEST_SX_SY_mSZ_S12_bEUlT_E_NS1_11comp_targetILNS1_3genE4ELNS1_11target_archE910ELNS1_3gpuE8ELNS1_3repE0EEENS1_30default_config_static_selectorELNS0_4arch9wavefront6targetE0EEEvSW_: ; @_ZN7rocprim17ROCPRIM_400000_NS6detail17trampoline_kernelINS0_14default_configENS1_27lower_bound_config_selectorIilEEZNS1_14transform_implILb0ES3_S5_N6thrust23THRUST_200600_302600_NS6detail15normal_iteratorINS8_7pointerIiNS8_11hip_rocprim5par_tENS8_11use_defaultESE_EEEENSA_INSB_IlSD_SE_SE_EEEEZNS1_13binary_searchIS3_S5_PiSG_SI_NS1_21lower_bound_search_opENS9_16wrapped_functionINS8_6system6detail7generic6detail18binary_search_lessEbEEEE10hipError_tPvRmT1_T2_T3_mmT4_T5_P12ihipStream_tbEUlRKiE_EEST_SX_SY_mSZ_S12_bEUlT_E_NS1_11comp_targetILNS1_3genE4ELNS1_11target_archE910ELNS1_3gpuE8ELNS1_3repE0EEENS1_30default_config_static_selectorELNS0_4arch9wavefront6targetE0EEEvSW_
; %bb.0:
	.section	.rodata,"a",@progbits
	.p2align	6, 0x0
	.amdhsa_kernel _ZN7rocprim17ROCPRIM_400000_NS6detail17trampoline_kernelINS0_14default_configENS1_27lower_bound_config_selectorIilEEZNS1_14transform_implILb0ES3_S5_N6thrust23THRUST_200600_302600_NS6detail15normal_iteratorINS8_7pointerIiNS8_11hip_rocprim5par_tENS8_11use_defaultESE_EEEENSA_INSB_IlSD_SE_SE_EEEEZNS1_13binary_searchIS3_S5_PiSG_SI_NS1_21lower_bound_search_opENS9_16wrapped_functionINS8_6system6detail7generic6detail18binary_search_lessEbEEEE10hipError_tPvRmT1_T2_T3_mmT4_T5_P12ihipStream_tbEUlRKiE_EEST_SX_SY_mSZ_S12_bEUlT_E_NS1_11comp_targetILNS1_3genE4ELNS1_11target_archE910ELNS1_3gpuE8ELNS1_3repE0EEENS1_30default_config_static_selectorELNS0_4arch9wavefront6targetE0EEEvSW_
		.amdhsa_group_segment_fixed_size 0
		.amdhsa_private_segment_fixed_size 0
		.amdhsa_kernarg_size 56
		.amdhsa_user_sgpr_count 6
		.amdhsa_user_sgpr_private_segment_buffer 1
		.amdhsa_user_sgpr_dispatch_ptr 0
		.amdhsa_user_sgpr_queue_ptr 0
		.amdhsa_user_sgpr_kernarg_segment_ptr 1
		.amdhsa_user_sgpr_dispatch_id 0
		.amdhsa_user_sgpr_flat_scratch_init 0
		.amdhsa_user_sgpr_private_segment_size 0
		.amdhsa_wavefront_size32 1
		.amdhsa_uses_dynamic_stack 0
		.amdhsa_system_sgpr_private_segment_wavefront_offset 0
		.amdhsa_system_sgpr_workgroup_id_x 1
		.amdhsa_system_sgpr_workgroup_id_y 0
		.amdhsa_system_sgpr_workgroup_id_z 0
		.amdhsa_system_sgpr_workgroup_info 0
		.amdhsa_system_vgpr_workitem_id 0
		.amdhsa_next_free_vgpr 1
		.amdhsa_next_free_sgpr 1
		.amdhsa_reserve_vcc 0
		.amdhsa_reserve_flat_scratch 0
		.amdhsa_float_round_mode_32 0
		.amdhsa_float_round_mode_16_64 0
		.amdhsa_float_denorm_mode_32 3
		.amdhsa_float_denorm_mode_16_64 3
		.amdhsa_dx10_clamp 1
		.amdhsa_ieee_mode 1
		.amdhsa_fp16_overflow 0
		.amdhsa_workgroup_processor_mode 1
		.amdhsa_memory_ordered 1
		.amdhsa_forward_progress 1
		.amdhsa_shared_vgpr_count 0
		.amdhsa_exception_fp_ieee_invalid_op 0
		.amdhsa_exception_fp_denorm_src 0
		.amdhsa_exception_fp_ieee_div_zero 0
		.amdhsa_exception_fp_ieee_overflow 0
		.amdhsa_exception_fp_ieee_underflow 0
		.amdhsa_exception_fp_ieee_inexact 0
		.amdhsa_exception_int_div_zero 0
	.end_amdhsa_kernel
	.section	.text._ZN7rocprim17ROCPRIM_400000_NS6detail17trampoline_kernelINS0_14default_configENS1_27lower_bound_config_selectorIilEEZNS1_14transform_implILb0ES3_S5_N6thrust23THRUST_200600_302600_NS6detail15normal_iteratorINS8_7pointerIiNS8_11hip_rocprim5par_tENS8_11use_defaultESE_EEEENSA_INSB_IlSD_SE_SE_EEEEZNS1_13binary_searchIS3_S5_PiSG_SI_NS1_21lower_bound_search_opENS9_16wrapped_functionINS8_6system6detail7generic6detail18binary_search_lessEbEEEE10hipError_tPvRmT1_T2_T3_mmT4_T5_P12ihipStream_tbEUlRKiE_EEST_SX_SY_mSZ_S12_bEUlT_E_NS1_11comp_targetILNS1_3genE4ELNS1_11target_archE910ELNS1_3gpuE8ELNS1_3repE0EEENS1_30default_config_static_selectorELNS0_4arch9wavefront6targetE0EEEvSW_,"axG",@progbits,_ZN7rocprim17ROCPRIM_400000_NS6detail17trampoline_kernelINS0_14default_configENS1_27lower_bound_config_selectorIilEEZNS1_14transform_implILb0ES3_S5_N6thrust23THRUST_200600_302600_NS6detail15normal_iteratorINS8_7pointerIiNS8_11hip_rocprim5par_tENS8_11use_defaultESE_EEEENSA_INSB_IlSD_SE_SE_EEEEZNS1_13binary_searchIS3_S5_PiSG_SI_NS1_21lower_bound_search_opENS9_16wrapped_functionINS8_6system6detail7generic6detail18binary_search_lessEbEEEE10hipError_tPvRmT1_T2_T3_mmT4_T5_P12ihipStream_tbEUlRKiE_EEST_SX_SY_mSZ_S12_bEUlT_E_NS1_11comp_targetILNS1_3genE4ELNS1_11target_archE910ELNS1_3gpuE8ELNS1_3repE0EEENS1_30default_config_static_selectorELNS0_4arch9wavefront6targetE0EEEvSW_,comdat
.Lfunc_end134:
	.size	_ZN7rocprim17ROCPRIM_400000_NS6detail17trampoline_kernelINS0_14default_configENS1_27lower_bound_config_selectorIilEEZNS1_14transform_implILb0ES3_S5_N6thrust23THRUST_200600_302600_NS6detail15normal_iteratorINS8_7pointerIiNS8_11hip_rocprim5par_tENS8_11use_defaultESE_EEEENSA_INSB_IlSD_SE_SE_EEEEZNS1_13binary_searchIS3_S5_PiSG_SI_NS1_21lower_bound_search_opENS9_16wrapped_functionINS8_6system6detail7generic6detail18binary_search_lessEbEEEE10hipError_tPvRmT1_T2_T3_mmT4_T5_P12ihipStream_tbEUlRKiE_EEST_SX_SY_mSZ_S12_bEUlT_E_NS1_11comp_targetILNS1_3genE4ELNS1_11target_archE910ELNS1_3gpuE8ELNS1_3repE0EEENS1_30default_config_static_selectorELNS0_4arch9wavefront6targetE0EEEvSW_, .Lfunc_end134-_ZN7rocprim17ROCPRIM_400000_NS6detail17trampoline_kernelINS0_14default_configENS1_27lower_bound_config_selectorIilEEZNS1_14transform_implILb0ES3_S5_N6thrust23THRUST_200600_302600_NS6detail15normal_iteratorINS8_7pointerIiNS8_11hip_rocprim5par_tENS8_11use_defaultESE_EEEENSA_INSB_IlSD_SE_SE_EEEEZNS1_13binary_searchIS3_S5_PiSG_SI_NS1_21lower_bound_search_opENS9_16wrapped_functionINS8_6system6detail7generic6detail18binary_search_lessEbEEEE10hipError_tPvRmT1_T2_T3_mmT4_T5_P12ihipStream_tbEUlRKiE_EEST_SX_SY_mSZ_S12_bEUlT_E_NS1_11comp_targetILNS1_3genE4ELNS1_11target_archE910ELNS1_3gpuE8ELNS1_3repE0EEENS1_30default_config_static_selectorELNS0_4arch9wavefront6targetE0EEEvSW_
                                        ; -- End function
	.set _ZN7rocprim17ROCPRIM_400000_NS6detail17trampoline_kernelINS0_14default_configENS1_27lower_bound_config_selectorIilEEZNS1_14transform_implILb0ES3_S5_N6thrust23THRUST_200600_302600_NS6detail15normal_iteratorINS8_7pointerIiNS8_11hip_rocprim5par_tENS8_11use_defaultESE_EEEENSA_INSB_IlSD_SE_SE_EEEEZNS1_13binary_searchIS3_S5_PiSG_SI_NS1_21lower_bound_search_opENS9_16wrapped_functionINS8_6system6detail7generic6detail18binary_search_lessEbEEEE10hipError_tPvRmT1_T2_T3_mmT4_T5_P12ihipStream_tbEUlRKiE_EEST_SX_SY_mSZ_S12_bEUlT_E_NS1_11comp_targetILNS1_3genE4ELNS1_11target_archE910ELNS1_3gpuE8ELNS1_3repE0EEENS1_30default_config_static_selectorELNS0_4arch9wavefront6targetE0EEEvSW_.num_vgpr, 0
	.set _ZN7rocprim17ROCPRIM_400000_NS6detail17trampoline_kernelINS0_14default_configENS1_27lower_bound_config_selectorIilEEZNS1_14transform_implILb0ES3_S5_N6thrust23THRUST_200600_302600_NS6detail15normal_iteratorINS8_7pointerIiNS8_11hip_rocprim5par_tENS8_11use_defaultESE_EEEENSA_INSB_IlSD_SE_SE_EEEEZNS1_13binary_searchIS3_S5_PiSG_SI_NS1_21lower_bound_search_opENS9_16wrapped_functionINS8_6system6detail7generic6detail18binary_search_lessEbEEEE10hipError_tPvRmT1_T2_T3_mmT4_T5_P12ihipStream_tbEUlRKiE_EEST_SX_SY_mSZ_S12_bEUlT_E_NS1_11comp_targetILNS1_3genE4ELNS1_11target_archE910ELNS1_3gpuE8ELNS1_3repE0EEENS1_30default_config_static_selectorELNS0_4arch9wavefront6targetE0EEEvSW_.num_agpr, 0
	.set _ZN7rocprim17ROCPRIM_400000_NS6detail17trampoline_kernelINS0_14default_configENS1_27lower_bound_config_selectorIilEEZNS1_14transform_implILb0ES3_S5_N6thrust23THRUST_200600_302600_NS6detail15normal_iteratorINS8_7pointerIiNS8_11hip_rocprim5par_tENS8_11use_defaultESE_EEEENSA_INSB_IlSD_SE_SE_EEEEZNS1_13binary_searchIS3_S5_PiSG_SI_NS1_21lower_bound_search_opENS9_16wrapped_functionINS8_6system6detail7generic6detail18binary_search_lessEbEEEE10hipError_tPvRmT1_T2_T3_mmT4_T5_P12ihipStream_tbEUlRKiE_EEST_SX_SY_mSZ_S12_bEUlT_E_NS1_11comp_targetILNS1_3genE4ELNS1_11target_archE910ELNS1_3gpuE8ELNS1_3repE0EEENS1_30default_config_static_selectorELNS0_4arch9wavefront6targetE0EEEvSW_.numbered_sgpr, 0
	.set _ZN7rocprim17ROCPRIM_400000_NS6detail17trampoline_kernelINS0_14default_configENS1_27lower_bound_config_selectorIilEEZNS1_14transform_implILb0ES3_S5_N6thrust23THRUST_200600_302600_NS6detail15normal_iteratorINS8_7pointerIiNS8_11hip_rocprim5par_tENS8_11use_defaultESE_EEEENSA_INSB_IlSD_SE_SE_EEEEZNS1_13binary_searchIS3_S5_PiSG_SI_NS1_21lower_bound_search_opENS9_16wrapped_functionINS8_6system6detail7generic6detail18binary_search_lessEbEEEE10hipError_tPvRmT1_T2_T3_mmT4_T5_P12ihipStream_tbEUlRKiE_EEST_SX_SY_mSZ_S12_bEUlT_E_NS1_11comp_targetILNS1_3genE4ELNS1_11target_archE910ELNS1_3gpuE8ELNS1_3repE0EEENS1_30default_config_static_selectorELNS0_4arch9wavefront6targetE0EEEvSW_.num_named_barrier, 0
	.set _ZN7rocprim17ROCPRIM_400000_NS6detail17trampoline_kernelINS0_14default_configENS1_27lower_bound_config_selectorIilEEZNS1_14transform_implILb0ES3_S5_N6thrust23THRUST_200600_302600_NS6detail15normal_iteratorINS8_7pointerIiNS8_11hip_rocprim5par_tENS8_11use_defaultESE_EEEENSA_INSB_IlSD_SE_SE_EEEEZNS1_13binary_searchIS3_S5_PiSG_SI_NS1_21lower_bound_search_opENS9_16wrapped_functionINS8_6system6detail7generic6detail18binary_search_lessEbEEEE10hipError_tPvRmT1_T2_T3_mmT4_T5_P12ihipStream_tbEUlRKiE_EEST_SX_SY_mSZ_S12_bEUlT_E_NS1_11comp_targetILNS1_3genE4ELNS1_11target_archE910ELNS1_3gpuE8ELNS1_3repE0EEENS1_30default_config_static_selectorELNS0_4arch9wavefront6targetE0EEEvSW_.private_seg_size, 0
	.set _ZN7rocprim17ROCPRIM_400000_NS6detail17trampoline_kernelINS0_14default_configENS1_27lower_bound_config_selectorIilEEZNS1_14transform_implILb0ES3_S5_N6thrust23THRUST_200600_302600_NS6detail15normal_iteratorINS8_7pointerIiNS8_11hip_rocprim5par_tENS8_11use_defaultESE_EEEENSA_INSB_IlSD_SE_SE_EEEEZNS1_13binary_searchIS3_S5_PiSG_SI_NS1_21lower_bound_search_opENS9_16wrapped_functionINS8_6system6detail7generic6detail18binary_search_lessEbEEEE10hipError_tPvRmT1_T2_T3_mmT4_T5_P12ihipStream_tbEUlRKiE_EEST_SX_SY_mSZ_S12_bEUlT_E_NS1_11comp_targetILNS1_3genE4ELNS1_11target_archE910ELNS1_3gpuE8ELNS1_3repE0EEENS1_30default_config_static_selectorELNS0_4arch9wavefront6targetE0EEEvSW_.uses_vcc, 0
	.set _ZN7rocprim17ROCPRIM_400000_NS6detail17trampoline_kernelINS0_14default_configENS1_27lower_bound_config_selectorIilEEZNS1_14transform_implILb0ES3_S5_N6thrust23THRUST_200600_302600_NS6detail15normal_iteratorINS8_7pointerIiNS8_11hip_rocprim5par_tENS8_11use_defaultESE_EEEENSA_INSB_IlSD_SE_SE_EEEEZNS1_13binary_searchIS3_S5_PiSG_SI_NS1_21lower_bound_search_opENS9_16wrapped_functionINS8_6system6detail7generic6detail18binary_search_lessEbEEEE10hipError_tPvRmT1_T2_T3_mmT4_T5_P12ihipStream_tbEUlRKiE_EEST_SX_SY_mSZ_S12_bEUlT_E_NS1_11comp_targetILNS1_3genE4ELNS1_11target_archE910ELNS1_3gpuE8ELNS1_3repE0EEENS1_30default_config_static_selectorELNS0_4arch9wavefront6targetE0EEEvSW_.uses_flat_scratch, 0
	.set _ZN7rocprim17ROCPRIM_400000_NS6detail17trampoline_kernelINS0_14default_configENS1_27lower_bound_config_selectorIilEEZNS1_14transform_implILb0ES3_S5_N6thrust23THRUST_200600_302600_NS6detail15normal_iteratorINS8_7pointerIiNS8_11hip_rocprim5par_tENS8_11use_defaultESE_EEEENSA_INSB_IlSD_SE_SE_EEEEZNS1_13binary_searchIS3_S5_PiSG_SI_NS1_21lower_bound_search_opENS9_16wrapped_functionINS8_6system6detail7generic6detail18binary_search_lessEbEEEE10hipError_tPvRmT1_T2_T3_mmT4_T5_P12ihipStream_tbEUlRKiE_EEST_SX_SY_mSZ_S12_bEUlT_E_NS1_11comp_targetILNS1_3genE4ELNS1_11target_archE910ELNS1_3gpuE8ELNS1_3repE0EEENS1_30default_config_static_selectorELNS0_4arch9wavefront6targetE0EEEvSW_.has_dyn_sized_stack, 0
	.set _ZN7rocprim17ROCPRIM_400000_NS6detail17trampoline_kernelINS0_14default_configENS1_27lower_bound_config_selectorIilEEZNS1_14transform_implILb0ES3_S5_N6thrust23THRUST_200600_302600_NS6detail15normal_iteratorINS8_7pointerIiNS8_11hip_rocprim5par_tENS8_11use_defaultESE_EEEENSA_INSB_IlSD_SE_SE_EEEEZNS1_13binary_searchIS3_S5_PiSG_SI_NS1_21lower_bound_search_opENS9_16wrapped_functionINS8_6system6detail7generic6detail18binary_search_lessEbEEEE10hipError_tPvRmT1_T2_T3_mmT4_T5_P12ihipStream_tbEUlRKiE_EEST_SX_SY_mSZ_S12_bEUlT_E_NS1_11comp_targetILNS1_3genE4ELNS1_11target_archE910ELNS1_3gpuE8ELNS1_3repE0EEENS1_30default_config_static_selectorELNS0_4arch9wavefront6targetE0EEEvSW_.has_recursion, 0
	.set _ZN7rocprim17ROCPRIM_400000_NS6detail17trampoline_kernelINS0_14default_configENS1_27lower_bound_config_selectorIilEEZNS1_14transform_implILb0ES3_S5_N6thrust23THRUST_200600_302600_NS6detail15normal_iteratorINS8_7pointerIiNS8_11hip_rocprim5par_tENS8_11use_defaultESE_EEEENSA_INSB_IlSD_SE_SE_EEEEZNS1_13binary_searchIS3_S5_PiSG_SI_NS1_21lower_bound_search_opENS9_16wrapped_functionINS8_6system6detail7generic6detail18binary_search_lessEbEEEE10hipError_tPvRmT1_T2_T3_mmT4_T5_P12ihipStream_tbEUlRKiE_EEST_SX_SY_mSZ_S12_bEUlT_E_NS1_11comp_targetILNS1_3genE4ELNS1_11target_archE910ELNS1_3gpuE8ELNS1_3repE0EEENS1_30default_config_static_selectorELNS0_4arch9wavefront6targetE0EEEvSW_.has_indirect_call, 0
	.section	.AMDGPU.csdata,"",@progbits
; Kernel info:
; codeLenInByte = 0
; TotalNumSgprs: 0
; NumVgprs: 0
; ScratchSize: 0
; MemoryBound: 0
; FloatMode: 240
; IeeeMode: 1
; LDSByteSize: 0 bytes/workgroup (compile time only)
; SGPRBlocks: 0
; VGPRBlocks: 0
; NumSGPRsForWavesPerEU: 1
; NumVGPRsForWavesPerEU: 1
; Occupancy: 16
; WaveLimiterHint : 0
; COMPUTE_PGM_RSRC2:SCRATCH_EN: 0
; COMPUTE_PGM_RSRC2:USER_SGPR: 6
; COMPUTE_PGM_RSRC2:TRAP_HANDLER: 0
; COMPUTE_PGM_RSRC2:TGID_X_EN: 1
; COMPUTE_PGM_RSRC2:TGID_Y_EN: 0
; COMPUTE_PGM_RSRC2:TGID_Z_EN: 0
; COMPUTE_PGM_RSRC2:TIDIG_COMP_CNT: 0
	.section	.text._ZN7rocprim17ROCPRIM_400000_NS6detail17trampoline_kernelINS0_14default_configENS1_27lower_bound_config_selectorIilEEZNS1_14transform_implILb0ES3_S5_N6thrust23THRUST_200600_302600_NS6detail15normal_iteratorINS8_7pointerIiNS8_11hip_rocprim5par_tENS8_11use_defaultESE_EEEENSA_INSB_IlSD_SE_SE_EEEEZNS1_13binary_searchIS3_S5_PiSG_SI_NS1_21lower_bound_search_opENS9_16wrapped_functionINS8_6system6detail7generic6detail18binary_search_lessEbEEEE10hipError_tPvRmT1_T2_T3_mmT4_T5_P12ihipStream_tbEUlRKiE_EEST_SX_SY_mSZ_S12_bEUlT_E_NS1_11comp_targetILNS1_3genE3ELNS1_11target_archE908ELNS1_3gpuE7ELNS1_3repE0EEENS1_30default_config_static_selectorELNS0_4arch9wavefront6targetE0EEEvSW_,"axG",@progbits,_ZN7rocprim17ROCPRIM_400000_NS6detail17trampoline_kernelINS0_14default_configENS1_27lower_bound_config_selectorIilEEZNS1_14transform_implILb0ES3_S5_N6thrust23THRUST_200600_302600_NS6detail15normal_iteratorINS8_7pointerIiNS8_11hip_rocprim5par_tENS8_11use_defaultESE_EEEENSA_INSB_IlSD_SE_SE_EEEEZNS1_13binary_searchIS3_S5_PiSG_SI_NS1_21lower_bound_search_opENS9_16wrapped_functionINS8_6system6detail7generic6detail18binary_search_lessEbEEEE10hipError_tPvRmT1_T2_T3_mmT4_T5_P12ihipStream_tbEUlRKiE_EEST_SX_SY_mSZ_S12_bEUlT_E_NS1_11comp_targetILNS1_3genE3ELNS1_11target_archE908ELNS1_3gpuE7ELNS1_3repE0EEENS1_30default_config_static_selectorELNS0_4arch9wavefront6targetE0EEEvSW_,comdat
	.protected	_ZN7rocprim17ROCPRIM_400000_NS6detail17trampoline_kernelINS0_14default_configENS1_27lower_bound_config_selectorIilEEZNS1_14transform_implILb0ES3_S5_N6thrust23THRUST_200600_302600_NS6detail15normal_iteratorINS8_7pointerIiNS8_11hip_rocprim5par_tENS8_11use_defaultESE_EEEENSA_INSB_IlSD_SE_SE_EEEEZNS1_13binary_searchIS3_S5_PiSG_SI_NS1_21lower_bound_search_opENS9_16wrapped_functionINS8_6system6detail7generic6detail18binary_search_lessEbEEEE10hipError_tPvRmT1_T2_T3_mmT4_T5_P12ihipStream_tbEUlRKiE_EEST_SX_SY_mSZ_S12_bEUlT_E_NS1_11comp_targetILNS1_3genE3ELNS1_11target_archE908ELNS1_3gpuE7ELNS1_3repE0EEENS1_30default_config_static_selectorELNS0_4arch9wavefront6targetE0EEEvSW_ ; -- Begin function _ZN7rocprim17ROCPRIM_400000_NS6detail17trampoline_kernelINS0_14default_configENS1_27lower_bound_config_selectorIilEEZNS1_14transform_implILb0ES3_S5_N6thrust23THRUST_200600_302600_NS6detail15normal_iteratorINS8_7pointerIiNS8_11hip_rocprim5par_tENS8_11use_defaultESE_EEEENSA_INSB_IlSD_SE_SE_EEEEZNS1_13binary_searchIS3_S5_PiSG_SI_NS1_21lower_bound_search_opENS9_16wrapped_functionINS8_6system6detail7generic6detail18binary_search_lessEbEEEE10hipError_tPvRmT1_T2_T3_mmT4_T5_P12ihipStream_tbEUlRKiE_EEST_SX_SY_mSZ_S12_bEUlT_E_NS1_11comp_targetILNS1_3genE3ELNS1_11target_archE908ELNS1_3gpuE7ELNS1_3repE0EEENS1_30default_config_static_selectorELNS0_4arch9wavefront6targetE0EEEvSW_
	.globl	_ZN7rocprim17ROCPRIM_400000_NS6detail17trampoline_kernelINS0_14default_configENS1_27lower_bound_config_selectorIilEEZNS1_14transform_implILb0ES3_S5_N6thrust23THRUST_200600_302600_NS6detail15normal_iteratorINS8_7pointerIiNS8_11hip_rocprim5par_tENS8_11use_defaultESE_EEEENSA_INSB_IlSD_SE_SE_EEEEZNS1_13binary_searchIS3_S5_PiSG_SI_NS1_21lower_bound_search_opENS9_16wrapped_functionINS8_6system6detail7generic6detail18binary_search_lessEbEEEE10hipError_tPvRmT1_T2_T3_mmT4_T5_P12ihipStream_tbEUlRKiE_EEST_SX_SY_mSZ_S12_bEUlT_E_NS1_11comp_targetILNS1_3genE3ELNS1_11target_archE908ELNS1_3gpuE7ELNS1_3repE0EEENS1_30default_config_static_selectorELNS0_4arch9wavefront6targetE0EEEvSW_
	.p2align	8
	.type	_ZN7rocprim17ROCPRIM_400000_NS6detail17trampoline_kernelINS0_14default_configENS1_27lower_bound_config_selectorIilEEZNS1_14transform_implILb0ES3_S5_N6thrust23THRUST_200600_302600_NS6detail15normal_iteratorINS8_7pointerIiNS8_11hip_rocprim5par_tENS8_11use_defaultESE_EEEENSA_INSB_IlSD_SE_SE_EEEEZNS1_13binary_searchIS3_S5_PiSG_SI_NS1_21lower_bound_search_opENS9_16wrapped_functionINS8_6system6detail7generic6detail18binary_search_lessEbEEEE10hipError_tPvRmT1_T2_T3_mmT4_T5_P12ihipStream_tbEUlRKiE_EEST_SX_SY_mSZ_S12_bEUlT_E_NS1_11comp_targetILNS1_3genE3ELNS1_11target_archE908ELNS1_3gpuE7ELNS1_3repE0EEENS1_30default_config_static_selectorELNS0_4arch9wavefront6targetE0EEEvSW_,@function
_ZN7rocprim17ROCPRIM_400000_NS6detail17trampoline_kernelINS0_14default_configENS1_27lower_bound_config_selectorIilEEZNS1_14transform_implILb0ES3_S5_N6thrust23THRUST_200600_302600_NS6detail15normal_iteratorINS8_7pointerIiNS8_11hip_rocprim5par_tENS8_11use_defaultESE_EEEENSA_INSB_IlSD_SE_SE_EEEEZNS1_13binary_searchIS3_S5_PiSG_SI_NS1_21lower_bound_search_opENS9_16wrapped_functionINS8_6system6detail7generic6detail18binary_search_lessEbEEEE10hipError_tPvRmT1_T2_T3_mmT4_T5_P12ihipStream_tbEUlRKiE_EEST_SX_SY_mSZ_S12_bEUlT_E_NS1_11comp_targetILNS1_3genE3ELNS1_11target_archE908ELNS1_3gpuE7ELNS1_3repE0EEENS1_30default_config_static_selectorELNS0_4arch9wavefront6targetE0EEEvSW_: ; @_ZN7rocprim17ROCPRIM_400000_NS6detail17trampoline_kernelINS0_14default_configENS1_27lower_bound_config_selectorIilEEZNS1_14transform_implILb0ES3_S5_N6thrust23THRUST_200600_302600_NS6detail15normal_iteratorINS8_7pointerIiNS8_11hip_rocprim5par_tENS8_11use_defaultESE_EEEENSA_INSB_IlSD_SE_SE_EEEEZNS1_13binary_searchIS3_S5_PiSG_SI_NS1_21lower_bound_search_opENS9_16wrapped_functionINS8_6system6detail7generic6detail18binary_search_lessEbEEEE10hipError_tPvRmT1_T2_T3_mmT4_T5_P12ihipStream_tbEUlRKiE_EEST_SX_SY_mSZ_S12_bEUlT_E_NS1_11comp_targetILNS1_3genE3ELNS1_11target_archE908ELNS1_3gpuE7ELNS1_3repE0EEENS1_30default_config_static_selectorELNS0_4arch9wavefront6targetE0EEEvSW_
; %bb.0:
	.section	.rodata,"a",@progbits
	.p2align	6, 0x0
	.amdhsa_kernel _ZN7rocprim17ROCPRIM_400000_NS6detail17trampoline_kernelINS0_14default_configENS1_27lower_bound_config_selectorIilEEZNS1_14transform_implILb0ES3_S5_N6thrust23THRUST_200600_302600_NS6detail15normal_iteratorINS8_7pointerIiNS8_11hip_rocprim5par_tENS8_11use_defaultESE_EEEENSA_INSB_IlSD_SE_SE_EEEEZNS1_13binary_searchIS3_S5_PiSG_SI_NS1_21lower_bound_search_opENS9_16wrapped_functionINS8_6system6detail7generic6detail18binary_search_lessEbEEEE10hipError_tPvRmT1_T2_T3_mmT4_T5_P12ihipStream_tbEUlRKiE_EEST_SX_SY_mSZ_S12_bEUlT_E_NS1_11comp_targetILNS1_3genE3ELNS1_11target_archE908ELNS1_3gpuE7ELNS1_3repE0EEENS1_30default_config_static_selectorELNS0_4arch9wavefront6targetE0EEEvSW_
		.amdhsa_group_segment_fixed_size 0
		.amdhsa_private_segment_fixed_size 0
		.amdhsa_kernarg_size 56
		.amdhsa_user_sgpr_count 6
		.amdhsa_user_sgpr_private_segment_buffer 1
		.amdhsa_user_sgpr_dispatch_ptr 0
		.amdhsa_user_sgpr_queue_ptr 0
		.amdhsa_user_sgpr_kernarg_segment_ptr 1
		.amdhsa_user_sgpr_dispatch_id 0
		.amdhsa_user_sgpr_flat_scratch_init 0
		.amdhsa_user_sgpr_private_segment_size 0
		.amdhsa_wavefront_size32 1
		.amdhsa_uses_dynamic_stack 0
		.amdhsa_system_sgpr_private_segment_wavefront_offset 0
		.amdhsa_system_sgpr_workgroup_id_x 1
		.amdhsa_system_sgpr_workgroup_id_y 0
		.amdhsa_system_sgpr_workgroup_id_z 0
		.amdhsa_system_sgpr_workgroup_info 0
		.amdhsa_system_vgpr_workitem_id 0
		.amdhsa_next_free_vgpr 1
		.amdhsa_next_free_sgpr 1
		.amdhsa_reserve_vcc 0
		.amdhsa_reserve_flat_scratch 0
		.amdhsa_float_round_mode_32 0
		.amdhsa_float_round_mode_16_64 0
		.amdhsa_float_denorm_mode_32 3
		.amdhsa_float_denorm_mode_16_64 3
		.amdhsa_dx10_clamp 1
		.amdhsa_ieee_mode 1
		.amdhsa_fp16_overflow 0
		.amdhsa_workgroup_processor_mode 1
		.amdhsa_memory_ordered 1
		.amdhsa_forward_progress 1
		.amdhsa_shared_vgpr_count 0
		.amdhsa_exception_fp_ieee_invalid_op 0
		.amdhsa_exception_fp_denorm_src 0
		.amdhsa_exception_fp_ieee_div_zero 0
		.amdhsa_exception_fp_ieee_overflow 0
		.amdhsa_exception_fp_ieee_underflow 0
		.amdhsa_exception_fp_ieee_inexact 0
		.amdhsa_exception_int_div_zero 0
	.end_amdhsa_kernel
	.section	.text._ZN7rocprim17ROCPRIM_400000_NS6detail17trampoline_kernelINS0_14default_configENS1_27lower_bound_config_selectorIilEEZNS1_14transform_implILb0ES3_S5_N6thrust23THRUST_200600_302600_NS6detail15normal_iteratorINS8_7pointerIiNS8_11hip_rocprim5par_tENS8_11use_defaultESE_EEEENSA_INSB_IlSD_SE_SE_EEEEZNS1_13binary_searchIS3_S5_PiSG_SI_NS1_21lower_bound_search_opENS9_16wrapped_functionINS8_6system6detail7generic6detail18binary_search_lessEbEEEE10hipError_tPvRmT1_T2_T3_mmT4_T5_P12ihipStream_tbEUlRKiE_EEST_SX_SY_mSZ_S12_bEUlT_E_NS1_11comp_targetILNS1_3genE3ELNS1_11target_archE908ELNS1_3gpuE7ELNS1_3repE0EEENS1_30default_config_static_selectorELNS0_4arch9wavefront6targetE0EEEvSW_,"axG",@progbits,_ZN7rocprim17ROCPRIM_400000_NS6detail17trampoline_kernelINS0_14default_configENS1_27lower_bound_config_selectorIilEEZNS1_14transform_implILb0ES3_S5_N6thrust23THRUST_200600_302600_NS6detail15normal_iteratorINS8_7pointerIiNS8_11hip_rocprim5par_tENS8_11use_defaultESE_EEEENSA_INSB_IlSD_SE_SE_EEEEZNS1_13binary_searchIS3_S5_PiSG_SI_NS1_21lower_bound_search_opENS9_16wrapped_functionINS8_6system6detail7generic6detail18binary_search_lessEbEEEE10hipError_tPvRmT1_T2_T3_mmT4_T5_P12ihipStream_tbEUlRKiE_EEST_SX_SY_mSZ_S12_bEUlT_E_NS1_11comp_targetILNS1_3genE3ELNS1_11target_archE908ELNS1_3gpuE7ELNS1_3repE0EEENS1_30default_config_static_selectorELNS0_4arch9wavefront6targetE0EEEvSW_,comdat
.Lfunc_end135:
	.size	_ZN7rocprim17ROCPRIM_400000_NS6detail17trampoline_kernelINS0_14default_configENS1_27lower_bound_config_selectorIilEEZNS1_14transform_implILb0ES3_S5_N6thrust23THRUST_200600_302600_NS6detail15normal_iteratorINS8_7pointerIiNS8_11hip_rocprim5par_tENS8_11use_defaultESE_EEEENSA_INSB_IlSD_SE_SE_EEEEZNS1_13binary_searchIS3_S5_PiSG_SI_NS1_21lower_bound_search_opENS9_16wrapped_functionINS8_6system6detail7generic6detail18binary_search_lessEbEEEE10hipError_tPvRmT1_T2_T3_mmT4_T5_P12ihipStream_tbEUlRKiE_EEST_SX_SY_mSZ_S12_bEUlT_E_NS1_11comp_targetILNS1_3genE3ELNS1_11target_archE908ELNS1_3gpuE7ELNS1_3repE0EEENS1_30default_config_static_selectorELNS0_4arch9wavefront6targetE0EEEvSW_, .Lfunc_end135-_ZN7rocprim17ROCPRIM_400000_NS6detail17trampoline_kernelINS0_14default_configENS1_27lower_bound_config_selectorIilEEZNS1_14transform_implILb0ES3_S5_N6thrust23THRUST_200600_302600_NS6detail15normal_iteratorINS8_7pointerIiNS8_11hip_rocprim5par_tENS8_11use_defaultESE_EEEENSA_INSB_IlSD_SE_SE_EEEEZNS1_13binary_searchIS3_S5_PiSG_SI_NS1_21lower_bound_search_opENS9_16wrapped_functionINS8_6system6detail7generic6detail18binary_search_lessEbEEEE10hipError_tPvRmT1_T2_T3_mmT4_T5_P12ihipStream_tbEUlRKiE_EEST_SX_SY_mSZ_S12_bEUlT_E_NS1_11comp_targetILNS1_3genE3ELNS1_11target_archE908ELNS1_3gpuE7ELNS1_3repE0EEENS1_30default_config_static_selectorELNS0_4arch9wavefront6targetE0EEEvSW_
                                        ; -- End function
	.set _ZN7rocprim17ROCPRIM_400000_NS6detail17trampoline_kernelINS0_14default_configENS1_27lower_bound_config_selectorIilEEZNS1_14transform_implILb0ES3_S5_N6thrust23THRUST_200600_302600_NS6detail15normal_iteratorINS8_7pointerIiNS8_11hip_rocprim5par_tENS8_11use_defaultESE_EEEENSA_INSB_IlSD_SE_SE_EEEEZNS1_13binary_searchIS3_S5_PiSG_SI_NS1_21lower_bound_search_opENS9_16wrapped_functionINS8_6system6detail7generic6detail18binary_search_lessEbEEEE10hipError_tPvRmT1_T2_T3_mmT4_T5_P12ihipStream_tbEUlRKiE_EEST_SX_SY_mSZ_S12_bEUlT_E_NS1_11comp_targetILNS1_3genE3ELNS1_11target_archE908ELNS1_3gpuE7ELNS1_3repE0EEENS1_30default_config_static_selectorELNS0_4arch9wavefront6targetE0EEEvSW_.num_vgpr, 0
	.set _ZN7rocprim17ROCPRIM_400000_NS6detail17trampoline_kernelINS0_14default_configENS1_27lower_bound_config_selectorIilEEZNS1_14transform_implILb0ES3_S5_N6thrust23THRUST_200600_302600_NS6detail15normal_iteratorINS8_7pointerIiNS8_11hip_rocprim5par_tENS8_11use_defaultESE_EEEENSA_INSB_IlSD_SE_SE_EEEEZNS1_13binary_searchIS3_S5_PiSG_SI_NS1_21lower_bound_search_opENS9_16wrapped_functionINS8_6system6detail7generic6detail18binary_search_lessEbEEEE10hipError_tPvRmT1_T2_T3_mmT4_T5_P12ihipStream_tbEUlRKiE_EEST_SX_SY_mSZ_S12_bEUlT_E_NS1_11comp_targetILNS1_3genE3ELNS1_11target_archE908ELNS1_3gpuE7ELNS1_3repE0EEENS1_30default_config_static_selectorELNS0_4arch9wavefront6targetE0EEEvSW_.num_agpr, 0
	.set _ZN7rocprim17ROCPRIM_400000_NS6detail17trampoline_kernelINS0_14default_configENS1_27lower_bound_config_selectorIilEEZNS1_14transform_implILb0ES3_S5_N6thrust23THRUST_200600_302600_NS6detail15normal_iteratorINS8_7pointerIiNS8_11hip_rocprim5par_tENS8_11use_defaultESE_EEEENSA_INSB_IlSD_SE_SE_EEEEZNS1_13binary_searchIS3_S5_PiSG_SI_NS1_21lower_bound_search_opENS9_16wrapped_functionINS8_6system6detail7generic6detail18binary_search_lessEbEEEE10hipError_tPvRmT1_T2_T3_mmT4_T5_P12ihipStream_tbEUlRKiE_EEST_SX_SY_mSZ_S12_bEUlT_E_NS1_11comp_targetILNS1_3genE3ELNS1_11target_archE908ELNS1_3gpuE7ELNS1_3repE0EEENS1_30default_config_static_selectorELNS0_4arch9wavefront6targetE0EEEvSW_.numbered_sgpr, 0
	.set _ZN7rocprim17ROCPRIM_400000_NS6detail17trampoline_kernelINS0_14default_configENS1_27lower_bound_config_selectorIilEEZNS1_14transform_implILb0ES3_S5_N6thrust23THRUST_200600_302600_NS6detail15normal_iteratorINS8_7pointerIiNS8_11hip_rocprim5par_tENS8_11use_defaultESE_EEEENSA_INSB_IlSD_SE_SE_EEEEZNS1_13binary_searchIS3_S5_PiSG_SI_NS1_21lower_bound_search_opENS9_16wrapped_functionINS8_6system6detail7generic6detail18binary_search_lessEbEEEE10hipError_tPvRmT1_T2_T3_mmT4_T5_P12ihipStream_tbEUlRKiE_EEST_SX_SY_mSZ_S12_bEUlT_E_NS1_11comp_targetILNS1_3genE3ELNS1_11target_archE908ELNS1_3gpuE7ELNS1_3repE0EEENS1_30default_config_static_selectorELNS0_4arch9wavefront6targetE0EEEvSW_.num_named_barrier, 0
	.set _ZN7rocprim17ROCPRIM_400000_NS6detail17trampoline_kernelINS0_14default_configENS1_27lower_bound_config_selectorIilEEZNS1_14transform_implILb0ES3_S5_N6thrust23THRUST_200600_302600_NS6detail15normal_iteratorINS8_7pointerIiNS8_11hip_rocprim5par_tENS8_11use_defaultESE_EEEENSA_INSB_IlSD_SE_SE_EEEEZNS1_13binary_searchIS3_S5_PiSG_SI_NS1_21lower_bound_search_opENS9_16wrapped_functionINS8_6system6detail7generic6detail18binary_search_lessEbEEEE10hipError_tPvRmT1_T2_T3_mmT4_T5_P12ihipStream_tbEUlRKiE_EEST_SX_SY_mSZ_S12_bEUlT_E_NS1_11comp_targetILNS1_3genE3ELNS1_11target_archE908ELNS1_3gpuE7ELNS1_3repE0EEENS1_30default_config_static_selectorELNS0_4arch9wavefront6targetE0EEEvSW_.private_seg_size, 0
	.set _ZN7rocprim17ROCPRIM_400000_NS6detail17trampoline_kernelINS0_14default_configENS1_27lower_bound_config_selectorIilEEZNS1_14transform_implILb0ES3_S5_N6thrust23THRUST_200600_302600_NS6detail15normal_iteratorINS8_7pointerIiNS8_11hip_rocprim5par_tENS8_11use_defaultESE_EEEENSA_INSB_IlSD_SE_SE_EEEEZNS1_13binary_searchIS3_S5_PiSG_SI_NS1_21lower_bound_search_opENS9_16wrapped_functionINS8_6system6detail7generic6detail18binary_search_lessEbEEEE10hipError_tPvRmT1_T2_T3_mmT4_T5_P12ihipStream_tbEUlRKiE_EEST_SX_SY_mSZ_S12_bEUlT_E_NS1_11comp_targetILNS1_3genE3ELNS1_11target_archE908ELNS1_3gpuE7ELNS1_3repE0EEENS1_30default_config_static_selectorELNS0_4arch9wavefront6targetE0EEEvSW_.uses_vcc, 0
	.set _ZN7rocprim17ROCPRIM_400000_NS6detail17trampoline_kernelINS0_14default_configENS1_27lower_bound_config_selectorIilEEZNS1_14transform_implILb0ES3_S5_N6thrust23THRUST_200600_302600_NS6detail15normal_iteratorINS8_7pointerIiNS8_11hip_rocprim5par_tENS8_11use_defaultESE_EEEENSA_INSB_IlSD_SE_SE_EEEEZNS1_13binary_searchIS3_S5_PiSG_SI_NS1_21lower_bound_search_opENS9_16wrapped_functionINS8_6system6detail7generic6detail18binary_search_lessEbEEEE10hipError_tPvRmT1_T2_T3_mmT4_T5_P12ihipStream_tbEUlRKiE_EEST_SX_SY_mSZ_S12_bEUlT_E_NS1_11comp_targetILNS1_3genE3ELNS1_11target_archE908ELNS1_3gpuE7ELNS1_3repE0EEENS1_30default_config_static_selectorELNS0_4arch9wavefront6targetE0EEEvSW_.uses_flat_scratch, 0
	.set _ZN7rocprim17ROCPRIM_400000_NS6detail17trampoline_kernelINS0_14default_configENS1_27lower_bound_config_selectorIilEEZNS1_14transform_implILb0ES3_S5_N6thrust23THRUST_200600_302600_NS6detail15normal_iteratorINS8_7pointerIiNS8_11hip_rocprim5par_tENS8_11use_defaultESE_EEEENSA_INSB_IlSD_SE_SE_EEEEZNS1_13binary_searchIS3_S5_PiSG_SI_NS1_21lower_bound_search_opENS9_16wrapped_functionINS8_6system6detail7generic6detail18binary_search_lessEbEEEE10hipError_tPvRmT1_T2_T3_mmT4_T5_P12ihipStream_tbEUlRKiE_EEST_SX_SY_mSZ_S12_bEUlT_E_NS1_11comp_targetILNS1_3genE3ELNS1_11target_archE908ELNS1_3gpuE7ELNS1_3repE0EEENS1_30default_config_static_selectorELNS0_4arch9wavefront6targetE0EEEvSW_.has_dyn_sized_stack, 0
	.set _ZN7rocprim17ROCPRIM_400000_NS6detail17trampoline_kernelINS0_14default_configENS1_27lower_bound_config_selectorIilEEZNS1_14transform_implILb0ES3_S5_N6thrust23THRUST_200600_302600_NS6detail15normal_iteratorINS8_7pointerIiNS8_11hip_rocprim5par_tENS8_11use_defaultESE_EEEENSA_INSB_IlSD_SE_SE_EEEEZNS1_13binary_searchIS3_S5_PiSG_SI_NS1_21lower_bound_search_opENS9_16wrapped_functionINS8_6system6detail7generic6detail18binary_search_lessEbEEEE10hipError_tPvRmT1_T2_T3_mmT4_T5_P12ihipStream_tbEUlRKiE_EEST_SX_SY_mSZ_S12_bEUlT_E_NS1_11comp_targetILNS1_3genE3ELNS1_11target_archE908ELNS1_3gpuE7ELNS1_3repE0EEENS1_30default_config_static_selectorELNS0_4arch9wavefront6targetE0EEEvSW_.has_recursion, 0
	.set _ZN7rocprim17ROCPRIM_400000_NS6detail17trampoline_kernelINS0_14default_configENS1_27lower_bound_config_selectorIilEEZNS1_14transform_implILb0ES3_S5_N6thrust23THRUST_200600_302600_NS6detail15normal_iteratorINS8_7pointerIiNS8_11hip_rocprim5par_tENS8_11use_defaultESE_EEEENSA_INSB_IlSD_SE_SE_EEEEZNS1_13binary_searchIS3_S5_PiSG_SI_NS1_21lower_bound_search_opENS9_16wrapped_functionINS8_6system6detail7generic6detail18binary_search_lessEbEEEE10hipError_tPvRmT1_T2_T3_mmT4_T5_P12ihipStream_tbEUlRKiE_EEST_SX_SY_mSZ_S12_bEUlT_E_NS1_11comp_targetILNS1_3genE3ELNS1_11target_archE908ELNS1_3gpuE7ELNS1_3repE0EEENS1_30default_config_static_selectorELNS0_4arch9wavefront6targetE0EEEvSW_.has_indirect_call, 0
	.section	.AMDGPU.csdata,"",@progbits
; Kernel info:
; codeLenInByte = 0
; TotalNumSgprs: 0
; NumVgprs: 0
; ScratchSize: 0
; MemoryBound: 0
; FloatMode: 240
; IeeeMode: 1
; LDSByteSize: 0 bytes/workgroup (compile time only)
; SGPRBlocks: 0
; VGPRBlocks: 0
; NumSGPRsForWavesPerEU: 1
; NumVGPRsForWavesPerEU: 1
; Occupancy: 16
; WaveLimiterHint : 0
; COMPUTE_PGM_RSRC2:SCRATCH_EN: 0
; COMPUTE_PGM_RSRC2:USER_SGPR: 6
; COMPUTE_PGM_RSRC2:TRAP_HANDLER: 0
; COMPUTE_PGM_RSRC2:TGID_X_EN: 1
; COMPUTE_PGM_RSRC2:TGID_Y_EN: 0
; COMPUTE_PGM_RSRC2:TGID_Z_EN: 0
; COMPUTE_PGM_RSRC2:TIDIG_COMP_CNT: 0
	.section	.text._ZN7rocprim17ROCPRIM_400000_NS6detail17trampoline_kernelINS0_14default_configENS1_27lower_bound_config_selectorIilEEZNS1_14transform_implILb0ES3_S5_N6thrust23THRUST_200600_302600_NS6detail15normal_iteratorINS8_7pointerIiNS8_11hip_rocprim5par_tENS8_11use_defaultESE_EEEENSA_INSB_IlSD_SE_SE_EEEEZNS1_13binary_searchIS3_S5_PiSG_SI_NS1_21lower_bound_search_opENS9_16wrapped_functionINS8_6system6detail7generic6detail18binary_search_lessEbEEEE10hipError_tPvRmT1_T2_T3_mmT4_T5_P12ihipStream_tbEUlRKiE_EEST_SX_SY_mSZ_S12_bEUlT_E_NS1_11comp_targetILNS1_3genE2ELNS1_11target_archE906ELNS1_3gpuE6ELNS1_3repE0EEENS1_30default_config_static_selectorELNS0_4arch9wavefront6targetE0EEEvSW_,"axG",@progbits,_ZN7rocprim17ROCPRIM_400000_NS6detail17trampoline_kernelINS0_14default_configENS1_27lower_bound_config_selectorIilEEZNS1_14transform_implILb0ES3_S5_N6thrust23THRUST_200600_302600_NS6detail15normal_iteratorINS8_7pointerIiNS8_11hip_rocprim5par_tENS8_11use_defaultESE_EEEENSA_INSB_IlSD_SE_SE_EEEEZNS1_13binary_searchIS3_S5_PiSG_SI_NS1_21lower_bound_search_opENS9_16wrapped_functionINS8_6system6detail7generic6detail18binary_search_lessEbEEEE10hipError_tPvRmT1_T2_T3_mmT4_T5_P12ihipStream_tbEUlRKiE_EEST_SX_SY_mSZ_S12_bEUlT_E_NS1_11comp_targetILNS1_3genE2ELNS1_11target_archE906ELNS1_3gpuE6ELNS1_3repE0EEENS1_30default_config_static_selectorELNS0_4arch9wavefront6targetE0EEEvSW_,comdat
	.protected	_ZN7rocprim17ROCPRIM_400000_NS6detail17trampoline_kernelINS0_14default_configENS1_27lower_bound_config_selectorIilEEZNS1_14transform_implILb0ES3_S5_N6thrust23THRUST_200600_302600_NS6detail15normal_iteratorINS8_7pointerIiNS8_11hip_rocprim5par_tENS8_11use_defaultESE_EEEENSA_INSB_IlSD_SE_SE_EEEEZNS1_13binary_searchIS3_S5_PiSG_SI_NS1_21lower_bound_search_opENS9_16wrapped_functionINS8_6system6detail7generic6detail18binary_search_lessEbEEEE10hipError_tPvRmT1_T2_T3_mmT4_T5_P12ihipStream_tbEUlRKiE_EEST_SX_SY_mSZ_S12_bEUlT_E_NS1_11comp_targetILNS1_3genE2ELNS1_11target_archE906ELNS1_3gpuE6ELNS1_3repE0EEENS1_30default_config_static_selectorELNS0_4arch9wavefront6targetE0EEEvSW_ ; -- Begin function _ZN7rocprim17ROCPRIM_400000_NS6detail17trampoline_kernelINS0_14default_configENS1_27lower_bound_config_selectorIilEEZNS1_14transform_implILb0ES3_S5_N6thrust23THRUST_200600_302600_NS6detail15normal_iteratorINS8_7pointerIiNS8_11hip_rocprim5par_tENS8_11use_defaultESE_EEEENSA_INSB_IlSD_SE_SE_EEEEZNS1_13binary_searchIS3_S5_PiSG_SI_NS1_21lower_bound_search_opENS9_16wrapped_functionINS8_6system6detail7generic6detail18binary_search_lessEbEEEE10hipError_tPvRmT1_T2_T3_mmT4_T5_P12ihipStream_tbEUlRKiE_EEST_SX_SY_mSZ_S12_bEUlT_E_NS1_11comp_targetILNS1_3genE2ELNS1_11target_archE906ELNS1_3gpuE6ELNS1_3repE0EEENS1_30default_config_static_selectorELNS0_4arch9wavefront6targetE0EEEvSW_
	.globl	_ZN7rocprim17ROCPRIM_400000_NS6detail17trampoline_kernelINS0_14default_configENS1_27lower_bound_config_selectorIilEEZNS1_14transform_implILb0ES3_S5_N6thrust23THRUST_200600_302600_NS6detail15normal_iteratorINS8_7pointerIiNS8_11hip_rocprim5par_tENS8_11use_defaultESE_EEEENSA_INSB_IlSD_SE_SE_EEEEZNS1_13binary_searchIS3_S5_PiSG_SI_NS1_21lower_bound_search_opENS9_16wrapped_functionINS8_6system6detail7generic6detail18binary_search_lessEbEEEE10hipError_tPvRmT1_T2_T3_mmT4_T5_P12ihipStream_tbEUlRKiE_EEST_SX_SY_mSZ_S12_bEUlT_E_NS1_11comp_targetILNS1_3genE2ELNS1_11target_archE906ELNS1_3gpuE6ELNS1_3repE0EEENS1_30default_config_static_selectorELNS0_4arch9wavefront6targetE0EEEvSW_
	.p2align	8
	.type	_ZN7rocprim17ROCPRIM_400000_NS6detail17trampoline_kernelINS0_14default_configENS1_27lower_bound_config_selectorIilEEZNS1_14transform_implILb0ES3_S5_N6thrust23THRUST_200600_302600_NS6detail15normal_iteratorINS8_7pointerIiNS8_11hip_rocprim5par_tENS8_11use_defaultESE_EEEENSA_INSB_IlSD_SE_SE_EEEEZNS1_13binary_searchIS3_S5_PiSG_SI_NS1_21lower_bound_search_opENS9_16wrapped_functionINS8_6system6detail7generic6detail18binary_search_lessEbEEEE10hipError_tPvRmT1_T2_T3_mmT4_T5_P12ihipStream_tbEUlRKiE_EEST_SX_SY_mSZ_S12_bEUlT_E_NS1_11comp_targetILNS1_3genE2ELNS1_11target_archE906ELNS1_3gpuE6ELNS1_3repE0EEENS1_30default_config_static_selectorELNS0_4arch9wavefront6targetE0EEEvSW_,@function
_ZN7rocprim17ROCPRIM_400000_NS6detail17trampoline_kernelINS0_14default_configENS1_27lower_bound_config_selectorIilEEZNS1_14transform_implILb0ES3_S5_N6thrust23THRUST_200600_302600_NS6detail15normal_iteratorINS8_7pointerIiNS8_11hip_rocprim5par_tENS8_11use_defaultESE_EEEENSA_INSB_IlSD_SE_SE_EEEEZNS1_13binary_searchIS3_S5_PiSG_SI_NS1_21lower_bound_search_opENS9_16wrapped_functionINS8_6system6detail7generic6detail18binary_search_lessEbEEEE10hipError_tPvRmT1_T2_T3_mmT4_T5_P12ihipStream_tbEUlRKiE_EEST_SX_SY_mSZ_S12_bEUlT_E_NS1_11comp_targetILNS1_3genE2ELNS1_11target_archE906ELNS1_3gpuE6ELNS1_3repE0EEENS1_30default_config_static_selectorELNS0_4arch9wavefront6targetE0EEEvSW_: ; @_ZN7rocprim17ROCPRIM_400000_NS6detail17trampoline_kernelINS0_14default_configENS1_27lower_bound_config_selectorIilEEZNS1_14transform_implILb0ES3_S5_N6thrust23THRUST_200600_302600_NS6detail15normal_iteratorINS8_7pointerIiNS8_11hip_rocprim5par_tENS8_11use_defaultESE_EEEENSA_INSB_IlSD_SE_SE_EEEEZNS1_13binary_searchIS3_S5_PiSG_SI_NS1_21lower_bound_search_opENS9_16wrapped_functionINS8_6system6detail7generic6detail18binary_search_lessEbEEEE10hipError_tPvRmT1_T2_T3_mmT4_T5_P12ihipStream_tbEUlRKiE_EEST_SX_SY_mSZ_S12_bEUlT_E_NS1_11comp_targetILNS1_3genE2ELNS1_11target_archE906ELNS1_3gpuE6ELNS1_3repE0EEENS1_30default_config_static_selectorELNS0_4arch9wavefront6targetE0EEEvSW_
; %bb.0:
	.section	.rodata,"a",@progbits
	.p2align	6, 0x0
	.amdhsa_kernel _ZN7rocprim17ROCPRIM_400000_NS6detail17trampoline_kernelINS0_14default_configENS1_27lower_bound_config_selectorIilEEZNS1_14transform_implILb0ES3_S5_N6thrust23THRUST_200600_302600_NS6detail15normal_iteratorINS8_7pointerIiNS8_11hip_rocprim5par_tENS8_11use_defaultESE_EEEENSA_INSB_IlSD_SE_SE_EEEEZNS1_13binary_searchIS3_S5_PiSG_SI_NS1_21lower_bound_search_opENS9_16wrapped_functionINS8_6system6detail7generic6detail18binary_search_lessEbEEEE10hipError_tPvRmT1_T2_T3_mmT4_T5_P12ihipStream_tbEUlRKiE_EEST_SX_SY_mSZ_S12_bEUlT_E_NS1_11comp_targetILNS1_3genE2ELNS1_11target_archE906ELNS1_3gpuE6ELNS1_3repE0EEENS1_30default_config_static_selectorELNS0_4arch9wavefront6targetE0EEEvSW_
		.amdhsa_group_segment_fixed_size 0
		.amdhsa_private_segment_fixed_size 0
		.amdhsa_kernarg_size 56
		.amdhsa_user_sgpr_count 6
		.amdhsa_user_sgpr_private_segment_buffer 1
		.amdhsa_user_sgpr_dispatch_ptr 0
		.amdhsa_user_sgpr_queue_ptr 0
		.amdhsa_user_sgpr_kernarg_segment_ptr 1
		.amdhsa_user_sgpr_dispatch_id 0
		.amdhsa_user_sgpr_flat_scratch_init 0
		.amdhsa_user_sgpr_private_segment_size 0
		.amdhsa_wavefront_size32 1
		.amdhsa_uses_dynamic_stack 0
		.amdhsa_system_sgpr_private_segment_wavefront_offset 0
		.amdhsa_system_sgpr_workgroup_id_x 1
		.amdhsa_system_sgpr_workgroup_id_y 0
		.amdhsa_system_sgpr_workgroup_id_z 0
		.amdhsa_system_sgpr_workgroup_info 0
		.amdhsa_system_vgpr_workitem_id 0
		.amdhsa_next_free_vgpr 1
		.amdhsa_next_free_sgpr 1
		.amdhsa_reserve_vcc 0
		.amdhsa_reserve_flat_scratch 0
		.amdhsa_float_round_mode_32 0
		.amdhsa_float_round_mode_16_64 0
		.amdhsa_float_denorm_mode_32 3
		.amdhsa_float_denorm_mode_16_64 3
		.amdhsa_dx10_clamp 1
		.amdhsa_ieee_mode 1
		.amdhsa_fp16_overflow 0
		.amdhsa_workgroup_processor_mode 1
		.amdhsa_memory_ordered 1
		.amdhsa_forward_progress 1
		.amdhsa_shared_vgpr_count 0
		.amdhsa_exception_fp_ieee_invalid_op 0
		.amdhsa_exception_fp_denorm_src 0
		.amdhsa_exception_fp_ieee_div_zero 0
		.amdhsa_exception_fp_ieee_overflow 0
		.amdhsa_exception_fp_ieee_underflow 0
		.amdhsa_exception_fp_ieee_inexact 0
		.amdhsa_exception_int_div_zero 0
	.end_amdhsa_kernel
	.section	.text._ZN7rocprim17ROCPRIM_400000_NS6detail17trampoline_kernelINS0_14default_configENS1_27lower_bound_config_selectorIilEEZNS1_14transform_implILb0ES3_S5_N6thrust23THRUST_200600_302600_NS6detail15normal_iteratorINS8_7pointerIiNS8_11hip_rocprim5par_tENS8_11use_defaultESE_EEEENSA_INSB_IlSD_SE_SE_EEEEZNS1_13binary_searchIS3_S5_PiSG_SI_NS1_21lower_bound_search_opENS9_16wrapped_functionINS8_6system6detail7generic6detail18binary_search_lessEbEEEE10hipError_tPvRmT1_T2_T3_mmT4_T5_P12ihipStream_tbEUlRKiE_EEST_SX_SY_mSZ_S12_bEUlT_E_NS1_11comp_targetILNS1_3genE2ELNS1_11target_archE906ELNS1_3gpuE6ELNS1_3repE0EEENS1_30default_config_static_selectorELNS0_4arch9wavefront6targetE0EEEvSW_,"axG",@progbits,_ZN7rocprim17ROCPRIM_400000_NS6detail17trampoline_kernelINS0_14default_configENS1_27lower_bound_config_selectorIilEEZNS1_14transform_implILb0ES3_S5_N6thrust23THRUST_200600_302600_NS6detail15normal_iteratorINS8_7pointerIiNS8_11hip_rocprim5par_tENS8_11use_defaultESE_EEEENSA_INSB_IlSD_SE_SE_EEEEZNS1_13binary_searchIS3_S5_PiSG_SI_NS1_21lower_bound_search_opENS9_16wrapped_functionINS8_6system6detail7generic6detail18binary_search_lessEbEEEE10hipError_tPvRmT1_T2_T3_mmT4_T5_P12ihipStream_tbEUlRKiE_EEST_SX_SY_mSZ_S12_bEUlT_E_NS1_11comp_targetILNS1_3genE2ELNS1_11target_archE906ELNS1_3gpuE6ELNS1_3repE0EEENS1_30default_config_static_selectorELNS0_4arch9wavefront6targetE0EEEvSW_,comdat
.Lfunc_end136:
	.size	_ZN7rocprim17ROCPRIM_400000_NS6detail17trampoline_kernelINS0_14default_configENS1_27lower_bound_config_selectorIilEEZNS1_14transform_implILb0ES3_S5_N6thrust23THRUST_200600_302600_NS6detail15normal_iteratorINS8_7pointerIiNS8_11hip_rocprim5par_tENS8_11use_defaultESE_EEEENSA_INSB_IlSD_SE_SE_EEEEZNS1_13binary_searchIS3_S5_PiSG_SI_NS1_21lower_bound_search_opENS9_16wrapped_functionINS8_6system6detail7generic6detail18binary_search_lessEbEEEE10hipError_tPvRmT1_T2_T3_mmT4_T5_P12ihipStream_tbEUlRKiE_EEST_SX_SY_mSZ_S12_bEUlT_E_NS1_11comp_targetILNS1_3genE2ELNS1_11target_archE906ELNS1_3gpuE6ELNS1_3repE0EEENS1_30default_config_static_selectorELNS0_4arch9wavefront6targetE0EEEvSW_, .Lfunc_end136-_ZN7rocprim17ROCPRIM_400000_NS6detail17trampoline_kernelINS0_14default_configENS1_27lower_bound_config_selectorIilEEZNS1_14transform_implILb0ES3_S5_N6thrust23THRUST_200600_302600_NS6detail15normal_iteratorINS8_7pointerIiNS8_11hip_rocprim5par_tENS8_11use_defaultESE_EEEENSA_INSB_IlSD_SE_SE_EEEEZNS1_13binary_searchIS3_S5_PiSG_SI_NS1_21lower_bound_search_opENS9_16wrapped_functionINS8_6system6detail7generic6detail18binary_search_lessEbEEEE10hipError_tPvRmT1_T2_T3_mmT4_T5_P12ihipStream_tbEUlRKiE_EEST_SX_SY_mSZ_S12_bEUlT_E_NS1_11comp_targetILNS1_3genE2ELNS1_11target_archE906ELNS1_3gpuE6ELNS1_3repE0EEENS1_30default_config_static_selectorELNS0_4arch9wavefront6targetE0EEEvSW_
                                        ; -- End function
	.set _ZN7rocprim17ROCPRIM_400000_NS6detail17trampoline_kernelINS0_14default_configENS1_27lower_bound_config_selectorIilEEZNS1_14transform_implILb0ES3_S5_N6thrust23THRUST_200600_302600_NS6detail15normal_iteratorINS8_7pointerIiNS8_11hip_rocprim5par_tENS8_11use_defaultESE_EEEENSA_INSB_IlSD_SE_SE_EEEEZNS1_13binary_searchIS3_S5_PiSG_SI_NS1_21lower_bound_search_opENS9_16wrapped_functionINS8_6system6detail7generic6detail18binary_search_lessEbEEEE10hipError_tPvRmT1_T2_T3_mmT4_T5_P12ihipStream_tbEUlRKiE_EEST_SX_SY_mSZ_S12_bEUlT_E_NS1_11comp_targetILNS1_3genE2ELNS1_11target_archE906ELNS1_3gpuE6ELNS1_3repE0EEENS1_30default_config_static_selectorELNS0_4arch9wavefront6targetE0EEEvSW_.num_vgpr, 0
	.set _ZN7rocprim17ROCPRIM_400000_NS6detail17trampoline_kernelINS0_14default_configENS1_27lower_bound_config_selectorIilEEZNS1_14transform_implILb0ES3_S5_N6thrust23THRUST_200600_302600_NS6detail15normal_iteratorINS8_7pointerIiNS8_11hip_rocprim5par_tENS8_11use_defaultESE_EEEENSA_INSB_IlSD_SE_SE_EEEEZNS1_13binary_searchIS3_S5_PiSG_SI_NS1_21lower_bound_search_opENS9_16wrapped_functionINS8_6system6detail7generic6detail18binary_search_lessEbEEEE10hipError_tPvRmT1_T2_T3_mmT4_T5_P12ihipStream_tbEUlRKiE_EEST_SX_SY_mSZ_S12_bEUlT_E_NS1_11comp_targetILNS1_3genE2ELNS1_11target_archE906ELNS1_3gpuE6ELNS1_3repE0EEENS1_30default_config_static_selectorELNS0_4arch9wavefront6targetE0EEEvSW_.num_agpr, 0
	.set _ZN7rocprim17ROCPRIM_400000_NS6detail17trampoline_kernelINS0_14default_configENS1_27lower_bound_config_selectorIilEEZNS1_14transform_implILb0ES3_S5_N6thrust23THRUST_200600_302600_NS6detail15normal_iteratorINS8_7pointerIiNS8_11hip_rocprim5par_tENS8_11use_defaultESE_EEEENSA_INSB_IlSD_SE_SE_EEEEZNS1_13binary_searchIS3_S5_PiSG_SI_NS1_21lower_bound_search_opENS9_16wrapped_functionINS8_6system6detail7generic6detail18binary_search_lessEbEEEE10hipError_tPvRmT1_T2_T3_mmT4_T5_P12ihipStream_tbEUlRKiE_EEST_SX_SY_mSZ_S12_bEUlT_E_NS1_11comp_targetILNS1_3genE2ELNS1_11target_archE906ELNS1_3gpuE6ELNS1_3repE0EEENS1_30default_config_static_selectorELNS0_4arch9wavefront6targetE0EEEvSW_.numbered_sgpr, 0
	.set _ZN7rocprim17ROCPRIM_400000_NS6detail17trampoline_kernelINS0_14default_configENS1_27lower_bound_config_selectorIilEEZNS1_14transform_implILb0ES3_S5_N6thrust23THRUST_200600_302600_NS6detail15normal_iteratorINS8_7pointerIiNS8_11hip_rocprim5par_tENS8_11use_defaultESE_EEEENSA_INSB_IlSD_SE_SE_EEEEZNS1_13binary_searchIS3_S5_PiSG_SI_NS1_21lower_bound_search_opENS9_16wrapped_functionINS8_6system6detail7generic6detail18binary_search_lessEbEEEE10hipError_tPvRmT1_T2_T3_mmT4_T5_P12ihipStream_tbEUlRKiE_EEST_SX_SY_mSZ_S12_bEUlT_E_NS1_11comp_targetILNS1_3genE2ELNS1_11target_archE906ELNS1_3gpuE6ELNS1_3repE0EEENS1_30default_config_static_selectorELNS0_4arch9wavefront6targetE0EEEvSW_.num_named_barrier, 0
	.set _ZN7rocprim17ROCPRIM_400000_NS6detail17trampoline_kernelINS0_14default_configENS1_27lower_bound_config_selectorIilEEZNS1_14transform_implILb0ES3_S5_N6thrust23THRUST_200600_302600_NS6detail15normal_iteratorINS8_7pointerIiNS8_11hip_rocprim5par_tENS8_11use_defaultESE_EEEENSA_INSB_IlSD_SE_SE_EEEEZNS1_13binary_searchIS3_S5_PiSG_SI_NS1_21lower_bound_search_opENS9_16wrapped_functionINS8_6system6detail7generic6detail18binary_search_lessEbEEEE10hipError_tPvRmT1_T2_T3_mmT4_T5_P12ihipStream_tbEUlRKiE_EEST_SX_SY_mSZ_S12_bEUlT_E_NS1_11comp_targetILNS1_3genE2ELNS1_11target_archE906ELNS1_3gpuE6ELNS1_3repE0EEENS1_30default_config_static_selectorELNS0_4arch9wavefront6targetE0EEEvSW_.private_seg_size, 0
	.set _ZN7rocprim17ROCPRIM_400000_NS6detail17trampoline_kernelINS0_14default_configENS1_27lower_bound_config_selectorIilEEZNS1_14transform_implILb0ES3_S5_N6thrust23THRUST_200600_302600_NS6detail15normal_iteratorINS8_7pointerIiNS8_11hip_rocprim5par_tENS8_11use_defaultESE_EEEENSA_INSB_IlSD_SE_SE_EEEEZNS1_13binary_searchIS3_S5_PiSG_SI_NS1_21lower_bound_search_opENS9_16wrapped_functionINS8_6system6detail7generic6detail18binary_search_lessEbEEEE10hipError_tPvRmT1_T2_T3_mmT4_T5_P12ihipStream_tbEUlRKiE_EEST_SX_SY_mSZ_S12_bEUlT_E_NS1_11comp_targetILNS1_3genE2ELNS1_11target_archE906ELNS1_3gpuE6ELNS1_3repE0EEENS1_30default_config_static_selectorELNS0_4arch9wavefront6targetE0EEEvSW_.uses_vcc, 0
	.set _ZN7rocprim17ROCPRIM_400000_NS6detail17trampoline_kernelINS0_14default_configENS1_27lower_bound_config_selectorIilEEZNS1_14transform_implILb0ES3_S5_N6thrust23THRUST_200600_302600_NS6detail15normal_iteratorINS8_7pointerIiNS8_11hip_rocprim5par_tENS8_11use_defaultESE_EEEENSA_INSB_IlSD_SE_SE_EEEEZNS1_13binary_searchIS3_S5_PiSG_SI_NS1_21lower_bound_search_opENS9_16wrapped_functionINS8_6system6detail7generic6detail18binary_search_lessEbEEEE10hipError_tPvRmT1_T2_T3_mmT4_T5_P12ihipStream_tbEUlRKiE_EEST_SX_SY_mSZ_S12_bEUlT_E_NS1_11comp_targetILNS1_3genE2ELNS1_11target_archE906ELNS1_3gpuE6ELNS1_3repE0EEENS1_30default_config_static_selectorELNS0_4arch9wavefront6targetE0EEEvSW_.uses_flat_scratch, 0
	.set _ZN7rocprim17ROCPRIM_400000_NS6detail17trampoline_kernelINS0_14default_configENS1_27lower_bound_config_selectorIilEEZNS1_14transform_implILb0ES3_S5_N6thrust23THRUST_200600_302600_NS6detail15normal_iteratorINS8_7pointerIiNS8_11hip_rocprim5par_tENS8_11use_defaultESE_EEEENSA_INSB_IlSD_SE_SE_EEEEZNS1_13binary_searchIS3_S5_PiSG_SI_NS1_21lower_bound_search_opENS9_16wrapped_functionINS8_6system6detail7generic6detail18binary_search_lessEbEEEE10hipError_tPvRmT1_T2_T3_mmT4_T5_P12ihipStream_tbEUlRKiE_EEST_SX_SY_mSZ_S12_bEUlT_E_NS1_11comp_targetILNS1_3genE2ELNS1_11target_archE906ELNS1_3gpuE6ELNS1_3repE0EEENS1_30default_config_static_selectorELNS0_4arch9wavefront6targetE0EEEvSW_.has_dyn_sized_stack, 0
	.set _ZN7rocprim17ROCPRIM_400000_NS6detail17trampoline_kernelINS0_14default_configENS1_27lower_bound_config_selectorIilEEZNS1_14transform_implILb0ES3_S5_N6thrust23THRUST_200600_302600_NS6detail15normal_iteratorINS8_7pointerIiNS8_11hip_rocprim5par_tENS8_11use_defaultESE_EEEENSA_INSB_IlSD_SE_SE_EEEEZNS1_13binary_searchIS3_S5_PiSG_SI_NS1_21lower_bound_search_opENS9_16wrapped_functionINS8_6system6detail7generic6detail18binary_search_lessEbEEEE10hipError_tPvRmT1_T2_T3_mmT4_T5_P12ihipStream_tbEUlRKiE_EEST_SX_SY_mSZ_S12_bEUlT_E_NS1_11comp_targetILNS1_3genE2ELNS1_11target_archE906ELNS1_3gpuE6ELNS1_3repE0EEENS1_30default_config_static_selectorELNS0_4arch9wavefront6targetE0EEEvSW_.has_recursion, 0
	.set _ZN7rocprim17ROCPRIM_400000_NS6detail17trampoline_kernelINS0_14default_configENS1_27lower_bound_config_selectorIilEEZNS1_14transform_implILb0ES3_S5_N6thrust23THRUST_200600_302600_NS6detail15normal_iteratorINS8_7pointerIiNS8_11hip_rocprim5par_tENS8_11use_defaultESE_EEEENSA_INSB_IlSD_SE_SE_EEEEZNS1_13binary_searchIS3_S5_PiSG_SI_NS1_21lower_bound_search_opENS9_16wrapped_functionINS8_6system6detail7generic6detail18binary_search_lessEbEEEE10hipError_tPvRmT1_T2_T3_mmT4_T5_P12ihipStream_tbEUlRKiE_EEST_SX_SY_mSZ_S12_bEUlT_E_NS1_11comp_targetILNS1_3genE2ELNS1_11target_archE906ELNS1_3gpuE6ELNS1_3repE0EEENS1_30default_config_static_selectorELNS0_4arch9wavefront6targetE0EEEvSW_.has_indirect_call, 0
	.section	.AMDGPU.csdata,"",@progbits
; Kernel info:
; codeLenInByte = 0
; TotalNumSgprs: 0
; NumVgprs: 0
; ScratchSize: 0
; MemoryBound: 0
; FloatMode: 240
; IeeeMode: 1
; LDSByteSize: 0 bytes/workgroup (compile time only)
; SGPRBlocks: 0
; VGPRBlocks: 0
; NumSGPRsForWavesPerEU: 1
; NumVGPRsForWavesPerEU: 1
; Occupancy: 16
; WaveLimiterHint : 0
; COMPUTE_PGM_RSRC2:SCRATCH_EN: 0
; COMPUTE_PGM_RSRC2:USER_SGPR: 6
; COMPUTE_PGM_RSRC2:TRAP_HANDLER: 0
; COMPUTE_PGM_RSRC2:TGID_X_EN: 1
; COMPUTE_PGM_RSRC2:TGID_Y_EN: 0
; COMPUTE_PGM_RSRC2:TGID_Z_EN: 0
; COMPUTE_PGM_RSRC2:TIDIG_COMP_CNT: 0
	.section	.text._ZN7rocprim17ROCPRIM_400000_NS6detail17trampoline_kernelINS0_14default_configENS1_27lower_bound_config_selectorIilEEZNS1_14transform_implILb0ES3_S5_N6thrust23THRUST_200600_302600_NS6detail15normal_iteratorINS8_7pointerIiNS8_11hip_rocprim5par_tENS8_11use_defaultESE_EEEENSA_INSB_IlSD_SE_SE_EEEEZNS1_13binary_searchIS3_S5_PiSG_SI_NS1_21lower_bound_search_opENS9_16wrapped_functionINS8_6system6detail7generic6detail18binary_search_lessEbEEEE10hipError_tPvRmT1_T2_T3_mmT4_T5_P12ihipStream_tbEUlRKiE_EEST_SX_SY_mSZ_S12_bEUlT_E_NS1_11comp_targetILNS1_3genE10ELNS1_11target_archE1201ELNS1_3gpuE5ELNS1_3repE0EEENS1_30default_config_static_selectorELNS0_4arch9wavefront6targetE0EEEvSW_,"axG",@progbits,_ZN7rocprim17ROCPRIM_400000_NS6detail17trampoline_kernelINS0_14default_configENS1_27lower_bound_config_selectorIilEEZNS1_14transform_implILb0ES3_S5_N6thrust23THRUST_200600_302600_NS6detail15normal_iteratorINS8_7pointerIiNS8_11hip_rocprim5par_tENS8_11use_defaultESE_EEEENSA_INSB_IlSD_SE_SE_EEEEZNS1_13binary_searchIS3_S5_PiSG_SI_NS1_21lower_bound_search_opENS9_16wrapped_functionINS8_6system6detail7generic6detail18binary_search_lessEbEEEE10hipError_tPvRmT1_T2_T3_mmT4_T5_P12ihipStream_tbEUlRKiE_EEST_SX_SY_mSZ_S12_bEUlT_E_NS1_11comp_targetILNS1_3genE10ELNS1_11target_archE1201ELNS1_3gpuE5ELNS1_3repE0EEENS1_30default_config_static_selectorELNS0_4arch9wavefront6targetE0EEEvSW_,comdat
	.protected	_ZN7rocprim17ROCPRIM_400000_NS6detail17trampoline_kernelINS0_14default_configENS1_27lower_bound_config_selectorIilEEZNS1_14transform_implILb0ES3_S5_N6thrust23THRUST_200600_302600_NS6detail15normal_iteratorINS8_7pointerIiNS8_11hip_rocprim5par_tENS8_11use_defaultESE_EEEENSA_INSB_IlSD_SE_SE_EEEEZNS1_13binary_searchIS3_S5_PiSG_SI_NS1_21lower_bound_search_opENS9_16wrapped_functionINS8_6system6detail7generic6detail18binary_search_lessEbEEEE10hipError_tPvRmT1_T2_T3_mmT4_T5_P12ihipStream_tbEUlRKiE_EEST_SX_SY_mSZ_S12_bEUlT_E_NS1_11comp_targetILNS1_3genE10ELNS1_11target_archE1201ELNS1_3gpuE5ELNS1_3repE0EEENS1_30default_config_static_selectorELNS0_4arch9wavefront6targetE0EEEvSW_ ; -- Begin function _ZN7rocprim17ROCPRIM_400000_NS6detail17trampoline_kernelINS0_14default_configENS1_27lower_bound_config_selectorIilEEZNS1_14transform_implILb0ES3_S5_N6thrust23THRUST_200600_302600_NS6detail15normal_iteratorINS8_7pointerIiNS8_11hip_rocprim5par_tENS8_11use_defaultESE_EEEENSA_INSB_IlSD_SE_SE_EEEEZNS1_13binary_searchIS3_S5_PiSG_SI_NS1_21lower_bound_search_opENS9_16wrapped_functionINS8_6system6detail7generic6detail18binary_search_lessEbEEEE10hipError_tPvRmT1_T2_T3_mmT4_T5_P12ihipStream_tbEUlRKiE_EEST_SX_SY_mSZ_S12_bEUlT_E_NS1_11comp_targetILNS1_3genE10ELNS1_11target_archE1201ELNS1_3gpuE5ELNS1_3repE0EEENS1_30default_config_static_selectorELNS0_4arch9wavefront6targetE0EEEvSW_
	.globl	_ZN7rocprim17ROCPRIM_400000_NS6detail17trampoline_kernelINS0_14default_configENS1_27lower_bound_config_selectorIilEEZNS1_14transform_implILb0ES3_S5_N6thrust23THRUST_200600_302600_NS6detail15normal_iteratorINS8_7pointerIiNS8_11hip_rocprim5par_tENS8_11use_defaultESE_EEEENSA_INSB_IlSD_SE_SE_EEEEZNS1_13binary_searchIS3_S5_PiSG_SI_NS1_21lower_bound_search_opENS9_16wrapped_functionINS8_6system6detail7generic6detail18binary_search_lessEbEEEE10hipError_tPvRmT1_T2_T3_mmT4_T5_P12ihipStream_tbEUlRKiE_EEST_SX_SY_mSZ_S12_bEUlT_E_NS1_11comp_targetILNS1_3genE10ELNS1_11target_archE1201ELNS1_3gpuE5ELNS1_3repE0EEENS1_30default_config_static_selectorELNS0_4arch9wavefront6targetE0EEEvSW_
	.p2align	8
	.type	_ZN7rocprim17ROCPRIM_400000_NS6detail17trampoline_kernelINS0_14default_configENS1_27lower_bound_config_selectorIilEEZNS1_14transform_implILb0ES3_S5_N6thrust23THRUST_200600_302600_NS6detail15normal_iteratorINS8_7pointerIiNS8_11hip_rocprim5par_tENS8_11use_defaultESE_EEEENSA_INSB_IlSD_SE_SE_EEEEZNS1_13binary_searchIS3_S5_PiSG_SI_NS1_21lower_bound_search_opENS9_16wrapped_functionINS8_6system6detail7generic6detail18binary_search_lessEbEEEE10hipError_tPvRmT1_T2_T3_mmT4_T5_P12ihipStream_tbEUlRKiE_EEST_SX_SY_mSZ_S12_bEUlT_E_NS1_11comp_targetILNS1_3genE10ELNS1_11target_archE1201ELNS1_3gpuE5ELNS1_3repE0EEENS1_30default_config_static_selectorELNS0_4arch9wavefront6targetE0EEEvSW_,@function
_ZN7rocprim17ROCPRIM_400000_NS6detail17trampoline_kernelINS0_14default_configENS1_27lower_bound_config_selectorIilEEZNS1_14transform_implILb0ES3_S5_N6thrust23THRUST_200600_302600_NS6detail15normal_iteratorINS8_7pointerIiNS8_11hip_rocprim5par_tENS8_11use_defaultESE_EEEENSA_INSB_IlSD_SE_SE_EEEEZNS1_13binary_searchIS3_S5_PiSG_SI_NS1_21lower_bound_search_opENS9_16wrapped_functionINS8_6system6detail7generic6detail18binary_search_lessEbEEEE10hipError_tPvRmT1_T2_T3_mmT4_T5_P12ihipStream_tbEUlRKiE_EEST_SX_SY_mSZ_S12_bEUlT_E_NS1_11comp_targetILNS1_3genE10ELNS1_11target_archE1201ELNS1_3gpuE5ELNS1_3repE0EEENS1_30default_config_static_selectorELNS0_4arch9wavefront6targetE0EEEvSW_: ; @_ZN7rocprim17ROCPRIM_400000_NS6detail17trampoline_kernelINS0_14default_configENS1_27lower_bound_config_selectorIilEEZNS1_14transform_implILb0ES3_S5_N6thrust23THRUST_200600_302600_NS6detail15normal_iteratorINS8_7pointerIiNS8_11hip_rocprim5par_tENS8_11use_defaultESE_EEEENSA_INSB_IlSD_SE_SE_EEEEZNS1_13binary_searchIS3_S5_PiSG_SI_NS1_21lower_bound_search_opENS9_16wrapped_functionINS8_6system6detail7generic6detail18binary_search_lessEbEEEE10hipError_tPvRmT1_T2_T3_mmT4_T5_P12ihipStream_tbEUlRKiE_EEST_SX_SY_mSZ_S12_bEUlT_E_NS1_11comp_targetILNS1_3genE10ELNS1_11target_archE1201ELNS1_3gpuE5ELNS1_3repE0EEENS1_30default_config_static_selectorELNS0_4arch9wavefront6targetE0EEEvSW_
; %bb.0:
	.section	.rodata,"a",@progbits
	.p2align	6, 0x0
	.amdhsa_kernel _ZN7rocprim17ROCPRIM_400000_NS6detail17trampoline_kernelINS0_14default_configENS1_27lower_bound_config_selectorIilEEZNS1_14transform_implILb0ES3_S5_N6thrust23THRUST_200600_302600_NS6detail15normal_iteratorINS8_7pointerIiNS8_11hip_rocprim5par_tENS8_11use_defaultESE_EEEENSA_INSB_IlSD_SE_SE_EEEEZNS1_13binary_searchIS3_S5_PiSG_SI_NS1_21lower_bound_search_opENS9_16wrapped_functionINS8_6system6detail7generic6detail18binary_search_lessEbEEEE10hipError_tPvRmT1_T2_T3_mmT4_T5_P12ihipStream_tbEUlRKiE_EEST_SX_SY_mSZ_S12_bEUlT_E_NS1_11comp_targetILNS1_3genE10ELNS1_11target_archE1201ELNS1_3gpuE5ELNS1_3repE0EEENS1_30default_config_static_selectorELNS0_4arch9wavefront6targetE0EEEvSW_
		.amdhsa_group_segment_fixed_size 0
		.amdhsa_private_segment_fixed_size 0
		.amdhsa_kernarg_size 56
		.amdhsa_user_sgpr_count 6
		.amdhsa_user_sgpr_private_segment_buffer 1
		.amdhsa_user_sgpr_dispatch_ptr 0
		.amdhsa_user_sgpr_queue_ptr 0
		.amdhsa_user_sgpr_kernarg_segment_ptr 1
		.amdhsa_user_sgpr_dispatch_id 0
		.amdhsa_user_sgpr_flat_scratch_init 0
		.amdhsa_user_sgpr_private_segment_size 0
		.amdhsa_wavefront_size32 1
		.amdhsa_uses_dynamic_stack 0
		.amdhsa_system_sgpr_private_segment_wavefront_offset 0
		.amdhsa_system_sgpr_workgroup_id_x 1
		.amdhsa_system_sgpr_workgroup_id_y 0
		.amdhsa_system_sgpr_workgroup_id_z 0
		.amdhsa_system_sgpr_workgroup_info 0
		.amdhsa_system_vgpr_workitem_id 0
		.amdhsa_next_free_vgpr 1
		.amdhsa_next_free_sgpr 1
		.amdhsa_reserve_vcc 0
		.amdhsa_reserve_flat_scratch 0
		.amdhsa_float_round_mode_32 0
		.amdhsa_float_round_mode_16_64 0
		.amdhsa_float_denorm_mode_32 3
		.amdhsa_float_denorm_mode_16_64 3
		.amdhsa_dx10_clamp 1
		.amdhsa_ieee_mode 1
		.amdhsa_fp16_overflow 0
		.amdhsa_workgroup_processor_mode 1
		.amdhsa_memory_ordered 1
		.amdhsa_forward_progress 1
		.amdhsa_shared_vgpr_count 0
		.amdhsa_exception_fp_ieee_invalid_op 0
		.amdhsa_exception_fp_denorm_src 0
		.amdhsa_exception_fp_ieee_div_zero 0
		.amdhsa_exception_fp_ieee_overflow 0
		.amdhsa_exception_fp_ieee_underflow 0
		.amdhsa_exception_fp_ieee_inexact 0
		.amdhsa_exception_int_div_zero 0
	.end_amdhsa_kernel
	.section	.text._ZN7rocprim17ROCPRIM_400000_NS6detail17trampoline_kernelINS0_14default_configENS1_27lower_bound_config_selectorIilEEZNS1_14transform_implILb0ES3_S5_N6thrust23THRUST_200600_302600_NS6detail15normal_iteratorINS8_7pointerIiNS8_11hip_rocprim5par_tENS8_11use_defaultESE_EEEENSA_INSB_IlSD_SE_SE_EEEEZNS1_13binary_searchIS3_S5_PiSG_SI_NS1_21lower_bound_search_opENS9_16wrapped_functionINS8_6system6detail7generic6detail18binary_search_lessEbEEEE10hipError_tPvRmT1_T2_T3_mmT4_T5_P12ihipStream_tbEUlRKiE_EEST_SX_SY_mSZ_S12_bEUlT_E_NS1_11comp_targetILNS1_3genE10ELNS1_11target_archE1201ELNS1_3gpuE5ELNS1_3repE0EEENS1_30default_config_static_selectorELNS0_4arch9wavefront6targetE0EEEvSW_,"axG",@progbits,_ZN7rocprim17ROCPRIM_400000_NS6detail17trampoline_kernelINS0_14default_configENS1_27lower_bound_config_selectorIilEEZNS1_14transform_implILb0ES3_S5_N6thrust23THRUST_200600_302600_NS6detail15normal_iteratorINS8_7pointerIiNS8_11hip_rocprim5par_tENS8_11use_defaultESE_EEEENSA_INSB_IlSD_SE_SE_EEEEZNS1_13binary_searchIS3_S5_PiSG_SI_NS1_21lower_bound_search_opENS9_16wrapped_functionINS8_6system6detail7generic6detail18binary_search_lessEbEEEE10hipError_tPvRmT1_T2_T3_mmT4_T5_P12ihipStream_tbEUlRKiE_EEST_SX_SY_mSZ_S12_bEUlT_E_NS1_11comp_targetILNS1_3genE10ELNS1_11target_archE1201ELNS1_3gpuE5ELNS1_3repE0EEENS1_30default_config_static_selectorELNS0_4arch9wavefront6targetE0EEEvSW_,comdat
.Lfunc_end137:
	.size	_ZN7rocprim17ROCPRIM_400000_NS6detail17trampoline_kernelINS0_14default_configENS1_27lower_bound_config_selectorIilEEZNS1_14transform_implILb0ES3_S5_N6thrust23THRUST_200600_302600_NS6detail15normal_iteratorINS8_7pointerIiNS8_11hip_rocprim5par_tENS8_11use_defaultESE_EEEENSA_INSB_IlSD_SE_SE_EEEEZNS1_13binary_searchIS3_S5_PiSG_SI_NS1_21lower_bound_search_opENS9_16wrapped_functionINS8_6system6detail7generic6detail18binary_search_lessEbEEEE10hipError_tPvRmT1_T2_T3_mmT4_T5_P12ihipStream_tbEUlRKiE_EEST_SX_SY_mSZ_S12_bEUlT_E_NS1_11comp_targetILNS1_3genE10ELNS1_11target_archE1201ELNS1_3gpuE5ELNS1_3repE0EEENS1_30default_config_static_selectorELNS0_4arch9wavefront6targetE0EEEvSW_, .Lfunc_end137-_ZN7rocprim17ROCPRIM_400000_NS6detail17trampoline_kernelINS0_14default_configENS1_27lower_bound_config_selectorIilEEZNS1_14transform_implILb0ES3_S5_N6thrust23THRUST_200600_302600_NS6detail15normal_iteratorINS8_7pointerIiNS8_11hip_rocprim5par_tENS8_11use_defaultESE_EEEENSA_INSB_IlSD_SE_SE_EEEEZNS1_13binary_searchIS3_S5_PiSG_SI_NS1_21lower_bound_search_opENS9_16wrapped_functionINS8_6system6detail7generic6detail18binary_search_lessEbEEEE10hipError_tPvRmT1_T2_T3_mmT4_T5_P12ihipStream_tbEUlRKiE_EEST_SX_SY_mSZ_S12_bEUlT_E_NS1_11comp_targetILNS1_3genE10ELNS1_11target_archE1201ELNS1_3gpuE5ELNS1_3repE0EEENS1_30default_config_static_selectorELNS0_4arch9wavefront6targetE0EEEvSW_
                                        ; -- End function
	.set _ZN7rocprim17ROCPRIM_400000_NS6detail17trampoline_kernelINS0_14default_configENS1_27lower_bound_config_selectorIilEEZNS1_14transform_implILb0ES3_S5_N6thrust23THRUST_200600_302600_NS6detail15normal_iteratorINS8_7pointerIiNS8_11hip_rocprim5par_tENS8_11use_defaultESE_EEEENSA_INSB_IlSD_SE_SE_EEEEZNS1_13binary_searchIS3_S5_PiSG_SI_NS1_21lower_bound_search_opENS9_16wrapped_functionINS8_6system6detail7generic6detail18binary_search_lessEbEEEE10hipError_tPvRmT1_T2_T3_mmT4_T5_P12ihipStream_tbEUlRKiE_EEST_SX_SY_mSZ_S12_bEUlT_E_NS1_11comp_targetILNS1_3genE10ELNS1_11target_archE1201ELNS1_3gpuE5ELNS1_3repE0EEENS1_30default_config_static_selectorELNS0_4arch9wavefront6targetE0EEEvSW_.num_vgpr, 0
	.set _ZN7rocprim17ROCPRIM_400000_NS6detail17trampoline_kernelINS0_14default_configENS1_27lower_bound_config_selectorIilEEZNS1_14transform_implILb0ES3_S5_N6thrust23THRUST_200600_302600_NS6detail15normal_iteratorINS8_7pointerIiNS8_11hip_rocprim5par_tENS8_11use_defaultESE_EEEENSA_INSB_IlSD_SE_SE_EEEEZNS1_13binary_searchIS3_S5_PiSG_SI_NS1_21lower_bound_search_opENS9_16wrapped_functionINS8_6system6detail7generic6detail18binary_search_lessEbEEEE10hipError_tPvRmT1_T2_T3_mmT4_T5_P12ihipStream_tbEUlRKiE_EEST_SX_SY_mSZ_S12_bEUlT_E_NS1_11comp_targetILNS1_3genE10ELNS1_11target_archE1201ELNS1_3gpuE5ELNS1_3repE0EEENS1_30default_config_static_selectorELNS0_4arch9wavefront6targetE0EEEvSW_.num_agpr, 0
	.set _ZN7rocprim17ROCPRIM_400000_NS6detail17trampoline_kernelINS0_14default_configENS1_27lower_bound_config_selectorIilEEZNS1_14transform_implILb0ES3_S5_N6thrust23THRUST_200600_302600_NS6detail15normal_iteratorINS8_7pointerIiNS8_11hip_rocprim5par_tENS8_11use_defaultESE_EEEENSA_INSB_IlSD_SE_SE_EEEEZNS1_13binary_searchIS3_S5_PiSG_SI_NS1_21lower_bound_search_opENS9_16wrapped_functionINS8_6system6detail7generic6detail18binary_search_lessEbEEEE10hipError_tPvRmT1_T2_T3_mmT4_T5_P12ihipStream_tbEUlRKiE_EEST_SX_SY_mSZ_S12_bEUlT_E_NS1_11comp_targetILNS1_3genE10ELNS1_11target_archE1201ELNS1_3gpuE5ELNS1_3repE0EEENS1_30default_config_static_selectorELNS0_4arch9wavefront6targetE0EEEvSW_.numbered_sgpr, 0
	.set _ZN7rocprim17ROCPRIM_400000_NS6detail17trampoline_kernelINS0_14default_configENS1_27lower_bound_config_selectorIilEEZNS1_14transform_implILb0ES3_S5_N6thrust23THRUST_200600_302600_NS6detail15normal_iteratorINS8_7pointerIiNS8_11hip_rocprim5par_tENS8_11use_defaultESE_EEEENSA_INSB_IlSD_SE_SE_EEEEZNS1_13binary_searchIS3_S5_PiSG_SI_NS1_21lower_bound_search_opENS9_16wrapped_functionINS8_6system6detail7generic6detail18binary_search_lessEbEEEE10hipError_tPvRmT1_T2_T3_mmT4_T5_P12ihipStream_tbEUlRKiE_EEST_SX_SY_mSZ_S12_bEUlT_E_NS1_11comp_targetILNS1_3genE10ELNS1_11target_archE1201ELNS1_3gpuE5ELNS1_3repE0EEENS1_30default_config_static_selectorELNS0_4arch9wavefront6targetE0EEEvSW_.num_named_barrier, 0
	.set _ZN7rocprim17ROCPRIM_400000_NS6detail17trampoline_kernelINS0_14default_configENS1_27lower_bound_config_selectorIilEEZNS1_14transform_implILb0ES3_S5_N6thrust23THRUST_200600_302600_NS6detail15normal_iteratorINS8_7pointerIiNS8_11hip_rocprim5par_tENS8_11use_defaultESE_EEEENSA_INSB_IlSD_SE_SE_EEEEZNS1_13binary_searchIS3_S5_PiSG_SI_NS1_21lower_bound_search_opENS9_16wrapped_functionINS8_6system6detail7generic6detail18binary_search_lessEbEEEE10hipError_tPvRmT1_T2_T3_mmT4_T5_P12ihipStream_tbEUlRKiE_EEST_SX_SY_mSZ_S12_bEUlT_E_NS1_11comp_targetILNS1_3genE10ELNS1_11target_archE1201ELNS1_3gpuE5ELNS1_3repE0EEENS1_30default_config_static_selectorELNS0_4arch9wavefront6targetE0EEEvSW_.private_seg_size, 0
	.set _ZN7rocprim17ROCPRIM_400000_NS6detail17trampoline_kernelINS0_14default_configENS1_27lower_bound_config_selectorIilEEZNS1_14transform_implILb0ES3_S5_N6thrust23THRUST_200600_302600_NS6detail15normal_iteratorINS8_7pointerIiNS8_11hip_rocprim5par_tENS8_11use_defaultESE_EEEENSA_INSB_IlSD_SE_SE_EEEEZNS1_13binary_searchIS3_S5_PiSG_SI_NS1_21lower_bound_search_opENS9_16wrapped_functionINS8_6system6detail7generic6detail18binary_search_lessEbEEEE10hipError_tPvRmT1_T2_T3_mmT4_T5_P12ihipStream_tbEUlRKiE_EEST_SX_SY_mSZ_S12_bEUlT_E_NS1_11comp_targetILNS1_3genE10ELNS1_11target_archE1201ELNS1_3gpuE5ELNS1_3repE0EEENS1_30default_config_static_selectorELNS0_4arch9wavefront6targetE0EEEvSW_.uses_vcc, 0
	.set _ZN7rocprim17ROCPRIM_400000_NS6detail17trampoline_kernelINS0_14default_configENS1_27lower_bound_config_selectorIilEEZNS1_14transform_implILb0ES3_S5_N6thrust23THRUST_200600_302600_NS6detail15normal_iteratorINS8_7pointerIiNS8_11hip_rocprim5par_tENS8_11use_defaultESE_EEEENSA_INSB_IlSD_SE_SE_EEEEZNS1_13binary_searchIS3_S5_PiSG_SI_NS1_21lower_bound_search_opENS9_16wrapped_functionINS8_6system6detail7generic6detail18binary_search_lessEbEEEE10hipError_tPvRmT1_T2_T3_mmT4_T5_P12ihipStream_tbEUlRKiE_EEST_SX_SY_mSZ_S12_bEUlT_E_NS1_11comp_targetILNS1_3genE10ELNS1_11target_archE1201ELNS1_3gpuE5ELNS1_3repE0EEENS1_30default_config_static_selectorELNS0_4arch9wavefront6targetE0EEEvSW_.uses_flat_scratch, 0
	.set _ZN7rocprim17ROCPRIM_400000_NS6detail17trampoline_kernelINS0_14default_configENS1_27lower_bound_config_selectorIilEEZNS1_14transform_implILb0ES3_S5_N6thrust23THRUST_200600_302600_NS6detail15normal_iteratorINS8_7pointerIiNS8_11hip_rocprim5par_tENS8_11use_defaultESE_EEEENSA_INSB_IlSD_SE_SE_EEEEZNS1_13binary_searchIS3_S5_PiSG_SI_NS1_21lower_bound_search_opENS9_16wrapped_functionINS8_6system6detail7generic6detail18binary_search_lessEbEEEE10hipError_tPvRmT1_T2_T3_mmT4_T5_P12ihipStream_tbEUlRKiE_EEST_SX_SY_mSZ_S12_bEUlT_E_NS1_11comp_targetILNS1_3genE10ELNS1_11target_archE1201ELNS1_3gpuE5ELNS1_3repE0EEENS1_30default_config_static_selectorELNS0_4arch9wavefront6targetE0EEEvSW_.has_dyn_sized_stack, 0
	.set _ZN7rocprim17ROCPRIM_400000_NS6detail17trampoline_kernelINS0_14default_configENS1_27lower_bound_config_selectorIilEEZNS1_14transform_implILb0ES3_S5_N6thrust23THRUST_200600_302600_NS6detail15normal_iteratorINS8_7pointerIiNS8_11hip_rocprim5par_tENS8_11use_defaultESE_EEEENSA_INSB_IlSD_SE_SE_EEEEZNS1_13binary_searchIS3_S5_PiSG_SI_NS1_21lower_bound_search_opENS9_16wrapped_functionINS8_6system6detail7generic6detail18binary_search_lessEbEEEE10hipError_tPvRmT1_T2_T3_mmT4_T5_P12ihipStream_tbEUlRKiE_EEST_SX_SY_mSZ_S12_bEUlT_E_NS1_11comp_targetILNS1_3genE10ELNS1_11target_archE1201ELNS1_3gpuE5ELNS1_3repE0EEENS1_30default_config_static_selectorELNS0_4arch9wavefront6targetE0EEEvSW_.has_recursion, 0
	.set _ZN7rocprim17ROCPRIM_400000_NS6detail17trampoline_kernelINS0_14default_configENS1_27lower_bound_config_selectorIilEEZNS1_14transform_implILb0ES3_S5_N6thrust23THRUST_200600_302600_NS6detail15normal_iteratorINS8_7pointerIiNS8_11hip_rocprim5par_tENS8_11use_defaultESE_EEEENSA_INSB_IlSD_SE_SE_EEEEZNS1_13binary_searchIS3_S5_PiSG_SI_NS1_21lower_bound_search_opENS9_16wrapped_functionINS8_6system6detail7generic6detail18binary_search_lessEbEEEE10hipError_tPvRmT1_T2_T3_mmT4_T5_P12ihipStream_tbEUlRKiE_EEST_SX_SY_mSZ_S12_bEUlT_E_NS1_11comp_targetILNS1_3genE10ELNS1_11target_archE1201ELNS1_3gpuE5ELNS1_3repE0EEENS1_30default_config_static_selectorELNS0_4arch9wavefront6targetE0EEEvSW_.has_indirect_call, 0
	.section	.AMDGPU.csdata,"",@progbits
; Kernel info:
; codeLenInByte = 0
; TotalNumSgprs: 0
; NumVgprs: 0
; ScratchSize: 0
; MemoryBound: 0
; FloatMode: 240
; IeeeMode: 1
; LDSByteSize: 0 bytes/workgroup (compile time only)
; SGPRBlocks: 0
; VGPRBlocks: 0
; NumSGPRsForWavesPerEU: 1
; NumVGPRsForWavesPerEU: 1
; Occupancy: 16
; WaveLimiterHint : 0
; COMPUTE_PGM_RSRC2:SCRATCH_EN: 0
; COMPUTE_PGM_RSRC2:USER_SGPR: 6
; COMPUTE_PGM_RSRC2:TRAP_HANDLER: 0
; COMPUTE_PGM_RSRC2:TGID_X_EN: 1
; COMPUTE_PGM_RSRC2:TGID_Y_EN: 0
; COMPUTE_PGM_RSRC2:TGID_Z_EN: 0
; COMPUTE_PGM_RSRC2:TIDIG_COMP_CNT: 0
	.section	.text._ZN7rocprim17ROCPRIM_400000_NS6detail17trampoline_kernelINS0_14default_configENS1_27lower_bound_config_selectorIilEEZNS1_14transform_implILb0ES3_S5_N6thrust23THRUST_200600_302600_NS6detail15normal_iteratorINS8_7pointerIiNS8_11hip_rocprim5par_tENS8_11use_defaultESE_EEEENSA_INSB_IlSD_SE_SE_EEEEZNS1_13binary_searchIS3_S5_PiSG_SI_NS1_21lower_bound_search_opENS9_16wrapped_functionINS8_6system6detail7generic6detail18binary_search_lessEbEEEE10hipError_tPvRmT1_T2_T3_mmT4_T5_P12ihipStream_tbEUlRKiE_EEST_SX_SY_mSZ_S12_bEUlT_E_NS1_11comp_targetILNS1_3genE10ELNS1_11target_archE1200ELNS1_3gpuE4ELNS1_3repE0EEENS1_30default_config_static_selectorELNS0_4arch9wavefront6targetE0EEEvSW_,"axG",@progbits,_ZN7rocprim17ROCPRIM_400000_NS6detail17trampoline_kernelINS0_14default_configENS1_27lower_bound_config_selectorIilEEZNS1_14transform_implILb0ES3_S5_N6thrust23THRUST_200600_302600_NS6detail15normal_iteratorINS8_7pointerIiNS8_11hip_rocprim5par_tENS8_11use_defaultESE_EEEENSA_INSB_IlSD_SE_SE_EEEEZNS1_13binary_searchIS3_S5_PiSG_SI_NS1_21lower_bound_search_opENS9_16wrapped_functionINS8_6system6detail7generic6detail18binary_search_lessEbEEEE10hipError_tPvRmT1_T2_T3_mmT4_T5_P12ihipStream_tbEUlRKiE_EEST_SX_SY_mSZ_S12_bEUlT_E_NS1_11comp_targetILNS1_3genE10ELNS1_11target_archE1200ELNS1_3gpuE4ELNS1_3repE0EEENS1_30default_config_static_selectorELNS0_4arch9wavefront6targetE0EEEvSW_,comdat
	.protected	_ZN7rocprim17ROCPRIM_400000_NS6detail17trampoline_kernelINS0_14default_configENS1_27lower_bound_config_selectorIilEEZNS1_14transform_implILb0ES3_S5_N6thrust23THRUST_200600_302600_NS6detail15normal_iteratorINS8_7pointerIiNS8_11hip_rocprim5par_tENS8_11use_defaultESE_EEEENSA_INSB_IlSD_SE_SE_EEEEZNS1_13binary_searchIS3_S5_PiSG_SI_NS1_21lower_bound_search_opENS9_16wrapped_functionINS8_6system6detail7generic6detail18binary_search_lessEbEEEE10hipError_tPvRmT1_T2_T3_mmT4_T5_P12ihipStream_tbEUlRKiE_EEST_SX_SY_mSZ_S12_bEUlT_E_NS1_11comp_targetILNS1_3genE10ELNS1_11target_archE1200ELNS1_3gpuE4ELNS1_3repE0EEENS1_30default_config_static_selectorELNS0_4arch9wavefront6targetE0EEEvSW_ ; -- Begin function _ZN7rocprim17ROCPRIM_400000_NS6detail17trampoline_kernelINS0_14default_configENS1_27lower_bound_config_selectorIilEEZNS1_14transform_implILb0ES3_S5_N6thrust23THRUST_200600_302600_NS6detail15normal_iteratorINS8_7pointerIiNS8_11hip_rocprim5par_tENS8_11use_defaultESE_EEEENSA_INSB_IlSD_SE_SE_EEEEZNS1_13binary_searchIS3_S5_PiSG_SI_NS1_21lower_bound_search_opENS9_16wrapped_functionINS8_6system6detail7generic6detail18binary_search_lessEbEEEE10hipError_tPvRmT1_T2_T3_mmT4_T5_P12ihipStream_tbEUlRKiE_EEST_SX_SY_mSZ_S12_bEUlT_E_NS1_11comp_targetILNS1_3genE10ELNS1_11target_archE1200ELNS1_3gpuE4ELNS1_3repE0EEENS1_30default_config_static_selectorELNS0_4arch9wavefront6targetE0EEEvSW_
	.globl	_ZN7rocprim17ROCPRIM_400000_NS6detail17trampoline_kernelINS0_14default_configENS1_27lower_bound_config_selectorIilEEZNS1_14transform_implILb0ES3_S5_N6thrust23THRUST_200600_302600_NS6detail15normal_iteratorINS8_7pointerIiNS8_11hip_rocprim5par_tENS8_11use_defaultESE_EEEENSA_INSB_IlSD_SE_SE_EEEEZNS1_13binary_searchIS3_S5_PiSG_SI_NS1_21lower_bound_search_opENS9_16wrapped_functionINS8_6system6detail7generic6detail18binary_search_lessEbEEEE10hipError_tPvRmT1_T2_T3_mmT4_T5_P12ihipStream_tbEUlRKiE_EEST_SX_SY_mSZ_S12_bEUlT_E_NS1_11comp_targetILNS1_3genE10ELNS1_11target_archE1200ELNS1_3gpuE4ELNS1_3repE0EEENS1_30default_config_static_selectorELNS0_4arch9wavefront6targetE0EEEvSW_
	.p2align	8
	.type	_ZN7rocprim17ROCPRIM_400000_NS6detail17trampoline_kernelINS0_14default_configENS1_27lower_bound_config_selectorIilEEZNS1_14transform_implILb0ES3_S5_N6thrust23THRUST_200600_302600_NS6detail15normal_iteratorINS8_7pointerIiNS8_11hip_rocprim5par_tENS8_11use_defaultESE_EEEENSA_INSB_IlSD_SE_SE_EEEEZNS1_13binary_searchIS3_S5_PiSG_SI_NS1_21lower_bound_search_opENS9_16wrapped_functionINS8_6system6detail7generic6detail18binary_search_lessEbEEEE10hipError_tPvRmT1_T2_T3_mmT4_T5_P12ihipStream_tbEUlRKiE_EEST_SX_SY_mSZ_S12_bEUlT_E_NS1_11comp_targetILNS1_3genE10ELNS1_11target_archE1200ELNS1_3gpuE4ELNS1_3repE0EEENS1_30default_config_static_selectorELNS0_4arch9wavefront6targetE0EEEvSW_,@function
_ZN7rocprim17ROCPRIM_400000_NS6detail17trampoline_kernelINS0_14default_configENS1_27lower_bound_config_selectorIilEEZNS1_14transform_implILb0ES3_S5_N6thrust23THRUST_200600_302600_NS6detail15normal_iteratorINS8_7pointerIiNS8_11hip_rocprim5par_tENS8_11use_defaultESE_EEEENSA_INSB_IlSD_SE_SE_EEEEZNS1_13binary_searchIS3_S5_PiSG_SI_NS1_21lower_bound_search_opENS9_16wrapped_functionINS8_6system6detail7generic6detail18binary_search_lessEbEEEE10hipError_tPvRmT1_T2_T3_mmT4_T5_P12ihipStream_tbEUlRKiE_EEST_SX_SY_mSZ_S12_bEUlT_E_NS1_11comp_targetILNS1_3genE10ELNS1_11target_archE1200ELNS1_3gpuE4ELNS1_3repE0EEENS1_30default_config_static_selectorELNS0_4arch9wavefront6targetE0EEEvSW_: ; @_ZN7rocprim17ROCPRIM_400000_NS6detail17trampoline_kernelINS0_14default_configENS1_27lower_bound_config_selectorIilEEZNS1_14transform_implILb0ES3_S5_N6thrust23THRUST_200600_302600_NS6detail15normal_iteratorINS8_7pointerIiNS8_11hip_rocprim5par_tENS8_11use_defaultESE_EEEENSA_INSB_IlSD_SE_SE_EEEEZNS1_13binary_searchIS3_S5_PiSG_SI_NS1_21lower_bound_search_opENS9_16wrapped_functionINS8_6system6detail7generic6detail18binary_search_lessEbEEEE10hipError_tPvRmT1_T2_T3_mmT4_T5_P12ihipStream_tbEUlRKiE_EEST_SX_SY_mSZ_S12_bEUlT_E_NS1_11comp_targetILNS1_3genE10ELNS1_11target_archE1200ELNS1_3gpuE4ELNS1_3repE0EEENS1_30default_config_static_selectorELNS0_4arch9wavefront6targetE0EEEvSW_
; %bb.0:
	.section	.rodata,"a",@progbits
	.p2align	6, 0x0
	.amdhsa_kernel _ZN7rocprim17ROCPRIM_400000_NS6detail17trampoline_kernelINS0_14default_configENS1_27lower_bound_config_selectorIilEEZNS1_14transform_implILb0ES3_S5_N6thrust23THRUST_200600_302600_NS6detail15normal_iteratorINS8_7pointerIiNS8_11hip_rocprim5par_tENS8_11use_defaultESE_EEEENSA_INSB_IlSD_SE_SE_EEEEZNS1_13binary_searchIS3_S5_PiSG_SI_NS1_21lower_bound_search_opENS9_16wrapped_functionINS8_6system6detail7generic6detail18binary_search_lessEbEEEE10hipError_tPvRmT1_T2_T3_mmT4_T5_P12ihipStream_tbEUlRKiE_EEST_SX_SY_mSZ_S12_bEUlT_E_NS1_11comp_targetILNS1_3genE10ELNS1_11target_archE1200ELNS1_3gpuE4ELNS1_3repE0EEENS1_30default_config_static_selectorELNS0_4arch9wavefront6targetE0EEEvSW_
		.amdhsa_group_segment_fixed_size 0
		.amdhsa_private_segment_fixed_size 0
		.amdhsa_kernarg_size 56
		.amdhsa_user_sgpr_count 6
		.amdhsa_user_sgpr_private_segment_buffer 1
		.amdhsa_user_sgpr_dispatch_ptr 0
		.amdhsa_user_sgpr_queue_ptr 0
		.amdhsa_user_sgpr_kernarg_segment_ptr 1
		.amdhsa_user_sgpr_dispatch_id 0
		.amdhsa_user_sgpr_flat_scratch_init 0
		.amdhsa_user_sgpr_private_segment_size 0
		.amdhsa_wavefront_size32 1
		.amdhsa_uses_dynamic_stack 0
		.amdhsa_system_sgpr_private_segment_wavefront_offset 0
		.amdhsa_system_sgpr_workgroup_id_x 1
		.amdhsa_system_sgpr_workgroup_id_y 0
		.amdhsa_system_sgpr_workgroup_id_z 0
		.amdhsa_system_sgpr_workgroup_info 0
		.amdhsa_system_vgpr_workitem_id 0
		.amdhsa_next_free_vgpr 1
		.amdhsa_next_free_sgpr 1
		.amdhsa_reserve_vcc 0
		.amdhsa_reserve_flat_scratch 0
		.amdhsa_float_round_mode_32 0
		.amdhsa_float_round_mode_16_64 0
		.amdhsa_float_denorm_mode_32 3
		.amdhsa_float_denorm_mode_16_64 3
		.amdhsa_dx10_clamp 1
		.amdhsa_ieee_mode 1
		.amdhsa_fp16_overflow 0
		.amdhsa_workgroup_processor_mode 1
		.amdhsa_memory_ordered 1
		.amdhsa_forward_progress 1
		.amdhsa_shared_vgpr_count 0
		.amdhsa_exception_fp_ieee_invalid_op 0
		.amdhsa_exception_fp_denorm_src 0
		.amdhsa_exception_fp_ieee_div_zero 0
		.amdhsa_exception_fp_ieee_overflow 0
		.amdhsa_exception_fp_ieee_underflow 0
		.amdhsa_exception_fp_ieee_inexact 0
		.amdhsa_exception_int_div_zero 0
	.end_amdhsa_kernel
	.section	.text._ZN7rocprim17ROCPRIM_400000_NS6detail17trampoline_kernelINS0_14default_configENS1_27lower_bound_config_selectorIilEEZNS1_14transform_implILb0ES3_S5_N6thrust23THRUST_200600_302600_NS6detail15normal_iteratorINS8_7pointerIiNS8_11hip_rocprim5par_tENS8_11use_defaultESE_EEEENSA_INSB_IlSD_SE_SE_EEEEZNS1_13binary_searchIS3_S5_PiSG_SI_NS1_21lower_bound_search_opENS9_16wrapped_functionINS8_6system6detail7generic6detail18binary_search_lessEbEEEE10hipError_tPvRmT1_T2_T3_mmT4_T5_P12ihipStream_tbEUlRKiE_EEST_SX_SY_mSZ_S12_bEUlT_E_NS1_11comp_targetILNS1_3genE10ELNS1_11target_archE1200ELNS1_3gpuE4ELNS1_3repE0EEENS1_30default_config_static_selectorELNS0_4arch9wavefront6targetE0EEEvSW_,"axG",@progbits,_ZN7rocprim17ROCPRIM_400000_NS6detail17trampoline_kernelINS0_14default_configENS1_27lower_bound_config_selectorIilEEZNS1_14transform_implILb0ES3_S5_N6thrust23THRUST_200600_302600_NS6detail15normal_iteratorINS8_7pointerIiNS8_11hip_rocprim5par_tENS8_11use_defaultESE_EEEENSA_INSB_IlSD_SE_SE_EEEEZNS1_13binary_searchIS3_S5_PiSG_SI_NS1_21lower_bound_search_opENS9_16wrapped_functionINS8_6system6detail7generic6detail18binary_search_lessEbEEEE10hipError_tPvRmT1_T2_T3_mmT4_T5_P12ihipStream_tbEUlRKiE_EEST_SX_SY_mSZ_S12_bEUlT_E_NS1_11comp_targetILNS1_3genE10ELNS1_11target_archE1200ELNS1_3gpuE4ELNS1_3repE0EEENS1_30default_config_static_selectorELNS0_4arch9wavefront6targetE0EEEvSW_,comdat
.Lfunc_end138:
	.size	_ZN7rocprim17ROCPRIM_400000_NS6detail17trampoline_kernelINS0_14default_configENS1_27lower_bound_config_selectorIilEEZNS1_14transform_implILb0ES3_S5_N6thrust23THRUST_200600_302600_NS6detail15normal_iteratorINS8_7pointerIiNS8_11hip_rocprim5par_tENS8_11use_defaultESE_EEEENSA_INSB_IlSD_SE_SE_EEEEZNS1_13binary_searchIS3_S5_PiSG_SI_NS1_21lower_bound_search_opENS9_16wrapped_functionINS8_6system6detail7generic6detail18binary_search_lessEbEEEE10hipError_tPvRmT1_T2_T3_mmT4_T5_P12ihipStream_tbEUlRKiE_EEST_SX_SY_mSZ_S12_bEUlT_E_NS1_11comp_targetILNS1_3genE10ELNS1_11target_archE1200ELNS1_3gpuE4ELNS1_3repE0EEENS1_30default_config_static_selectorELNS0_4arch9wavefront6targetE0EEEvSW_, .Lfunc_end138-_ZN7rocprim17ROCPRIM_400000_NS6detail17trampoline_kernelINS0_14default_configENS1_27lower_bound_config_selectorIilEEZNS1_14transform_implILb0ES3_S5_N6thrust23THRUST_200600_302600_NS6detail15normal_iteratorINS8_7pointerIiNS8_11hip_rocprim5par_tENS8_11use_defaultESE_EEEENSA_INSB_IlSD_SE_SE_EEEEZNS1_13binary_searchIS3_S5_PiSG_SI_NS1_21lower_bound_search_opENS9_16wrapped_functionINS8_6system6detail7generic6detail18binary_search_lessEbEEEE10hipError_tPvRmT1_T2_T3_mmT4_T5_P12ihipStream_tbEUlRKiE_EEST_SX_SY_mSZ_S12_bEUlT_E_NS1_11comp_targetILNS1_3genE10ELNS1_11target_archE1200ELNS1_3gpuE4ELNS1_3repE0EEENS1_30default_config_static_selectorELNS0_4arch9wavefront6targetE0EEEvSW_
                                        ; -- End function
	.set _ZN7rocprim17ROCPRIM_400000_NS6detail17trampoline_kernelINS0_14default_configENS1_27lower_bound_config_selectorIilEEZNS1_14transform_implILb0ES3_S5_N6thrust23THRUST_200600_302600_NS6detail15normal_iteratorINS8_7pointerIiNS8_11hip_rocprim5par_tENS8_11use_defaultESE_EEEENSA_INSB_IlSD_SE_SE_EEEEZNS1_13binary_searchIS3_S5_PiSG_SI_NS1_21lower_bound_search_opENS9_16wrapped_functionINS8_6system6detail7generic6detail18binary_search_lessEbEEEE10hipError_tPvRmT1_T2_T3_mmT4_T5_P12ihipStream_tbEUlRKiE_EEST_SX_SY_mSZ_S12_bEUlT_E_NS1_11comp_targetILNS1_3genE10ELNS1_11target_archE1200ELNS1_3gpuE4ELNS1_3repE0EEENS1_30default_config_static_selectorELNS0_4arch9wavefront6targetE0EEEvSW_.num_vgpr, 0
	.set _ZN7rocprim17ROCPRIM_400000_NS6detail17trampoline_kernelINS0_14default_configENS1_27lower_bound_config_selectorIilEEZNS1_14transform_implILb0ES3_S5_N6thrust23THRUST_200600_302600_NS6detail15normal_iteratorINS8_7pointerIiNS8_11hip_rocprim5par_tENS8_11use_defaultESE_EEEENSA_INSB_IlSD_SE_SE_EEEEZNS1_13binary_searchIS3_S5_PiSG_SI_NS1_21lower_bound_search_opENS9_16wrapped_functionINS8_6system6detail7generic6detail18binary_search_lessEbEEEE10hipError_tPvRmT1_T2_T3_mmT4_T5_P12ihipStream_tbEUlRKiE_EEST_SX_SY_mSZ_S12_bEUlT_E_NS1_11comp_targetILNS1_3genE10ELNS1_11target_archE1200ELNS1_3gpuE4ELNS1_3repE0EEENS1_30default_config_static_selectorELNS0_4arch9wavefront6targetE0EEEvSW_.num_agpr, 0
	.set _ZN7rocprim17ROCPRIM_400000_NS6detail17trampoline_kernelINS0_14default_configENS1_27lower_bound_config_selectorIilEEZNS1_14transform_implILb0ES3_S5_N6thrust23THRUST_200600_302600_NS6detail15normal_iteratorINS8_7pointerIiNS8_11hip_rocprim5par_tENS8_11use_defaultESE_EEEENSA_INSB_IlSD_SE_SE_EEEEZNS1_13binary_searchIS3_S5_PiSG_SI_NS1_21lower_bound_search_opENS9_16wrapped_functionINS8_6system6detail7generic6detail18binary_search_lessEbEEEE10hipError_tPvRmT1_T2_T3_mmT4_T5_P12ihipStream_tbEUlRKiE_EEST_SX_SY_mSZ_S12_bEUlT_E_NS1_11comp_targetILNS1_3genE10ELNS1_11target_archE1200ELNS1_3gpuE4ELNS1_3repE0EEENS1_30default_config_static_selectorELNS0_4arch9wavefront6targetE0EEEvSW_.numbered_sgpr, 0
	.set _ZN7rocprim17ROCPRIM_400000_NS6detail17trampoline_kernelINS0_14default_configENS1_27lower_bound_config_selectorIilEEZNS1_14transform_implILb0ES3_S5_N6thrust23THRUST_200600_302600_NS6detail15normal_iteratorINS8_7pointerIiNS8_11hip_rocprim5par_tENS8_11use_defaultESE_EEEENSA_INSB_IlSD_SE_SE_EEEEZNS1_13binary_searchIS3_S5_PiSG_SI_NS1_21lower_bound_search_opENS9_16wrapped_functionINS8_6system6detail7generic6detail18binary_search_lessEbEEEE10hipError_tPvRmT1_T2_T3_mmT4_T5_P12ihipStream_tbEUlRKiE_EEST_SX_SY_mSZ_S12_bEUlT_E_NS1_11comp_targetILNS1_3genE10ELNS1_11target_archE1200ELNS1_3gpuE4ELNS1_3repE0EEENS1_30default_config_static_selectorELNS0_4arch9wavefront6targetE0EEEvSW_.num_named_barrier, 0
	.set _ZN7rocprim17ROCPRIM_400000_NS6detail17trampoline_kernelINS0_14default_configENS1_27lower_bound_config_selectorIilEEZNS1_14transform_implILb0ES3_S5_N6thrust23THRUST_200600_302600_NS6detail15normal_iteratorINS8_7pointerIiNS8_11hip_rocprim5par_tENS8_11use_defaultESE_EEEENSA_INSB_IlSD_SE_SE_EEEEZNS1_13binary_searchIS3_S5_PiSG_SI_NS1_21lower_bound_search_opENS9_16wrapped_functionINS8_6system6detail7generic6detail18binary_search_lessEbEEEE10hipError_tPvRmT1_T2_T3_mmT4_T5_P12ihipStream_tbEUlRKiE_EEST_SX_SY_mSZ_S12_bEUlT_E_NS1_11comp_targetILNS1_3genE10ELNS1_11target_archE1200ELNS1_3gpuE4ELNS1_3repE0EEENS1_30default_config_static_selectorELNS0_4arch9wavefront6targetE0EEEvSW_.private_seg_size, 0
	.set _ZN7rocprim17ROCPRIM_400000_NS6detail17trampoline_kernelINS0_14default_configENS1_27lower_bound_config_selectorIilEEZNS1_14transform_implILb0ES3_S5_N6thrust23THRUST_200600_302600_NS6detail15normal_iteratorINS8_7pointerIiNS8_11hip_rocprim5par_tENS8_11use_defaultESE_EEEENSA_INSB_IlSD_SE_SE_EEEEZNS1_13binary_searchIS3_S5_PiSG_SI_NS1_21lower_bound_search_opENS9_16wrapped_functionINS8_6system6detail7generic6detail18binary_search_lessEbEEEE10hipError_tPvRmT1_T2_T3_mmT4_T5_P12ihipStream_tbEUlRKiE_EEST_SX_SY_mSZ_S12_bEUlT_E_NS1_11comp_targetILNS1_3genE10ELNS1_11target_archE1200ELNS1_3gpuE4ELNS1_3repE0EEENS1_30default_config_static_selectorELNS0_4arch9wavefront6targetE0EEEvSW_.uses_vcc, 0
	.set _ZN7rocprim17ROCPRIM_400000_NS6detail17trampoline_kernelINS0_14default_configENS1_27lower_bound_config_selectorIilEEZNS1_14transform_implILb0ES3_S5_N6thrust23THRUST_200600_302600_NS6detail15normal_iteratorINS8_7pointerIiNS8_11hip_rocprim5par_tENS8_11use_defaultESE_EEEENSA_INSB_IlSD_SE_SE_EEEEZNS1_13binary_searchIS3_S5_PiSG_SI_NS1_21lower_bound_search_opENS9_16wrapped_functionINS8_6system6detail7generic6detail18binary_search_lessEbEEEE10hipError_tPvRmT1_T2_T3_mmT4_T5_P12ihipStream_tbEUlRKiE_EEST_SX_SY_mSZ_S12_bEUlT_E_NS1_11comp_targetILNS1_3genE10ELNS1_11target_archE1200ELNS1_3gpuE4ELNS1_3repE0EEENS1_30default_config_static_selectorELNS0_4arch9wavefront6targetE0EEEvSW_.uses_flat_scratch, 0
	.set _ZN7rocprim17ROCPRIM_400000_NS6detail17trampoline_kernelINS0_14default_configENS1_27lower_bound_config_selectorIilEEZNS1_14transform_implILb0ES3_S5_N6thrust23THRUST_200600_302600_NS6detail15normal_iteratorINS8_7pointerIiNS8_11hip_rocprim5par_tENS8_11use_defaultESE_EEEENSA_INSB_IlSD_SE_SE_EEEEZNS1_13binary_searchIS3_S5_PiSG_SI_NS1_21lower_bound_search_opENS9_16wrapped_functionINS8_6system6detail7generic6detail18binary_search_lessEbEEEE10hipError_tPvRmT1_T2_T3_mmT4_T5_P12ihipStream_tbEUlRKiE_EEST_SX_SY_mSZ_S12_bEUlT_E_NS1_11comp_targetILNS1_3genE10ELNS1_11target_archE1200ELNS1_3gpuE4ELNS1_3repE0EEENS1_30default_config_static_selectorELNS0_4arch9wavefront6targetE0EEEvSW_.has_dyn_sized_stack, 0
	.set _ZN7rocprim17ROCPRIM_400000_NS6detail17trampoline_kernelINS0_14default_configENS1_27lower_bound_config_selectorIilEEZNS1_14transform_implILb0ES3_S5_N6thrust23THRUST_200600_302600_NS6detail15normal_iteratorINS8_7pointerIiNS8_11hip_rocprim5par_tENS8_11use_defaultESE_EEEENSA_INSB_IlSD_SE_SE_EEEEZNS1_13binary_searchIS3_S5_PiSG_SI_NS1_21lower_bound_search_opENS9_16wrapped_functionINS8_6system6detail7generic6detail18binary_search_lessEbEEEE10hipError_tPvRmT1_T2_T3_mmT4_T5_P12ihipStream_tbEUlRKiE_EEST_SX_SY_mSZ_S12_bEUlT_E_NS1_11comp_targetILNS1_3genE10ELNS1_11target_archE1200ELNS1_3gpuE4ELNS1_3repE0EEENS1_30default_config_static_selectorELNS0_4arch9wavefront6targetE0EEEvSW_.has_recursion, 0
	.set _ZN7rocprim17ROCPRIM_400000_NS6detail17trampoline_kernelINS0_14default_configENS1_27lower_bound_config_selectorIilEEZNS1_14transform_implILb0ES3_S5_N6thrust23THRUST_200600_302600_NS6detail15normal_iteratorINS8_7pointerIiNS8_11hip_rocprim5par_tENS8_11use_defaultESE_EEEENSA_INSB_IlSD_SE_SE_EEEEZNS1_13binary_searchIS3_S5_PiSG_SI_NS1_21lower_bound_search_opENS9_16wrapped_functionINS8_6system6detail7generic6detail18binary_search_lessEbEEEE10hipError_tPvRmT1_T2_T3_mmT4_T5_P12ihipStream_tbEUlRKiE_EEST_SX_SY_mSZ_S12_bEUlT_E_NS1_11comp_targetILNS1_3genE10ELNS1_11target_archE1200ELNS1_3gpuE4ELNS1_3repE0EEENS1_30default_config_static_selectorELNS0_4arch9wavefront6targetE0EEEvSW_.has_indirect_call, 0
	.section	.AMDGPU.csdata,"",@progbits
; Kernel info:
; codeLenInByte = 0
; TotalNumSgprs: 0
; NumVgprs: 0
; ScratchSize: 0
; MemoryBound: 0
; FloatMode: 240
; IeeeMode: 1
; LDSByteSize: 0 bytes/workgroup (compile time only)
; SGPRBlocks: 0
; VGPRBlocks: 0
; NumSGPRsForWavesPerEU: 1
; NumVGPRsForWavesPerEU: 1
; Occupancy: 16
; WaveLimiterHint : 0
; COMPUTE_PGM_RSRC2:SCRATCH_EN: 0
; COMPUTE_PGM_RSRC2:USER_SGPR: 6
; COMPUTE_PGM_RSRC2:TRAP_HANDLER: 0
; COMPUTE_PGM_RSRC2:TGID_X_EN: 1
; COMPUTE_PGM_RSRC2:TGID_Y_EN: 0
; COMPUTE_PGM_RSRC2:TGID_Z_EN: 0
; COMPUTE_PGM_RSRC2:TIDIG_COMP_CNT: 0
	.section	.text._ZN7rocprim17ROCPRIM_400000_NS6detail17trampoline_kernelINS0_14default_configENS1_27lower_bound_config_selectorIilEEZNS1_14transform_implILb0ES3_S5_N6thrust23THRUST_200600_302600_NS6detail15normal_iteratorINS8_7pointerIiNS8_11hip_rocprim5par_tENS8_11use_defaultESE_EEEENSA_INSB_IlSD_SE_SE_EEEEZNS1_13binary_searchIS3_S5_PiSG_SI_NS1_21lower_bound_search_opENS9_16wrapped_functionINS8_6system6detail7generic6detail18binary_search_lessEbEEEE10hipError_tPvRmT1_T2_T3_mmT4_T5_P12ihipStream_tbEUlRKiE_EEST_SX_SY_mSZ_S12_bEUlT_E_NS1_11comp_targetILNS1_3genE9ELNS1_11target_archE1100ELNS1_3gpuE3ELNS1_3repE0EEENS1_30default_config_static_selectorELNS0_4arch9wavefront6targetE0EEEvSW_,"axG",@progbits,_ZN7rocprim17ROCPRIM_400000_NS6detail17trampoline_kernelINS0_14default_configENS1_27lower_bound_config_selectorIilEEZNS1_14transform_implILb0ES3_S5_N6thrust23THRUST_200600_302600_NS6detail15normal_iteratorINS8_7pointerIiNS8_11hip_rocprim5par_tENS8_11use_defaultESE_EEEENSA_INSB_IlSD_SE_SE_EEEEZNS1_13binary_searchIS3_S5_PiSG_SI_NS1_21lower_bound_search_opENS9_16wrapped_functionINS8_6system6detail7generic6detail18binary_search_lessEbEEEE10hipError_tPvRmT1_T2_T3_mmT4_T5_P12ihipStream_tbEUlRKiE_EEST_SX_SY_mSZ_S12_bEUlT_E_NS1_11comp_targetILNS1_3genE9ELNS1_11target_archE1100ELNS1_3gpuE3ELNS1_3repE0EEENS1_30default_config_static_selectorELNS0_4arch9wavefront6targetE0EEEvSW_,comdat
	.protected	_ZN7rocprim17ROCPRIM_400000_NS6detail17trampoline_kernelINS0_14default_configENS1_27lower_bound_config_selectorIilEEZNS1_14transform_implILb0ES3_S5_N6thrust23THRUST_200600_302600_NS6detail15normal_iteratorINS8_7pointerIiNS8_11hip_rocprim5par_tENS8_11use_defaultESE_EEEENSA_INSB_IlSD_SE_SE_EEEEZNS1_13binary_searchIS3_S5_PiSG_SI_NS1_21lower_bound_search_opENS9_16wrapped_functionINS8_6system6detail7generic6detail18binary_search_lessEbEEEE10hipError_tPvRmT1_T2_T3_mmT4_T5_P12ihipStream_tbEUlRKiE_EEST_SX_SY_mSZ_S12_bEUlT_E_NS1_11comp_targetILNS1_3genE9ELNS1_11target_archE1100ELNS1_3gpuE3ELNS1_3repE0EEENS1_30default_config_static_selectorELNS0_4arch9wavefront6targetE0EEEvSW_ ; -- Begin function _ZN7rocprim17ROCPRIM_400000_NS6detail17trampoline_kernelINS0_14default_configENS1_27lower_bound_config_selectorIilEEZNS1_14transform_implILb0ES3_S5_N6thrust23THRUST_200600_302600_NS6detail15normal_iteratorINS8_7pointerIiNS8_11hip_rocprim5par_tENS8_11use_defaultESE_EEEENSA_INSB_IlSD_SE_SE_EEEEZNS1_13binary_searchIS3_S5_PiSG_SI_NS1_21lower_bound_search_opENS9_16wrapped_functionINS8_6system6detail7generic6detail18binary_search_lessEbEEEE10hipError_tPvRmT1_T2_T3_mmT4_T5_P12ihipStream_tbEUlRKiE_EEST_SX_SY_mSZ_S12_bEUlT_E_NS1_11comp_targetILNS1_3genE9ELNS1_11target_archE1100ELNS1_3gpuE3ELNS1_3repE0EEENS1_30default_config_static_selectorELNS0_4arch9wavefront6targetE0EEEvSW_
	.globl	_ZN7rocprim17ROCPRIM_400000_NS6detail17trampoline_kernelINS0_14default_configENS1_27lower_bound_config_selectorIilEEZNS1_14transform_implILb0ES3_S5_N6thrust23THRUST_200600_302600_NS6detail15normal_iteratorINS8_7pointerIiNS8_11hip_rocprim5par_tENS8_11use_defaultESE_EEEENSA_INSB_IlSD_SE_SE_EEEEZNS1_13binary_searchIS3_S5_PiSG_SI_NS1_21lower_bound_search_opENS9_16wrapped_functionINS8_6system6detail7generic6detail18binary_search_lessEbEEEE10hipError_tPvRmT1_T2_T3_mmT4_T5_P12ihipStream_tbEUlRKiE_EEST_SX_SY_mSZ_S12_bEUlT_E_NS1_11comp_targetILNS1_3genE9ELNS1_11target_archE1100ELNS1_3gpuE3ELNS1_3repE0EEENS1_30default_config_static_selectorELNS0_4arch9wavefront6targetE0EEEvSW_
	.p2align	8
	.type	_ZN7rocprim17ROCPRIM_400000_NS6detail17trampoline_kernelINS0_14default_configENS1_27lower_bound_config_selectorIilEEZNS1_14transform_implILb0ES3_S5_N6thrust23THRUST_200600_302600_NS6detail15normal_iteratorINS8_7pointerIiNS8_11hip_rocprim5par_tENS8_11use_defaultESE_EEEENSA_INSB_IlSD_SE_SE_EEEEZNS1_13binary_searchIS3_S5_PiSG_SI_NS1_21lower_bound_search_opENS9_16wrapped_functionINS8_6system6detail7generic6detail18binary_search_lessEbEEEE10hipError_tPvRmT1_T2_T3_mmT4_T5_P12ihipStream_tbEUlRKiE_EEST_SX_SY_mSZ_S12_bEUlT_E_NS1_11comp_targetILNS1_3genE9ELNS1_11target_archE1100ELNS1_3gpuE3ELNS1_3repE0EEENS1_30default_config_static_selectorELNS0_4arch9wavefront6targetE0EEEvSW_,@function
_ZN7rocprim17ROCPRIM_400000_NS6detail17trampoline_kernelINS0_14default_configENS1_27lower_bound_config_selectorIilEEZNS1_14transform_implILb0ES3_S5_N6thrust23THRUST_200600_302600_NS6detail15normal_iteratorINS8_7pointerIiNS8_11hip_rocprim5par_tENS8_11use_defaultESE_EEEENSA_INSB_IlSD_SE_SE_EEEEZNS1_13binary_searchIS3_S5_PiSG_SI_NS1_21lower_bound_search_opENS9_16wrapped_functionINS8_6system6detail7generic6detail18binary_search_lessEbEEEE10hipError_tPvRmT1_T2_T3_mmT4_T5_P12ihipStream_tbEUlRKiE_EEST_SX_SY_mSZ_S12_bEUlT_E_NS1_11comp_targetILNS1_3genE9ELNS1_11target_archE1100ELNS1_3gpuE3ELNS1_3repE0EEENS1_30default_config_static_selectorELNS0_4arch9wavefront6targetE0EEEvSW_: ; @_ZN7rocprim17ROCPRIM_400000_NS6detail17trampoline_kernelINS0_14default_configENS1_27lower_bound_config_selectorIilEEZNS1_14transform_implILb0ES3_S5_N6thrust23THRUST_200600_302600_NS6detail15normal_iteratorINS8_7pointerIiNS8_11hip_rocprim5par_tENS8_11use_defaultESE_EEEENSA_INSB_IlSD_SE_SE_EEEEZNS1_13binary_searchIS3_S5_PiSG_SI_NS1_21lower_bound_search_opENS9_16wrapped_functionINS8_6system6detail7generic6detail18binary_search_lessEbEEEE10hipError_tPvRmT1_T2_T3_mmT4_T5_P12ihipStream_tbEUlRKiE_EEST_SX_SY_mSZ_S12_bEUlT_E_NS1_11comp_targetILNS1_3genE9ELNS1_11target_archE1100ELNS1_3gpuE3ELNS1_3repE0EEENS1_30default_config_static_selectorELNS0_4arch9wavefront6targetE0EEEvSW_
; %bb.0:
	.section	.rodata,"a",@progbits
	.p2align	6, 0x0
	.amdhsa_kernel _ZN7rocprim17ROCPRIM_400000_NS6detail17trampoline_kernelINS0_14default_configENS1_27lower_bound_config_selectorIilEEZNS1_14transform_implILb0ES3_S5_N6thrust23THRUST_200600_302600_NS6detail15normal_iteratorINS8_7pointerIiNS8_11hip_rocprim5par_tENS8_11use_defaultESE_EEEENSA_INSB_IlSD_SE_SE_EEEEZNS1_13binary_searchIS3_S5_PiSG_SI_NS1_21lower_bound_search_opENS9_16wrapped_functionINS8_6system6detail7generic6detail18binary_search_lessEbEEEE10hipError_tPvRmT1_T2_T3_mmT4_T5_P12ihipStream_tbEUlRKiE_EEST_SX_SY_mSZ_S12_bEUlT_E_NS1_11comp_targetILNS1_3genE9ELNS1_11target_archE1100ELNS1_3gpuE3ELNS1_3repE0EEENS1_30default_config_static_selectorELNS0_4arch9wavefront6targetE0EEEvSW_
		.amdhsa_group_segment_fixed_size 0
		.amdhsa_private_segment_fixed_size 0
		.amdhsa_kernarg_size 56
		.amdhsa_user_sgpr_count 6
		.amdhsa_user_sgpr_private_segment_buffer 1
		.amdhsa_user_sgpr_dispatch_ptr 0
		.amdhsa_user_sgpr_queue_ptr 0
		.amdhsa_user_sgpr_kernarg_segment_ptr 1
		.amdhsa_user_sgpr_dispatch_id 0
		.amdhsa_user_sgpr_flat_scratch_init 0
		.amdhsa_user_sgpr_private_segment_size 0
		.amdhsa_wavefront_size32 1
		.amdhsa_uses_dynamic_stack 0
		.amdhsa_system_sgpr_private_segment_wavefront_offset 0
		.amdhsa_system_sgpr_workgroup_id_x 1
		.amdhsa_system_sgpr_workgroup_id_y 0
		.amdhsa_system_sgpr_workgroup_id_z 0
		.amdhsa_system_sgpr_workgroup_info 0
		.amdhsa_system_vgpr_workitem_id 0
		.amdhsa_next_free_vgpr 1
		.amdhsa_next_free_sgpr 1
		.amdhsa_reserve_vcc 0
		.amdhsa_reserve_flat_scratch 0
		.amdhsa_float_round_mode_32 0
		.amdhsa_float_round_mode_16_64 0
		.amdhsa_float_denorm_mode_32 3
		.amdhsa_float_denorm_mode_16_64 3
		.amdhsa_dx10_clamp 1
		.amdhsa_ieee_mode 1
		.amdhsa_fp16_overflow 0
		.amdhsa_workgroup_processor_mode 1
		.amdhsa_memory_ordered 1
		.amdhsa_forward_progress 1
		.amdhsa_shared_vgpr_count 0
		.amdhsa_exception_fp_ieee_invalid_op 0
		.amdhsa_exception_fp_denorm_src 0
		.amdhsa_exception_fp_ieee_div_zero 0
		.amdhsa_exception_fp_ieee_overflow 0
		.amdhsa_exception_fp_ieee_underflow 0
		.amdhsa_exception_fp_ieee_inexact 0
		.amdhsa_exception_int_div_zero 0
	.end_amdhsa_kernel
	.section	.text._ZN7rocprim17ROCPRIM_400000_NS6detail17trampoline_kernelINS0_14default_configENS1_27lower_bound_config_selectorIilEEZNS1_14transform_implILb0ES3_S5_N6thrust23THRUST_200600_302600_NS6detail15normal_iteratorINS8_7pointerIiNS8_11hip_rocprim5par_tENS8_11use_defaultESE_EEEENSA_INSB_IlSD_SE_SE_EEEEZNS1_13binary_searchIS3_S5_PiSG_SI_NS1_21lower_bound_search_opENS9_16wrapped_functionINS8_6system6detail7generic6detail18binary_search_lessEbEEEE10hipError_tPvRmT1_T2_T3_mmT4_T5_P12ihipStream_tbEUlRKiE_EEST_SX_SY_mSZ_S12_bEUlT_E_NS1_11comp_targetILNS1_3genE9ELNS1_11target_archE1100ELNS1_3gpuE3ELNS1_3repE0EEENS1_30default_config_static_selectorELNS0_4arch9wavefront6targetE0EEEvSW_,"axG",@progbits,_ZN7rocprim17ROCPRIM_400000_NS6detail17trampoline_kernelINS0_14default_configENS1_27lower_bound_config_selectorIilEEZNS1_14transform_implILb0ES3_S5_N6thrust23THRUST_200600_302600_NS6detail15normal_iteratorINS8_7pointerIiNS8_11hip_rocprim5par_tENS8_11use_defaultESE_EEEENSA_INSB_IlSD_SE_SE_EEEEZNS1_13binary_searchIS3_S5_PiSG_SI_NS1_21lower_bound_search_opENS9_16wrapped_functionINS8_6system6detail7generic6detail18binary_search_lessEbEEEE10hipError_tPvRmT1_T2_T3_mmT4_T5_P12ihipStream_tbEUlRKiE_EEST_SX_SY_mSZ_S12_bEUlT_E_NS1_11comp_targetILNS1_3genE9ELNS1_11target_archE1100ELNS1_3gpuE3ELNS1_3repE0EEENS1_30default_config_static_selectorELNS0_4arch9wavefront6targetE0EEEvSW_,comdat
.Lfunc_end139:
	.size	_ZN7rocprim17ROCPRIM_400000_NS6detail17trampoline_kernelINS0_14default_configENS1_27lower_bound_config_selectorIilEEZNS1_14transform_implILb0ES3_S5_N6thrust23THRUST_200600_302600_NS6detail15normal_iteratorINS8_7pointerIiNS8_11hip_rocprim5par_tENS8_11use_defaultESE_EEEENSA_INSB_IlSD_SE_SE_EEEEZNS1_13binary_searchIS3_S5_PiSG_SI_NS1_21lower_bound_search_opENS9_16wrapped_functionINS8_6system6detail7generic6detail18binary_search_lessEbEEEE10hipError_tPvRmT1_T2_T3_mmT4_T5_P12ihipStream_tbEUlRKiE_EEST_SX_SY_mSZ_S12_bEUlT_E_NS1_11comp_targetILNS1_3genE9ELNS1_11target_archE1100ELNS1_3gpuE3ELNS1_3repE0EEENS1_30default_config_static_selectorELNS0_4arch9wavefront6targetE0EEEvSW_, .Lfunc_end139-_ZN7rocprim17ROCPRIM_400000_NS6detail17trampoline_kernelINS0_14default_configENS1_27lower_bound_config_selectorIilEEZNS1_14transform_implILb0ES3_S5_N6thrust23THRUST_200600_302600_NS6detail15normal_iteratorINS8_7pointerIiNS8_11hip_rocprim5par_tENS8_11use_defaultESE_EEEENSA_INSB_IlSD_SE_SE_EEEEZNS1_13binary_searchIS3_S5_PiSG_SI_NS1_21lower_bound_search_opENS9_16wrapped_functionINS8_6system6detail7generic6detail18binary_search_lessEbEEEE10hipError_tPvRmT1_T2_T3_mmT4_T5_P12ihipStream_tbEUlRKiE_EEST_SX_SY_mSZ_S12_bEUlT_E_NS1_11comp_targetILNS1_3genE9ELNS1_11target_archE1100ELNS1_3gpuE3ELNS1_3repE0EEENS1_30default_config_static_selectorELNS0_4arch9wavefront6targetE0EEEvSW_
                                        ; -- End function
	.set _ZN7rocprim17ROCPRIM_400000_NS6detail17trampoline_kernelINS0_14default_configENS1_27lower_bound_config_selectorIilEEZNS1_14transform_implILb0ES3_S5_N6thrust23THRUST_200600_302600_NS6detail15normal_iteratorINS8_7pointerIiNS8_11hip_rocprim5par_tENS8_11use_defaultESE_EEEENSA_INSB_IlSD_SE_SE_EEEEZNS1_13binary_searchIS3_S5_PiSG_SI_NS1_21lower_bound_search_opENS9_16wrapped_functionINS8_6system6detail7generic6detail18binary_search_lessEbEEEE10hipError_tPvRmT1_T2_T3_mmT4_T5_P12ihipStream_tbEUlRKiE_EEST_SX_SY_mSZ_S12_bEUlT_E_NS1_11comp_targetILNS1_3genE9ELNS1_11target_archE1100ELNS1_3gpuE3ELNS1_3repE0EEENS1_30default_config_static_selectorELNS0_4arch9wavefront6targetE0EEEvSW_.num_vgpr, 0
	.set _ZN7rocprim17ROCPRIM_400000_NS6detail17trampoline_kernelINS0_14default_configENS1_27lower_bound_config_selectorIilEEZNS1_14transform_implILb0ES3_S5_N6thrust23THRUST_200600_302600_NS6detail15normal_iteratorINS8_7pointerIiNS8_11hip_rocprim5par_tENS8_11use_defaultESE_EEEENSA_INSB_IlSD_SE_SE_EEEEZNS1_13binary_searchIS3_S5_PiSG_SI_NS1_21lower_bound_search_opENS9_16wrapped_functionINS8_6system6detail7generic6detail18binary_search_lessEbEEEE10hipError_tPvRmT1_T2_T3_mmT4_T5_P12ihipStream_tbEUlRKiE_EEST_SX_SY_mSZ_S12_bEUlT_E_NS1_11comp_targetILNS1_3genE9ELNS1_11target_archE1100ELNS1_3gpuE3ELNS1_3repE0EEENS1_30default_config_static_selectorELNS0_4arch9wavefront6targetE0EEEvSW_.num_agpr, 0
	.set _ZN7rocprim17ROCPRIM_400000_NS6detail17trampoline_kernelINS0_14default_configENS1_27lower_bound_config_selectorIilEEZNS1_14transform_implILb0ES3_S5_N6thrust23THRUST_200600_302600_NS6detail15normal_iteratorINS8_7pointerIiNS8_11hip_rocprim5par_tENS8_11use_defaultESE_EEEENSA_INSB_IlSD_SE_SE_EEEEZNS1_13binary_searchIS3_S5_PiSG_SI_NS1_21lower_bound_search_opENS9_16wrapped_functionINS8_6system6detail7generic6detail18binary_search_lessEbEEEE10hipError_tPvRmT1_T2_T3_mmT4_T5_P12ihipStream_tbEUlRKiE_EEST_SX_SY_mSZ_S12_bEUlT_E_NS1_11comp_targetILNS1_3genE9ELNS1_11target_archE1100ELNS1_3gpuE3ELNS1_3repE0EEENS1_30default_config_static_selectorELNS0_4arch9wavefront6targetE0EEEvSW_.numbered_sgpr, 0
	.set _ZN7rocprim17ROCPRIM_400000_NS6detail17trampoline_kernelINS0_14default_configENS1_27lower_bound_config_selectorIilEEZNS1_14transform_implILb0ES3_S5_N6thrust23THRUST_200600_302600_NS6detail15normal_iteratorINS8_7pointerIiNS8_11hip_rocprim5par_tENS8_11use_defaultESE_EEEENSA_INSB_IlSD_SE_SE_EEEEZNS1_13binary_searchIS3_S5_PiSG_SI_NS1_21lower_bound_search_opENS9_16wrapped_functionINS8_6system6detail7generic6detail18binary_search_lessEbEEEE10hipError_tPvRmT1_T2_T3_mmT4_T5_P12ihipStream_tbEUlRKiE_EEST_SX_SY_mSZ_S12_bEUlT_E_NS1_11comp_targetILNS1_3genE9ELNS1_11target_archE1100ELNS1_3gpuE3ELNS1_3repE0EEENS1_30default_config_static_selectorELNS0_4arch9wavefront6targetE0EEEvSW_.num_named_barrier, 0
	.set _ZN7rocprim17ROCPRIM_400000_NS6detail17trampoline_kernelINS0_14default_configENS1_27lower_bound_config_selectorIilEEZNS1_14transform_implILb0ES3_S5_N6thrust23THRUST_200600_302600_NS6detail15normal_iteratorINS8_7pointerIiNS8_11hip_rocprim5par_tENS8_11use_defaultESE_EEEENSA_INSB_IlSD_SE_SE_EEEEZNS1_13binary_searchIS3_S5_PiSG_SI_NS1_21lower_bound_search_opENS9_16wrapped_functionINS8_6system6detail7generic6detail18binary_search_lessEbEEEE10hipError_tPvRmT1_T2_T3_mmT4_T5_P12ihipStream_tbEUlRKiE_EEST_SX_SY_mSZ_S12_bEUlT_E_NS1_11comp_targetILNS1_3genE9ELNS1_11target_archE1100ELNS1_3gpuE3ELNS1_3repE0EEENS1_30default_config_static_selectorELNS0_4arch9wavefront6targetE0EEEvSW_.private_seg_size, 0
	.set _ZN7rocprim17ROCPRIM_400000_NS6detail17trampoline_kernelINS0_14default_configENS1_27lower_bound_config_selectorIilEEZNS1_14transform_implILb0ES3_S5_N6thrust23THRUST_200600_302600_NS6detail15normal_iteratorINS8_7pointerIiNS8_11hip_rocprim5par_tENS8_11use_defaultESE_EEEENSA_INSB_IlSD_SE_SE_EEEEZNS1_13binary_searchIS3_S5_PiSG_SI_NS1_21lower_bound_search_opENS9_16wrapped_functionINS8_6system6detail7generic6detail18binary_search_lessEbEEEE10hipError_tPvRmT1_T2_T3_mmT4_T5_P12ihipStream_tbEUlRKiE_EEST_SX_SY_mSZ_S12_bEUlT_E_NS1_11comp_targetILNS1_3genE9ELNS1_11target_archE1100ELNS1_3gpuE3ELNS1_3repE0EEENS1_30default_config_static_selectorELNS0_4arch9wavefront6targetE0EEEvSW_.uses_vcc, 0
	.set _ZN7rocprim17ROCPRIM_400000_NS6detail17trampoline_kernelINS0_14default_configENS1_27lower_bound_config_selectorIilEEZNS1_14transform_implILb0ES3_S5_N6thrust23THRUST_200600_302600_NS6detail15normal_iteratorINS8_7pointerIiNS8_11hip_rocprim5par_tENS8_11use_defaultESE_EEEENSA_INSB_IlSD_SE_SE_EEEEZNS1_13binary_searchIS3_S5_PiSG_SI_NS1_21lower_bound_search_opENS9_16wrapped_functionINS8_6system6detail7generic6detail18binary_search_lessEbEEEE10hipError_tPvRmT1_T2_T3_mmT4_T5_P12ihipStream_tbEUlRKiE_EEST_SX_SY_mSZ_S12_bEUlT_E_NS1_11comp_targetILNS1_3genE9ELNS1_11target_archE1100ELNS1_3gpuE3ELNS1_3repE0EEENS1_30default_config_static_selectorELNS0_4arch9wavefront6targetE0EEEvSW_.uses_flat_scratch, 0
	.set _ZN7rocprim17ROCPRIM_400000_NS6detail17trampoline_kernelINS0_14default_configENS1_27lower_bound_config_selectorIilEEZNS1_14transform_implILb0ES3_S5_N6thrust23THRUST_200600_302600_NS6detail15normal_iteratorINS8_7pointerIiNS8_11hip_rocprim5par_tENS8_11use_defaultESE_EEEENSA_INSB_IlSD_SE_SE_EEEEZNS1_13binary_searchIS3_S5_PiSG_SI_NS1_21lower_bound_search_opENS9_16wrapped_functionINS8_6system6detail7generic6detail18binary_search_lessEbEEEE10hipError_tPvRmT1_T2_T3_mmT4_T5_P12ihipStream_tbEUlRKiE_EEST_SX_SY_mSZ_S12_bEUlT_E_NS1_11comp_targetILNS1_3genE9ELNS1_11target_archE1100ELNS1_3gpuE3ELNS1_3repE0EEENS1_30default_config_static_selectorELNS0_4arch9wavefront6targetE0EEEvSW_.has_dyn_sized_stack, 0
	.set _ZN7rocprim17ROCPRIM_400000_NS6detail17trampoline_kernelINS0_14default_configENS1_27lower_bound_config_selectorIilEEZNS1_14transform_implILb0ES3_S5_N6thrust23THRUST_200600_302600_NS6detail15normal_iteratorINS8_7pointerIiNS8_11hip_rocprim5par_tENS8_11use_defaultESE_EEEENSA_INSB_IlSD_SE_SE_EEEEZNS1_13binary_searchIS3_S5_PiSG_SI_NS1_21lower_bound_search_opENS9_16wrapped_functionINS8_6system6detail7generic6detail18binary_search_lessEbEEEE10hipError_tPvRmT1_T2_T3_mmT4_T5_P12ihipStream_tbEUlRKiE_EEST_SX_SY_mSZ_S12_bEUlT_E_NS1_11comp_targetILNS1_3genE9ELNS1_11target_archE1100ELNS1_3gpuE3ELNS1_3repE0EEENS1_30default_config_static_selectorELNS0_4arch9wavefront6targetE0EEEvSW_.has_recursion, 0
	.set _ZN7rocprim17ROCPRIM_400000_NS6detail17trampoline_kernelINS0_14default_configENS1_27lower_bound_config_selectorIilEEZNS1_14transform_implILb0ES3_S5_N6thrust23THRUST_200600_302600_NS6detail15normal_iteratorINS8_7pointerIiNS8_11hip_rocprim5par_tENS8_11use_defaultESE_EEEENSA_INSB_IlSD_SE_SE_EEEEZNS1_13binary_searchIS3_S5_PiSG_SI_NS1_21lower_bound_search_opENS9_16wrapped_functionINS8_6system6detail7generic6detail18binary_search_lessEbEEEE10hipError_tPvRmT1_T2_T3_mmT4_T5_P12ihipStream_tbEUlRKiE_EEST_SX_SY_mSZ_S12_bEUlT_E_NS1_11comp_targetILNS1_3genE9ELNS1_11target_archE1100ELNS1_3gpuE3ELNS1_3repE0EEENS1_30default_config_static_selectorELNS0_4arch9wavefront6targetE0EEEvSW_.has_indirect_call, 0
	.section	.AMDGPU.csdata,"",@progbits
; Kernel info:
; codeLenInByte = 0
; TotalNumSgprs: 0
; NumVgprs: 0
; ScratchSize: 0
; MemoryBound: 0
; FloatMode: 240
; IeeeMode: 1
; LDSByteSize: 0 bytes/workgroup (compile time only)
; SGPRBlocks: 0
; VGPRBlocks: 0
; NumSGPRsForWavesPerEU: 1
; NumVGPRsForWavesPerEU: 1
; Occupancy: 16
; WaveLimiterHint : 0
; COMPUTE_PGM_RSRC2:SCRATCH_EN: 0
; COMPUTE_PGM_RSRC2:USER_SGPR: 6
; COMPUTE_PGM_RSRC2:TRAP_HANDLER: 0
; COMPUTE_PGM_RSRC2:TGID_X_EN: 1
; COMPUTE_PGM_RSRC2:TGID_Y_EN: 0
; COMPUTE_PGM_RSRC2:TGID_Z_EN: 0
; COMPUTE_PGM_RSRC2:TIDIG_COMP_CNT: 0
	.section	.text._ZN7rocprim17ROCPRIM_400000_NS6detail17trampoline_kernelINS0_14default_configENS1_27lower_bound_config_selectorIilEEZNS1_14transform_implILb0ES3_S5_N6thrust23THRUST_200600_302600_NS6detail15normal_iteratorINS8_7pointerIiNS8_11hip_rocprim5par_tENS8_11use_defaultESE_EEEENSA_INSB_IlSD_SE_SE_EEEEZNS1_13binary_searchIS3_S5_PiSG_SI_NS1_21lower_bound_search_opENS9_16wrapped_functionINS8_6system6detail7generic6detail18binary_search_lessEbEEEE10hipError_tPvRmT1_T2_T3_mmT4_T5_P12ihipStream_tbEUlRKiE_EEST_SX_SY_mSZ_S12_bEUlT_E_NS1_11comp_targetILNS1_3genE8ELNS1_11target_archE1030ELNS1_3gpuE2ELNS1_3repE0EEENS1_30default_config_static_selectorELNS0_4arch9wavefront6targetE0EEEvSW_,"axG",@progbits,_ZN7rocprim17ROCPRIM_400000_NS6detail17trampoline_kernelINS0_14default_configENS1_27lower_bound_config_selectorIilEEZNS1_14transform_implILb0ES3_S5_N6thrust23THRUST_200600_302600_NS6detail15normal_iteratorINS8_7pointerIiNS8_11hip_rocprim5par_tENS8_11use_defaultESE_EEEENSA_INSB_IlSD_SE_SE_EEEEZNS1_13binary_searchIS3_S5_PiSG_SI_NS1_21lower_bound_search_opENS9_16wrapped_functionINS8_6system6detail7generic6detail18binary_search_lessEbEEEE10hipError_tPvRmT1_T2_T3_mmT4_T5_P12ihipStream_tbEUlRKiE_EEST_SX_SY_mSZ_S12_bEUlT_E_NS1_11comp_targetILNS1_3genE8ELNS1_11target_archE1030ELNS1_3gpuE2ELNS1_3repE0EEENS1_30default_config_static_selectorELNS0_4arch9wavefront6targetE0EEEvSW_,comdat
	.protected	_ZN7rocprim17ROCPRIM_400000_NS6detail17trampoline_kernelINS0_14default_configENS1_27lower_bound_config_selectorIilEEZNS1_14transform_implILb0ES3_S5_N6thrust23THRUST_200600_302600_NS6detail15normal_iteratorINS8_7pointerIiNS8_11hip_rocprim5par_tENS8_11use_defaultESE_EEEENSA_INSB_IlSD_SE_SE_EEEEZNS1_13binary_searchIS3_S5_PiSG_SI_NS1_21lower_bound_search_opENS9_16wrapped_functionINS8_6system6detail7generic6detail18binary_search_lessEbEEEE10hipError_tPvRmT1_T2_T3_mmT4_T5_P12ihipStream_tbEUlRKiE_EEST_SX_SY_mSZ_S12_bEUlT_E_NS1_11comp_targetILNS1_3genE8ELNS1_11target_archE1030ELNS1_3gpuE2ELNS1_3repE0EEENS1_30default_config_static_selectorELNS0_4arch9wavefront6targetE0EEEvSW_ ; -- Begin function _ZN7rocprim17ROCPRIM_400000_NS6detail17trampoline_kernelINS0_14default_configENS1_27lower_bound_config_selectorIilEEZNS1_14transform_implILb0ES3_S5_N6thrust23THRUST_200600_302600_NS6detail15normal_iteratorINS8_7pointerIiNS8_11hip_rocprim5par_tENS8_11use_defaultESE_EEEENSA_INSB_IlSD_SE_SE_EEEEZNS1_13binary_searchIS3_S5_PiSG_SI_NS1_21lower_bound_search_opENS9_16wrapped_functionINS8_6system6detail7generic6detail18binary_search_lessEbEEEE10hipError_tPvRmT1_T2_T3_mmT4_T5_P12ihipStream_tbEUlRKiE_EEST_SX_SY_mSZ_S12_bEUlT_E_NS1_11comp_targetILNS1_3genE8ELNS1_11target_archE1030ELNS1_3gpuE2ELNS1_3repE0EEENS1_30default_config_static_selectorELNS0_4arch9wavefront6targetE0EEEvSW_
	.globl	_ZN7rocprim17ROCPRIM_400000_NS6detail17trampoline_kernelINS0_14default_configENS1_27lower_bound_config_selectorIilEEZNS1_14transform_implILb0ES3_S5_N6thrust23THRUST_200600_302600_NS6detail15normal_iteratorINS8_7pointerIiNS8_11hip_rocprim5par_tENS8_11use_defaultESE_EEEENSA_INSB_IlSD_SE_SE_EEEEZNS1_13binary_searchIS3_S5_PiSG_SI_NS1_21lower_bound_search_opENS9_16wrapped_functionINS8_6system6detail7generic6detail18binary_search_lessEbEEEE10hipError_tPvRmT1_T2_T3_mmT4_T5_P12ihipStream_tbEUlRKiE_EEST_SX_SY_mSZ_S12_bEUlT_E_NS1_11comp_targetILNS1_3genE8ELNS1_11target_archE1030ELNS1_3gpuE2ELNS1_3repE0EEENS1_30default_config_static_selectorELNS0_4arch9wavefront6targetE0EEEvSW_
	.p2align	8
	.type	_ZN7rocprim17ROCPRIM_400000_NS6detail17trampoline_kernelINS0_14default_configENS1_27lower_bound_config_selectorIilEEZNS1_14transform_implILb0ES3_S5_N6thrust23THRUST_200600_302600_NS6detail15normal_iteratorINS8_7pointerIiNS8_11hip_rocprim5par_tENS8_11use_defaultESE_EEEENSA_INSB_IlSD_SE_SE_EEEEZNS1_13binary_searchIS3_S5_PiSG_SI_NS1_21lower_bound_search_opENS9_16wrapped_functionINS8_6system6detail7generic6detail18binary_search_lessEbEEEE10hipError_tPvRmT1_T2_T3_mmT4_T5_P12ihipStream_tbEUlRKiE_EEST_SX_SY_mSZ_S12_bEUlT_E_NS1_11comp_targetILNS1_3genE8ELNS1_11target_archE1030ELNS1_3gpuE2ELNS1_3repE0EEENS1_30default_config_static_selectorELNS0_4arch9wavefront6targetE0EEEvSW_,@function
_ZN7rocprim17ROCPRIM_400000_NS6detail17trampoline_kernelINS0_14default_configENS1_27lower_bound_config_selectorIilEEZNS1_14transform_implILb0ES3_S5_N6thrust23THRUST_200600_302600_NS6detail15normal_iteratorINS8_7pointerIiNS8_11hip_rocprim5par_tENS8_11use_defaultESE_EEEENSA_INSB_IlSD_SE_SE_EEEEZNS1_13binary_searchIS3_S5_PiSG_SI_NS1_21lower_bound_search_opENS9_16wrapped_functionINS8_6system6detail7generic6detail18binary_search_lessEbEEEE10hipError_tPvRmT1_T2_T3_mmT4_T5_P12ihipStream_tbEUlRKiE_EEST_SX_SY_mSZ_S12_bEUlT_E_NS1_11comp_targetILNS1_3genE8ELNS1_11target_archE1030ELNS1_3gpuE2ELNS1_3repE0EEENS1_30default_config_static_selectorELNS0_4arch9wavefront6targetE0EEEvSW_: ; @_ZN7rocprim17ROCPRIM_400000_NS6detail17trampoline_kernelINS0_14default_configENS1_27lower_bound_config_selectorIilEEZNS1_14transform_implILb0ES3_S5_N6thrust23THRUST_200600_302600_NS6detail15normal_iteratorINS8_7pointerIiNS8_11hip_rocprim5par_tENS8_11use_defaultESE_EEEENSA_INSB_IlSD_SE_SE_EEEEZNS1_13binary_searchIS3_S5_PiSG_SI_NS1_21lower_bound_search_opENS9_16wrapped_functionINS8_6system6detail7generic6detail18binary_search_lessEbEEEE10hipError_tPvRmT1_T2_T3_mmT4_T5_P12ihipStream_tbEUlRKiE_EEST_SX_SY_mSZ_S12_bEUlT_E_NS1_11comp_targetILNS1_3genE8ELNS1_11target_archE1030ELNS1_3gpuE2ELNS1_3repE0EEENS1_30default_config_static_selectorELNS0_4arch9wavefront6targetE0EEEvSW_
; %bb.0:
	s_clause 0x3
	s_load_dwordx4 s[12:15], s[4:5], 0x0
	s_load_dwordx4 s[0:3], s[4:5], 0x18
	s_load_dword s16, s[4:5], 0x38
	s_load_dwordx2 s[10:11], s[4:5], 0x28
	s_waitcnt lgkmcnt(0)
	s_lshl_b64 s[8:9], s[14:15], 2
	s_add_u32 s12, s12, s8
	s_addc_u32 s13, s13, s9
	s_lshl_b64 s[8:9], s[14:15], 3
	s_add_u32 s7, s0, s8
	s_addc_u32 s1, s1, s9
	s_add_i32 s16, s16, -1
	s_lshl_b32 s8, s6, 8
	s_mov_b32 s9, 0
	s_cmp_lg_u32 s6, s16
	s_mov_b32 s0, -1
	s_cbranch_scc0 .LBB140_7
; %bb.1:
	s_cmp_eq_u64 s[10:11], 0
	s_cbranch_scc1 .LBB140_5
; %bb.2:
	v_lshlrev_b32_e32 v1, 2, v0
	s_lshl_b64 s[14:15], s[8:9], 2
	v_mov_b32_e32 v3, s10
	s_add_u32 s0, s12, s14
	s_addc_u32 s6, s13, s15
	v_add_co_u32 v1, s0, s0, v1
	v_add_co_ci_u32_e64 v2, null, s6, 0, s0
	v_mov_b32_e32 v4, s11
	s_mov_b32 s0, 0
	flat_load_dword v5, v[1:2]
	v_mov_b32_e32 v1, 0
	v_mov_b32_e32 v2, 0
	s_inst_prefetch 0x1
	.p2align	6
.LBB140_3:                              ; =>This Inner Loop Header: Depth=1
	v_sub_co_u32 v6, vcc_lo, v3, v1
	v_sub_co_ci_u32_e64 v7, null, v4, v2, vcc_lo
	v_lshrrev_b64 v[8:9], 1, v[6:7]
	v_lshrrev_b64 v[6:7], 6, v[6:7]
	v_add_co_u32 v8, vcc_lo, v8, v1
	v_add_co_ci_u32_e64 v9, null, v9, v2, vcc_lo
	v_add_co_u32 v6, vcc_lo, v8, v6
	v_add_co_ci_u32_e64 v7, null, v9, v7, vcc_lo
	v_lshlrev_b64 v[8:9], 2, v[6:7]
	v_add_co_u32 v8, vcc_lo, s2, v8
	v_add_co_ci_u32_e64 v9, null, s3, v9, vcc_lo
	global_load_dword v8, v[8:9], off
	v_add_co_u32 v9, vcc_lo, v6, 1
	v_add_co_ci_u32_e64 v10, null, 0, v7, vcc_lo
	s_waitcnt vmcnt(0) lgkmcnt(0)
	v_cmp_lt_i32_e32 vcc_lo, v8, v5
	v_cndmask_b32_e32 v4, v7, v4, vcc_lo
	v_cndmask_b32_e32 v3, v6, v3, vcc_lo
	;; [unrolled: 1-line block ×4, first 2 shown]
	v_cmp_ge_u64_e32 vcc_lo, v[1:2], v[3:4]
	s_or_b32 s0, vcc_lo, s0
	s_andn2_b32 exec_lo, exec_lo, s0
	s_cbranch_execnz .LBB140_3
; %bb.4:
	s_inst_prefetch 0x2
	s_or_b32 exec_lo, exec_lo, s0
	s_branch .LBB140_6
.LBB140_5:
	v_mov_b32_e32 v1, 0
	v_mov_b32_e32 v2, 0
.LBB140_6:
	v_lshlrev_b32_e32 v3, 3, v0
	s_lshl_b64 s[14:15], s[8:9], 3
	s_add_u32 s0, s7, s14
	s_addc_u32 s6, s1, s15
	v_add_co_u32 v3, s0, s0, v3
	v_add_co_ci_u32_e64 v4, null, s6, 0, s0
	s_mov_b32 s0, 0
	flat_store_dwordx2 v[3:4], v[1:2]
.LBB140_7:
	s_and_b32 vcc_lo, exec_lo, s0
	s_cbranch_vccz .LBB140_16
; %bb.8:
	s_load_dword s0, s[4:5], 0x10
                                        ; implicit-def: $vgpr5
	s_waitcnt lgkmcnt(0)
	s_sub_i32 s4, s0, s8
	v_cmp_le_u32_e64 s0, s4, v0
	v_cmp_gt_u32_e32 vcc_lo, s4, v0
	s_and_saveexec_b32 s4, vcc_lo
	s_cbranch_execz .LBB140_10
; %bb.9:
	v_lshlrev_b32_e32 v1, 2, v0
	s_lshl_b64 s[14:15], s[8:9], 2
	s_add_u32 s5, s12, s14
	s_addc_u32 s6, s13, s15
	v_add_co_u32 v1, s5, s5, v1
	v_add_co_ci_u32_e64 v2, null, s6, 0, s5
	flat_load_dword v5, v[1:2]
.LBB140_10:
	s_or_b32 exec_lo, exec_lo, s4
	s_cmp_lg_u64 s[10:11], 0
	v_mov_b32_e32 v1, 0
	v_mov_b32_e32 v2, 0
	s_cselect_b32 s4, -1, 0
	s_xor_b32 s0, s0, -1
	s_and_b32 s0, s0, s4
	s_and_saveexec_b32 s4, s0
	s_cbranch_execz .LBB140_14
; %bb.11:
	v_mov_b32_e32 v1, 0
	v_mov_b32_e32 v3, s10
	;; [unrolled: 1-line block ×4, first 2 shown]
	s_mov_b32 s5, 0
	s_inst_prefetch 0x1
	.p2align	6
.LBB140_12:                             ; =>This Inner Loop Header: Depth=1
	v_sub_co_u32 v6, s0, v3, v1
	v_sub_co_ci_u32_e64 v7, null, v4, v2, s0
	v_lshrrev_b64 v[8:9], 1, v[6:7]
	v_lshrrev_b64 v[6:7], 6, v[6:7]
	v_add_co_u32 v8, s0, v8, v1
	v_add_co_ci_u32_e64 v9, null, v9, v2, s0
	v_add_co_u32 v6, s0, v8, v6
	v_add_co_ci_u32_e64 v7, null, v9, v7, s0
	v_lshlrev_b64 v[8:9], 2, v[6:7]
	v_add_co_u32 v8, s0, s2, v8
	v_add_co_ci_u32_e64 v9, null, s3, v9, s0
	global_load_dword v8, v[8:9], off
	v_add_co_u32 v9, s0, v6, 1
	v_add_co_ci_u32_e64 v10, null, 0, v7, s0
	s_waitcnt vmcnt(0) lgkmcnt(0)
	v_cmp_lt_i32_e64 s0, v8, v5
	v_cndmask_b32_e64 v4, v7, v4, s0
	v_cndmask_b32_e64 v3, v6, v3, s0
	;; [unrolled: 1-line block ×4, first 2 shown]
	v_cmp_ge_u64_e64 s0, v[1:2], v[3:4]
	s_or_b32 s5, s0, s5
	s_andn2_b32 exec_lo, exec_lo, s5
	s_cbranch_execnz .LBB140_12
; %bb.13:
	s_inst_prefetch 0x2
	s_or_b32 exec_lo, exec_lo, s5
.LBB140_14:
	s_or_b32 exec_lo, exec_lo, s4
	s_and_saveexec_b32 s0, vcc_lo
	s_cbranch_execz .LBB140_16
; %bb.15:
	v_lshlrev_b32_e32 v0, 3, v0
	s_lshl_b64 s[2:3], s[8:9], 3
	s_add_u32 s0, s7, s2
	s_addc_u32 s1, s1, s3
	v_add_co_u32 v3, s0, s0, v0
	v_add_co_ci_u32_e64 v4, null, s1, 0, s0
	flat_store_dwordx2 v[3:4], v[1:2]
.LBB140_16:
	s_endpgm
	.section	.rodata,"a",@progbits
	.p2align	6, 0x0
	.amdhsa_kernel _ZN7rocprim17ROCPRIM_400000_NS6detail17trampoline_kernelINS0_14default_configENS1_27lower_bound_config_selectorIilEEZNS1_14transform_implILb0ES3_S5_N6thrust23THRUST_200600_302600_NS6detail15normal_iteratorINS8_7pointerIiNS8_11hip_rocprim5par_tENS8_11use_defaultESE_EEEENSA_INSB_IlSD_SE_SE_EEEEZNS1_13binary_searchIS3_S5_PiSG_SI_NS1_21lower_bound_search_opENS9_16wrapped_functionINS8_6system6detail7generic6detail18binary_search_lessEbEEEE10hipError_tPvRmT1_T2_T3_mmT4_T5_P12ihipStream_tbEUlRKiE_EEST_SX_SY_mSZ_S12_bEUlT_E_NS1_11comp_targetILNS1_3genE8ELNS1_11target_archE1030ELNS1_3gpuE2ELNS1_3repE0EEENS1_30default_config_static_selectorELNS0_4arch9wavefront6targetE0EEEvSW_
		.amdhsa_group_segment_fixed_size 0
		.amdhsa_private_segment_fixed_size 0
		.amdhsa_kernarg_size 312
		.amdhsa_user_sgpr_count 6
		.amdhsa_user_sgpr_private_segment_buffer 1
		.amdhsa_user_sgpr_dispatch_ptr 0
		.amdhsa_user_sgpr_queue_ptr 0
		.amdhsa_user_sgpr_kernarg_segment_ptr 1
		.amdhsa_user_sgpr_dispatch_id 0
		.amdhsa_user_sgpr_flat_scratch_init 0
		.amdhsa_user_sgpr_private_segment_size 0
		.amdhsa_wavefront_size32 1
		.amdhsa_uses_dynamic_stack 0
		.amdhsa_system_sgpr_private_segment_wavefront_offset 0
		.amdhsa_system_sgpr_workgroup_id_x 1
		.amdhsa_system_sgpr_workgroup_id_y 0
		.amdhsa_system_sgpr_workgroup_id_z 0
		.amdhsa_system_sgpr_workgroup_info 0
		.amdhsa_system_vgpr_workitem_id 0
		.amdhsa_next_free_vgpr 11
		.amdhsa_next_free_sgpr 17
		.amdhsa_reserve_vcc 1
		.amdhsa_reserve_flat_scratch 0
		.amdhsa_float_round_mode_32 0
		.amdhsa_float_round_mode_16_64 0
		.amdhsa_float_denorm_mode_32 3
		.amdhsa_float_denorm_mode_16_64 3
		.amdhsa_dx10_clamp 1
		.amdhsa_ieee_mode 1
		.amdhsa_fp16_overflow 0
		.amdhsa_workgroup_processor_mode 1
		.amdhsa_memory_ordered 1
		.amdhsa_forward_progress 1
		.amdhsa_shared_vgpr_count 0
		.amdhsa_exception_fp_ieee_invalid_op 0
		.amdhsa_exception_fp_denorm_src 0
		.amdhsa_exception_fp_ieee_div_zero 0
		.amdhsa_exception_fp_ieee_overflow 0
		.amdhsa_exception_fp_ieee_underflow 0
		.amdhsa_exception_fp_ieee_inexact 0
		.amdhsa_exception_int_div_zero 0
	.end_amdhsa_kernel
	.section	.text._ZN7rocprim17ROCPRIM_400000_NS6detail17trampoline_kernelINS0_14default_configENS1_27lower_bound_config_selectorIilEEZNS1_14transform_implILb0ES3_S5_N6thrust23THRUST_200600_302600_NS6detail15normal_iteratorINS8_7pointerIiNS8_11hip_rocprim5par_tENS8_11use_defaultESE_EEEENSA_INSB_IlSD_SE_SE_EEEEZNS1_13binary_searchIS3_S5_PiSG_SI_NS1_21lower_bound_search_opENS9_16wrapped_functionINS8_6system6detail7generic6detail18binary_search_lessEbEEEE10hipError_tPvRmT1_T2_T3_mmT4_T5_P12ihipStream_tbEUlRKiE_EEST_SX_SY_mSZ_S12_bEUlT_E_NS1_11comp_targetILNS1_3genE8ELNS1_11target_archE1030ELNS1_3gpuE2ELNS1_3repE0EEENS1_30default_config_static_selectorELNS0_4arch9wavefront6targetE0EEEvSW_,"axG",@progbits,_ZN7rocprim17ROCPRIM_400000_NS6detail17trampoline_kernelINS0_14default_configENS1_27lower_bound_config_selectorIilEEZNS1_14transform_implILb0ES3_S5_N6thrust23THRUST_200600_302600_NS6detail15normal_iteratorINS8_7pointerIiNS8_11hip_rocprim5par_tENS8_11use_defaultESE_EEEENSA_INSB_IlSD_SE_SE_EEEEZNS1_13binary_searchIS3_S5_PiSG_SI_NS1_21lower_bound_search_opENS9_16wrapped_functionINS8_6system6detail7generic6detail18binary_search_lessEbEEEE10hipError_tPvRmT1_T2_T3_mmT4_T5_P12ihipStream_tbEUlRKiE_EEST_SX_SY_mSZ_S12_bEUlT_E_NS1_11comp_targetILNS1_3genE8ELNS1_11target_archE1030ELNS1_3gpuE2ELNS1_3repE0EEENS1_30default_config_static_selectorELNS0_4arch9wavefront6targetE0EEEvSW_,comdat
.Lfunc_end140:
	.size	_ZN7rocprim17ROCPRIM_400000_NS6detail17trampoline_kernelINS0_14default_configENS1_27lower_bound_config_selectorIilEEZNS1_14transform_implILb0ES3_S5_N6thrust23THRUST_200600_302600_NS6detail15normal_iteratorINS8_7pointerIiNS8_11hip_rocprim5par_tENS8_11use_defaultESE_EEEENSA_INSB_IlSD_SE_SE_EEEEZNS1_13binary_searchIS3_S5_PiSG_SI_NS1_21lower_bound_search_opENS9_16wrapped_functionINS8_6system6detail7generic6detail18binary_search_lessEbEEEE10hipError_tPvRmT1_T2_T3_mmT4_T5_P12ihipStream_tbEUlRKiE_EEST_SX_SY_mSZ_S12_bEUlT_E_NS1_11comp_targetILNS1_3genE8ELNS1_11target_archE1030ELNS1_3gpuE2ELNS1_3repE0EEENS1_30default_config_static_selectorELNS0_4arch9wavefront6targetE0EEEvSW_, .Lfunc_end140-_ZN7rocprim17ROCPRIM_400000_NS6detail17trampoline_kernelINS0_14default_configENS1_27lower_bound_config_selectorIilEEZNS1_14transform_implILb0ES3_S5_N6thrust23THRUST_200600_302600_NS6detail15normal_iteratorINS8_7pointerIiNS8_11hip_rocprim5par_tENS8_11use_defaultESE_EEEENSA_INSB_IlSD_SE_SE_EEEEZNS1_13binary_searchIS3_S5_PiSG_SI_NS1_21lower_bound_search_opENS9_16wrapped_functionINS8_6system6detail7generic6detail18binary_search_lessEbEEEE10hipError_tPvRmT1_T2_T3_mmT4_T5_P12ihipStream_tbEUlRKiE_EEST_SX_SY_mSZ_S12_bEUlT_E_NS1_11comp_targetILNS1_3genE8ELNS1_11target_archE1030ELNS1_3gpuE2ELNS1_3repE0EEENS1_30default_config_static_selectorELNS0_4arch9wavefront6targetE0EEEvSW_
                                        ; -- End function
	.set _ZN7rocprim17ROCPRIM_400000_NS6detail17trampoline_kernelINS0_14default_configENS1_27lower_bound_config_selectorIilEEZNS1_14transform_implILb0ES3_S5_N6thrust23THRUST_200600_302600_NS6detail15normal_iteratorINS8_7pointerIiNS8_11hip_rocprim5par_tENS8_11use_defaultESE_EEEENSA_INSB_IlSD_SE_SE_EEEEZNS1_13binary_searchIS3_S5_PiSG_SI_NS1_21lower_bound_search_opENS9_16wrapped_functionINS8_6system6detail7generic6detail18binary_search_lessEbEEEE10hipError_tPvRmT1_T2_T3_mmT4_T5_P12ihipStream_tbEUlRKiE_EEST_SX_SY_mSZ_S12_bEUlT_E_NS1_11comp_targetILNS1_3genE8ELNS1_11target_archE1030ELNS1_3gpuE2ELNS1_3repE0EEENS1_30default_config_static_selectorELNS0_4arch9wavefront6targetE0EEEvSW_.num_vgpr, 11
	.set _ZN7rocprim17ROCPRIM_400000_NS6detail17trampoline_kernelINS0_14default_configENS1_27lower_bound_config_selectorIilEEZNS1_14transform_implILb0ES3_S5_N6thrust23THRUST_200600_302600_NS6detail15normal_iteratorINS8_7pointerIiNS8_11hip_rocprim5par_tENS8_11use_defaultESE_EEEENSA_INSB_IlSD_SE_SE_EEEEZNS1_13binary_searchIS3_S5_PiSG_SI_NS1_21lower_bound_search_opENS9_16wrapped_functionINS8_6system6detail7generic6detail18binary_search_lessEbEEEE10hipError_tPvRmT1_T2_T3_mmT4_T5_P12ihipStream_tbEUlRKiE_EEST_SX_SY_mSZ_S12_bEUlT_E_NS1_11comp_targetILNS1_3genE8ELNS1_11target_archE1030ELNS1_3gpuE2ELNS1_3repE0EEENS1_30default_config_static_selectorELNS0_4arch9wavefront6targetE0EEEvSW_.num_agpr, 0
	.set _ZN7rocprim17ROCPRIM_400000_NS6detail17trampoline_kernelINS0_14default_configENS1_27lower_bound_config_selectorIilEEZNS1_14transform_implILb0ES3_S5_N6thrust23THRUST_200600_302600_NS6detail15normal_iteratorINS8_7pointerIiNS8_11hip_rocprim5par_tENS8_11use_defaultESE_EEEENSA_INSB_IlSD_SE_SE_EEEEZNS1_13binary_searchIS3_S5_PiSG_SI_NS1_21lower_bound_search_opENS9_16wrapped_functionINS8_6system6detail7generic6detail18binary_search_lessEbEEEE10hipError_tPvRmT1_T2_T3_mmT4_T5_P12ihipStream_tbEUlRKiE_EEST_SX_SY_mSZ_S12_bEUlT_E_NS1_11comp_targetILNS1_3genE8ELNS1_11target_archE1030ELNS1_3gpuE2ELNS1_3repE0EEENS1_30default_config_static_selectorELNS0_4arch9wavefront6targetE0EEEvSW_.numbered_sgpr, 17
	.set _ZN7rocprim17ROCPRIM_400000_NS6detail17trampoline_kernelINS0_14default_configENS1_27lower_bound_config_selectorIilEEZNS1_14transform_implILb0ES3_S5_N6thrust23THRUST_200600_302600_NS6detail15normal_iteratorINS8_7pointerIiNS8_11hip_rocprim5par_tENS8_11use_defaultESE_EEEENSA_INSB_IlSD_SE_SE_EEEEZNS1_13binary_searchIS3_S5_PiSG_SI_NS1_21lower_bound_search_opENS9_16wrapped_functionINS8_6system6detail7generic6detail18binary_search_lessEbEEEE10hipError_tPvRmT1_T2_T3_mmT4_T5_P12ihipStream_tbEUlRKiE_EEST_SX_SY_mSZ_S12_bEUlT_E_NS1_11comp_targetILNS1_3genE8ELNS1_11target_archE1030ELNS1_3gpuE2ELNS1_3repE0EEENS1_30default_config_static_selectorELNS0_4arch9wavefront6targetE0EEEvSW_.num_named_barrier, 0
	.set _ZN7rocprim17ROCPRIM_400000_NS6detail17trampoline_kernelINS0_14default_configENS1_27lower_bound_config_selectorIilEEZNS1_14transform_implILb0ES3_S5_N6thrust23THRUST_200600_302600_NS6detail15normal_iteratorINS8_7pointerIiNS8_11hip_rocprim5par_tENS8_11use_defaultESE_EEEENSA_INSB_IlSD_SE_SE_EEEEZNS1_13binary_searchIS3_S5_PiSG_SI_NS1_21lower_bound_search_opENS9_16wrapped_functionINS8_6system6detail7generic6detail18binary_search_lessEbEEEE10hipError_tPvRmT1_T2_T3_mmT4_T5_P12ihipStream_tbEUlRKiE_EEST_SX_SY_mSZ_S12_bEUlT_E_NS1_11comp_targetILNS1_3genE8ELNS1_11target_archE1030ELNS1_3gpuE2ELNS1_3repE0EEENS1_30default_config_static_selectorELNS0_4arch9wavefront6targetE0EEEvSW_.private_seg_size, 0
	.set _ZN7rocprim17ROCPRIM_400000_NS6detail17trampoline_kernelINS0_14default_configENS1_27lower_bound_config_selectorIilEEZNS1_14transform_implILb0ES3_S5_N6thrust23THRUST_200600_302600_NS6detail15normal_iteratorINS8_7pointerIiNS8_11hip_rocprim5par_tENS8_11use_defaultESE_EEEENSA_INSB_IlSD_SE_SE_EEEEZNS1_13binary_searchIS3_S5_PiSG_SI_NS1_21lower_bound_search_opENS9_16wrapped_functionINS8_6system6detail7generic6detail18binary_search_lessEbEEEE10hipError_tPvRmT1_T2_T3_mmT4_T5_P12ihipStream_tbEUlRKiE_EEST_SX_SY_mSZ_S12_bEUlT_E_NS1_11comp_targetILNS1_3genE8ELNS1_11target_archE1030ELNS1_3gpuE2ELNS1_3repE0EEENS1_30default_config_static_selectorELNS0_4arch9wavefront6targetE0EEEvSW_.uses_vcc, 1
	.set _ZN7rocprim17ROCPRIM_400000_NS6detail17trampoline_kernelINS0_14default_configENS1_27lower_bound_config_selectorIilEEZNS1_14transform_implILb0ES3_S5_N6thrust23THRUST_200600_302600_NS6detail15normal_iteratorINS8_7pointerIiNS8_11hip_rocprim5par_tENS8_11use_defaultESE_EEEENSA_INSB_IlSD_SE_SE_EEEEZNS1_13binary_searchIS3_S5_PiSG_SI_NS1_21lower_bound_search_opENS9_16wrapped_functionINS8_6system6detail7generic6detail18binary_search_lessEbEEEE10hipError_tPvRmT1_T2_T3_mmT4_T5_P12ihipStream_tbEUlRKiE_EEST_SX_SY_mSZ_S12_bEUlT_E_NS1_11comp_targetILNS1_3genE8ELNS1_11target_archE1030ELNS1_3gpuE2ELNS1_3repE0EEENS1_30default_config_static_selectorELNS0_4arch9wavefront6targetE0EEEvSW_.uses_flat_scratch, 0
	.set _ZN7rocprim17ROCPRIM_400000_NS6detail17trampoline_kernelINS0_14default_configENS1_27lower_bound_config_selectorIilEEZNS1_14transform_implILb0ES3_S5_N6thrust23THRUST_200600_302600_NS6detail15normal_iteratorINS8_7pointerIiNS8_11hip_rocprim5par_tENS8_11use_defaultESE_EEEENSA_INSB_IlSD_SE_SE_EEEEZNS1_13binary_searchIS3_S5_PiSG_SI_NS1_21lower_bound_search_opENS9_16wrapped_functionINS8_6system6detail7generic6detail18binary_search_lessEbEEEE10hipError_tPvRmT1_T2_T3_mmT4_T5_P12ihipStream_tbEUlRKiE_EEST_SX_SY_mSZ_S12_bEUlT_E_NS1_11comp_targetILNS1_3genE8ELNS1_11target_archE1030ELNS1_3gpuE2ELNS1_3repE0EEENS1_30default_config_static_selectorELNS0_4arch9wavefront6targetE0EEEvSW_.has_dyn_sized_stack, 0
	.set _ZN7rocprim17ROCPRIM_400000_NS6detail17trampoline_kernelINS0_14default_configENS1_27lower_bound_config_selectorIilEEZNS1_14transform_implILb0ES3_S5_N6thrust23THRUST_200600_302600_NS6detail15normal_iteratorINS8_7pointerIiNS8_11hip_rocprim5par_tENS8_11use_defaultESE_EEEENSA_INSB_IlSD_SE_SE_EEEEZNS1_13binary_searchIS3_S5_PiSG_SI_NS1_21lower_bound_search_opENS9_16wrapped_functionINS8_6system6detail7generic6detail18binary_search_lessEbEEEE10hipError_tPvRmT1_T2_T3_mmT4_T5_P12ihipStream_tbEUlRKiE_EEST_SX_SY_mSZ_S12_bEUlT_E_NS1_11comp_targetILNS1_3genE8ELNS1_11target_archE1030ELNS1_3gpuE2ELNS1_3repE0EEENS1_30default_config_static_selectorELNS0_4arch9wavefront6targetE0EEEvSW_.has_recursion, 0
	.set _ZN7rocprim17ROCPRIM_400000_NS6detail17trampoline_kernelINS0_14default_configENS1_27lower_bound_config_selectorIilEEZNS1_14transform_implILb0ES3_S5_N6thrust23THRUST_200600_302600_NS6detail15normal_iteratorINS8_7pointerIiNS8_11hip_rocprim5par_tENS8_11use_defaultESE_EEEENSA_INSB_IlSD_SE_SE_EEEEZNS1_13binary_searchIS3_S5_PiSG_SI_NS1_21lower_bound_search_opENS9_16wrapped_functionINS8_6system6detail7generic6detail18binary_search_lessEbEEEE10hipError_tPvRmT1_T2_T3_mmT4_T5_P12ihipStream_tbEUlRKiE_EEST_SX_SY_mSZ_S12_bEUlT_E_NS1_11comp_targetILNS1_3genE8ELNS1_11target_archE1030ELNS1_3gpuE2ELNS1_3repE0EEENS1_30default_config_static_selectorELNS0_4arch9wavefront6targetE0EEEvSW_.has_indirect_call, 0
	.section	.AMDGPU.csdata,"",@progbits
; Kernel info:
; codeLenInByte = 816
; TotalNumSgprs: 19
; NumVgprs: 11
; ScratchSize: 0
; MemoryBound: 0
; FloatMode: 240
; IeeeMode: 1
; LDSByteSize: 0 bytes/workgroup (compile time only)
; SGPRBlocks: 0
; VGPRBlocks: 1
; NumSGPRsForWavesPerEU: 19
; NumVGPRsForWavesPerEU: 11
; Occupancy: 16
; WaveLimiterHint : 0
; COMPUTE_PGM_RSRC2:SCRATCH_EN: 0
; COMPUTE_PGM_RSRC2:USER_SGPR: 6
; COMPUTE_PGM_RSRC2:TRAP_HANDLER: 0
; COMPUTE_PGM_RSRC2:TGID_X_EN: 1
; COMPUTE_PGM_RSRC2:TGID_Y_EN: 0
; COMPUTE_PGM_RSRC2:TGID_Z_EN: 0
; COMPUTE_PGM_RSRC2:TIDIG_COMP_CNT: 0
	.section	.text._ZN6thrust23THRUST_200600_302600_NS11hip_rocprim14__parallel_for6kernelILj256ENS1_20__uninitialized_fill7functorINS0_10device_ptrIsEEsEEmLj1EEEvT0_T1_SA_,"axG",@progbits,_ZN6thrust23THRUST_200600_302600_NS11hip_rocprim14__parallel_for6kernelILj256ENS1_20__uninitialized_fill7functorINS0_10device_ptrIsEEsEEmLj1EEEvT0_T1_SA_,comdat
	.protected	_ZN6thrust23THRUST_200600_302600_NS11hip_rocprim14__parallel_for6kernelILj256ENS1_20__uninitialized_fill7functorINS0_10device_ptrIsEEsEEmLj1EEEvT0_T1_SA_ ; -- Begin function _ZN6thrust23THRUST_200600_302600_NS11hip_rocprim14__parallel_for6kernelILj256ENS1_20__uninitialized_fill7functorINS0_10device_ptrIsEEsEEmLj1EEEvT0_T1_SA_
	.globl	_ZN6thrust23THRUST_200600_302600_NS11hip_rocprim14__parallel_for6kernelILj256ENS1_20__uninitialized_fill7functorINS0_10device_ptrIsEEsEEmLj1EEEvT0_T1_SA_
	.p2align	8
	.type	_ZN6thrust23THRUST_200600_302600_NS11hip_rocprim14__parallel_for6kernelILj256ENS1_20__uninitialized_fill7functorINS0_10device_ptrIsEEsEEmLj1EEEvT0_T1_SA_,@function
_ZN6thrust23THRUST_200600_302600_NS11hip_rocprim14__parallel_for6kernelILj256ENS1_20__uninitialized_fill7functorINS0_10device_ptrIsEEsEEmLj1EEEvT0_T1_SA_: ; @_ZN6thrust23THRUST_200600_302600_NS11hip_rocprim14__parallel_for6kernelILj256ENS1_20__uninitialized_fill7functorINS0_10device_ptrIsEEsEEmLj1EEEvT0_T1_SA_
; %bb.0:
	s_clause 0x2
	s_load_dwordx4 s[8:11], s[4:5], 0x10
	s_load_dwordx2 s[0:1], s[4:5], 0x0
	s_load_dword s7, s[4:5], 0x8
	s_lshl_b32 s2, s6, 8
	s_waitcnt lgkmcnt(0)
	s_add_u32 s2, s10, s2
	s_addc_u32 s3, s11, 0
	s_sub_u32 s4, s8, s2
	s_subb_u32 s5, s9, s3
	v_cmp_lt_u64_e64 s5, 0xff, s[4:5]
	s_and_b32 vcc_lo, exec_lo, s5
	s_mov_b32 s5, -1
	s_cbranch_vccz .LBB141_3
; %bb.1:
	s_andn2_b32 vcc_lo, exec_lo, s5
	s_cbranch_vccz .LBB141_6
.LBB141_2:
	s_endpgm
.LBB141_3:
	v_cmp_gt_u32_e32 vcc_lo, s4, v0
	s_and_saveexec_b32 s4, vcc_lo
	s_cbranch_execz .LBB141_5
; %bb.4:
	v_lshlrev_b32_e32 v1, 1, v0
	s_lshl_b64 s[8:9], s[2:3], 1
	v_mov_b32_e32 v3, s7
	s_add_u32 s5, s0, s8
	s_addc_u32 s6, s1, s9
	v_add_co_u32 v1, s5, s5, v1
	v_add_co_ci_u32_e64 v2, null, s6, 0, s5
	flat_store_short v[1:2], v3
.LBB141_5:
	s_or_b32 exec_lo, exec_lo, s4
	s_cbranch_execnz .LBB141_2
.LBB141_6:
	v_lshlrev_b32_e32 v0, 1, v0
	s_lshl_b64 s[2:3], s[2:3], 1
	v_mov_b32_e32 v2, s7
	s_add_u32 s0, s0, s2
	s_addc_u32 s1, s1, s3
	v_add_co_u32 v0, s0, s0, v0
	v_add_co_ci_u32_e64 v1, null, s1, 0, s0
	flat_store_short v[0:1], v2
	s_endpgm
	.section	.rodata,"a",@progbits
	.p2align	6, 0x0
	.amdhsa_kernel _ZN6thrust23THRUST_200600_302600_NS11hip_rocprim14__parallel_for6kernelILj256ENS1_20__uninitialized_fill7functorINS0_10device_ptrIsEEsEEmLj1EEEvT0_T1_SA_
		.amdhsa_group_segment_fixed_size 0
		.amdhsa_private_segment_fixed_size 0
		.amdhsa_kernarg_size 32
		.amdhsa_user_sgpr_count 6
		.amdhsa_user_sgpr_private_segment_buffer 1
		.amdhsa_user_sgpr_dispatch_ptr 0
		.amdhsa_user_sgpr_queue_ptr 0
		.amdhsa_user_sgpr_kernarg_segment_ptr 1
		.amdhsa_user_sgpr_dispatch_id 0
		.amdhsa_user_sgpr_flat_scratch_init 0
		.amdhsa_user_sgpr_private_segment_size 0
		.amdhsa_wavefront_size32 1
		.amdhsa_uses_dynamic_stack 0
		.amdhsa_system_sgpr_private_segment_wavefront_offset 0
		.amdhsa_system_sgpr_workgroup_id_x 1
		.amdhsa_system_sgpr_workgroup_id_y 0
		.amdhsa_system_sgpr_workgroup_id_z 0
		.amdhsa_system_sgpr_workgroup_info 0
		.amdhsa_system_vgpr_workitem_id 0
		.amdhsa_next_free_vgpr 4
		.amdhsa_next_free_sgpr 12
		.amdhsa_reserve_vcc 1
		.amdhsa_reserve_flat_scratch 0
		.amdhsa_float_round_mode_32 0
		.amdhsa_float_round_mode_16_64 0
		.amdhsa_float_denorm_mode_32 3
		.amdhsa_float_denorm_mode_16_64 3
		.amdhsa_dx10_clamp 1
		.amdhsa_ieee_mode 1
		.amdhsa_fp16_overflow 0
		.amdhsa_workgroup_processor_mode 1
		.amdhsa_memory_ordered 1
		.amdhsa_forward_progress 1
		.amdhsa_shared_vgpr_count 0
		.amdhsa_exception_fp_ieee_invalid_op 0
		.amdhsa_exception_fp_denorm_src 0
		.amdhsa_exception_fp_ieee_div_zero 0
		.amdhsa_exception_fp_ieee_overflow 0
		.amdhsa_exception_fp_ieee_underflow 0
		.amdhsa_exception_fp_ieee_inexact 0
		.amdhsa_exception_int_div_zero 0
	.end_amdhsa_kernel
	.section	.text._ZN6thrust23THRUST_200600_302600_NS11hip_rocprim14__parallel_for6kernelILj256ENS1_20__uninitialized_fill7functorINS0_10device_ptrIsEEsEEmLj1EEEvT0_T1_SA_,"axG",@progbits,_ZN6thrust23THRUST_200600_302600_NS11hip_rocprim14__parallel_for6kernelILj256ENS1_20__uninitialized_fill7functorINS0_10device_ptrIsEEsEEmLj1EEEvT0_T1_SA_,comdat
.Lfunc_end141:
	.size	_ZN6thrust23THRUST_200600_302600_NS11hip_rocprim14__parallel_for6kernelILj256ENS1_20__uninitialized_fill7functorINS0_10device_ptrIsEEsEEmLj1EEEvT0_T1_SA_, .Lfunc_end141-_ZN6thrust23THRUST_200600_302600_NS11hip_rocprim14__parallel_for6kernelILj256ENS1_20__uninitialized_fill7functorINS0_10device_ptrIsEEsEEmLj1EEEvT0_T1_SA_
                                        ; -- End function
	.set _ZN6thrust23THRUST_200600_302600_NS11hip_rocprim14__parallel_for6kernelILj256ENS1_20__uninitialized_fill7functorINS0_10device_ptrIsEEsEEmLj1EEEvT0_T1_SA_.num_vgpr, 4
	.set _ZN6thrust23THRUST_200600_302600_NS11hip_rocprim14__parallel_for6kernelILj256ENS1_20__uninitialized_fill7functorINS0_10device_ptrIsEEsEEmLj1EEEvT0_T1_SA_.num_agpr, 0
	.set _ZN6thrust23THRUST_200600_302600_NS11hip_rocprim14__parallel_for6kernelILj256ENS1_20__uninitialized_fill7functorINS0_10device_ptrIsEEsEEmLj1EEEvT0_T1_SA_.numbered_sgpr, 12
	.set _ZN6thrust23THRUST_200600_302600_NS11hip_rocprim14__parallel_for6kernelILj256ENS1_20__uninitialized_fill7functorINS0_10device_ptrIsEEsEEmLj1EEEvT0_T1_SA_.num_named_barrier, 0
	.set _ZN6thrust23THRUST_200600_302600_NS11hip_rocprim14__parallel_for6kernelILj256ENS1_20__uninitialized_fill7functorINS0_10device_ptrIsEEsEEmLj1EEEvT0_T1_SA_.private_seg_size, 0
	.set _ZN6thrust23THRUST_200600_302600_NS11hip_rocprim14__parallel_for6kernelILj256ENS1_20__uninitialized_fill7functorINS0_10device_ptrIsEEsEEmLj1EEEvT0_T1_SA_.uses_vcc, 1
	.set _ZN6thrust23THRUST_200600_302600_NS11hip_rocprim14__parallel_for6kernelILj256ENS1_20__uninitialized_fill7functorINS0_10device_ptrIsEEsEEmLj1EEEvT0_T1_SA_.uses_flat_scratch, 0
	.set _ZN6thrust23THRUST_200600_302600_NS11hip_rocprim14__parallel_for6kernelILj256ENS1_20__uninitialized_fill7functorINS0_10device_ptrIsEEsEEmLj1EEEvT0_T1_SA_.has_dyn_sized_stack, 0
	.set _ZN6thrust23THRUST_200600_302600_NS11hip_rocprim14__parallel_for6kernelILj256ENS1_20__uninitialized_fill7functorINS0_10device_ptrIsEEsEEmLj1EEEvT0_T1_SA_.has_recursion, 0
	.set _ZN6thrust23THRUST_200600_302600_NS11hip_rocprim14__parallel_for6kernelILj256ENS1_20__uninitialized_fill7functorINS0_10device_ptrIsEEsEEmLj1EEEvT0_T1_SA_.has_indirect_call, 0
	.section	.AMDGPU.csdata,"",@progbits
; Kernel info:
; codeLenInByte = 200
; TotalNumSgprs: 14
; NumVgprs: 4
; ScratchSize: 0
; MemoryBound: 0
; FloatMode: 240
; IeeeMode: 1
; LDSByteSize: 0 bytes/workgroup (compile time only)
; SGPRBlocks: 0
; VGPRBlocks: 0
; NumSGPRsForWavesPerEU: 14
; NumVGPRsForWavesPerEU: 4
; Occupancy: 16
; WaveLimiterHint : 0
; COMPUTE_PGM_RSRC2:SCRATCH_EN: 0
; COMPUTE_PGM_RSRC2:USER_SGPR: 6
; COMPUTE_PGM_RSRC2:TRAP_HANDLER: 0
; COMPUTE_PGM_RSRC2:TGID_X_EN: 1
; COMPUTE_PGM_RSRC2:TGID_Y_EN: 0
; COMPUTE_PGM_RSRC2:TGID_Z_EN: 0
; COMPUTE_PGM_RSRC2:TIDIG_COMP_CNT: 0
	.section	.text._Z18lower_bound_kernelIsEvmPT_Pl,"axG",@progbits,_Z18lower_bound_kernelIsEvmPT_Pl,comdat
	.protected	_Z18lower_bound_kernelIsEvmPT_Pl ; -- Begin function _Z18lower_bound_kernelIsEvmPT_Pl
	.globl	_Z18lower_bound_kernelIsEvmPT_Pl
	.p2align	8
	.type	_Z18lower_bound_kernelIsEvmPT_Pl,@function
_Z18lower_bound_kernelIsEvmPT_Pl:       ; @_Z18lower_bound_kernelIsEvmPT_Pl
; %bb.0:
	s_clause 0x1
	s_load_dwordx4 s[0:3], s[4:5], 0x0
	s_load_dwordx2 s[4:5], s[4:5], 0x10
	s_waitcnt lgkmcnt(0)
	s_lshl_b64 s[0:1], s[0:1], 1
	s_add_u32 s0, s2, s0
	s_addc_u32 s1, s3, s1
	s_sub_u32 s0, s0, s2
	s_subb_u32 s1, s1, s3
	s_ashr_i64 s[6:7], s[0:1], 1
	s_mov_b32 s1, -1
	v_cmp_lt_i64_e64 s0, s[6:7], 1
	s_and_b32 s0, exec_lo, s0
	s_mov_b32 vcc_lo, s0
	s_cbranch_vccz .LBB142_2
; %bb.1:
	v_mov_b32_e32 v0, 0
	s_mov_b32 s1, 0
	v_mov_b32_e32 v1, v0
	global_store_dwordx2 v0, v[0:1], s[4:5]
.LBB142_2:
	s_andn2_b32 vcc_lo, exec_lo, s1
	s_mov_b64 s[8:9], 0
	s_cbranch_vccnz .LBB142_7
; %bb.3:
	v_mov_b32_e32 v0, 0
	s_mov_b64 s[10:11], s[6:7]
	.p2align	6
.LBB142_4:                              ; =>This Inner Loop Header: Depth=1
	s_sub_u32 s12, s10, s8
	s_subb_u32 s13, s11, s9
	s_lshr_b64 s[12:13], s[12:13], 1
	s_add_u32 s12, s12, s8
	s_addc_u32 s13, s13, s9
	s_lshl_b64 s[14:15], s[12:13], 1
	s_add_u32 s14, s2, s14
	s_addc_u32 s15, s3, s15
	s_add_u32 s1, s12, 1
	global_load_ushort v1, v0, s[14:15]
	s_addc_u32 s15, s13, 0
	s_waitcnt vmcnt(0)
	v_readfirstlane_b32 s14, v1
	s_sext_i32_i16 s14, s14
	s_cmp_lt_i32 s14, 0
	s_cselect_b32 s9, s15, s9
	s_cselect_b32 s8, s1, s8
	;; [unrolled: 1-line block ×4, first 2 shown]
	v_cmp_lt_i64_e64 s1, s[8:9], s[10:11]
	s_and_b32 vcc_lo, exec_lo, s1
	s_cbranch_vccnz .LBB142_4
; %bb.5:
	s_lshl_b64 s[8:9], s[8:9], 1
	v_mov_b32_e32 v0, 0
	s_add_u32 s1, s2, s8
	s_addc_u32 s9, s3, s9
	s_sub_u32 s8, s1, s2
	s_subb_u32 s9, s9, s3
	s_mov_b64 s[10:11], s[6:7]
	s_ashr_i64 s[8:9], s[8:9], 1
	v_mov_b32_e32 v1, s8
	v_mov_b32_e32 v2, s9
	s_mov_b64 s[8:9], 0
	global_store_dwordx2 v0, v[1:2], s[4:5]
	.p2align	6
.LBB142_6:                              ; =>This Inner Loop Header: Depth=1
	s_sub_u32 s12, s10, s8
	s_subb_u32 s13, s11, s9
	s_lshr_b64 s[12:13], s[12:13], 1
	s_add_u32 s12, s12, s8
	s_addc_u32 s13, s13, s9
	s_lshl_b64 s[14:15], s[12:13], 1
	s_add_u32 s14, s2, s14
	s_addc_u32 s15, s3, s15
	s_add_u32 s1, s12, 1
	global_load_ushort v1, v0, s[14:15]
	s_addc_u32 s15, s13, 0
	s_waitcnt vmcnt(0)
	v_readfirstlane_b32 s14, v1
	s_sext_i32_i16 s14, s14
	s_cmp_lt_i32 s14, 1
	s_cselect_b32 s9, s15, s9
	s_cselect_b32 s8, s1, s8
	;; [unrolled: 1-line block ×4, first 2 shown]
	v_cmp_ge_i64_e64 s1, s[8:9], s[10:11]
	s_and_b32 vcc_lo, exec_lo, s1
	s_cbranch_vccz .LBB142_6
.LBB142_7:
	s_lshl_b64 s[8:9], s[8:9], 1
	v_mov_b32_e32 v0, 0
	s_add_u32 s1, s2, s8
	s_addc_u32 s9, s3, s9
	s_sub_u32 s8, s1, s2
	s_subb_u32 s9, s9, s3
	s_mov_b32 s1, -1
	s_ashr_i64 s[8:9], s[8:9], 1
	s_mov_b32 vcc_lo, s0
	v_mov_b32_e32 v1, s8
	v_mov_b32_e32 v2, s9
	global_store_dwordx2 v0, v[1:2], s[4:5] offset:8
	s_cbranch_vccz .LBB142_9
; %bb.8:
	v_mov_b32_e32 v1, v0
	s_mov_b32 s1, 0
	global_store_dwordx2 v0, v[0:1], s[4:5] offset:16
.LBB142_9:
	s_andn2_b32 vcc_lo, exec_lo, s1
	s_mov_b64 s[8:9], 0
	s_cbranch_vccnz .LBB142_14
; %bb.10:
	v_mov_b32_e32 v0, 0
	s_mov_b64 s[10:11], s[6:7]
	.p2align	6
.LBB142_11:                             ; =>This Inner Loop Header: Depth=1
	s_sub_u32 s12, s10, s8
	s_subb_u32 s13, s11, s9
	s_lshr_b64 s[12:13], s[12:13], 1
	s_add_u32 s12, s12, s8
	s_addc_u32 s13, s13, s9
	s_lshl_b64 s[14:15], s[12:13], 1
	s_add_u32 s14, s2, s14
	s_addc_u32 s15, s3, s15
	s_add_u32 s1, s12, 1
	global_load_ushort v1, v0, s[14:15]
	s_addc_u32 s15, s13, 0
	s_waitcnt vmcnt(0)
	v_readfirstlane_b32 s14, v1
	s_sext_i32_i16 s14, s14
	s_cmp_lt_i32 s14, 2
	s_cselect_b32 s9, s15, s9
	s_cselect_b32 s8, s1, s8
	;; [unrolled: 1-line block ×4, first 2 shown]
	v_cmp_lt_i64_e64 s1, s[8:9], s[10:11]
	s_and_b32 vcc_lo, exec_lo, s1
	s_cbranch_vccnz .LBB142_11
; %bb.12:
	s_lshl_b64 s[8:9], s[8:9], 1
	v_mov_b32_e32 v0, 0
	s_add_u32 s1, s2, s8
	s_addc_u32 s9, s3, s9
	s_sub_u32 s8, s1, s2
	s_subb_u32 s9, s9, s3
	s_mov_b64 s[10:11], s[6:7]
	s_ashr_i64 s[8:9], s[8:9], 1
	v_mov_b32_e32 v1, s8
	v_mov_b32_e32 v2, s9
	s_mov_b64 s[8:9], 0
	global_store_dwordx2 v0, v[1:2], s[4:5] offset:16
	.p2align	6
.LBB142_13:                             ; =>This Inner Loop Header: Depth=1
	s_sub_u32 s12, s10, s8
	s_subb_u32 s13, s11, s9
	s_lshr_b64 s[12:13], s[12:13], 1
	s_add_u32 s12, s12, s8
	s_addc_u32 s13, s13, s9
	s_lshl_b64 s[14:15], s[12:13], 1
	s_add_u32 s14, s2, s14
	s_addc_u32 s15, s3, s15
	s_add_u32 s1, s12, 1
	global_load_ushort v1, v0, s[14:15]
	s_addc_u32 s15, s13, 0
	s_waitcnt vmcnt(0)
	v_readfirstlane_b32 s14, v1
	s_sext_i32_i16 s14, s14
	s_cmp_lt_i32 s14, 3
	s_cselect_b32 s9, s15, s9
	s_cselect_b32 s8, s1, s8
	;; [unrolled: 1-line block ×4, first 2 shown]
	v_cmp_ge_i64_e64 s1, s[8:9], s[10:11]
	s_and_b32 vcc_lo, exec_lo, s1
	s_cbranch_vccz .LBB142_13
.LBB142_14:
	s_lshl_b64 s[8:9], s[8:9], 1
	v_mov_b32_e32 v0, 0
	s_add_u32 s1, s2, s8
	s_addc_u32 s9, s3, s9
	s_sub_u32 s8, s1, s2
	s_subb_u32 s9, s9, s3
	s_mov_b32 s1, -1
	s_ashr_i64 s[8:9], s[8:9], 1
	s_mov_b32 vcc_lo, s0
	v_mov_b32_e32 v1, s8
	v_mov_b32_e32 v2, s9
	global_store_dwordx2 v0, v[1:2], s[4:5] offset:24
	s_cbranch_vccz .LBB142_16
; %bb.15:
	v_mov_b32_e32 v1, v0
	s_mov_b32 s1, 0
	global_store_dwordx2 v0, v[0:1], s[4:5] offset:32
.LBB142_16:
	s_andn2_b32 vcc_lo, exec_lo, s1
	s_mov_b64 s[8:9], 0
	s_cbranch_vccnz .LBB142_21
; %bb.17:
	v_mov_b32_e32 v0, 0
	s_mov_b64 s[10:11], s[6:7]
	.p2align	6
.LBB142_18:                             ; =>This Inner Loop Header: Depth=1
	s_sub_u32 s12, s10, s8
	s_subb_u32 s13, s11, s9
	s_lshr_b64 s[12:13], s[12:13], 1
	s_add_u32 s12, s12, s8
	s_addc_u32 s13, s13, s9
	s_lshl_b64 s[14:15], s[12:13], 1
	s_add_u32 s14, s2, s14
	s_addc_u32 s15, s3, s15
	s_add_u32 s1, s12, 1
	global_load_ushort v1, v0, s[14:15]
	s_addc_u32 s15, s13, 0
	s_waitcnt vmcnt(0)
	v_readfirstlane_b32 s14, v1
	s_sext_i32_i16 s14, s14
	s_cmp_lt_i32 s14, 4
	s_cselect_b32 s9, s15, s9
	s_cselect_b32 s8, s1, s8
	;; [unrolled: 1-line block ×4, first 2 shown]
	v_cmp_lt_i64_e64 s1, s[8:9], s[10:11]
	s_and_b32 vcc_lo, exec_lo, s1
	s_cbranch_vccnz .LBB142_18
; %bb.19:
	s_lshl_b64 s[8:9], s[8:9], 1
	v_mov_b32_e32 v0, 0
	s_add_u32 s1, s2, s8
	s_addc_u32 s9, s3, s9
	s_sub_u32 s8, s1, s2
	s_subb_u32 s9, s9, s3
	s_mov_b64 s[10:11], s[6:7]
	s_ashr_i64 s[8:9], s[8:9], 1
	v_mov_b32_e32 v1, s8
	v_mov_b32_e32 v2, s9
	s_mov_b64 s[8:9], 0
	global_store_dwordx2 v0, v[1:2], s[4:5] offset:32
	.p2align	6
.LBB142_20:                             ; =>This Inner Loop Header: Depth=1
	s_sub_u32 s12, s10, s8
	s_subb_u32 s13, s11, s9
	s_lshr_b64 s[12:13], s[12:13], 1
	s_add_u32 s12, s12, s8
	s_addc_u32 s13, s13, s9
	s_lshl_b64 s[14:15], s[12:13], 1
	s_add_u32 s14, s2, s14
	s_addc_u32 s15, s3, s15
	s_add_u32 s1, s12, 1
	global_load_ushort v1, v0, s[14:15]
	s_addc_u32 s15, s13, 0
	s_waitcnt vmcnt(0)
	v_readfirstlane_b32 s14, v1
	s_sext_i32_i16 s14, s14
	s_cmp_lt_i32 s14, 5
	s_cselect_b32 s9, s15, s9
	s_cselect_b32 s8, s1, s8
	s_cselect_b32 s11, s11, s13
	s_cselect_b32 s10, s10, s12
	v_cmp_ge_i64_e64 s1, s[8:9], s[10:11]
	s_and_b32 vcc_lo, exec_lo, s1
	s_cbranch_vccz .LBB142_20
.LBB142_21:
	s_lshl_b64 s[8:9], s[8:9], 1
	v_mov_b32_e32 v0, 0
	s_add_u32 s1, s2, s8
	s_addc_u32 s9, s3, s9
	s_sub_u32 s8, s1, s2
	s_subb_u32 s9, s9, s3
	s_mov_b32 s1, -1
	s_ashr_i64 s[8:9], s[8:9], 1
	s_mov_b32 vcc_lo, s0
	v_mov_b32_e32 v1, s8
	v_mov_b32_e32 v2, s9
	global_store_dwordx2 v0, v[1:2], s[4:5] offset:40
	s_cbranch_vccz .LBB142_23
; %bb.22:
	v_mov_b32_e32 v1, v0
	s_mov_b32 s1, 0
	global_store_dwordx2 v0, v[0:1], s[4:5] offset:48
.LBB142_23:
	s_andn2_b32 vcc_lo, exec_lo, s1
	s_mov_b64 s[8:9], 0
	s_cbranch_vccnz .LBB142_28
; %bb.24:
	v_mov_b32_e32 v0, 0
	s_mov_b64 s[10:11], s[6:7]
	.p2align	6
.LBB142_25:                             ; =>This Inner Loop Header: Depth=1
	s_sub_u32 s12, s10, s8
	s_subb_u32 s13, s11, s9
	s_lshr_b64 s[12:13], s[12:13], 1
	s_add_u32 s12, s12, s8
	s_addc_u32 s13, s13, s9
	s_lshl_b64 s[14:15], s[12:13], 1
	s_add_u32 s14, s2, s14
	s_addc_u32 s15, s3, s15
	s_add_u32 s1, s12, 1
	global_load_ushort v1, v0, s[14:15]
	s_addc_u32 s15, s13, 0
	s_waitcnt vmcnt(0)
	v_readfirstlane_b32 s14, v1
	s_sext_i32_i16 s14, s14
	s_cmp_lt_i32 s14, 6
	s_cselect_b32 s9, s15, s9
	s_cselect_b32 s8, s1, s8
	;; [unrolled: 1-line block ×4, first 2 shown]
	v_cmp_lt_i64_e64 s1, s[8:9], s[10:11]
	s_and_b32 vcc_lo, exec_lo, s1
	s_cbranch_vccnz .LBB142_25
; %bb.26:
	s_lshl_b64 s[8:9], s[8:9], 1
	v_mov_b32_e32 v0, 0
	s_add_u32 s1, s2, s8
	s_addc_u32 s9, s3, s9
	s_sub_u32 s8, s1, s2
	s_subb_u32 s9, s9, s3
	s_mov_b64 s[10:11], s[6:7]
	s_ashr_i64 s[8:9], s[8:9], 1
	v_mov_b32_e32 v1, s8
	v_mov_b32_e32 v2, s9
	s_mov_b64 s[8:9], 0
	global_store_dwordx2 v0, v[1:2], s[4:5] offset:48
	.p2align	6
.LBB142_27:                             ; =>This Inner Loop Header: Depth=1
	s_sub_u32 s12, s10, s8
	s_subb_u32 s13, s11, s9
	s_lshr_b64 s[12:13], s[12:13], 1
	s_add_u32 s12, s12, s8
	s_addc_u32 s13, s13, s9
	s_lshl_b64 s[14:15], s[12:13], 1
	s_add_u32 s14, s2, s14
	s_addc_u32 s15, s3, s15
	s_add_u32 s1, s12, 1
	global_load_ushort v1, v0, s[14:15]
	s_addc_u32 s15, s13, 0
	s_waitcnt vmcnt(0)
	v_readfirstlane_b32 s14, v1
	s_sext_i32_i16 s14, s14
	s_cmp_lt_i32 s14, 7
	s_cselect_b32 s9, s15, s9
	s_cselect_b32 s8, s1, s8
	;; [unrolled: 1-line block ×4, first 2 shown]
	v_cmp_ge_i64_e64 s1, s[8:9], s[10:11]
	s_and_b32 vcc_lo, exec_lo, s1
	s_cbranch_vccz .LBB142_27
.LBB142_28:
	s_lshl_b64 s[8:9], s[8:9], 1
	v_mov_b32_e32 v0, 0
	s_add_u32 s1, s2, s8
	s_addc_u32 s9, s3, s9
	s_sub_u32 s8, s1, s2
	s_subb_u32 s9, s9, s3
	s_mov_b32 s1, -1
	s_ashr_i64 s[8:9], s[8:9], 1
	s_mov_b32 vcc_lo, s0
	v_mov_b32_e32 v1, s8
	v_mov_b32_e32 v2, s9
	global_store_dwordx2 v0, v[1:2], s[4:5] offset:56
	s_cbranch_vccz .LBB142_30
; %bb.29:
	v_mov_b32_e32 v1, v0
	s_mov_b32 s1, 0
	global_store_dwordx2 v0, v[0:1], s[4:5] offset:64
.LBB142_30:
	s_andn2_b32 vcc_lo, exec_lo, s1
	s_mov_b64 s[0:1], 0
	s_cbranch_vccnz .LBB142_35
; %bb.31:
	v_mov_b32_e32 v0, 0
	s_mov_b64 s[8:9], s[6:7]
	.p2align	6
.LBB142_32:                             ; =>This Inner Loop Header: Depth=1
	s_sub_u32 s10, s8, s0
	s_subb_u32 s11, s9, s1
	s_lshr_b64 s[10:11], s[10:11], 1
	s_add_u32 s10, s10, s0
	s_addc_u32 s11, s11, s1
	s_lshl_b64 s[12:13], s[10:11], 1
	s_add_u32 s12, s2, s12
	s_addc_u32 s13, s3, s13
	global_load_ushort v1, v0, s[12:13]
	s_add_u32 s12, s10, 1
	s_addc_u32 s14, s11, 0
	s_waitcnt vmcnt(0)
	v_readfirstlane_b32 s13, v1
	s_sext_i32_i16 s13, s13
	s_cmp_lt_i32 s13, 8
	s_cselect_b32 s1, s14, s1
	s_cselect_b32 s0, s12, s0
	;; [unrolled: 1-line block ×4, first 2 shown]
	v_cmp_lt_i64_e64 s10, s[0:1], s[8:9]
	s_and_b32 vcc_lo, exec_lo, s10
	s_cbranch_vccnz .LBB142_32
; %bb.33:
	s_lshl_b64 s[0:1], s[0:1], 1
	v_mov_b32_e32 v0, 0
	s_add_u32 s0, s2, s0
	s_addc_u32 s1, s3, s1
	s_sub_u32 s0, s0, s2
	s_subb_u32 s1, s1, s3
	s_ashr_i64 s[0:1], s[0:1], 1
	v_mov_b32_e32 v2, s1
	v_mov_b32_e32 v1, s0
	s_mov_b64 s[0:1], 0
	global_store_dwordx2 v0, v[1:2], s[4:5] offset:64
	.p2align	6
.LBB142_34:                             ; =>This Inner Loop Header: Depth=1
	s_sub_u32 s8, s6, s0
	s_subb_u32 s9, s7, s1
	s_lshr_b64 s[8:9], s[8:9], 1
	s_add_u32 s8, s8, s0
	s_addc_u32 s9, s9, s1
	s_lshl_b64 s[10:11], s[8:9], 1
	s_add_u32 s10, s2, s10
	s_addc_u32 s11, s3, s11
	global_load_ushort v1, v0, s[10:11]
	s_add_u32 s10, s8, 1
	s_addc_u32 s12, s9, 0
	s_waitcnt vmcnt(0)
	v_readfirstlane_b32 s11, v1
	s_sext_i32_i16 s11, s11
	s_cmp_lt_i32 s11, 9
	s_cselect_b32 s1, s12, s1
	s_cselect_b32 s0, s10, s0
	;; [unrolled: 1-line block ×4, first 2 shown]
	v_cmp_ge_i64_e64 s8, s[0:1], s[6:7]
	s_and_b32 vcc_lo, exec_lo, s8
	s_cbranch_vccz .LBB142_34
.LBB142_35:
	s_lshl_b64 s[0:1], s[0:1], 1
	v_mov_b32_e32 v2, 0
	s_add_u32 s0, s2, s0
	s_addc_u32 s1, s3, s1
	s_sub_u32 s0, s0, s2
	s_subb_u32 s1, s1, s3
	s_ashr_i64 s[0:1], s[0:1], 1
	v_mov_b32_e32 v0, s0
	v_mov_b32_e32 v1, s1
	global_store_dwordx2 v2, v[0:1], s[4:5] offset:72
	s_endpgm
	.section	.rodata,"a",@progbits
	.p2align	6, 0x0
	.amdhsa_kernel _Z18lower_bound_kernelIsEvmPT_Pl
		.amdhsa_group_segment_fixed_size 0
		.amdhsa_private_segment_fixed_size 0
		.amdhsa_kernarg_size 24
		.amdhsa_user_sgpr_count 6
		.amdhsa_user_sgpr_private_segment_buffer 1
		.amdhsa_user_sgpr_dispatch_ptr 0
		.amdhsa_user_sgpr_queue_ptr 0
		.amdhsa_user_sgpr_kernarg_segment_ptr 1
		.amdhsa_user_sgpr_dispatch_id 0
		.amdhsa_user_sgpr_flat_scratch_init 0
		.amdhsa_user_sgpr_private_segment_size 0
		.amdhsa_wavefront_size32 1
		.amdhsa_uses_dynamic_stack 0
		.amdhsa_system_sgpr_private_segment_wavefront_offset 0
		.amdhsa_system_sgpr_workgroup_id_x 1
		.amdhsa_system_sgpr_workgroup_id_y 0
		.amdhsa_system_sgpr_workgroup_id_z 0
		.amdhsa_system_sgpr_workgroup_info 0
		.amdhsa_system_vgpr_workitem_id 0
		.amdhsa_next_free_vgpr 3
		.amdhsa_next_free_sgpr 16
		.amdhsa_reserve_vcc 1
		.amdhsa_reserve_flat_scratch 0
		.amdhsa_float_round_mode_32 0
		.amdhsa_float_round_mode_16_64 0
		.amdhsa_float_denorm_mode_32 3
		.amdhsa_float_denorm_mode_16_64 3
		.amdhsa_dx10_clamp 1
		.amdhsa_ieee_mode 1
		.amdhsa_fp16_overflow 0
		.amdhsa_workgroup_processor_mode 1
		.amdhsa_memory_ordered 1
		.amdhsa_forward_progress 1
		.amdhsa_shared_vgpr_count 0
		.amdhsa_exception_fp_ieee_invalid_op 0
		.amdhsa_exception_fp_denorm_src 0
		.amdhsa_exception_fp_ieee_div_zero 0
		.amdhsa_exception_fp_ieee_overflow 0
		.amdhsa_exception_fp_ieee_underflow 0
		.amdhsa_exception_fp_ieee_inexact 0
		.amdhsa_exception_int_div_zero 0
	.end_amdhsa_kernel
	.section	.text._Z18lower_bound_kernelIsEvmPT_Pl,"axG",@progbits,_Z18lower_bound_kernelIsEvmPT_Pl,comdat
.Lfunc_end142:
	.size	_Z18lower_bound_kernelIsEvmPT_Pl, .Lfunc_end142-_Z18lower_bound_kernelIsEvmPT_Pl
                                        ; -- End function
	.set _Z18lower_bound_kernelIsEvmPT_Pl.num_vgpr, 3
	.set _Z18lower_bound_kernelIsEvmPT_Pl.num_agpr, 0
	.set _Z18lower_bound_kernelIsEvmPT_Pl.numbered_sgpr, 16
	.set _Z18lower_bound_kernelIsEvmPT_Pl.num_named_barrier, 0
	.set _Z18lower_bound_kernelIsEvmPT_Pl.private_seg_size, 0
	.set _Z18lower_bound_kernelIsEvmPT_Pl.uses_vcc, 1
	.set _Z18lower_bound_kernelIsEvmPT_Pl.uses_flat_scratch, 0
	.set _Z18lower_bound_kernelIsEvmPT_Pl.has_dyn_sized_stack, 0
	.set _Z18lower_bound_kernelIsEvmPT_Pl.has_recursion, 0
	.set _Z18lower_bound_kernelIsEvmPT_Pl.has_indirect_call, 0
	.section	.AMDGPU.csdata,"",@progbits
; Kernel info:
; codeLenInByte = 2000
; TotalNumSgprs: 18
; NumVgprs: 3
; ScratchSize: 0
; MemoryBound: 0
; FloatMode: 240
; IeeeMode: 1
; LDSByteSize: 0 bytes/workgroup (compile time only)
; SGPRBlocks: 0
; VGPRBlocks: 0
; NumSGPRsForWavesPerEU: 18
; NumVGPRsForWavesPerEU: 3
; Occupancy: 16
; WaveLimiterHint : 0
; COMPUTE_PGM_RSRC2:SCRATCH_EN: 0
; COMPUTE_PGM_RSRC2:USER_SGPR: 6
; COMPUTE_PGM_RSRC2:TRAP_HANDLER: 0
; COMPUTE_PGM_RSRC2:TGID_X_EN: 1
; COMPUTE_PGM_RSRC2:TGID_Y_EN: 0
; COMPUTE_PGM_RSRC2:TGID_Z_EN: 0
; COMPUTE_PGM_RSRC2:TIDIG_COMP_CNT: 0
	.section	.text._ZN7rocprim17ROCPRIM_400000_NS6detail17trampoline_kernelINS0_14default_configENS1_27lower_bound_config_selectorIslEEZNS1_14transform_implILb0ES3_S5_N6thrust23THRUST_200600_302600_NS6detail15normal_iteratorINS8_7pointerIsNS8_11hip_rocprim5par_tENS8_11use_defaultESE_EEEENSA_INSB_IlSD_SE_SE_EEEEZNS1_13binary_searchIS3_S5_PsSG_SI_NS1_21lower_bound_search_opENS9_16wrapped_functionI11custom_lessbEEEE10hipError_tPvRmT1_T2_T3_mmT4_T5_P12ihipStream_tbEUlRKsE_EESP_ST_SU_mSV_SY_bEUlT_E_NS1_11comp_targetILNS1_3genE0ELNS1_11target_archE4294967295ELNS1_3gpuE0ELNS1_3repE0EEENS1_30default_config_static_selectorELNS0_4arch9wavefront6targetE0EEEvSS_,"axG",@progbits,_ZN7rocprim17ROCPRIM_400000_NS6detail17trampoline_kernelINS0_14default_configENS1_27lower_bound_config_selectorIslEEZNS1_14transform_implILb0ES3_S5_N6thrust23THRUST_200600_302600_NS6detail15normal_iteratorINS8_7pointerIsNS8_11hip_rocprim5par_tENS8_11use_defaultESE_EEEENSA_INSB_IlSD_SE_SE_EEEEZNS1_13binary_searchIS3_S5_PsSG_SI_NS1_21lower_bound_search_opENS9_16wrapped_functionI11custom_lessbEEEE10hipError_tPvRmT1_T2_T3_mmT4_T5_P12ihipStream_tbEUlRKsE_EESP_ST_SU_mSV_SY_bEUlT_E_NS1_11comp_targetILNS1_3genE0ELNS1_11target_archE4294967295ELNS1_3gpuE0ELNS1_3repE0EEENS1_30default_config_static_selectorELNS0_4arch9wavefront6targetE0EEEvSS_,comdat
	.protected	_ZN7rocprim17ROCPRIM_400000_NS6detail17trampoline_kernelINS0_14default_configENS1_27lower_bound_config_selectorIslEEZNS1_14transform_implILb0ES3_S5_N6thrust23THRUST_200600_302600_NS6detail15normal_iteratorINS8_7pointerIsNS8_11hip_rocprim5par_tENS8_11use_defaultESE_EEEENSA_INSB_IlSD_SE_SE_EEEEZNS1_13binary_searchIS3_S5_PsSG_SI_NS1_21lower_bound_search_opENS9_16wrapped_functionI11custom_lessbEEEE10hipError_tPvRmT1_T2_T3_mmT4_T5_P12ihipStream_tbEUlRKsE_EESP_ST_SU_mSV_SY_bEUlT_E_NS1_11comp_targetILNS1_3genE0ELNS1_11target_archE4294967295ELNS1_3gpuE0ELNS1_3repE0EEENS1_30default_config_static_selectorELNS0_4arch9wavefront6targetE0EEEvSS_ ; -- Begin function _ZN7rocprim17ROCPRIM_400000_NS6detail17trampoline_kernelINS0_14default_configENS1_27lower_bound_config_selectorIslEEZNS1_14transform_implILb0ES3_S5_N6thrust23THRUST_200600_302600_NS6detail15normal_iteratorINS8_7pointerIsNS8_11hip_rocprim5par_tENS8_11use_defaultESE_EEEENSA_INSB_IlSD_SE_SE_EEEEZNS1_13binary_searchIS3_S5_PsSG_SI_NS1_21lower_bound_search_opENS9_16wrapped_functionI11custom_lessbEEEE10hipError_tPvRmT1_T2_T3_mmT4_T5_P12ihipStream_tbEUlRKsE_EESP_ST_SU_mSV_SY_bEUlT_E_NS1_11comp_targetILNS1_3genE0ELNS1_11target_archE4294967295ELNS1_3gpuE0ELNS1_3repE0EEENS1_30default_config_static_selectorELNS0_4arch9wavefront6targetE0EEEvSS_
	.globl	_ZN7rocprim17ROCPRIM_400000_NS6detail17trampoline_kernelINS0_14default_configENS1_27lower_bound_config_selectorIslEEZNS1_14transform_implILb0ES3_S5_N6thrust23THRUST_200600_302600_NS6detail15normal_iteratorINS8_7pointerIsNS8_11hip_rocprim5par_tENS8_11use_defaultESE_EEEENSA_INSB_IlSD_SE_SE_EEEEZNS1_13binary_searchIS3_S5_PsSG_SI_NS1_21lower_bound_search_opENS9_16wrapped_functionI11custom_lessbEEEE10hipError_tPvRmT1_T2_T3_mmT4_T5_P12ihipStream_tbEUlRKsE_EESP_ST_SU_mSV_SY_bEUlT_E_NS1_11comp_targetILNS1_3genE0ELNS1_11target_archE4294967295ELNS1_3gpuE0ELNS1_3repE0EEENS1_30default_config_static_selectorELNS0_4arch9wavefront6targetE0EEEvSS_
	.p2align	8
	.type	_ZN7rocprim17ROCPRIM_400000_NS6detail17trampoline_kernelINS0_14default_configENS1_27lower_bound_config_selectorIslEEZNS1_14transform_implILb0ES3_S5_N6thrust23THRUST_200600_302600_NS6detail15normal_iteratorINS8_7pointerIsNS8_11hip_rocprim5par_tENS8_11use_defaultESE_EEEENSA_INSB_IlSD_SE_SE_EEEEZNS1_13binary_searchIS3_S5_PsSG_SI_NS1_21lower_bound_search_opENS9_16wrapped_functionI11custom_lessbEEEE10hipError_tPvRmT1_T2_T3_mmT4_T5_P12ihipStream_tbEUlRKsE_EESP_ST_SU_mSV_SY_bEUlT_E_NS1_11comp_targetILNS1_3genE0ELNS1_11target_archE4294967295ELNS1_3gpuE0ELNS1_3repE0EEENS1_30default_config_static_selectorELNS0_4arch9wavefront6targetE0EEEvSS_,@function
_ZN7rocprim17ROCPRIM_400000_NS6detail17trampoline_kernelINS0_14default_configENS1_27lower_bound_config_selectorIslEEZNS1_14transform_implILb0ES3_S5_N6thrust23THRUST_200600_302600_NS6detail15normal_iteratorINS8_7pointerIsNS8_11hip_rocprim5par_tENS8_11use_defaultESE_EEEENSA_INSB_IlSD_SE_SE_EEEEZNS1_13binary_searchIS3_S5_PsSG_SI_NS1_21lower_bound_search_opENS9_16wrapped_functionI11custom_lessbEEEE10hipError_tPvRmT1_T2_T3_mmT4_T5_P12ihipStream_tbEUlRKsE_EESP_ST_SU_mSV_SY_bEUlT_E_NS1_11comp_targetILNS1_3genE0ELNS1_11target_archE4294967295ELNS1_3gpuE0ELNS1_3repE0EEENS1_30default_config_static_selectorELNS0_4arch9wavefront6targetE0EEEvSS_: ; @_ZN7rocprim17ROCPRIM_400000_NS6detail17trampoline_kernelINS0_14default_configENS1_27lower_bound_config_selectorIslEEZNS1_14transform_implILb0ES3_S5_N6thrust23THRUST_200600_302600_NS6detail15normal_iteratorINS8_7pointerIsNS8_11hip_rocprim5par_tENS8_11use_defaultESE_EEEENSA_INSB_IlSD_SE_SE_EEEEZNS1_13binary_searchIS3_S5_PsSG_SI_NS1_21lower_bound_search_opENS9_16wrapped_functionI11custom_lessbEEEE10hipError_tPvRmT1_T2_T3_mmT4_T5_P12ihipStream_tbEUlRKsE_EESP_ST_SU_mSV_SY_bEUlT_E_NS1_11comp_targetILNS1_3genE0ELNS1_11target_archE4294967295ELNS1_3gpuE0ELNS1_3repE0EEENS1_30default_config_static_selectorELNS0_4arch9wavefront6targetE0EEEvSS_
; %bb.0:
	.section	.rodata,"a",@progbits
	.p2align	6, 0x0
	.amdhsa_kernel _ZN7rocprim17ROCPRIM_400000_NS6detail17trampoline_kernelINS0_14default_configENS1_27lower_bound_config_selectorIslEEZNS1_14transform_implILb0ES3_S5_N6thrust23THRUST_200600_302600_NS6detail15normal_iteratorINS8_7pointerIsNS8_11hip_rocprim5par_tENS8_11use_defaultESE_EEEENSA_INSB_IlSD_SE_SE_EEEEZNS1_13binary_searchIS3_S5_PsSG_SI_NS1_21lower_bound_search_opENS9_16wrapped_functionI11custom_lessbEEEE10hipError_tPvRmT1_T2_T3_mmT4_T5_P12ihipStream_tbEUlRKsE_EESP_ST_SU_mSV_SY_bEUlT_E_NS1_11comp_targetILNS1_3genE0ELNS1_11target_archE4294967295ELNS1_3gpuE0ELNS1_3repE0EEENS1_30default_config_static_selectorELNS0_4arch9wavefront6targetE0EEEvSS_
		.amdhsa_group_segment_fixed_size 0
		.amdhsa_private_segment_fixed_size 0
		.amdhsa_kernarg_size 56
		.amdhsa_user_sgpr_count 6
		.amdhsa_user_sgpr_private_segment_buffer 1
		.amdhsa_user_sgpr_dispatch_ptr 0
		.amdhsa_user_sgpr_queue_ptr 0
		.amdhsa_user_sgpr_kernarg_segment_ptr 1
		.amdhsa_user_sgpr_dispatch_id 0
		.amdhsa_user_sgpr_flat_scratch_init 0
		.amdhsa_user_sgpr_private_segment_size 0
		.amdhsa_wavefront_size32 1
		.amdhsa_uses_dynamic_stack 0
		.amdhsa_system_sgpr_private_segment_wavefront_offset 0
		.amdhsa_system_sgpr_workgroup_id_x 1
		.amdhsa_system_sgpr_workgroup_id_y 0
		.amdhsa_system_sgpr_workgroup_id_z 0
		.amdhsa_system_sgpr_workgroup_info 0
		.amdhsa_system_vgpr_workitem_id 0
		.amdhsa_next_free_vgpr 1
		.amdhsa_next_free_sgpr 1
		.amdhsa_reserve_vcc 0
		.amdhsa_reserve_flat_scratch 0
		.amdhsa_float_round_mode_32 0
		.amdhsa_float_round_mode_16_64 0
		.amdhsa_float_denorm_mode_32 3
		.amdhsa_float_denorm_mode_16_64 3
		.amdhsa_dx10_clamp 1
		.amdhsa_ieee_mode 1
		.amdhsa_fp16_overflow 0
		.amdhsa_workgroup_processor_mode 1
		.amdhsa_memory_ordered 1
		.amdhsa_forward_progress 1
		.amdhsa_shared_vgpr_count 0
		.amdhsa_exception_fp_ieee_invalid_op 0
		.amdhsa_exception_fp_denorm_src 0
		.amdhsa_exception_fp_ieee_div_zero 0
		.amdhsa_exception_fp_ieee_overflow 0
		.amdhsa_exception_fp_ieee_underflow 0
		.amdhsa_exception_fp_ieee_inexact 0
		.amdhsa_exception_int_div_zero 0
	.end_amdhsa_kernel
	.section	.text._ZN7rocprim17ROCPRIM_400000_NS6detail17trampoline_kernelINS0_14default_configENS1_27lower_bound_config_selectorIslEEZNS1_14transform_implILb0ES3_S5_N6thrust23THRUST_200600_302600_NS6detail15normal_iteratorINS8_7pointerIsNS8_11hip_rocprim5par_tENS8_11use_defaultESE_EEEENSA_INSB_IlSD_SE_SE_EEEEZNS1_13binary_searchIS3_S5_PsSG_SI_NS1_21lower_bound_search_opENS9_16wrapped_functionI11custom_lessbEEEE10hipError_tPvRmT1_T2_T3_mmT4_T5_P12ihipStream_tbEUlRKsE_EESP_ST_SU_mSV_SY_bEUlT_E_NS1_11comp_targetILNS1_3genE0ELNS1_11target_archE4294967295ELNS1_3gpuE0ELNS1_3repE0EEENS1_30default_config_static_selectorELNS0_4arch9wavefront6targetE0EEEvSS_,"axG",@progbits,_ZN7rocprim17ROCPRIM_400000_NS6detail17trampoline_kernelINS0_14default_configENS1_27lower_bound_config_selectorIslEEZNS1_14transform_implILb0ES3_S5_N6thrust23THRUST_200600_302600_NS6detail15normal_iteratorINS8_7pointerIsNS8_11hip_rocprim5par_tENS8_11use_defaultESE_EEEENSA_INSB_IlSD_SE_SE_EEEEZNS1_13binary_searchIS3_S5_PsSG_SI_NS1_21lower_bound_search_opENS9_16wrapped_functionI11custom_lessbEEEE10hipError_tPvRmT1_T2_T3_mmT4_T5_P12ihipStream_tbEUlRKsE_EESP_ST_SU_mSV_SY_bEUlT_E_NS1_11comp_targetILNS1_3genE0ELNS1_11target_archE4294967295ELNS1_3gpuE0ELNS1_3repE0EEENS1_30default_config_static_selectorELNS0_4arch9wavefront6targetE0EEEvSS_,comdat
.Lfunc_end143:
	.size	_ZN7rocprim17ROCPRIM_400000_NS6detail17trampoline_kernelINS0_14default_configENS1_27lower_bound_config_selectorIslEEZNS1_14transform_implILb0ES3_S5_N6thrust23THRUST_200600_302600_NS6detail15normal_iteratorINS8_7pointerIsNS8_11hip_rocprim5par_tENS8_11use_defaultESE_EEEENSA_INSB_IlSD_SE_SE_EEEEZNS1_13binary_searchIS3_S5_PsSG_SI_NS1_21lower_bound_search_opENS9_16wrapped_functionI11custom_lessbEEEE10hipError_tPvRmT1_T2_T3_mmT4_T5_P12ihipStream_tbEUlRKsE_EESP_ST_SU_mSV_SY_bEUlT_E_NS1_11comp_targetILNS1_3genE0ELNS1_11target_archE4294967295ELNS1_3gpuE0ELNS1_3repE0EEENS1_30default_config_static_selectorELNS0_4arch9wavefront6targetE0EEEvSS_, .Lfunc_end143-_ZN7rocprim17ROCPRIM_400000_NS6detail17trampoline_kernelINS0_14default_configENS1_27lower_bound_config_selectorIslEEZNS1_14transform_implILb0ES3_S5_N6thrust23THRUST_200600_302600_NS6detail15normal_iteratorINS8_7pointerIsNS8_11hip_rocprim5par_tENS8_11use_defaultESE_EEEENSA_INSB_IlSD_SE_SE_EEEEZNS1_13binary_searchIS3_S5_PsSG_SI_NS1_21lower_bound_search_opENS9_16wrapped_functionI11custom_lessbEEEE10hipError_tPvRmT1_T2_T3_mmT4_T5_P12ihipStream_tbEUlRKsE_EESP_ST_SU_mSV_SY_bEUlT_E_NS1_11comp_targetILNS1_3genE0ELNS1_11target_archE4294967295ELNS1_3gpuE0ELNS1_3repE0EEENS1_30default_config_static_selectorELNS0_4arch9wavefront6targetE0EEEvSS_
                                        ; -- End function
	.set _ZN7rocprim17ROCPRIM_400000_NS6detail17trampoline_kernelINS0_14default_configENS1_27lower_bound_config_selectorIslEEZNS1_14transform_implILb0ES3_S5_N6thrust23THRUST_200600_302600_NS6detail15normal_iteratorINS8_7pointerIsNS8_11hip_rocprim5par_tENS8_11use_defaultESE_EEEENSA_INSB_IlSD_SE_SE_EEEEZNS1_13binary_searchIS3_S5_PsSG_SI_NS1_21lower_bound_search_opENS9_16wrapped_functionI11custom_lessbEEEE10hipError_tPvRmT1_T2_T3_mmT4_T5_P12ihipStream_tbEUlRKsE_EESP_ST_SU_mSV_SY_bEUlT_E_NS1_11comp_targetILNS1_3genE0ELNS1_11target_archE4294967295ELNS1_3gpuE0ELNS1_3repE0EEENS1_30default_config_static_selectorELNS0_4arch9wavefront6targetE0EEEvSS_.num_vgpr, 0
	.set _ZN7rocprim17ROCPRIM_400000_NS6detail17trampoline_kernelINS0_14default_configENS1_27lower_bound_config_selectorIslEEZNS1_14transform_implILb0ES3_S5_N6thrust23THRUST_200600_302600_NS6detail15normal_iteratorINS8_7pointerIsNS8_11hip_rocprim5par_tENS8_11use_defaultESE_EEEENSA_INSB_IlSD_SE_SE_EEEEZNS1_13binary_searchIS3_S5_PsSG_SI_NS1_21lower_bound_search_opENS9_16wrapped_functionI11custom_lessbEEEE10hipError_tPvRmT1_T2_T3_mmT4_T5_P12ihipStream_tbEUlRKsE_EESP_ST_SU_mSV_SY_bEUlT_E_NS1_11comp_targetILNS1_3genE0ELNS1_11target_archE4294967295ELNS1_3gpuE0ELNS1_3repE0EEENS1_30default_config_static_selectorELNS0_4arch9wavefront6targetE0EEEvSS_.num_agpr, 0
	.set _ZN7rocprim17ROCPRIM_400000_NS6detail17trampoline_kernelINS0_14default_configENS1_27lower_bound_config_selectorIslEEZNS1_14transform_implILb0ES3_S5_N6thrust23THRUST_200600_302600_NS6detail15normal_iteratorINS8_7pointerIsNS8_11hip_rocprim5par_tENS8_11use_defaultESE_EEEENSA_INSB_IlSD_SE_SE_EEEEZNS1_13binary_searchIS3_S5_PsSG_SI_NS1_21lower_bound_search_opENS9_16wrapped_functionI11custom_lessbEEEE10hipError_tPvRmT1_T2_T3_mmT4_T5_P12ihipStream_tbEUlRKsE_EESP_ST_SU_mSV_SY_bEUlT_E_NS1_11comp_targetILNS1_3genE0ELNS1_11target_archE4294967295ELNS1_3gpuE0ELNS1_3repE0EEENS1_30default_config_static_selectorELNS0_4arch9wavefront6targetE0EEEvSS_.numbered_sgpr, 0
	.set _ZN7rocprim17ROCPRIM_400000_NS6detail17trampoline_kernelINS0_14default_configENS1_27lower_bound_config_selectorIslEEZNS1_14transform_implILb0ES3_S5_N6thrust23THRUST_200600_302600_NS6detail15normal_iteratorINS8_7pointerIsNS8_11hip_rocprim5par_tENS8_11use_defaultESE_EEEENSA_INSB_IlSD_SE_SE_EEEEZNS1_13binary_searchIS3_S5_PsSG_SI_NS1_21lower_bound_search_opENS9_16wrapped_functionI11custom_lessbEEEE10hipError_tPvRmT1_T2_T3_mmT4_T5_P12ihipStream_tbEUlRKsE_EESP_ST_SU_mSV_SY_bEUlT_E_NS1_11comp_targetILNS1_3genE0ELNS1_11target_archE4294967295ELNS1_3gpuE0ELNS1_3repE0EEENS1_30default_config_static_selectorELNS0_4arch9wavefront6targetE0EEEvSS_.num_named_barrier, 0
	.set _ZN7rocprim17ROCPRIM_400000_NS6detail17trampoline_kernelINS0_14default_configENS1_27lower_bound_config_selectorIslEEZNS1_14transform_implILb0ES3_S5_N6thrust23THRUST_200600_302600_NS6detail15normal_iteratorINS8_7pointerIsNS8_11hip_rocprim5par_tENS8_11use_defaultESE_EEEENSA_INSB_IlSD_SE_SE_EEEEZNS1_13binary_searchIS3_S5_PsSG_SI_NS1_21lower_bound_search_opENS9_16wrapped_functionI11custom_lessbEEEE10hipError_tPvRmT1_T2_T3_mmT4_T5_P12ihipStream_tbEUlRKsE_EESP_ST_SU_mSV_SY_bEUlT_E_NS1_11comp_targetILNS1_3genE0ELNS1_11target_archE4294967295ELNS1_3gpuE0ELNS1_3repE0EEENS1_30default_config_static_selectorELNS0_4arch9wavefront6targetE0EEEvSS_.private_seg_size, 0
	.set _ZN7rocprim17ROCPRIM_400000_NS6detail17trampoline_kernelINS0_14default_configENS1_27lower_bound_config_selectorIslEEZNS1_14transform_implILb0ES3_S5_N6thrust23THRUST_200600_302600_NS6detail15normal_iteratorINS8_7pointerIsNS8_11hip_rocprim5par_tENS8_11use_defaultESE_EEEENSA_INSB_IlSD_SE_SE_EEEEZNS1_13binary_searchIS3_S5_PsSG_SI_NS1_21lower_bound_search_opENS9_16wrapped_functionI11custom_lessbEEEE10hipError_tPvRmT1_T2_T3_mmT4_T5_P12ihipStream_tbEUlRKsE_EESP_ST_SU_mSV_SY_bEUlT_E_NS1_11comp_targetILNS1_3genE0ELNS1_11target_archE4294967295ELNS1_3gpuE0ELNS1_3repE0EEENS1_30default_config_static_selectorELNS0_4arch9wavefront6targetE0EEEvSS_.uses_vcc, 0
	.set _ZN7rocprim17ROCPRIM_400000_NS6detail17trampoline_kernelINS0_14default_configENS1_27lower_bound_config_selectorIslEEZNS1_14transform_implILb0ES3_S5_N6thrust23THRUST_200600_302600_NS6detail15normal_iteratorINS8_7pointerIsNS8_11hip_rocprim5par_tENS8_11use_defaultESE_EEEENSA_INSB_IlSD_SE_SE_EEEEZNS1_13binary_searchIS3_S5_PsSG_SI_NS1_21lower_bound_search_opENS9_16wrapped_functionI11custom_lessbEEEE10hipError_tPvRmT1_T2_T3_mmT4_T5_P12ihipStream_tbEUlRKsE_EESP_ST_SU_mSV_SY_bEUlT_E_NS1_11comp_targetILNS1_3genE0ELNS1_11target_archE4294967295ELNS1_3gpuE0ELNS1_3repE0EEENS1_30default_config_static_selectorELNS0_4arch9wavefront6targetE0EEEvSS_.uses_flat_scratch, 0
	.set _ZN7rocprim17ROCPRIM_400000_NS6detail17trampoline_kernelINS0_14default_configENS1_27lower_bound_config_selectorIslEEZNS1_14transform_implILb0ES3_S5_N6thrust23THRUST_200600_302600_NS6detail15normal_iteratorINS8_7pointerIsNS8_11hip_rocprim5par_tENS8_11use_defaultESE_EEEENSA_INSB_IlSD_SE_SE_EEEEZNS1_13binary_searchIS3_S5_PsSG_SI_NS1_21lower_bound_search_opENS9_16wrapped_functionI11custom_lessbEEEE10hipError_tPvRmT1_T2_T3_mmT4_T5_P12ihipStream_tbEUlRKsE_EESP_ST_SU_mSV_SY_bEUlT_E_NS1_11comp_targetILNS1_3genE0ELNS1_11target_archE4294967295ELNS1_3gpuE0ELNS1_3repE0EEENS1_30default_config_static_selectorELNS0_4arch9wavefront6targetE0EEEvSS_.has_dyn_sized_stack, 0
	.set _ZN7rocprim17ROCPRIM_400000_NS6detail17trampoline_kernelINS0_14default_configENS1_27lower_bound_config_selectorIslEEZNS1_14transform_implILb0ES3_S5_N6thrust23THRUST_200600_302600_NS6detail15normal_iteratorINS8_7pointerIsNS8_11hip_rocprim5par_tENS8_11use_defaultESE_EEEENSA_INSB_IlSD_SE_SE_EEEEZNS1_13binary_searchIS3_S5_PsSG_SI_NS1_21lower_bound_search_opENS9_16wrapped_functionI11custom_lessbEEEE10hipError_tPvRmT1_T2_T3_mmT4_T5_P12ihipStream_tbEUlRKsE_EESP_ST_SU_mSV_SY_bEUlT_E_NS1_11comp_targetILNS1_3genE0ELNS1_11target_archE4294967295ELNS1_3gpuE0ELNS1_3repE0EEENS1_30default_config_static_selectorELNS0_4arch9wavefront6targetE0EEEvSS_.has_recursion, 0
	.set _ZN7rocprim17ROCPRIM_400000_NS6detail17trampoline_kernelINS0_14default_configENS1_27lower_bound_config_selectorIslEEZNS1_14transform_implILb0ES3_S5_N6thrust23THRUST_200600_302600_NS6detail15normal_iteratorINS8_7pointerIsNS8_11hip_rocprim5par_tENS8_11use_defaultESE_EEEENSA_INSB_IlSD_SE_SE_EEEEZNS1_13binary_searchIS3_S5_PsSG_SI_NS1_21lower_bound_search_opENS9_16wrapped_functionI11custom_lessbEEEE10hipError_tPvRmT1_T2_T3_mmT4_T5_P12ihipStream_tbEUlRKsE_EESP_ST_SU_mSV_SY_bEUlT_E_NS1_11comp_targetILNS1_3genE0ELNS1_11target_archE4294967295ELNS1_3gpuE0ELNS1_3repE0EEENS1_30default_config_static_selectorELNS0_4arch9wavefront6targetE0EEEvSS_.has_indirect_call, 0
	.section	.AMDGPU.csdata,"",@progbits
; Kernel info:
; codeLenInByte = 0
; TotalNumSgprs: 0
; NumVgprs: 0
; ScratchSize: 0
; MemoryBound: 0
; FloatMode: 240
; IeeeMode: 1
; LDSByteSize: 0 bytes/workgroup (compile time only)
; SGPRBlocks: 0
; VGPRBlocks: 0
; NumSGPRsForWavesPerEU: 1
; NumVGPRsForWavesPerEU: 1
; Occupancy: 16
; WaveLimiterHint : 0
; COMPUTE_PGM_RSRC2:SCRATCH_EN: 0
; COMPUTE_PGM_RSRC2:USER_SGPR: 6
; COMPUTE_PGM_RSRC2:TRAP_HANDLER: 0
; COMPUTE_PGM_RSRC2:TGID_X_EN: 1
; COMPUTE_PGM_RSRC2:TGID_Y_EN: 0
; COMPUTE_PGM_RSRC2:TGID_Z_EN: 0
; COMPUTE_PGM_RSRC2:TIDIG_COMP_CNT: 0
	.section	.text._ZN7rocprim17ROCPRIM_400000_NS6detail17trampoline_kernelINS0_14default_configENS1_27lower_bound_config_selectorIslEEZNS1_14transform_implILb0ES3_S5_N6thrust23THRUST_200600_302600_NS6detail15normal_iteratorINS8_7pointerIsNS8_11hip_rocprim5par_tENS8_11use_defaultESE_EEEENSA_INSB_IlSD_SE_SE_EEEEZNS1_13binary_searchIS3_S5_PsSG_SI_NS1_21lower_bound_search_opENS9_16wrapped_functionI11custom_lessbEEEE10hipError_tPvRmT1_T2_T3_mmT4_T5_P12ihipStream_tbEUlRKsE_EESP_ST_SU_mSV_SY_bEUlT_E_NS1_11comp_targetILNS1_3genE5ELNS1_11target_archE942ELNS1_3gpuE9ELNS1_3repE0EEENS1_30default_config_static_selectorELNS0_4arch9wavefront6targetE0EEEvSS_,"axG",@progbits,_ZN7rocprim17ROCPRIM_400000_NS6detail17trampoline_kernelINS0_14default_configENS1_27lower_bound_config_selectorIslEEZNS1_14transform_implILb0ES3_S5_N6thrust23THRUST_200600_302600_NS6detail15normal_iteratorINS8_7pointerIsNS8_11hip_rocprim5par_tENS8_11use_defaultESE_EEEENSA_INSB_IlSD_SE_SE_EEEEZNS1_13binary_searchIS3_S5_PsSG_SI_NS1_21lower_bound_search_opENS9_16wrapped_functionI11custom_lessbEEEE10hipError_tPvRmT1_T2_T3_mmT4_T5_P12ihipStream_tbEUlRKsE_EESP_ST_SU_mSV_SY_bEUlT_E_NS1_11comp_targetILNS1_3genE5ELNS1_11target_archE942ELNS1_3gpuE9ELNS1_3repE0EEENS1_30default_config_static_selectorELNS0_4arch9wavefront6targetE0EEEvSS_,comdat
	.protected	_ZN7rocprim17ROCPRIM_400000_NS6detail17trampoline_kernelINS0_14default_configENS1_27lower_bound_config_selectorIslEEZNS1_14transform_implILb0ES3_S5_N6thrust23THRUST_200600_302600_NS6detail15normal_iteratorINS8_7pointerIsNS8_11hip_rocprim5par_tENS8_11use_defaultESE_EEEENSA_INSB_IlSD_SE_SE_EEEEZNS1_13binary_searchIS3_S5_PsSG_SI_NS1_21lower_bound_search_opENS9_16wrapped_functionI11custom_lessbEEEE10hipError_tPvRmT1_T2_T3_mmT4_T5_P12ihipStream_tbEUlRKsE_EESP_ST_SU_mSV_SY_bEUlT_E_NS1_11comp_targetILNS1_3genE5ELNS1_11target_archE942ELNS1_3gpuE9ELNS1_3repE0EEENS1_30default_config_static_selectorELNS0_4arch9wavefront6targetE0EEEvSS_ ; -- Begin function _ZN7rocprim17ROCPRIM_400000_NS6detail17trampoline_kernelINS0_14default_configENS1_27lower_bound_config_selectorIslEEZNS1_14transform_implILb0ES3_S5_N6thrust23THRUST_200600_302600_NS6detail15normal_iteratorINS8_7pointerIsNS8_11hip_rocprim5par_tENS8_11use_defaultESE_EEEENSA_INSB_IlSD_SE_SE_EEEEZNS1_13binary_searchIS3_S5_PsSG_SI_NS1_21lower_bound_search_opENS9_16wrapped_functionI11custom_lessbEEEE10hipError_tPvRmT1_T2_T3_mmT4_T5_P12ihipStream_tbEUlRKsE_EESP_ST_SU_mSV_SY_bEUlT_E_NS1_11comp_targetILNS1_3genE5ELNS1_11target_archE942ELNS1_3gpuE9ELNS1_3repE0EEENS1_30default_config_static_selectorELNS0_4arch9wavefront6targetE0EEEvSS_
	.globl	_ZN7rocprim17ROCPRIM_400000_NS6detail17trampoline_kernelINS0_14default_configENS1_27lower_bound_config_selectorIslEEZNS1_14transform_implILb0ES3_S5_N6thrust23THRUST_200600_302600_NS6detail15normal_iteratorINS8_7pointerIsNS8_11hip_rocprim5par_tENS8_11use_defaultESE_EEEENSA_INSB_IlSD_SE_SE_EEEEZNS1_13binary_searchIS3_S5_PsSG_SI_NS1_21lower_bound_search_opENS9_16wrapped_functionI11custom_lessbEEEE10hipError_tPvRmT1_T2_T3_mmT4_T5_P12ihipStream_tbEUlRKsE_EESP_ST_SU_mSV_SY_bEUlT_E_NS1_11comp_targetILNS1_3genE5ELNS1_11target_archE942ELNS1_3gpuE9ELNS1_3repE0EEENS1_30default_config_static_selectorELNS0_4arch9wavefront6targetE0EEEvSS_
	.p2align	8
	.type	_ZN7rocprim17ROCPRIM_400000_NS6detail17trampoline_kernelINS0_14default_configENS1_27lower_bound_config_selectorIslEEZNS1_14transform_implILb0ES3_S5_N6thrust23THRUST_200600_302600_NS6detail15normal_iteratorINS8_7pointerIsNS8_11hip_rocprim5par_tENS8_11use_defaultESE_EEEENSA_INSB_IlSD_SE_SE_EEEEZNS1_13binary_searchIS3_S5_PsSG_SI_NS1_21lower_bound_search_opENS9_16wrapped_functionI11custom_lessbEEEE10hipError_tPvRmT1_T2_T3_mmT4_T5_P12ihipStream_tbEUlRKsE_EESP_ST_SU_mSV_SY_bEUlT_E_NS1_11comp_targetILNS1_3genE5ELNS1_11target_archE942ELNS1_3gpuE9ELNS1_3repE0EEENS1_30default_config_static_selectorELNS0_4arch9wavefront6targetE0EEEvSS_,@function
_ZN7rocprim17ROCPRIM_400000_NS6detail17trampoline_kernelINS0_14default_configENS1_27lower_bound_config_selectorIslEEZNS1_14transform_implILb0ES3_S5_N6thrust23THRUST_200600_302600_NS6detail15normal_iteratorINS8_7pointerIsNS8_11hip_rocprim5par_tENS8_11use_defaultESE_EEEENSA_INSB_IlSD_SE_SE_EEEEZNS1_13binary_searchIS3_S5_PsSG_SI_NS1_21lower_bound_search_opENS9_16wrapped_functionI11custom_lessbEEEE10hipError_tPvRmT1_T2_T3_mmT4_T5_P12ihipStream_tbEUlRKsE_EESP_ST_SU_mSV_SY_bEUlT_E_NS1_11comp_targetILNS1_3genE5ELNS1_11target_archE942ELNS1_3gpuE9ELNS1_3repE0EEENS1_30default_config_static_selectorELNS0_4arch9wavefront6targetE0EEEvSS_: ; @_ZN7rocprim17ROCPRIM_400000_NS6detail17trampoline_kernelINS0_14default_configENS1_27lower_bound_config_selectorIslEEZNS1_14transform_implILb0ES3_S5_N6thrust23THRUST_200600_302600_NS6detail15normal_iteratorINS8_7pointerIsNS8_11hip_rocprim5par_tENS8_11use_defaultESE_EEEENSA_INSB_IlSD_SE_SE_EEEEZNS1_13binary_searchIS3_S5_PsSG_SI_NS1_21lower_bound_search_opENS9_16wrapped_functionI11custom_lessbEEEE10hipError_tPvRmT1_T2_T3_mmT4_T5_P12ihipStream_tbEUlRKsE_EESP_ST_SU_mSV_SY_bEUlT_E_NS1_11comp_targetILNS1_3genE5ELNS1_11target_archE942ELNS1_3gpuE9ELNS1_3repE0EEENS1_30default_config_static_selectorELNS0_4arch9wavefront6targetE0EEEvSS_
; %bb.0:
	.section	.rodata,"a",@progbits
	.p2align	6, 0x0
	.amdhsa_kernel _ZN7rocprim17ROCPRIM_400000_NS6detail17trampoline_kernelINS0_14default_configENS1_27lower_bound_config_selectorIslEEZNS1_14transform_implILb0ES3_S5_N6thrust23THRUST_200600_302600_NS6detail15normal_iteratorINS8_7pointerIsNS8_11hip_rocprim5par_tENS8_11use_defaultESE_EEEENSA_INSB_IlSD_SE_SE_EEEEZNS1_13binary_searchIS3_S5_PsSG_SI_NS1_21lower_bound_search_opENS9_16wrapped_functionI11custom_lessbEEEE10hipError_tPvRmT1_T2_T3_mmT4_T5_P12ihipStream_tbEUlRKsE_EESP_ST_SU_mSV_SY_bEUlT_E_NS1_11comp_targetILNS1_3genE5ELNS1_11target_archE942ELNS1_3gpuE9ELNS1_3repE0EEENS1_30default_config_static_selectorELNS0_4arch9wavefront6targetE0EEEvSS_
		.amdhsa_group_segment_fixed_size 0
		.amdhsa_private_segment_fixed_size 0
		.amdhsa_kernarg_size 56
		.amdhsa_user_sgpr_count 6
		.amdhsa_user_sgpr_private_segment_buffer 1
		.amdhsa_user_sgpr_dispatch_ptr 0
		.amdhsa_user_sgpr_queue_ptr 0
		.amdhsa_user_sgpr_kernarg_segment_ptr 1
		.amdhsa_user_sgpr_dispatch_id 0
		.amdhsa_user_sgpr_flat_scratch_init 0
		.amdhsa_user_sgpr_private_segment_size 0
		.amdhsa_wavefront_size32 1
		.amdhsa_uses_dynamic_stack 0
		.amdhsa_system_sgpr_private_segment_wavefront_offset 0
		.amdhsa_system_sgpr_workgroup_id_x 1
		.amdhsa_system_sgpr_workgroup_id_y 0
		.amdhsa_system_sgpr_workgroup_id_z 0
		.amdhsa_system_sgpr_workgroup_info 0
		.amdhsa_system_vgpr_workitem_id 0
		.amdhsa_next_free_vgpr 1
		.amdhsa_next_free_sgpr 1
		.amdhsa_reserve_vcc 0
		.amdhsa_reserve_flat_scratch 0
		.amdhsa_float_round_mode_32 0
		.amdhsa_float_round_mode_16_64 0
		.amdhsa_float_denorm_mode_32 3
		.amdhsa_float_denorm_mode_16_64 3
		.amdhsa_dx10_clamp 1
		.amdhsa_ieee_mode 1
		.amdhsa_fp16_overflow 0
		.amdhsa_workgroup_processor_mode 1
		.amdhsa_memory_ordered 1
		.amdhsa_forward_progress 1
		.amdhsa_shared_vgpr_count 0
		.amdhsa_exception_fp_ieee_invalid_op 0
		.amdhsa_exception_fp_denorm_src 0
		.amdhsa_exception_fp_ieee_div_zero 0
		.amdhsa_exception_fp_ieee_overflow 0
		.amdhsa_exception_fp_ieee_underflow 0
		.amdhsa_exception_fp_ieee_inexact 0
		.amdhsa_exception_int_div_zero 0
	.end_amdhsa_kernel
	.section	.text._ZN7rocprim17ROCPRIM_400000_NS6detail17trampoline_kernelINS0_14default_configENS1_27lower_bound_config_selectorIslEEZNS1_14transform_implILb0ES3_S5_N6thrust23THRUST_200600_302600_NS6detail15normal_iteratorINS8_7pointerIsNS8_11hip_rocprim5par_tENS8_11use_defaultESE_EEEENSA_INSB_IlSD_SE_SE_EEEEZNS1_13binary_searchIS3_S5_PsSG_SI_NS1_21lower_bound_search_opENS9_16wrapped_functionI11custom_lessbEEEE10hipError_tPvRmT1_T2_T3_mmT4_T5_P12ihipStream_tbEUlRKsE_EESP_ST_SU_mSV_SY_bEUlT_E_NS1_11comp_targetILNS1_3genE5ELNS1_11target_archE942ELNS1_3gpuE9ELNS1_3repE0EEENS1_30default_config_static_selectorELNS0_4arch9wavefront6targetE0EEEvSS_,"axG",@progbits,_ZN7rocprim17ROCPRIM_400000_NS6detail17trampoline_kernelINS0_14default_configENS1_27lower_bound_config_selectorIslEEZNS1_14transform_implILb0ES3_S5_N6thrust23THRUST_200600_302600_NS6detail15normal_iteratorINS8_7pointerIsNS8_11hip_rocprim5par_tENS8_11use_defaultESE_EEEENSA_INSB_IlSD_SE_SE_EEEEZNS1_13binary_searchIS3_S5_PsSG_SI_NS1_21lower_bound_search_opENS9_16wrapped_functionI11custom_lessbEEEE10hipError_tPvRmT1_T2_T3_mmT4_T5_P12ihipStream_tbEUlRKsE_EESP_ST_SU_mSV_SY_bEUlT_E_NS1_11comp_targetILNS1_3genE5ELNS1_11target_archE942ELNS1_3gpuE9ELNS1_3repE0EEENS1_30default_config_static_selectorELNS0_4arch9wavefront6targetE0EEEvSS_,comdat
.Lfunc_end144:
	.size	_ZN7rocprim17ROCPRIM_400000_NS6detail17trampoline_kernelINS0_14default_configENS1_27lower_bound_config_selectorIslEEZNS1_14transform_implILb0ES3_S5_N6thrust23THRUST_200600_302600_NS6detail15normal_iteratorINS8_7pointerIsNS8_11hip_rocprim5par_tENS8_11use_defaultESE_EEEENSA_INSB_IlSD_SE_SE_EEEEZNS1_13binary_searchIS3_S5_PsSG_SI_NS1_21lower_bound_search_opENS9_16wrapped_functionI11custom_lessbEEEE10hipError_tPvRmT1_T2_T3_mmT4_T5_P12ihipStream_tbEUlRKsE_EESP_ST_SU_mSV_SY_bEUlT_E_NS1_11comp_targetILNS1_3genE5ELNS1_11target_archE942ELNS1_3gpuE9ELNS1_3repE0EEENS1_30default_config_static_selectorELNS0_4arch9wavefront6targetE0EEEvSS_, .Lfunc_end144-_ZN7rocprim17ROCPRIM_400000_NS6detail17trampoline_kernelINS0_14default_configENS1_27lower_bound_config_selectorIslEEZNS1_14transform_implILb0ES3_S5_N6thrust23THRUST_200600_302600_NS6detail15normal_iteratorINS8_7pointerIsNS8_11hip_rocprim5par_tENS8_11use_defaultESE_EEEENSA_INSB_IlSD_SE_SE_EEEEZNS1_13binary_searchIS3_S5_PsSG_SI_NS1_21lower_bound_search_opENS9_16wrapped_functionI11custom_lessbEEEE10hipError_tPvRmT1_T2_T3_mmT4_T5_P12ihipStream_tbEUlRKsE_EESP_ST_SU_mSV_SY_bEUlT_E_NS1_11comp_targetILNS1_3genE5ELNS1_11target_archE942ELNS1_3gpuE9ELNS1_3repE0EEENS1_30default_config_static_selectorELNS0_4arch9wavefront6targetE0EEEvSS_
                                        ; -- End function
	.set _ZN7rocprim17ROCPRIM_400000_NS6detail17trampoline_kernelINS0_14default_configENS1_27lower_bound_config_selectorIslEEZNS1_14transform_implILb0ES3_S5_N6thrust23THRUST_200600_302600_NS6detail15normal_iteratorINS8_7pointerIsNS8_11hip_rocprim5par_tENS8_11use_defaultESE_EEEENSA_INSB_IlSD_SE_SE_EEEEZNS1_13binary_searchIS3_S5_PsSG_SI_NS1_21lower_bound_search_opENS9_16wrapped_functionI11custom_lessbEEEE10hipError_tPvRmT1_T2_T3_mmT4_T5_P12ihipStream_tbEUlRKsE_EESP_ST_SU_mSV_SY_bEUlT_E_NS1_11comp_targetILNS1_3genE5ELNS1_11target_archE942ELNS1_3gpuE9ELNS1_3repE0EEENS1_30default_config_static_selectorELNS0_4arch9wavefront6targetE0EEEvSS_.num_vgpr, 0
	.set _ZN7rocprim17ROCPRIM_400000_NS6detail17trampoline_kernelINS0_14default_configENS1_27lower_bound_config_selectorIslEEZNS1_14transform_implILb0ES3_S5_N6thrust23THRUST_200600_302600_NS6detail15normal_iteratorINS8_7pointerIsNS8_11hip_rocprim5par_tENS8_11use_defaultESE_EEEENSA_INSB_IlSD_SE_SE_EEEEZNS1_13binary_searchIS3_S5_PsSG_SI_NS1_21lower_bound_search_opENS9_16wrapped_functionI11custom_lessbEEEE10hipError_tPvRmT1_T2_T3_mmT4_T5_P12ihipStream_tbEUlRKsE_EESP_ST_SU_mSV_SY_bEUlT_E_NS1_11comp_targetILNS1_3genE5ELNS1_11target_archE942ELNS1_3gpuE9ELNS1_3repE0EEENS1_30default_config_static_selectorELNS0_4arch9wavefront6targetE0EEEvSS_.num_agpr, 0
	.set _ZN7rocprim17ROCPRIM_400000_NS6detail17trampoline_kernelINS0_14default_configENS1_27lower_bound_config_selectorIslEEZNS1_14transform_implILb0ES3_S5_N6thrust23THRUST_200600_302600_NS6detail15normal_iteratorINS8_7pointerIsNS8_11hip_rocprim5par_tENS8_11use_defaultESE_EEEENSA_INSB_IlSD_SE_SE_EEEEZNS1_13binary_searchIS3_S5_PsSG_SI_NS1_21lower_bound_search_opENS9_16wrapped_functionI11custom_lessbEEEE10hipError_tPvRmT1_T2_T3_mmT4_T5_P12ihipStream_tbEUlRKsE_EESP_ST_SU_mSV_SY_bEUlT_E_NS1_11comp_targetILNS1_3genE5ELNS1_11target_archE942ELNS1_3gpuE9ELNS1_3repE0EEENS1_30default_config_static_selectorELNS0_4arch9wavefront6targetE0EEEvSS_.numbered_sgpr, 0
	.set _ZN7rocprim17ROCPRIM_400000_NS6detail17trampoline_kernelINS0_14default_configENS1_27lower_bound_config_selectorIslEEZNS1_14transform_implILb0ES3_S5_N6thrust23THRUST_200600_302600_NS6detail15normal_iteratorINS8_7pointerIsNS8_11hip_rocprim5par_tENS8_11use_defaultESE_EEEENSA_INSB_IlSD_SE_SE_EEEEZNS1_13binary_searchIS3_S5_PsSG_SI_NS1_21lower_bound_search_opENS9_16wrapped_functionI11custom_lessbEEEE10hipError_tPvRmT1_T2_T3_mmT4_T5_P12ihipStream_tbEUlRKsE_EESP_ST_SU_mSV_SY_bEUlT_E_NS1_11comp_targetILNS1_3genE5ELNS1_11target_archE942ELNS1_3gpuE9ELNS1_3repE0EEENS1_30default_config_static_selectorELNS0_4arch9wavefront6targetE0EEEvSS_.num_named_barrier, 0
	.set _ZN7rocprim17ROCPRIM_400000_NS6detail17trampoline_kernelINS0_14default_configENS1_27lower_bound_config_selectorIslEEZNS1_14transform_implILb0ES3_S5_N6thrust23THRUST_200600_302600_NS6detail15normal_iteratorINS8_7pointerIsNS8_11hip_rocprim5par_tENS8_11use_defaultESE_EEEENSA_INSB_IlSD_SE_SE_EEEEZNS1_13binary_searchIS3_S5_PsSG_SI_NS1_21lower_bound_search_opENS9_16wrapped_functionI11custom_lessbEEEE10hipError_tPvRmT1_T2_T3_mmT4_T5_P12ihipStream_tbEUlRKsE_EESP_ST_SU_mSV_SY_bEUlT_E_NS1_11comp_targetILNS1_3genE5ELNS1_11target_archE942ELNS1_3gpuE9ELNS1_3repE0EEENS1_30default_config_static_selectorELNS0_4arch9wavefront6targetE0EEEvSS_.private_seg_size, 0
	.set _ZN7rocprim17ROCPRIM_400000_NS6detail17trampoline_kernelINS0_14default_configENS1_27lower_bound_config_selectorIslEEZNS1_14transform_implILb0ES3_S5_N6thrust23THRUST_200600_302600_NS6detail15normal_iteratorINS8_7pointerIsNS8_11hip_rocprim5par_tENS8_11use_defaultESE_EEEENSA_INSB_IlSD_SE_SE_EEEEZNS1_13binary_searchIS3_S5_PsSG_SI_NS1_21lower_bound_search_opENS9_16wrapped_functionI11custom_lessbEEEE10hipError_tPvRmT1_T2_T3_mmT4_T5_P12ihipStream_tbEUlRKsE_EESP_ST_SU_mSV_SY_bEUlT_E_NS1_11comp_targetILNS1_3genE5ELNS1_11target_archE942ELNS1_3gpuE9ELNS1_3repE0EEENS1_30default_config_static_selectorELNS0_4arch9wavefront6targetE0EEEvSS_.uses_vcc, 0
	.set _ZN7rocprim17ROCPRIM_400000_NS6detail17trampoline_kernelINS0_14default_configENS1_27lower_bound_config_selectorIslEEZNS1_14transform_implILb0ES3_S5_N6thrust23THRUST_200600_302600_NS6detail15normal_iteratorINS8_7pointerIsNS8_11hip_rocprim5par_tENS8_11use_defaultESE_EEEENSA_INSB_IlSD_SE_SE_EEEEZNS1_13binary_searchIS3_S5_PsSG_SI_NS1_21lower_bound_search_opENS9_16wrapped_functionI11custom_lessbEEEE10hipError_tPvRmT1_T2_T3_mmT4_T5_P12ihipStream_tbEUlRKsE_EESP_ST_SU_mSV_SY_bEUlT_E_NS1_11comp_targetILNS1_3genE5ELNS1_11target_archE942ELNS1_3gpuE9ELNS1_3repE0EEENS1_30default_config_static_selectorELNS0_4arch9wavefront6targetE0EEEvSS_.uses_flat_scratch, 0
	.set _ZN7rocprim17ROCPRIM_400000_NS6detail17trampoline_kernelINS0_14default_configENS1_27lower_bound_config_selectorIslEEZNS1_14transform_implILb0ES3_S5_N6thrust23THRUST_200600_302600_NS6detail15normal_iteratorINS8_7pointerIsNS8_11hip_rocprim5par_tENS8_11use_defaultESE_EEEENSA_INSB_IlSD_SE_SE_EEEEZNS1_13binary_searchIS3_S5_PsSG_SI_NS1_21lower_bound_search_opENS9_16wrapped_functionI11custom_lessbEEEE10hipError_tPvRmT1_T2_T3_mmT4_T5_P12ihipStream_tbEUlRKsE_EESP_ST_SU_mSV_SY_bEUlT_E_NS1_11comp_targetILNS1_3genE5ELNS1_11target_archE942ELNS1_3gpuE9ELNS1_3repE0EEENS1_30default_config_static_selectorELNS0_4arch9wavefront6targetE0EEEvSS_.has_dyn_sized_stack, 0
	.set _ZN7rocprim17ROCPRIM_400000_NS6detail17trampoline_kernelINS0_14default_configENS1_27lower_bound_config_selectorIslEEZNS1_14transform_implILb0ES3_S5_N6thrust23THRUST_200600_302600_NS6detail15normal_iteratorINS8_7pointerIsNS8_11hip_rocprim5par_tENS8_11use_defaultESE_EEEENSA_INSB_IlSD_SE_SE_EEEEZNS1_13binary_searchIS3_S5_PsSG_SI_NS1_21lower_bound_search_opENS9_16wrapped_functionI11custom_lessbEEEE10hipError_tPvRmT1_T2_T3_mmT4_T5_P12ihipStream_tbEUlRKsE_EESP_ST_SU_mSV_SY_bEUlT_E_NS1_11comp_targetILNS1_3genE5ELNS1_11target_archE942ELNS1_3gpuE9ELNS1_3repE0EEENS1_30default_config_static_selectorELNS0_4arch9wavefront6targetE0EEEvSS_.has_recursion, 0
	.set _ZN7rocprim17ROCPRIM_400000_NS6detail17trampoline_kernelINS0_14default_configENS1_27lower_bound_config_selectorIslEEZNS1_14transform_implILb0ES3_S5_N6thrust23THRUST_200600_302600_NS6detail15normal_iteratorINS8_7pointerIsNS8_11hip_rocprim5par_tENS8_11use_defaultESE_EEEENSA_INSB_IlSD_SE_SE_EEEEZNS1_13binary_searchIS3_S5_PsSG_SI_NS1_21lower_bound_search_opENS9_16wrapped_functionI11custom_lessbEEEE10hipError_tPvRmT1_T2_T3_mmT4_T5_P12ihipStream_tbEUlRKsE_EESP_ST_SU_mSV_SY_bEUlT_E_NS1_11comp_targetILNS1_3genE5ELNS1_11target_archE942ELNS1_3gpuE9ELNS1_3repE0EEENS1_30default_config_static_selectorELNS0_4arch9wavefront6targetE0EEEvSS_.has_indirect_call, 0
	.section	.AMDGPU.csdata,"",@progbits
; Kernel info:
; codeLenInByte = 0
; TotalNumSgprs: 0
; NumVgprs: 0
; ScratchSize: 0
; MemoryBound: 0
; FloatMode: 240
; IeeeMode: 1
; LDSByteSize: 0 bytes/workgroup (compile time only)
; SGPRBlocks: 0
; VGPRBlocks: 0
; NumSGPRsForWavesPerEU: 1
; NumVGPRsForWavesPerEU: 1
; Occupancy: 16
; WaveLimiterHint : 0
; COMPUTE_PGM_RSRC2:SCRATCH_EN: 0
; COMPUTE_PGM_RSRC2:USER_SGPR: 6
; COMPUTE_PGM_RSRC2:TRAP_HANDLER: 0
; COMPUTE_PGM_RSRC2:TGID_X_EN: 1
; COMPUTE_PGM_RSRC2:TGID_Y_EN: 0
; COMPUTE_PGM_RSRC2:TGID_Z_EN: 0
; COMPUTE_PGM_RSRC2:TIDIG_COMP_CNT: 0
	.section	.text._ZN7rocprim17ROCPRIM_400000_NS6detail17trampoline_kernelINS0_14default_configENS1_27lower_bound_config_selectorIslEEZNS1_14transform_implILb0ES3_S5_N6thrust23THRUST_200600_302600_NS6detail15normal_iteratorINS8_7pointerIsNS8_11hip_rocprim5par_tENS8_11use_defaultESE_EEEENSA_INSB_IlSD_SE_SE_EEEEZNS1_13binary_searchIS3_S5_PsSG_SI_NS1_21lower_bound_search_opENS9_16wrapped_functionI11custom_lessbEEEE10hipError_tPvRmT1_T2_T3_mmT4_T5_P12ihipStream_tbEUlRKsE_EESP_ST_SU_mSV_SY_bEUlT_E_NS1_11comp_targetILNS1_3genE4ELNS1_11target_archE910ELNS1_3gpuE8ELNS1_3repE0EEENS1_30default_config_static_selectorELNS0_4arch9wavefront6targetE0EEEvSS_,"axG",@progbits,_ZN7rocprim17ROCPRIM_400000_NS6detail17trampoline_kernelINS0_14default_configENS1_27lower_bound_config_selectorIslEEZNS1_14transform_implILb0ES3_S5_N6thrust23THRUST_200600_302600_NS6detail15normal_iteratorINS8_7pointerIsNS8_11hip_rocprim5par_tENS8_11use_defaultESE_EEEENSA_INSB_IlSD_SE_SE_EEEEZNS1_13binary_searchIS3_S5_PsSG_SI_NS1_21lower_bound_search_opENS9_16wrapped_functionI11custom_lessbEEEE10hipError_tPvRmT1_T2_T3_mmT4_T5_P12ihipStream_tbEUlRKsE_EESP_ST_SU_mSV_SY_bEUlT_E_NS1_11comp_targetILNS1_3genE4ELNS1_11target_archE910ELNS1_3gpuE8ELNS1_3repE0EEENS1_30default_config_static_selectorELNS0_4arch9wavefront6targetE0EEEvSS_,comdat
	.protected	_ZN7rocprim17ROCPRIM_400000_NS6detail17trampoline_kernelINS0_14default_configENS1_27lower_bound_config_selectorIslEEZNS1_14transform_implILb0ES3_S5_N6thrust23THRUST_200600_302600_NS6detail15normal_iteratorINS8_7pointerIsNS8_11hip_rocprim5par_tENS8_11use_defaultESE_EEEENSA_INSB_IlSD_SE_SE_EEEEZNS1_13binary_searchIS3_S5_PsSG_SI_NS1_21lower_bound_search_opENS9_16wrapped_functionI11custom_lessbEEEE10hipError_tPvRmT1_T2_T3_mmT4_T5_P12ihipStream_tbEUlRKsE_EESP_ST_SU_mSV_SY_bEUlT_E_NS1_11comp_targetILNS1_3genE4ELNS1_11target_archE910ELNS1_3gpuE8ELNS1_3repE0EEENS1_30default_config_static_selectorELNS0_4arch9wavefront6targetE0EEEvSS_ ; -- Begin function _ZN7rocprim17ROCPRIM_400000_NS6detail17trampoline_kernelINS0_14default_configENS1_27lower_bound_config_selectorIslEEZNS1_14transform_implILb0ES3_S5_N6thrust23THRUST_200600_302600_NS6detail15normal_iteratorINS8_7pointerIsNS8_11hip_rocprim5par_tENS8_11use_defaultESE_EEEENSA_INSB_IlSD_SE_SE_EEEEZNS1_13binary_searchIS3_S5_PsSG_SI_NS1_21lower_bound_search_opENS9_16wrapped_functionI11custom_lessbEEEE10hipError_tPvRmT1_T2_T3_mmT4_T5_P12ihipStream_tbEUlRKsE_EESP_ST_SU_mSV_SY_bEUlT_E_NS1_11comp_targetILNS1_3genE4ELNS1_11target_archE910ELNS1_3gpuE8ELNS1_3repE0EEENS1_30default_config_static_selectorELNS0_4arch9wavefront6targetE0EEEvSS_
	.globl	_ZN7rocprim17ROCPRIM_400000_NS6detail17trampoline_kernelINS0_14default_configENS1_27lower_bound_config_selectorIslEEZNS1_14transform_implILb0ES3_S5_N6thrust23THRUST_200600_302600_NS6detail15normal_iteratorINS8_7pointerIsNS8_11hip_rocprim5par_tENS8_11use_defaultESE_EEEENSA_INSB_IlSD_SE_SE_EEEEZNS1_13binary_searchIS3_S5_PsSG_SI_NS1_21lower_bound_search_opENS9_16wrapped_functionI11custom_lessbEEEE10hipError_tPvRmT1_T2_T3_mmT4_T5_P12ihipStream_tbEUlRKsE_EESP_ST_SU_mSV_SY_bEUlT_E_NS1_11comp_targetILNS1_3genE4ELNS1_11target_archE910ELNS1_3gpuE8ELNS1_3repE0EEENS1_30default_config_static_selectorELNS0_4arch9wavefront6targetE0EEEvSS_
	.p2align	8
	.type	_ZN7rocprim17ROCPRIM_400000_NS6detail17trampoline_kernelINS0_14default_configENS1_27lower_bound_config_selectorIslEEZNS1_14transform_implILb0ES3_S5_N6thrust23THRUST_200600_302600_NS6detail15normal_iteratorINS8_7pointerIsNS8_11hip_rocprim5par_tENS8_11use_defaultESE_EEEENSA_INSB_IlSD_SE_SE_EEEEZNS1_13binary_searchIS3_S5_PsSG_SI_NS1_21lower_bound_search_opENS9_16wrapped_functionI11custom_lessbEEEE10hipError_tPvRmT1_T2_T3_mmT4_T5_P12ihipStream_tbEUlRKsE_EESP_ST_SU_mSV_SY_bEUlT_E_NS1_11comp_targetILNS1_3genE4ELNS1_11target_archE910ELNS1_3gpuE8ELNS1_3repE0EEENS1_30default_config_static_selectorELNS0_4arch9wavefront6targetE0EEEvSS_,@function
_ZN7rocprim17ROCPRIM_400000_NS6detail17trampoline_kernelINS0_14default_configENS1_27lower_bound_config_selectorIslEEZNS1_14transform_implILb0ES3_S5_N6thrust23THRUST_200600_302600_NS6detail15normal_iteratorINS8_7pointerIsNS8_11hip_rocprim5par_tENS8_11use_defaultESE_EEEENSA_INSB_IlSD_SE_SE_EEEEZNS1_13binary_searchIS3_S5_PsSG_SI_NS1_21lower_bound_search_opENS9_16wrapped_functionI11custom_lessbEEEE10hipError_tPvRmT1_T2_T3_mmT4_T5_P12ihipStream_tbEUlRKsE_EESP_ST_SU_mSV_SY_bEUlT_E_NS1_11comp_targetILNS1_3genE4ELNS1_11target_archE910ELNS1_3gpuE8ELNS1_3repE0EEENS1_30default_config_static_selectorELNS0_4arch9wavefront6targetE0EEEvSS_: ; @_ZN7rocprim17ROCPRIM_400000_NS6detail17trampoline_kernelINS0_14default_configENS1_27lower_bound_config_selectorIslEEZNS1_14transform_implILb0ES3_S5_N6thrust23THRUST_200600_302600_NS6detail15normal_iteratorINS8_7pointerIsNS8_11hip_rocprim5par_tENS8_11use_defaultESE_EEEENSA_INSB_IlSD_SE_SE_EEEEZNS1_13binary_searchIS3_S5_PsSG_SI_NS1_21lower_bound_search_opENS9_16wrapped_functionI11custom_lessbEEEE10hipError_tPvRmT1_T2_T3_mmT4_T5_P12ihipStream_tbEUlRKsE_EESP_ST_SU_mSV_SY_bEUlT_E_NS1_11comp_targetILNS1_3genE4ELNS1_11target_archE910ELNS1_3gpuE8ELNS1_3repE0EEENS1_30default_config_static_selectorELNS0_4arch9wavefront6targetE0EEEvSS_
; %bb.0:
	.section	.rodata,"a",@progbits
	.p2align	6, 0x0
	.amdhsa_kernel _ZN7rocprim17ROCPRIM_400000_NS6detail17trampoline_kernelINS0_14default_configENS1_27lower_bound_config_selectorIslEEZNS1_14transform_implILb0ES3_S5_N6thrust23THRUST_200600_302600_NS6detail15normal_iteratorINS8_7pointerIsNS8_11hip_rocprim5par_tENS8_11use_defaultESE_EEEENSA_INSB_IlSD_SE_SE_EEEEZNS1_13binary_searchIS3_S5_PsSG_SI_NS1_21lower_bound_search_opENS9_16wrapped_functionI11custom_lessbEEEE10hipError_tPvRmT1_T2_T3_mmT4_T5_P12ihipStream_tbEUlRKsE_EESP_ST_SU_mSV_SY_bEUlT_E_NS1_11comp_targetILNS1_3genE4ELNS1_11target_archE910ELNS1_3gpuE8ELNS1_3repE0EEENS1_30default_config_static_selectorELNS0_4arch9wavefront6targetE0EEEvSS_
		.amdhsa_group_segment_fixed_size 0
		.amdhsa_private_segment_fixed_size 0
		.amdhsa_kernarg_size 56
		.amdhsa_user_sgpr_count 6
		.amdhsa_user_sgpr_private_segment_buffer 1
		.amdhsa_user_sgpr_dispatch_ptr 0
		.amdhsa_user_sgpr_queue_ptr 0
		.amdhsa_user_sgpr_kernarg_segment_ptr 1
		.amdhsa_user_sgpr_dispatch_id 0
		.amdhsa_user_sgpr_flat_scratch_init 0
		.amdhsa_user_sgpr_private_segment_size 0
		.amdhsa_wavefront_size32 1
		.amdhsa_uses_dynamic_stack 0
		.amdhsa_system_sgpr_private_segment_wavefront_offset 0
		.amdhsa_system_sgpr_workgroup_id_x 1
		.amdhsa_system_sgpr_workgroup_id_y 0
		.amdhsa_system_sgpr_workgroup_id_z 0
		.amdhsa_system_sgpr_workgroup_info 0
		.amdhsa_system_vgpr_workitem_id 0
		.amdhsa_next_free_vgpr 1
		.amdhsa_next_free_sgpr 1
		.amdhsa_reserve_vcc 0
		.amdhsa_reserve_flat_scratch 0
		.amdhsa_float_round_mode_32 0
		.amdhsa_float_round_mode_16_64 0
		.amdhsa_float_denorm_mode_32 3
		.amdhsa_float_denorm_mode_16_64 3
		.amdhsa_dx10_clamp 1
		.amdhsa_ieee_mode 1
		.amdhsa_fp16_overflow 0
		.amdhsa_workgroup_processor_mode 1
		.amdhsa_memory_ordered 1
		.amdhsa_forward_progress 1
		.amdhsa_shared_vgpr_count 0
		.amdhsa_exception_fp_ieee_invalid_op 0
		.amdhsa_exception_fp_denorm_src 0
		.amdhsa_exception_fp_ieee_div_zero 0
		.amdhsa_exception_fp_ieee_overflow 0
		.amdhsa_exception_fp_ieee_underflow 0
		.amdhsa_exception_fp_ieee_inexact 0
		.amdhsa_exception_int_div_zero 0
	.end_amdhsa_kernel
	.section	.text._ZN7rocprim17ROCPRIM_400000_NS6detail17trampoline_kernelINS0_14default_configENS1_27lower_bound_config_selectorIslEEZNS1_14transform_implILb0ES3_S5_N6thrust23THRUST_200600_302600_NS6detail15normal_iteratorINS8_7pointerIsNS8_11hip_rocprim5par_tENS8_11use_defaultESE_EEEENSA_INSB_IlSD_SE_SE_EEEEZNS1_13binary_searchIS3_S5_PsSG_SI_NS1_21lower_bound_search_opENS9_16wrapped_functionI11custom_lessbEEEE10hipError_tPvRmT1_T2_T3_mmT4_T5_P12ihipStream_tbEUlRKsE_EESP_ST_SU_mSV_SY_bEUlT_E_NS1_11comp_targetILNS1_3genE4ELNS1_11target_archE910ELNS1_3gpuE8ELNS1_3repE0EEENS1_30default_config_static_selectorELNS0_4arch9wavefront6targetE0EEEvSS_,"axG",@progbits,_ZN7rocprim17ROCPRIM_400000_NS6detail17trampoline_kernelINS0_14default_configENS1_27lower_bound_config_selectorIslEEZNS1_14transform_implILb0ES3_S5_N6thrust23THRUST_200600_302600_NS6detail15normal_iteratorINS8_7pointerIsNS8_11hip_rocprim5par_tENS8_11use_defaultESE_EEEENSA_INSB_IlSD_SE_SE_EEEEZNS1_13binary_searchIS3_S5_PsSG_SI_NS1_21lower_bound_search_opENS9_16wrapped_functionI11custom_lessbEEEE10hipError_tPvRmT1_T2_T3_mmT4_T5_P12ihipStream_tbEUlRKsE_EESP_ST_SU_mSV_SY_bEUlT_E_NS1_11comp_targetILNS1_3genE4ELNS1_11target_archE910ELNS1_3gpuE8ELNS1_3repE0EEENS1_30default_config_static_selectorELNS0_4arch9wavefront6targetE0EEEvSS_,comdat
.Lfunc_end145:
	.size	_ZN7rocprim17ROCPRIM_400000_NS6detail17trampoline_kernelINS0_14default_configENS1_27lower_bound_config_selectorIslEEZNS1_14transform_implILb0ES3_S5_N6thrust23THRUST_200600_302600_NS6detail15normal_iteratorINS8_7pointerIsNS8_11hip_rocprim5par_tENS8_11use_defaultESE_EEEENSA_INSB_IlSD_SE_SE_EEEEZNS1_13binary_searchIS3_S5_PsSG_SI_NS1_21lower_bound_search_opENS9_16wrapped_functionI11custom_lessbEEEE10hipError_tPvRmT1_T2_T3_mmT4_T5_P12ihipStream_tbEUlRKsE_EESP_ST_SU_mSV_SY_bEUlT_E_NS1_11comp_targetILNS1_3genE4ELNS1_11target_archE910ELNS1_3gpuE8ELNS1_3repE0EEENS1_30default_config_static_selectorELNS0_4arch9wavefront6targetE0EEEvSS_, .Lfunc_end145-_ZN7rocprim17ROCPRIM_400000_NS6detail17trampoline_kernelINS0_14default_configENS1_27lower_bound_config_selectorIslEEZNS1_14transform_implILb0ES3_S5_N6thrust23THRUST_200600_302600_NS6detail15normal_iteratorINS8_7pointerIsNS8_11hip_rocprim5par_tENS8_11use_defaultESE_EEEENSA_INSB_IlSD_SE_SE_EEEEZNS1_13binary_searchIS3_S5_PsSG_SI_NS1_21lower_bound_search_opENS9_16wrapped_functionI11custom_lessbEEEE10hipError_tPvRmT1_T2_T3_mmT4_T5_P12ihipStream_tbEUlRKsE_EESP_ST_SU_mSV_SY_bEUlT_E_NS1_11comp_targetILNS1_3genE4ELNS1_11target_archE910ELNS1_3gpuE8ELNS1_3repE0EEENS1_30default_config_static_selectorELNS0_4arch9wavefront6targetE0EEEvSS_
                                        ; -- End function
	.set _ZN7rocprim17ROCPRIM_400000_NS6detail17trampoline_kernelINS0_14default_configENS1_27lower_bound_config_selectorIslEEZNS1_14transform_implILb0ES3_S5_N6thrust23THRUST_200600_302600_NS6detail15normal_iteratorINS8_7pointerIsNS8_11hip_rocprim5par_tENS8_11use_defaultESE_EEEENSA_INSB_IlSD_SE_SE_EEEEZNS1_13binary_searchIS3_S5_PsSG_SI_NS1_21lower_bound_search_opENS9_16wrapped_functionI11custom_lessbEEEE10hipError_tPvRmT1_T2_T3_mmT4_T5_P12ihipStream_tbEUlRKsE_EESP_ST_SU_mSV_SY_bEUlT_E_NS1_11comp_targetILNS1_3genE4ELNS1_11target_archE910ELNS1_3gpuE8ELNS1_3repE0EEENS1_30default_config_static_selectorELNS0_4arch9wavefront6targetE0EEEvSS_.num_vgpr, 0
	.set _ZN7rocprim17ROCPRIM_400000_NS6detail17trampoline_kernelINS0_14default_configENS1_27lower_bound_config_selectorIslEEZNS1_14transform_implILb0ES3_S5_N6thrust23THRUST_200600_302600_NS6detail15normal_iteratorINS8_7pointerIsNS8_11hip_rocprim5par_tENS8_11use_defaultESE_EEEENSA_INSB_IlSD_SE_SE_EEEEZNS1_13binary_searchIS3_S5_PsSG_SI_NS1_21lower_bound_search_opENS9_16wrapped_functionI11custom_lessbEEEE10hipError_tPvRmT1_T2_T3_mmT4_T5_P12ihipStream_tbEUlRKsE_EESP_ST_SU_mSV_SY_bEUlT_E_NS1_11comp_targetILNS1_3genE4ELNS1_11target_archE910ELNS1_3gpuE8ELNS1_3repE0EEENS1_30default_config_static_selectorELNS0_4arch9wavefront6targetE0EEEvSS_.num_agpr, 0
	.set _ZN7rocprim17ROCPRIM_400000_NS6detail17trampoline_kernelINS0_14default_configENS1_27lower_bound_config_selectorIslEEZNS1_14transform_implILb0ES3_S5_N6thrust23THRUST_200600_302600_NS6detail15normal_iteratorINS8_7pointerIsNS8_11hip_rocprim5par_tENS8_11use_defaultESE_EEEENSA_INSB_IlSD_SE_SE_EEEEZNS1_13binary_searchIS3_S5_PsSG_SI_NS1_21lower_bound_search_opENS9_16wrapped_functionI11custom_lessbEEEE10hipError_tPvRmT1_T2_T3_mmT4_T5_P12ihipStream_tbEUlRKsE_EESP_ST_SU_mSV_SY_bEUlT_E_NS1_11comp_targetILNS1_3genE4ELNS1_11target_archE910ELNS1_3gpuE8ELNS1_3repE0EEENS1_30default_config_static_selectorELNS0_4arch9wavefront6targetE0EEEvSS_.numbered_sgpr, 0
	.set _ZN7rocprim17ROCPRIM_400000_NS6detail17trampoline_kernelINS0_14default_configENS1_27lower_bound_config_selectorIslEEZNS1_14transform_implILb0ES3_S5_N6thrust23THRUST_200600_302600_NS6detail15normal_iteratorINS8_7pointerIsNS8_11hip_rocprim5par_tENS8_11use_defaultESE_EEEENSA_INSB_IlSD_SE_SE_EEEEZNS1_13binary_searchIS3_S5_PsSG_SI_NS1_21lower_bound_search_opENS9_16wrapped_functionI11custom_lessbEEEE10hipError_tPvRmT1_T2_T3_mmT4_T5_P12ihipStream_tbEUlRKsE_EESP_ST_SU_mSV_SY_bEUlT_E_NS1_11comp_targetILNS1_3genE4ELNS1_11target_archE910ELNS1_3gpuE8ELNS1_3repE0EEENS1_30default_config_static_selectorELNS0_4arch9wavefront6targetE0EEEvSS_.num_named_barrier, 0
	.set _ZN7rocprim17ROCPRIM_400000_NS6detail17trampoline_kernelINS0_14default_configENS1_27lower_bound_config_selectorIslEEZNS1_14transform_implILb0ES3_S5_N6thrust23THRUST_200600_302600_NS6detail15normal_iteratorINS8_7pointerIsNS8_11hip_rocprim5par_tENS8_11use_defaultESE_EEEENSA_INSB_IlSD_SE_SE_EEEEZNS1_13binary_searchIS3_S5_PsSG_SI_NS1_21lower_bound_search_opENS9_16wrapped_functionI11custom_lessbEEEE10hipError_tPvRmT1_T2_T3_mmT4_T5_P12ihipStream_tbEUlRKsE_EESP_ST_SU_mSV_SY_bEUlT_E_NS1_11comp_targetILNS1_3genE4ELNS1_11target_archE910ELNS1_3gpuE8ELNS1_3repE0EEENS1_30default_config_static_selectorELNS0_4arch9wavefront6targetE0EEEvSS_.private_seg_size, 0
	.set _ZN7rocprim17ROCPRIM_400000_NS6detail17trampoline_kernelINS0_14default_configENS1_27lower_bound_config_selectorIslEEZNS1_14transform_implILb0ES3_S5_N6thrust23THRUST_200600_302600_NS6detail15normal_iteratorINS8_7pointerIsNS8_11hip_rocprim5par_tENS8_11use_defaultESE_EEEENSA_INSB_IlSD_SE_SE_EEEEZNS1_13binary_searchIS3_S5_PsSG_SI_NS1_21lower_bound_search_opENS9_16wrapped_functionI11custom_lessbEEEE10hipError_tPvRmT1_T2_T3_mmT4_T5_P12ihipStream_tbEUlRKsE_EESP_ST_SU_mSV_SY_bEUlT_E_NS1_11comp_targetILNS1_3genE4ELNS1_11target_archE910ELNS1_3gpuE8ELNS1_3repE0EEENS1_30default_config_static_selectorELNS0_4arch9wavefront6targetE0EEEvSS_.uses_vcc, 0
	.set _ZN7rocprim17ROCPRIM_400000_NS6detail17trampoline_kernelINS0_14default_configENS1_27lower_bound_config_selectorIslEEZNS1_14transform_implILb0ES3_S5_N6thrust23THRUST_200600_302600_NS6detail15normal_iteratorINS8_7pointerIsNS8_11hip_rocprim5par_tENS8_11use_defaultESE_EEEENSA_INSB_IlSD_SE_SE_EEEEZNS1_13binary_searchIS3_S5_PsSG_SI_NS1_21lower_bound_search_opENS9_16wrapped_functionI11custom_lessbEEEE10hipError_tPvRmT1_T2_T3_mmT4_T5_P12ihipStream_tbEUlRKsE_EESP_ST_SU_mSV_SY_bEUlT_E_NS1_11comp_targetILNS1_3genE4ELNS1_11target_archE910ELNS1_3gpuE8ELNS1_3repE0EEENS1_30default_config_static_selectorELNS0_4arch9wavefront6targetE0EEEvSS_.uses_flat_scratch, 0
	.set _ZN7rocprim17ROCPRIM_400000_NS6detail17trampoline_kernelINS0_14default_configENS1_27lower_bound_config_selectorIslEEZNS1_14transform_implILb0ES3_S5_N6thrust23THRUST_200600_302600_NS6detail15normal_iteratorINS8_7pointerIsNS8_11hip_rocprim5par_tENS8_11use_defaultESE_EEEENSA_INSB_IlSD_SE_SE_EEEEZNS1_13binary_searchIS3_S5_PsSG_SI_NS1_21lower_bound_search_opENS9_16wrapped_functionI11custom_lessbEEEE10hipError_tPvRmT1_T2_T3_mmT4_T5_P12ihipStream_tbEUlRKsE_EESP_ST_SU_mSV_SY_bEUlT_E_NS1_11comp_targetILNS1_3genE4ELNS1_11target_archE910ELNS1_3gpuE8ELNS1_3repE0EEENS1_30default_config_static_selectorELNS0_4arch9wavefront6targetE0EEEvSS_.has_dyn_sized_stack, 0
	.set _ZN7rocprim17ROCPRIM_400000_NS6detail17trampoline_kernelINS0_14default_configENS1_27lower_bound_config_selectorIslEEZNS1_14transform_implILb0ES3_S5_N6thrust23THRUST_200600_302600_NS6detail15normal_iteratorINS8_7pointerIsNS8_11hip_rocprim5par_tENS8_11use_defaultESE_EEEENSA_INSB_IlSD_SE_SE_EEEEZNS1_13binary_searchIS3_S5_PsSG_SI_NS1_21lower_bound_search_opENS9_16wrapped_functionI11custom_lessbEEEE10hipError_tPvRmT1_T2_T3_mmT4_T5_P12ihipStream_tbEUlRKsE_EESP_ST_SU_mSV_SY_bEUlT_E_NS1_11comp_targetILNS1_3genE4ELNS1_11target_archE910ELNS1_3gpuE8ELNS1_3repE0EEENS1_30default_config_static_selectorELNS0_4arch9wavefront6targetE0EEEvSS_.has_recursion, 0
	.set _ZN7rocprim17ROCPRIM_400000_NS6detail17trampoline_kernelINS0_14default_configENS1_27lower_bound_config_selectorIslEEZNS1_14transform_implILb0ES3_S5_N6thrust23THRUST_200600_302600_NS6detail15normal_iteratorINS8_7pointerIsNS8_11hip_rocprim5par_tENS8_11use_defaultESE_EEEENSA_INSB_IlSD_SE_SE_EEEEZNS1_13binary_searchIS3_S5_PsSG_SI_NS1_21lower_bound_search_opENS9_16wrapped_functionI11custom_lessbEEEE10hipError_tPvRmT1_T2_T3_mmT4_T5_P12ihipStream_tbEUlRKsE_EESP_ST_SU_mSV_SY_bEUlT_E_NS1_11comp_targetILNS1_3genE4ELNS1_11target_archE910ELNS1_3gpuE8ELNS1_3repE0EEENS1_30default_config_static_selectorELNS0_4arch9wavefront6targetE0EEEvSS_.has_indirect_call, 0
	.section	.AMDGPU.csdata,"",@progbits
; Kernel info:
; codeLenInByte = 0
; TotalNumSgprs: 0
; NumVgprs: 0
; ScratchSize: 0
; MemoryBound: 0
; FloatMode: 240
; IeeeMode: 1
; LDSByteSize: 0 bytes/workgroup (compile time only)
; SGPRBlocks: 0
; VGPRBlocks: 0
; NumSGPRsForWavesPerEU: 1
; NumVGPRsForWavesPerEU: 1
; Occupancy: 16
; WaveLimiterHint : 0
; COMPUTE_PGM_RSRC2:SCRATCH_EN: 0
; COMPUTE_PGM_RSRC2:USER_SGPR: 6
; COMPUTE_PGM_RSRC2:TRAP_HANDLER: 0
; COMPUTE_PGM_RSRC2:TGID_X_EN: 1
; COMPUTE_PGM_RSRC2:TGID_Y_EN: 0
; COMPUTE_PGM_RSRC2:TGID_Z_EN: 0
; COMPUTE_PGM_RSRC2:TIDIG_COMP_CNT: 0
	.section	.text._ZN7rocprim17ROCPRIM_400000_NS6detail17trampoline_kernelINS0_14default_configENS1_27lower_bound_config_selectorIslEEZNS1_14transform_implILb0ES3_S5_N6thrust23THRUST_200600_302600_NS6detail15normal_iteratorINS8_7pointerIsNS8_11hip_rocprim5par_tENS8_11use_defaultESE_EEEENSA_INSB_IlSD_SE_SE_EEEEZNS1_13binary_searchIS3_S5_PsSG_SI_NS1_21lower_bound_search_opENS9_16wrapped_functionI11custom_lessbEEEE10hipError_tPvRmT1_T2_T3_mmT4_T5_P12ihipStream_tbEUlRKsE_EESP_ST_SU_mSV_SY_bEUlT_E_NS1_11comp_targetILNS1_3genE3ELNS1_11target_archE908ELNS1_3gpuE7ELNS1_3repE0EEENS1_30default_config_static_selectorELNS0_4arch9wavefront6targetE0EEEvSS_,"axG",@progbits,_ZN7rocprim17ROCPRIM_400000_NS6detail17trampoline_kernelINS0_14default_configENS1_27lower_bound_config_selectorIslEEZNS1_14transform_implILb0ES3_S5_N6thrust23THRUST_200600_302600_NS6detail15normal_iteratorINS8_7pointerIsNS8_11hip_rocprim5par_tENS8_11use_defaultESE_EEEENSA_INSB_IlSD_SE_SE_EEEEZNS1_13binary_searchIS3_S5_PsSG_SI_NS1_21lower_bound_search_opENS9_16wrapped_functionI11custom_lessbEEEE10hipError_tPvRmT1_T2_T3_mmT4_T5_P12ihipStream_tbEUlRKsE_EESP_ST_SU_mSV_SY_bEUlT_E_NS1_11comp_targetILNS1_3genE3ELNS1_11target_archE908ELNS1_3gpuE7ELNS1_3repE0EEENS1_30default_config_static_selectorELNS0_4arch9wavefront6targetE0EEEvSS_,comdat
	.protected	_ZN7rocprim17ROCPRIM_400000_NS6detail17trampoline_kernelINS0_14default_configENS1_27lower_bound_config_selectorIslEEZNS1_14transform_implILb0ES3_S5_N6thrust23THRUST_200600_302600_NS6detail15normal_iteratorINS8_7pointerIsNS8_11hip_rocprim5par_tENS8_11use_defaultESE_EEEENSA_INSB_IlSD_SE_SE_EEEEZNS1_13binary_searchIS3_S5_PsSG_SI_NS1_21lower_bound_search_opENS9_16wrapped_functionI11custom_lessbEEEE10hipError_tPvRmT1_T2_T3_mmT4_T5_P12ihipStream_tbEUlRKsE_EESP_ST_SU_mSV_SY_bEUlT_E_NS1_11comp_targetILNS1_3genE3ELNS1_11target_archE908ELNS1_3gpuE7ELNS1_3repE0EEENS1_30default_config_static_selectorELNS0_4arch9wavefront6targetE0EEEvSS_ ; -- Begin function _ZN7rocprim17ROCPRIM_400000_NS6detail17trampoline_kernelINS0_14default_configENS1_27lower_bound_config_selectorIslEEZNS1_14transform_implILb0ES3_S5_N6thrust23THRUST_200600_302600_NS6detail15normal_iteratorINS8_7pointerIsNS8_11hip_rocprim5par_tENS8_11use_defaultESE_EEEENSA_INSB_IlSD_SE_SE_EEEEZNS1_13binary_searchIS3_S5_PsSG_SI_NS1_21lower_bound_search_opENS9_16wrapped_functionI11custom_lessbEEEE10hipError_tPvRmT1_T2_T3_mmT4_T5_P12ihipStream_tbEUlRKsE_EESP_ST_SU_mSV_SY_bEUlT_E_NS1_11comp_targetILNS1_3genE3ELNS1_11target_archE908ELNS1_3gpuE7ELNS1_3repE0EEENS1_30default_config_static_selectorELNS0_4arch9wavefront6targetE0EEEvSS_
	.globl	_ZN7rocprim17ROCPRIM_400000_NS6detail17trampoline_kernelINS0_14default_configENS1_27lower_bound_config_selectorIslEEZNS1_14transform_implILb0ES3_S5_N6thrust23THRUST_200600_302600_NS6detail15normal_iteratorINS8_7pointerIsNS8_11hip_rocprim5par_tENS8_11use_defaultESE_EEEENSA_INSB_IlSD_SE_SE_EEEEZNS1_13binary_searchIS3_S5_PsSG_SI_NS1_21lower_bound_search_opENS9_16wrapped_functionI11custom_lessbEEEE10hipError_tPvRmT1_T2_T3_mmT4_T5_P12ihipStream_tbEUlRKsE_EESP_ST_SU_mSV_SY_bEUlT_E_NS1_11comp_targetILNS1_3genE3ELNS1_11target_archE908ELNS1_3gpuE7ELNS1_3repE0EEENS1_30default_config_static_selectorELNS0_4arch9wavefront6targetE0EEEvSS_
	.p2align	8
	.type	_ZN7rocprim17ROCPRIM_400000_NS6detail17trampoline_kernelINS0_14default_configENS1_27lower_bound_config_selectorIslEEZNS1_14transform_implILb0ES3_S5_N6thrust23THRUST_200600_302600_NS6detail15normal_iteratorINS8_7pointerIsNS8_11hip_rocprim5par_tENS8_11use_defaultESE_EEEENSA_INSB_IlSD_SE_SE_EEEEZNS1_13binary_searchIS3_S5_PsSG_SI_NS1_21lower_bound_search_opENS9_16wrapped_functionI11custom_lessbEEEE10hipError_tPvRmT1_T2_T3_mmT4_T5_P12ihipStream_tbEUlRKsE_EESP_ST_SU_mSV_SY_bEUlT_E_NS1_11comp_targetILNS1_3genE3ELNS1_11target_archE908ELNS1_3gpuE7ELNS1_3repE0EEENS1_30default_config_static_selectorELNS0_4arch9wavefront6targetE0EEEvSS_,@function
_ZN7rocprim17ROCPRIM_400000_NS6detail17trampoline_kernelINS0_14default_configENS1_27lower_bound_config_selectorIslEEZNS1_14transform_implILb0ES3_S5_N6thrust23THRUST_200600_302600_NS6detail15normal_iteratorINS8_7pointerIsNS8_11hip_rocprim5par_tENS8_11use_defaultESE_EEEENSA_INSB_IlSD_SE_SE_EEEEZNS1_13binary_searchIS3_S5_PsSG_SI_NS1_21lower_bound_search_opENS9_16wrapped_functionI11custom_lessbEEEE10hipError_tPvRmT1_T2_T3_mmT4_T5_P12ihipStream_tbEUlRKsE_EESP_ST_SU_mSV_SY_bEUlT_E_NS1_11comp_targetILNS1_3genE3ELNS1_11target_archE908ELNS1_3gpuE7ELNS1_3repE0EEENS1_30default_config_static_selectorELNS0_4arch9wavefront6targetE0EEEvSS_: ; @_ZN7rocprim17ROCPRIM_400000_NS6detail17trampoline_kernelINS0_14default_configENS1_27lower_bound_config_selectorIslEEZNS1_14transform_implILb0ES3_S5_N6thrust23THRUST_200600_302600_NS6detail15normal_iteratorINS8_7pointerIsNS8_11hip_rocprim5par_tENS8_11use_defaultESE_EEEENSA_INSB_IlSD_SE_SE_EEEEZNS1_13binary_searchIS3_S5_PsSG_SI_NS1_21lower_bound_search_opENS9_16wrapped_functionI11custom_lessbEEEE10hipError_tPvRmT1_T2_T3_mmT4_T5_P12ihipStream_tbEUlRKsE_EESP_ST_SU_mSV_SY_bEUlT_E_NS1_11comp_targetILNS1_3genE3ELNS1_11target_archE908ELNS1_3gpuE7ELNS1_3repE0EEENS1_30default_config_static_selectorELNS0_4arch9wavefront6targetE0EEEvSS_
; %bb.0:
	.section	.rodata,"a",@progbits
	.p2align	6, 0x0
	.amdhsa_kernel _ZN7rocprim17ROCPRIM_400000_NS6detail17trampoline_kernelINS0_14default_configENS1_27lower_bound_config_selectorIslEEZNS1_14transform_implILb0ES3_S5_N6thrust23THRUST_200600_302600_NS6detail15normal_iteratorINS8_7pointerIsNS8_11hip_rocprim5par_tENS8_11use_defaultESE_EEEENSA_INSB_IlSD_SE_SE_EEEEZNS1_13binary_searchIS3_S5_PsSG_SI_NS1_21lower_bound_search_opENS9_16wrapped_functionI11custom_lessbEEEE10hipError_tPvRmT1_T2_T3_mmT4_T5_P12ihipStream_tbEUlRKsE_EESP_ST_SU_mSV_SY_bEUlT_E_NS1_11comp_targetILNS1_3genE3ELNS1_11target_archE908ELNS1_3gpuE7ELNS1_3repE0EEENS1_30default_config_static_selectorELNS0_4arch9wavefront6targetE0EEEvSS_
		.amdhsa_group_segment_fixed_size 0
		.amdhsa_private_segment_fixed_size 0
		.amdhsa_kernarg_size 56
		.amdhsa_user_sgpr_count 6
		.amdhsa_user_sgpr_private_segment_buffer 1
		.amdhsa_user_sgpr_dispatch_ptr 0
		.amdhsa_user_sgpr_queue_ptr 0
		.amdhsa_user_sgpr_kernarg_segment_ptr 1
		.amdhsa_user_sgpr_dispatch_id 0
		.amdhsa_user_sgpr_flat_scratch_init 0
		.amdhsa_user_sgpr_private_segment_size 0
		.amdhsa_wavefront_size32 1
		.amdhsa_uses_dynamic_stack 0
		.amdhsa_system_sgpr_private_segment_wavefront_offset 0
		.amdhsa_system_sgpr_workgroup_id_x 1
		.amdhsa_system_sgpr_workgroup_id_y 0
		.amdhsa_system_sgpr_workgroup_id_z 0
		.amdhsa_system_sgpr_workgroup_info 0
		.amdhsa_system_vgpr_workitem_id 0
		.amdhsa_next_free_vgpr 1
		.amdhsa_next_free_sgpr 1
		.amdhsa_reserve_vcc 0
		.amdhsa_reserve_flat_scratch 0
		.amdhsa_float_round_mode_32 0
		.amdhsa_float_round_mode_16_64 0
		.amdhsa_float_denorm_mode_32 3
		.amdhsa_float_denorm_mode_16_64 3
		.amdhsa_dx10_clamp 1
		.amdhsa_ieee_mode 1
		.amdhsa_fp16_overflow 0
		.amdhsa_workgroup_processor_mode 1
		.amdhsa_memory_ordered 1
		.amdhsa_forward_progress 1
		.amdhsa_shared_vgpr_count 0
		.amdhsa_exception_fp_ieee_invalid_op 0
		.amdhsa_exception_fp_denorm_src 0
		.amdhsa_exception_fp_ieee_div_zero 0
		.amdhsa_exception_fp_ieee_overflow 0
		.amdhsa_exception_fp_ieee_underflow 0
		.amdhsa_exception_fp_ieee_inexact 0
		.amdhsa_exception_int_div_zero 0
	.end_amdhsa_kernel
	.section	.text._ZN7rocprim17ROCPRIM_400000_NS6detail17trampoline_kernelINS0_14default_configENS1_27lower_bound_config_selectorIslEEZNS1_14transform_implILb0ES3_S5_N6thrust23THRUST_200600_302600_NS6detail15normal_iteratorINS8_7pointerIsNS8_11hip_rocprim5par_tENS8_11use_defaultESE_EEEENSA_INSB_IlSD_SE_SE_EEEEZNS1_13binary_searchIS3_S5_PsSG_SI_NS1_21lower_bound_search_opENS9_16wrapped_functionI11custom_lessbEEEE10hipError_tPvRmT1_T2_T3_mmT4_T5_P12ihipStream_tbEUlRKsE_EESP_ST_SU_mSV_SY_bEUlT_E_NS1_11comp_targetILNS1_3genE3ELNS1_11target_archE908ELNS1_3gpuE7ELNS1_3repE0EEENS1_30default_config_static_selectorELNS0_4arch9wavefront6targetE0EEEvSS_,"axG",@progbits,_ZN7rocprim17ROCPRIM_400000_NS6detail17trampoline_kernelINS0_14default_configENS1_27lower_bound_config_selectorIslEEZNS1_14transform_implILb0ES3_S5_N6thrust23THRUST_200600_302600_NS6detail15normal_iteratorINS8_7pointerIsNS8_11hip_rocprim5par_tENS8_11use_defaultESE_EEEENSA_INSB_IlSD_SE_SE_EEEEZNS1_13binary_searchIS3_S5_PsSG_SI_NS1_21lower_bound_search_opENS9_16wrapped_functionI11custom_lessbEEEE10hipError_tPvRmT1_T2_T3_mmT4_T5_P12ihipStream_tbEUlRKsE_EESP_ST_SU_mSV_SY_bEUlT_E_NS1_11comp_targetILNS1_3genE3ELNS1_11target_archE908ELNS1_3gpuE7ELNS1_3repE0EEENS1_30default_config_static_selectorELNS0_4arch9wavefront6targetE0EEEvSS_,comdat
.Lfunc_end146:
	.size	_ZN7rocprim17ROCPRIM_400000_NS6detail17trampoline_kernelINS0_14default_configENS1_27lower_bound_config_selectorIslEEZNS1_14transform_implILb0ES3_S5_N6thrust23THRUST_200600_302600_NS6detail15normal_iteratorINS8_7pointerIsNS8_11hip_rocprim5par_tENS8_11use_defaultESE_EEEENSA_INSB_IlSD_SE_SE_EEEEZNS1_13binary_searchIS3_S5_PsSG_SI_NS1_21lower_bound_search_opENS9_16wrapped_functionI11custom_lessbEEEE10hipError_tPvRmT1_T2_T3_mmT4_T5_P12ihipStream_tbEUlRKsE_EESP_ST_SU_mSV_SY_bEUlT_E_NS1_11comp_targetILNS1_3genE3ELNS1_11target_archE908ELNS1_3gpuE7ELNS1_3repE0EEENS1_30default_config_static_selectorELNS0_4arch9wavefront6targetE0EEEvSS_, .Lfunc_end146-_ZN7rocprim17ROCPRIM_400000_NS6detail17trampoline_kernelINS0_14default_configENS1_27lower_bound_config_selectorIslEEZNS1_14transform_implILb0ES3_S5_N6thrust23THRUST_200600_302600_NS6detail15normal_iteratorINS8_7pointerIsNS8_11hip_rocprim5par_tENS8_11use_defaultESE_EEEENSA_INSB_IlSD_SE_SE_EEEEZNS1_13binary_searchIS3_S5_PsSG_SI_NS1_21lower_bound_search_opENS9_16wrapped_functionI11custom_lessbEEEE10hipError_tPvRmT1_T2_T3_mmT4_T5_P12ihipStream_tbEUlRKsE_EESP_ST_SU_mSV_SY_bEUlT_E_NS1_11comp_targetILNS1_3genE3ELNS1_11target_archE908ELNS1_3gpuE7ELNS1_3repE0EEENS1_30default_config_static_selectorELNS0_4arch9wavefront6targetE0EEEvSS_
                                        ; -- End function
	.set _ZN7rocprim17ROCPRIM_400000_NS6detail17trampoline_kernelINS0_14default_configENS1_27lower_bound_config_selectorIslEEZNS1_14transform_implILb0ES3_S5_N6thrust23THRUST_200600_302600_NS6detail15normal_iteratorINS8_7pointerIsNS8_11hip_rocprim5par_tENS8_11use_defaultESE_EEEENSA_INSB_IlSD_SE_SE_EEEEZNS1_13binary_searchIS3_S5_PsSG_SI_NS1_21lower_bound_search_opENS9_16wrapped_functionI11custom_lessbEEEE10hipError_tPvRmT1_T2_T3_mmT4_T5_P12ihipStream_tbEUlRKsE_EESP_ST_SU_mSV_SY_bEUlT_E_NS1_11comp_targetILNS1_3genE3ELNS1_11target_archE908ELNS1_3gpuE7ELNS1_3repE0EEENS1_30default_config_static_selectorELNS0_4arch9wavefront6targetE0EEEvSS_.num_vgpr, 0
	.set _ZN7rocprim17ROCPRIM_400000_NS6detail17trampoline_kernelINS0_14default_configENS1_27lower_bound_config_selectorIslEEZNS1_14transform_implILb0ES3_S5_N6thrust23THRUST_200600_302600_NS6detail15normal_iteratorINS8_7pointerIsNS8_11hip_rocprim5par_tENS8_11use_defaultESE_EEEENSA_INSB_IlSD_SE_SE_EEEEZNS1_13binary_searchIS3_S5_PsSG_SI_NS1_21lower_bound_search_opENS9_16wrapped_functionI11custom_lessbEEEE10hipError_tPvRmT1_T2_T3_mmT4_T5_P12ihipStream_tbEUlRKsE_EESP_ST_SU_mSV_SY_bEUlT_E_NS1_11comp_targetILNS1_3genE3ELNS1_11target_archE908ELNS1_3gpuE7ELNS1_3repE0EEENS1_30default_config_static_selectorELNS0_4arch9wavefront6targetE0EEEvSS_.num_agpr, 0
	.set _ZN7rocprim17ROCPRIM_400000_NS6detail17trampoline_kernelINS0_14default_configENS1_27lower_bound_config_selectorIslEEZNS1_14transform_implILb0ES3_S5_N6thrust23THRUST_200600_302600_NS6detail15normal_iteratorINS8_7pointerIsNS8_11hip_rocprim5par_tENS8_11use_defaultESE_EEEENSA_INSB_IlSD_SE_SE_EEEEZNS1_13binary_searchIS3_S5_PsSG_SI_NS1_21lower_bound_search_opENS9_16wrapped_functionI11custom_lessbEEEE10hipError_tPvRmT1_T2_T3_mmT4_T5_P12ihipStream_tbEUlRKsE_EESP_ST_SU_mSV_SY_bEUlT_E_NS1_11comp_targetILNS1_3genE3ELNS1_11target_archE908ELNS1_3gpuE7ELNS1_3repE0EEENS1_30default_config_static_selectorELNS0_4arch9wavefront6targetE0EEEvSS_.numbered_sgpr, 0
	.set _ZN7rocprim17ROCPRIM_400000_NS6detail17trampoline_kernelINS0_14default_configENS1_27lower_bound_config_selectorIslEEZNS1_14transform_implILb0ES3_S5_N6thrust23THRUST_200600_302600_NS6detail15normal_iteratorINS8_7pointerIsNS8_11hip_rocprim5par_tENS8_11use_defaultESE_EEEENSA_INSB_IlSD_SE_SE_EEEEZNS1_13binary_searchIS3_S5_PsSG_SI_NS1_21lower_bound_search_opENS9_16wrapped_functionI11custom_lessbEEEE10hipError_tPvRmT1_T2_T3_mmT4_T5_P12ihipStream_tbEUlRKsE_EESP_ST_SU_mSV_SY_bEUlT_E_NS1_11comp_targetILNS1_3genE3ELNS1_11target_archE908ELNS1_3gpuE7ELNS1_3repE0EEENS1_30default_config_static_selectorELNS0_4arch9wavefront6targetE0EEEvSS_.num_named_barrier, 0
	.set _ZN7rocprim17ROCPRIM_400000_NS6detail17trampoline_kernelINS0_14default_configENS1_27lower_bound_config_selectorIslEEZNS1_14transform_implILb0ES3_S5_N6thrust23THRUST_200600_302600_NS6detail15normal_iteratorINS8_7pointerIsNS8_11hip_rocprim5par_tENS8_11use_defaultESE_EEEENSA_INSB_IlSD_SE_SE_EEEEZNS1_13binary_searchIS3_S5_PsSG_SI_NS1_21lower_bound_search_opENS9_16wrapped_functionI11custom_lessbEEEE10hipError_tPvRmT1_T2_T3_mmT4_T5_P12ihipStream_tbEUlRKsE_EESP_ST_SU_mSV_SY_bEUlT_E_NS1_11comp_targetILNS1_3genE3ELNS1_11target_archE908ELNS1_3gpuE7ELNS1_3repE0EEENS1_30default_config_static_selectorELNS0_4arch9wavefront6targetE0EEEvSS_.private_seg_size, 0
	.set _ZN7rocprim17ROCPRIM_400000_NS6detail17trampoline_kernelINS0_14default_configENS1_27lower_bound_config_selectorIslEEZNS1_14transform_implILb0ES3_S5_N6thrust23THRUST_200600_302600_NS6detail15normal_iteratorINS8_7pointerIsNS8_11hip_rocprim5par_tENS8_11use_defaultESE_EEEENSA_INSB_IlSD_SE_SE_EEEEZNS1_13binary_searchIS3_S5_PsSG_SI_NS1_21lower_bound_search_opENS9_16wrapped_functionI11custom_lessbEEEE10hipError_tPvRmT1_T2_T3_mmT4_T5_P12ihipStream_tbEUlRKsE_EESP_ST_SU_mSV_SY_bEUlT_E_NS1_11comp_targetILNS1_3genE3ELNS1_11target_archE908ELNS1_3gpuE7ELNS1_3repE0EEENS1_30default_config_static_selectorELNS0_4arch9wavefront6targetE0EEEvSS_.uses_vcc, 0
	.set _ZN7rocprim17ROCPRIM_400000_NS6detail17trampoline_kernelINS0_14default_configENS1_27lower_bound_config_selectorIslEEZNS1_14transform_implILb0ES3_S5_N6thrust23THRUST_200600_302600_NS6detail15normal_iteratorINS8_7pointerIsNS8_11hip_rocprim5par_tENS8_11use_defaultESE_EEEENSA_INSB_IlSD_SE_SE_EEEEZNS1_13binary_searchIS3_S5_PsSG_SI_NS1_21lower_bound_search_opENS9_16wrapped_functionI11custom_lessbEEEE10hipError_tPvRmT1_T2_T3_mmT4_T5_P12ihipStream_tbEUlRKsE_EESP_ST_SU_mSV_SY_bEUlT_E_NS1_11comp_targetILNS1_3genE3ELNS1_11target_archE908ELNS1_3gpuE7ELNS1_3repE0EEENS1_30default_config_static_selectorELNS0_4arch9wavefront6targetE0EEEvSS_.uses_flat_scratch, 0
	.set _ZN7rocprim17ROCPRIM_400000_NS6detail17trampoline_kernelINS0_14default_configENS1_27lower_bound_config_selectorIslEEZNS1_14transform_implILb0ES3_S5_N6thrust23THRUST_200600_302600_NS6detail15normal_iteratorINS8_7pointerIsNS8_11hip_rocprim5par_tENS8_11use_defaultESE_EEEENSA_INSB_IlSD_SE_SE_EEEEZNS1_13binary_searchIS3_S5_PsSG_SI_NS1_21lower_bound_search_opENS9_16wrapped_functionI11custom_lessbEEEE10hipError_tPvRmT1_T2_T3_mmT4_T5_P12ihipStream_tbEUlRKsE_EESP_ST_SU_mSV_SY_bEUlT_E_NS1_11comp_targetILNS1_3genE3ELNS1_11target_archE908ELNS1_3gpuE7ELNS1_3repE0EEENS1_30default_config_static_selectorELNS0_4arch9wavefront6targetE0EEEvSS_.has_dyn_sized_stack, 0
	.set _ZN7rocprim17ROCPRIM_400000_NS6detail17trampoline_kernelINS0_14default_configENS1_27lower_bound_config_selectorIslEEZNS1_14transform_implILb0ES3_S5_N6thrust23THRUST_200600_302600_NS6detail15normal_iteratorINS8_7pointerIsNS8_11hip_rocprim5par_tENS8_11use_defaultESE_EEEENSA_INSB_IlSD_SE_SE_EEEEZNS1_13binary_searchIS3_S5_PsSG_SI_NS1_21lower_bound_search_opENS9_16wrapped_functionI11custom_lessbEEEE10hipError_tPvRmT1_T2_T3_mmT4_T5_P12ihipStream_tbEUlRKsE_EESP_ST_SU_mSV_SY_bEUlT_E_NS1_11comp_targetILNS1_3genE3ELNS1_11target_archE908ELNS1_3gpuE7ELNS1_3repE0EEENS1_30default_config_static_selectorELNS0_4arch9wavefront6targetE0EEEvSS_.has_recursion, 0
	.set _ZN7rocprim17ROCPRIM_400000_NS6detail17trampoline_kernelINS0_14default_configENS1_27lower_bound_config_selectorIslEEZNS1_14transform_implILb0ES3_S5_N6thrust23THRUST_200600_302600_NS6detail15normal_iteratorINS8_7pointerIsNS8_11hip_rocprim5par_tENS8_11use_defaultESE_EEEENSA_INSB_IlSD_SE_SE_EEEEZNS1_13binary_searchIS3_S5_PsSG_SI_NS1_21lower_bound_search_opENS9_16wrapped_functionI11custom_lessbEEEE10hipError_tPvRmT1_T2_T3_mmT4_T5_P12ihipStream_tbEUlRKsE_EESP_ST_SU_mSV_SY_bEUlT_E_NS1_11comp_targetILNS1_3genE3ELNS1_11target_archE908ELNS1_3gpuE7ELNS1_3repE0EEENS1_30default_config_static_selectorELNS0_4arch9wavefront6targetE0EEEvSS_.has_indirect_call, 0
	.section	.AMDGPU.csdata,"",@progbits
; Kernel info:
; codeLenInByte = 0
; TotalNumSgprs: 0
; NumVgprs: 0
; ScratchSize: 0
; MemoryBound: 0
; FloatMode: 240
; IeeeMode: 1
; LDSByteSize: 0 bytes/workgroup (compile time only)
; SGPRBlocks: 0
; VGPRBlocks: 0
; NumSGPRsForWavesPerEU: 1
; NumVGPRsForWavesPerEU: 1
; Occupancy: 16
; WaveLimiterHint : 0
; COMPUTE_PGM_RSRC2:SCRATCH_EN: 0
; COMPUTE_PGM_RSRC2:USER_SGPR: 6
; COMPUTE_PGM_RSRC2:TRAP_HANDLER: 0
; COMPUTE_PGM_RSRC2:TGID_X_EN: 1
; COMPUTE_PGM_RSRC2:TGID_Y_EN: 0
; COMPUTE_PGM_RSRC2:TGID_Z_EN: 0
; COMPUTE_PGM_RSRC2:TIDIG_COMP_CNT: 0
	.section	.text._ZN7rocprim17ROCPRIM_400000_NS6detail17trampoline_kernelINS0_14default_configENS1_27lower_bound_config_selectorIslEEZNS1_14transform_implILb0ES3_S5_N6thrust23THRUST_200600_302600_NS6detail15normal_iteratorINS8_7pointerIsNS8_11hip_rocprim5par_tENS8_11use_defaultESE_EEEENSA_INSB_IlSD_SE_SE_EEEEZNS1_13binary_searchIS3_S5_PsSG_SI_NS1_21lower_bound_search_opENS9_16wrapped_functionI11custom_lessbEEEE10hipError_tPvRmT1_T2_T3_mmT4_T5_P12ihipStream_tbEUlRKsE_EESP_ST_SU_mSV_SY_bEUlT_E_NS1_11comp_targetILNS1_3genE2ELNS1_11target_archE906ELNS1_3gpuE6ELNS1_3repE0EEENS1_30default_config_static_selectorELNS0_4arch9wavefront6targetE0EEEvSS_,"axG",@progbits,_ZN7rocprim17ROCPRIM_400000_NS6detail17trampoline_kernelINS0_14default_configENS1_27lower_bound_config_selectorIslEEZNS1_14transform_implILb0ES3_S5_N6thrust23THRUST_200600_302600_NS6detail15normal_iteratorINS8_7pointerIsNS8_11hip_rocprim5par_tENS8_11use_defaultESE_EEEENSA_INSB_IlSD_SE_SE_EEEEZNS1_13binary_searchIS3_S5_PsSG_SI_NS1_21lower_bound_search_opENS9_16wrapped_functionI11custom_lessbEEEE10hipError_tPvRmT1_T2_T3_mmT4_T5_P12ihipStream_tbEUlRKsE_EESP_ST_SU_mSV_SY_bEUlT_E_NS1_11comp_targetILNS1_3genE2ELNS1_11target_archE906ELNS1_3gpuE6ELNS1_3repE0EEENS1_30default_config_static_selectorELNS0_4arch9wavefront6targetE0EEEvSS_,comdat
	.protected	_ZN7rocprim17ROCPRIM_400000_NS6detail17trampoline_kernelINS0_14default_configENS1_27lower_bound_config_selectorIslEEZNS1_14transform_implILb0ES3_S5_N6thrust23THRUST_200600_302600_NS6detail15normal_iteratorINS8_7pointerIsNS8_11hip_rocprim5par_tENS8_11use_defaultESE_EEEENSA_INSB_IlSD_SE_SE_EEEEZNS1_13binary_searchIS3_S5_PsSG_SI_NS1_21lower_bound_search_opENS9_16wrapped_functionI11custom_lessbEEEE10hipError_tPvRmT1_T2_T3_mmT4_T5_P12ihipStream_tbEUlRKsE_EESP_ST_SU_mSV_SY_bEUlT_E_NS1_11comp_targetILNS1_3genE2ELNS1_11target_archE906ELNS1_3gpuE6ELNS1_3repE0EEENS1_30default_config_static_selectorELNS0_4arch9wavefront6targetE0EEEvSS_ ; -- Begin function _ZN7rocprim17ROCPRIM_400000_NS6detail17trampoline_kernelINS0_14default_configENS1_27lower_bound_config_selectorIslEEZNS1_14transform_implILb0ES3_S5_N6thrust23THRUST_200600_302600_NS6detail15normal_iteratorINS8_7pointerIsNS8_11hip_rocprim5par_tENS8_11use_defaultESE_EEEENSA_INSB_IlSD_SE_SE_EEEEZNS1_13binary_searchIS3_S5_PsSG_SI_NS1_21lower_bound_search_opENS9_16wrapped_functionI11custom_lessbEEEE10hipError_tPvRmT1_T2_T3_mmT4_T5_P12ihipStream_tbEUlRKsE_EESP_ST_SU_mSV_SY_bEUlT_E_NS1_11comp_targetILNS1_3genE2ELNS1_11target_archE906ELNS1_3gpuE6ELNS1_3repE0EEENS1_30default_config_static_selectorELNS0_4arch9wavefront6targetE0EEEvSS_
	.globl	_ZN7rocprim17ROCPRIM_400000_NS6detail17trampoline_kernelINS0_14default_configENS1_27lower_bound_config_selectorIslEEZNS1_14transform_implILb0ES3_S5_N6thrust23THRUST_200600_302600_NS6detail15normal_iteratorINS8_7pointerIsNS8_11hip_rocprim5par_tENS8_11use_defaultESE_EEEENSA_INSB_IlSD_SE_SE_EEEEZNS1_13binary_searchIS3_S5_PsSG_SI_NS1_21lower_bound_search_opENS9_16wrapped_functionI11custom_lessbEEEE10hipError_tPvRmT1_T2_T3_mmT4_T5_P12ihipStream_tbEUlRKsE_EESP_ST_SU_mSV_SY_bEUlT_E_NS1_11comp_targetILNS1_3genE2ELNS1_11target_archE906ELNS1_3gpuE6ELNS1_3repE0EEENS1_30default_config_static_selectorELNS0_4arch9wavefront6targetE0EEEvSS_
	.p2align	8
	.type	_ZN7rocprim17ROCPRIM_400000_NS6detail17trampoline_kernelINS0_14default_configENS1_27lower_bound_config_selectorIslEEZNS1_14transform_implILb0ES3_S5_N6thrust23THRUST_200600_302600_NS6detail15normal_iteratorINS8_7pointerIsNS8_11hip_rocprim5par_tENS8_11use_defaultESE_EEEENSA_INSB_IlSD_SE_SE_EEEEZNS1_13binary_searchIS3_S5_PsSG_SI_NS1_21lower_bound_search_opENS9_16wrapped_functionI11custom_lessbEEEE10hipError_tPvRmT1_T2_T3_mmT4_T5_P12ihipStream_tbEUlRKsE_EESP_ST_SU_mSV_SY_bEUlT_E_NS1_11comp_targetILNS1_3genE2ELNS1_11target_archE906ELNS1_3gpuE6ELNS1_3repE0EEENS1_30default_config_static_selectorELNS0_4arch9wavefront6targetE0EEEvSS_,@function
_ZN7rocprim17ROCPRIM_400000_NS6detail17trampoline_kernelINS0_14default_configENS1_27lower_bound_config_selectorIslEEZNS1_14transform_implILb0ES3_S5_N6thrust23THRUST_200600_302600_NS6detail15normal_iteratorINS8_7pointerIsNS8_11hip_rocprim5par_tENS8_11use_defaultESE_EEEENSA_INSB_IlSD_SE_SE_EEEEZNS1_13binary_searchIS3_S5_PsSG_SI_NS1_21lower_bound_search_opENS9_16wrapped_functionI11custom_lessbEEEE10hipError_tPvRmT1_T2_T3_mmT4_T5_P12ihipStream_tbEUlRKsE_EESP_ST_SU_mSV_SY_bEUlT_E_NS1_11comp_targetILNS1_3genE2ELNS1_11target_archE906ELNS1_3gpuE6ELNS1_3repE0EEENS1_30default_config_static_selectorELNS0_4arch9wavefront6targetE0EEEvSS_: ; @_ZN7rocprim17ROCPRIM_400000_NS6detail17trampoline_kernelINS0_14default_configENS1_27lower_bound_config_selectorIslEEZNS1_14transform_implILb0ES3_S5_N6thrust23THRUST_200600_302600_NS6detail15normal_iteratorINS8_7pointerIsNS8_11hip_rocprim5par_tENS8_11use_defaultESE_EEEENSA_INSB_IlSD_SE_SE_EEEEZNS1_13binary_searchIS3_S5_PsSG_SI_NS1_21lower_bound_search_opENS9_16wrapped_functionI11custom_lessbEEEE10hipError_tPvRmT1_T2_T3_mmT4_T5_P12ihipStream_tbEUlRKsE_EESP_ST_SU_mSV_SY_bEUlT_E_NS1_11comp_targetILNS1_3genE2ELNS1_11target_archE906ELNS1_3gpuE6ELNS1_3repE0EEENS1_30default_config_static_selectorELNS0_4arch9wavefront6targetE0EEEvSS_
; %bb.0:
	.section	.rodata,"a",@progbits
	.p2align	6, 0x0
	.amdhsa_kernel _ZN7rocprim17ROCPRIM_400000_NS6detail17trampoline_kernelINS0_14default_configENS1_27lower_bound_config_selectorIslEEZNS1_14transform_implILb0ES3_S5_N6thrust23THRUST_200600_302600_NS6detail15normal_iteratorINS8_7pointerIsNS8_11hip_rocprim5par_tENS8_11use_defaultESE_EEEENSA_INSB_IlSD_SE_SE_EEEEZNS1_13binary_searchIS3_S5_PsSG_SI_NS1_21lower_bound_search_opENS9_16wrapped_functionI11custom_lessbEEEE10hipError_tPvRmT1_T2_T3_mmT4_T5_P12ihipStream_tbEUlRKsE_EESP_ST_SU_mSV_SY_bEUlT_E_NS1_11comp_targetILNS1_3genE2ELNS1_11target_archE906ELNS1_3gpuE6ELNS1_3repE0EEENS1_30default_config_static_selectorELNS0_4arch9wavefront6targetE0EEEvSS_
		.amdhsa_group_segment_fixed_size 0
		.amdhsa_private_segment_fixed_size 0
		.amdhsa_kernarg_size 56
		.amdhsa_user_sgpr_count 6
		.amdhsa_user_sgpr_private_segment_buffer 1
		.amdhsa_user_sgpr_dispatch_ptr 0
		.amdhsa_user_sgpr_queue_ptr 0
		.amdhsa_user_sgpr_kernarg_segment_ptr 1
		.amdhsa_user_sgpr_dispatch_id 0
		.amdhsa_user_sgpr_flat_scratch_init 0
		.amdhsa_user_sgpr_private_segment_size 0
		.amdhsa_wavefront_size32 1
		.amdhsa_uses_dynamic_stack 0
		.amdhsa_system_sgpr_private_segment_wavefront_offset 0
		.amdhsa_system_sgpr_workgroup_id_x 1
		.amdhsa_system_sgpr_workgroup_id_y 0
		.amdhsa_system_sgpr_workgroup_id_z 0
		.amdhsa_system_sgpr_workgroup_info 0
		.amdhsa_system_vgpr_workitem_id 0
		.amdhsa_next_free_vgpr 1
		.amdhsa_next_free_sgpr 1
		.amdhsa_reserve_vcc 0
		.amdhsa_reserve_flat_scratch 0
		.amdhsa_float_round_mode_32 0
		.amdhsa_float_round_mode_16_64 0
		.amdhsa_float_denorm_mode_32 3
		.amdhsa_float_denorm_mode_16_64 3
		.amdhsa_dx10_clamp 1
		.amdhsa_ieee_mode 1
		.amdhsa_fp16_overflow 0
		.amdhsa_workgroup_processor_mode 1
		.amdhsa_memory_ordered 1
		.amdhsa_forward_progress 1
		.amdhsa_shared_vgpr_count 0
		.amdhsa_exception_fp_ieee_invalid_op 0
		.amdhsa_exception_fp_denorm_src 0
		.amdhsa_exception_fp_ieee_div_zero 0
		.amdhsa_exception_fp_ieee_overflow 0
		.amdhsa_exception_fp_ieee_underflow 0
		.amdhsa_exception_fp_ieee_inexact 0
		.amdhsa_exception_int_div_zero 0
	.end_amdhsa_kernel
	.section	.text._ZN7rocprim17ROCPRIM_400000_NS6detail17trampoline_kernelINS0_14default_configENS1_27lower_bound_config_selectorIslEEZNS1_14transform_implILb0ES3_S5_N6thrust23THRUST_200600_302600_NS6detail15normal_iteratorINS8_7pointerIsNS8_11hip_rocprim5par_tENS8_11use_defaultESE_EEEENSA_INSB_IlSD_SE_SE_EEEEZNS1_13binary_searchIS3_S5_PsSG_SI_NS1_21lower_bound_search_opENS9_16wrapped_functionI11custom_lessbEEEE10hipError_tPvRmT1_T2_T3_mmT4_T5_P12ihipStream_tbEUlRKsE_EESP_ST_SU_mSV_SY_bEUlT_E_NS1_11comp_targetILNS1_3genE2ELNS1_11target_archE906ELNS1_3gpuE6ELNS1_3repE0EEENS1_30default_config_static_selectorELNS0_4arch9wavefront6targetE0EEEvSS_,"axG",@progbits,_ZN7rocprim17ROCPRIM_400000_NS6detail17trampoline_kernelINS0_14default_configENS1_27lower_bound_config_selectorIslEEZNS1_14transform_implILb0ES3_S5_N6thrust23THRUST_200600_302600_NS6detail15normal_iteratorINS8_7pointerIsNS8_11hip_rocprim5par_tENS8_11use_defaultESE_EEEENSA_INSB_IlSD_SE_SE_EEEEZNS1_13binary_searchIS3_S5_PsSG_SI_NS1_21lower_bound_search_opENS9_16wrapped_functionI11custom_lessbEEEE10hipError_tPvRmT1_T2_T3_mmT4_T5_P12ihipStream_tbEUlRKsE_EESP_ST_SU_mSV_SY_bEUlT_E_NS1_11comp_targetILNS1_3genE2ELNS1_11target_archE906ELNS1_3gpuE6ELNS1_3repE0EEENS1_30default_config_static_selectorELNS0_4arch9wavefront6targetE0EEEvSS_,comdat
.Lfunc_end147:
	.size	_ZN7rocprim17ROCPRIM_400000_NS6detail17trampoline_kernelINS0_14default_configENS1_27lower_bound_config_selectorIslEEZNS1_14transform_implILb0ES3_S5_N6thrust23THRUST_200600_302600_NS6detail15normal_iteratorINS8_7pointerIsNS8_11hip_rocprim5par_tENS8_11use_defaultESE_EEEENSA_INSB_IlSD_SE_SE_EEEEZNS1_13binary_searchIS3_S5_PsSG_SI_NS1_21lower_bound_search_opENS9_16wrapped_functionI11custom_lessbEEEE10hipError_tPvRmT1_T2_T3_mmT4_T5_P12ihipStream_tbEUlRKsE_EESP_ST_SU_mSV_SY_bEUlT_E_NS1_11comp_targetILNS1_3genE2ELNS1_11target_archE906ELNS1_3gpuE6ELNS1_3repE0EEENS1_30default_config_static_selectorELNS0_4arch9wavefront6targetE0EEEvSS_, .Lfunc_end147-_ZN7rocprim17ROCPRIM_400000_NS6detail17trampoline_kernelINS0_14default_configENS1_27lower_bound_config_selectorIslEEZNS1_14transform_implILb0ES3_S5_N6thrust23THRUST_200600_302600_NS6detail15normal_iteratorINS8_7pointerIsNS8_11hip_rocprim5par_tENS8_11use_defaultESE_EEEENSA_INSB_IlSD_SE_SE_EEEEZNS1_13binary_searchIS3_S5_PsSG_SI_NS1_21lower_bound_search_opENS9_16wrapped_functionI11custom_lessbEEEE10hipError_tPvRmT1_T2_T3_mmT4_T5_P12ihipStream_tbEUlRKsE_EESP_ST_SU_mSV_SY_bEUlT_E_NS1_11comp_targetILNS1_3genE2ELNS1_11target_archE906ELNS1_3gpuE6ELNS1_3repE0EEENS1_30default_config_static_selectorELNS0_4arch9wavefront6targetE0EEEvSS_
                                        ; -- End function
	.set _ZN7rocprim17ROCPRIM_400000_NS6detail17trampoline_kernelINS0_14default_configENS1_27lower_bound_config_selectorIslEEZNS1_14transform_implILb0ES3_S5_N6thrust23THRUST_200600_302600_NS6detail15normal_iteratorINS8_7pointerIsNS8_11hip_rocprim5par_tENS8_11use_defaultESE_EEEENSA_INSB_IlSD_SE_SE_EEEEZNS1_13binary_searchIS3_S5_PsSG_SI_NS1_21lower_bound_search_opENS9_16wrapped_functionI11custom_lessbEEEE10hipError_tPvRmT1_T2_T3_mmT4_T5_P12ihipStream_tbEUlRKsE_EESP_ST_SU_mSV_SY_bEUlT_E_NS1_11comp_targetILNS1_3genE2ELNS1_11target_archE906ELNS1_3gpuE6ELNS1_3repE0EEENS1_30default_config_static_selectorELNS0_4arch9wavefront6targetE0EEEvSS_.num_vgpr, 0
	.set _ZN7rocprim17ROCPRIM_400000_NS6detail17trampoline_kernelINS0_14default_configENS1_27lower_bound_config_selectorIslEEZNS1_14transform_implILb0ES3_S5_N6thrust23THRUST_200600_302600_NS6detail15normal_iteratorINS8_7pointerIsNS8_11hip_rocprim5par_tENS8_11use_defaultESE_EEEENSA_INSB_IlSD_SE_SE_EEEEZNS1_13binary_searchIS3_S5_PsSG_SI_NS1_21lower_bound_search_opENS9_16wrapped_functionI11custom_lessbEEEE10hipError_tPvRmT1_T2_T3_mmT4_T5_P12ihipStream_tbEUlRKsE_EESP_ST_SU_mSV_SY_bEUlT_E_NS1_11comp_targetILNS1_3genE2ELNS1_11target_archE906ELNS1_3gpuE6ELNS1_3repE0EEENS1_30default_config_static_selectorELNS0_4arch9wavefront6targetE0EEEvSS_.num_agpr, 0
	.set _ZN7rocprim17ROCPRIM_400000_NS6detail17trampoline_kernelINS0_14default_configENS1_27lower_bound_config_selectorIslEEZNS1_14transform_implILb0ES3_S5_N6thrust23THRUST_200600_302600_NS6detail15normal_iteratorINS8_7pointerIsNS8_11hip_rocprim5par_tENS8_11use_defaultESE_EEEENSA_INSB_IlSD_SE_SE_EEEEZNS1_13binary_searchIS3_S5_PsSG_SI_NS1_21lower_bound_search_opENS9_16wrapped_functionI11custom_lessbEEEE10hipError_tPvRmT1_T2_T3_mmT4_T5_P12ihipStream_tbEUlRKsE_EESP_ST_SU_mSV_SY_bEUlT_E_NS1_11comp_targetILNS1_3genE2ELNS1_11target_archE906ELNS1_3gpuE6ELNS1_3repE0EEENS1_30default_config_static_selectorELNS0_4arch9wavefront6targetE0EEEvSS_.numbered_sgpr, 0
	.set _ZN7rocprim17ROCPRIM_400000_NS6detail17trampoline_kernelINS0_14default_configENS1_27lower_bound_config_selectorIslEEZNS1_14transform_implILb0ES3_S5_N6thrust23THRUST_200600_302600_NS6detail15normal_iteratorINS8_7pointerIsNS8_11hip_rocprim5par_tENS8_11use_defaultESE_EEEENSA_INSB_IlSD_SE_SE_EEEEZNS1_13binary_searchIS3_S5_PsSG_SI_NS1_21lower_bound_search_opENS9_16wrapped_functionI11custom_lessbEEEE10hipError_tPvRmT1_T2_T3_mmT4_T5_P12ihipStream_tbEUlRKsE_EESP_ST_SU_mSV_SY_bEUlT_E_NS1_11comp_targetILNS1_3genE2ELNS1_11target_archE906ELNS1_3gpuE6ELNS1_3repE0EEENS1_30default_config_static_selectorELNS0_4arch9wavefront6targetE0EEEvSS_.num_named_barrier, 0
	.set _ZN7rocprim17ROCPRIM_400000_NS6detail17trampoline_kernelINS0_14default_configENS1_27lower_bound_config_selectorIslEEZNS1_14transform_implILb0ES3_S5_N6thrust23THRUST_200600_302600_NS6detail15normal_iteratorINS8_7pointerIsNS8_11hip_rocprim5par_tENS8_11use_defaultESE_EEEENSA_INSB_IlSD_SE_SE_EEEEZNS1_13binary_searchIS3_S5_PsSG_SI_NS1_21lower_bound_search_opENS9_16wrapped_functionI11custom_lessbEEEE10hipError_tPvRmT1_T2_T3_mmT4_T5_P12ihipStream_tbEUlRKsE_EESP_ST_SU_mSV_SY_bEUlT_E_NS1_11comp_targetILNS1_3genE2ELNS1_11target_archE906ELNS1_3gpuE6ELNS1_3repE0EEENS1_30default_config_static_selectorELNS0_4arch9wavefront6targetE0EEEvSS_.private_seg_size, 0
	.set _ZN7rocprim17ROCPRIM_400000_NS6detail17trampoline_kernelINS0_14default_configENS1_27lower_bound_config_selectorIslEEZNS1_14transform_implILb0ES3_S5_N6thrust23THRUST_200600_302600_NS6detail15normal_iteratorINS8_7pointerIsNS8_11hip_rocprim5par_tENS8_11use_defaultESE_EEEENSA_INSB_IlSD_SE_SE_EEEEZNS1_13binary_searchIS3_S5_PsSG_SI_NS1_21lower_bound_search_opENS9_16wrapped_functionI11custom_lessbEEEE10hipError_tPvRmT1_T2_T3_mmT4_T5_P12ihipStream_tbEUlRKsE_EESP_ST_SU_mSV_SY_bEUlT_E_NS1_11comp_targetILNS1_3genE2ELNS1_11target_archE906ELNS1_3gpuE6ELNS1_3repE0EEENS1_30default_config_static_selectorELNS0_4arch9wavefront6targetE0EEEvSS_.uses_vcc, 0
	.set _ZN7rocprim17ROCPRIM_400000_NS6detail17trampoline_kernelINS0_14default_configENS1_27lower_bound_config_selectorIslEEZNS1_14transform_implILb0ES3_S5_N6thrust23THRUST_200600_302600_NS6detail15normal_iteratorINS8_7pointerIsNS8_11hip_rocprim5par_tENS8_11use_defaultESE_EEEENSA_INSB_IlSD_SE_SE_EEEEZNS1_13binary_searchIS3_S5_PsSG_SI_NS1_21lower_bound_search_opENS9_16wrapped_functionI11custom_lessbEEEE10hipError_tPvRmT1_T2_T3_mmT4_T5_P12ihipStream_tbEUlRKsE_EESP_ST_SU_mSV_SY_bEUlT_E_NS1_11comp_targetILNS1_3genE2ELNS1_11target_archE906ELNS1_3gpuE6ELNS1_3repE0EEENS1_30default_config_static_selectorELNS0_4arch9wavefront6targetE0EEEvSS_.uses_flat_scratch, 0
	.set _ZN7rocprim17ROCPRIM_400000_NS6detail17trampoline_kernelINS0_14default_configENS1_27lower_bound_config_selectorIslEEZNS1_14transform_implILb0ES3_S5_N6thrust23THRUST_200600_302600_NS6detail15normal_iteratorINS8_7pointerIsNS8_11hip_rocprim5par_tENS8_11use_defaultESE_EEEENSA_INSB_IlSD_SE_SE_EEEEZNS1_13binary_searchIS3_S5_PsSG_SI_NS1_21lower_bound_search_opENS9_16wrapped_functionI11custom_lessbEEEE10hipError_tPvRmT1_T2_T3_mmT4_T5_P12ihipStream_tbEUlRKsE_EESP_ST_SU_mSV_SY_bEUlT_E_NS1_11comp_targetILNS1_3genE2ELNS1_11target_archE906ELNS1_3gpuE6ELNS1_3repE0EEENS1_30default_config_static_selectorELNS0_4arch9wavefront6targetE0EEEvSS_.has_dyn_sized_stack, 0
	.set _ZN7rocprim17ROCPRIM_400000_NS6detail17trampoline_kernelINS0_14default_configENS1_27lower_bound_config_selectorIslEEZNS1_14transform_implILb0ES3_S5_N6thrust23THRUST_200600_302600_NS6detail15normal_iteratorINS8_7pointerIsNS8_11hip_rocprim5par_tENS8_11use_defaultESE_EEEENSA_INSB_IlSD_SE_SE_EEEEZNS1_13binary_searchIS3_S5_PsSG_SI_NS1_21lower_bound_search_opENS9_16wrapped_functionI11custom_lessbEEEE10hipError_tPvRmT1_T2_T3_mmT4_T5_P12ihipStream_tbEUlRKsE_EESP_ST_SU_mSV_SY_bEUlT_E_NS1_11comp_targetILNS1_3genE2ELNS1_11target_archE906ELNS1_3gpuE6ELNS1_3repE0EEENS1_30default_config_static_selectorELNS0_4arch9wavefront6targetE0EEEvSS_.has_recursion, 0
	.set _ZN7rocprim17ROCPRIM_400000_NS6detail17trampoline_kernelINS0_14default_configENS1_27lower_bound_config_selectorIslEEZNS1_14transform_implILb0ES3_S5_N6thrust23THRUST_200600_302600_NS6detail15normal_iteratorINS8_7pointerIsNS8_11hip_rocprim5par_tENS8_11use_defaultESE_EEEENSA_INSB_IlSD_SE_SE_EEEEZNS1_13binary_searchIS3_S5_PsSG_SI_NS1_21lower_bound_search_opENS9_16wrapped_functionI11custom_lessbEEEE10hipError_tPvRmT1_T2_T3_mmT4_T5_P12ihipStream_tbEUlRKsE_EESP_ST_SU_mSV_SY_bEUlT_E_NS1_11comp_targetILNS1_3genE2ELNS1_11target_archE906ELNS1_3gpuE6ELNS1_3repE0EEENS1_30default_config_static_selectorELNS0_4arch9wavefront6targetE0EEEvSS_.has_indirect_call, 0
	.section	.AMDGPU.csdata,"",@progbits
; Kernel info:
; codeLenInByte = 0
; TotalNumSgprs: 0
; NumVgprs: 0
; ScratchSize: 0
; MemoryBound: 0
; FloatMode: 240
; IeeeMode: 1
; LDSByteSize: 0 bytes/workgroup (compile time only)
; SGPRBlocks: 0
; VGPRBlocks: 0
; NumSGPRsForWavesPerEU: 1
; NumVGPRsForWavesPerEU: 1
; Occupancy: 16
; WaveLimiterHint : 0
; COMPUTE_PGM_RSRC2:SCRATCH_EN: 0
; COMPUTE_PGM_RSRC2:USER_SGPR: 6
; COMPUTE_PGM_RSRC2:TRAP_HANDLER: 0
; COMPUTE_PGM_RSRC2:TGID_X_EN: 1
; COMPUTE_PGM_RSRC2:TGID_Y_EN: 0
; COMPUTE_PGM_RSRC2:TGID_Z_EN: 0
; COMPUTE_PGM_RSRC2:TIDIG_COMP_CNT: 0
	.section	.text._ZN7rocprim17ROCPRIM_400000_NS6detail17trampoline_kernelINS0_14default_configENS1_27lower_bound_config_selectorIslEEZNS1_14transform_implILb0ES3_S5_N6thrust23THRUST_200600_302600_NS6detail15normal_iteratorINS8_7pointerIsNS8_11hip_rocprim5par_tENS8_11use_defaultESE_EEEENSA_INSB_IlSD_SE_SE_EEEEZNS1_13binary_searchIS3_S5_PsSG_SI_NS1_21lower_bound_search_opENS9_16wrapped_functionI11custom_lessbEEEE10hipError_tPvRmT1_T2_T3_mmT4_T5_P12ihipStream_tbEUlRKsE_EESP_ST_SU_mSV_SY_bEUlT_E_NS1_11comp_targetILNS1_3genE10ELNS1_11target_archE1201ELNS1_3gpuE5ELNS1_3repE0EEENS1_30default_config_static_selectorELNS0_4arch9wavefront6targetE0EEEvSS_,"axG",@progbits,_ZN7rocprim17ROCPRIM_400000_NS6detail17trampoline_kernelINS0_14default_configENS1_27lower_bound_config_selectorIslEEZNS1_14transform_implILb0ES3_S5_N6thrust23THRUST_200600_302600_NS6detail15normal_iteratorINS8_7pointerIsNS8_11hip_rocprim5par_tENS8_11use_defaultESE_EEEENSA_INSB_IlSD_SE_SE_EEEEZNS1_13binary_searchIS3_S5_PsSG_SI_NS1_21lower_bound_search_opENS9_16wrapped_functionI11custom_lessbEEEE10hipError_tPvRmT1_T2_T3_mmT4_T5_P12ihipStream_tbEUlRKsE_EESP_ST_SU_mSV_SY_bEUlT_E_NS1_11comp_targetILNS1_3genE10ELNS1_11target_archE1201ELNS1_3gpuE5ELNS1_3repE0EEENS1_30default_config_static_selectorELNS0_4arch9wavefront6targetE0EEEvSS_,comdat
	.protected	_ZN7rocprim17ROCPRIM_400000_NS6detail17trampoline_kernelINS0_14default_configENS1_27lower_bound_config_selectorIslEEZNS1_14transform_implILb0ES3_S5_N6thrust23THRUST_200600_302600_NS6detail15normal_iteratorINS8_7pointerIsNS8_11hip_rocprim5par_tENS8_11use_defaultESE_EEEENSA_INSB_IlSD_SE_SE_EEEEZNS1_13binary_searchIS3_S5_PsSG_SI_NS1_21lower_bound_search_opENS9_16wrapped_functionI11custom_lessbEEEE10hipError_tPvRmT1_T2_T3_mmT4_T5_P12ihipStream_tbEUlRKsE_EESP_ST_SU_mSV_SY_bEUlT_E_NS1_11comp_targetILNS1_3genE10ELNS1_11target_archE1201ELNS1_3gpuE5ELNS1_3repE0EEENS1_30default_config_static_selectorELNS0_4arch9wavefront6targetE0EEEvSS_ ; -- Begin function _ZN7rocprim17ROCPRIM_400000_NS6detail17trampoline_kernelINS0_14default_configENS1_27lower_bound_config_selectorIslEEZNS1_14transform_implILb0ES3_S5_N6thrust23THRUST_200600_302600_NS6detail15normal_iteratorINS8_7pointerIsNS8_11hip_rocprim5par_tENS8_11use_defaultESE_EEEENSA_INSB_IlSD_SE_SE_EEEEZNS1_13binary_searchIS3_S5_PsSG_SI_NS1_21lower_bound_search_opENS9_16wrapped_functionI11custom_lessbEEEE10hipError_tPvRmT1_T2_T3_mmT4_T5_P12ihipStream_tbEUlRKsE_EESP_ST_SU_mSV_SY_bEUlT_E_NS1_11comp_targetILNS1_3genE10ELNS1_11target_archE1201ELNS1_3gpuE5ELNS1_3repE0EEENS1_30default_config_static_selectorELNS0_4arch9wavefront6targetE0EEEvSS_
	.globl	_ZN7rocprim17ROCPRIM_400000_NS6detail17trampoline_kernelINS0_14default_configENS1_27lower_bound_config_selectorIslEEZNS1_14transform_implILb0ES3_S5_N6thrust23THRUST_200600_302600_NS6detail15normal_iteratorINS8_7pointerIsNS8_11hip_rocprim5par_tENS8_11use_defaultESE_EEEENSA_INSB_IlSD_SE_SE_EEEEZNS1_13binary_searchIS3_S5_PsSG_SI_NS1_21lower_bound_search_opENS9_16wrapped_functionI11custom_lessbEEEE10hipError_tPvRmT1_T2_T3_mmT4_T5_P12ihipStream_tbEUlRKsE_EESP_ST_SU_mSV_SY_bEUlT_E_NS1_11comp_targetILNS1_3genE10ELNS1_11target_archE1201ELNS1_3gpuE5ELNS1_3repE0EEENS1_30default_config_static_selectorELNS0_4arch9wavefront6targetE0EEEvSS_
	.p2align	8
	.type	_ZN7rocprim17ROCPRIM_400000_NS6detail17trampoline_kernelINS0_14default_configENS1_27lower_bound_config_selectorIslEEZNS1_14transform_implILb0ES3_S5_N6thrust23THRUST_200600_302600_NS6detail15normal_iteratorINS8_7pointerIsNS8_11hip_rocprim5par_tENS8_11use_defaultESE_EEEENSA_INSB_IlSD_SE_SE_EEEEZNS1_13binary_searchIS3_S5_PsSG_SI_NS1_21lower_bound_search_opENS9_16wrapped_functionI11custom_lessbEEEE10hipError_tPvRmT1_T2_T3_mmT4_T5_P12ihipStream_tbEUlRKsE_EESP_ST_SU_mSV_SY_bEUlT_E_NS1_11comp_targetILNS1_3genE10ELNS1_11target_archE1201ELNS1_3gpuE5ELNS1_3repE0EEENS1_30default_config_static_selectorELNS0_4arch9wavefront6targetE0EEEvSS_,@function
_ZN7rocprim17ROCPRIM_400000_NS6detail17trampoline_kernelINS0_14default_configENS1_27lower_bound_config_selectorIslEEZNS1_14transform_implILb0ES3_S5_N6thrust23THRUST_200600_302600_NS6detail15normal_iteratorINS8_7pointerIsNS8_11hip_rocprim5par_tENS8_11use_defaultESE_EEEENSA_INSB_IlSD_SE_SE_EEEEZNS1_13binary_searchIS3_S5_PsSG_SI_NS1_21lower_bound_search_opENS9_16wrapped_functionI11custom_lessbEEEE10hipError_tPvRmT1_T2_T3_mmT4_T5_P12ihipStream_tbEUlRKsE_EESP_ST_SU_mSV_SY_bEUlT_E_NS1_11comp_targetILNS1_3genE10ELNS1_11target_archE1201ELNS1_3gpuE5ELNS1_3repE0EEENS1_30default_config_static_selectorELNS0_4arch9wavefront6targetE0EEEvSS_: ; @_ZN7rocprim17ROCPRIM_400000_NS6detail17trampoline_kernelINS0_14default_configENS1_27lower_bound_config_selectorIslEEZNS1_14transform_implILb0ES3_S5_N6thrust23THRUST_200600_302600_NS6detail15normal_iteratorINS8_7pointerIsNS8_11hip_rocprim5par_tENS8_11use_defaultESE_EEEENSA_INSB_IlSD_SE_SE_EEEEZNS1_13binary_searchIS3_S5_PsSG_SI_NS1_21lower_bound_search_opENS9_16wrapped_functionI11custom_lessbEEEE10hipError_tPvRmT1_T2_T3_mmT4_T5_P12ihipStream_tbEUlRKsE_EESP_ST_SU_mSV_SY_bEUlT_E_NS1_11comp_targetILNS1_3genE10ELNS1_11target_archE1201ELNS1_3gpuE5ELNS1_3repE0EEENS1_30default_config_static_selectorELNS0_4arch9wavefront6targetE0EEEvSS_
; %bb.0:
	.section	.rodata,"a",@progbits
	.p2align	6, 0x0
	.amdhsa_kernel _ZN7rocprim17ROCPRIM_400000_NS6detail17trampoline_kernelINS0_14default_configENS1_27lower_bound_config_selectorIslEEZNS1_14transform_implILb0ES3_S5_N6thrust23THRUST_200600_302600_NS6detail15normal_iteratorINS8_7pointerIsNS8_11hip_rocprim5par_tENS8_11use_defaultESE_EEEENSA_INSB_IlSD_SE_SE_EEEEZNS1_13binary_searchIS3_S5_PsSG_SI_NS1_21lower_bound_search_opENS9_16wrapped_functionI11custom_lessbEEEE10hipError_tPvRmT1_T2_T3_mmT4_T5_P12ihipStream_tbEUlRKsE_EESP_ST_SU_mSV_SY_bEUlT_E_NS1_11comp_targetILNS1_3genE10ELNS1_11target_archE1201ELNS1_3gpuE5ELNS1_3repE0EEENS1_30default_config_static_selectorELNS0_4arch9wavefront6targetE0EEEvSS_
		.amdhsa_group_segment_fixed_size 0
		.amdhsa_private_segment_fixed_size 0
		.amdhsa_kernarg_size 56
		.amdhsa_user_sgpr_count 6
		.amdhsa_user_sgpr_private_segment_buffer 1
		.amdhsa_user_sgpr_dispatch_ptr 0
		.amdhsa_user_sgpr_queue_ptr 0
		.amdhsa_user_sgpr_kernarg_segment_ptr 1
		.amdhsa_user_sgpr_dispatch_id 0
		.amdhsa_user_sgpr_flat_scratch_init 0
		.amdhsa_user_sgpr_private_segment_size 0
		.amdhsa_wavefront_size32 1
		.amdhsa_uses_dynamic_stack 0
		.amdhsa_system_sgpr_private_segment_wavefront_offset 0
		.amdhsa_system_sgpr_workgroup_id_x 1
		.amdhsa_system_sgpr_workgroup_id_y 0
		.amdhsa_system_sgpr_workgroup_id_z 0
		.amdhsa_system_sgpr_workgroup_info 0
		.amdhsa_system_vgpr_workitem_id 0
		.amdhsa_next_free_vgpr 1
		.amdhsa_next_free_sgpr 1
		.amdhsa_reserve_vcc 0
		.amdhsa_reserve_flat_scratch 0
		.amdhsa_float_round_mode_32 0
		.amdhsa_float_round_mode_16_64 0
		.amdhsa_float_denorm_mode_32 3
		.amdhsa_float_denorm_mode_16_64 3
		.amdhsa_dx10_clamp 1
		.amdhsa_ieee_mode 1
		.amdhsa_fp16_overflow 0
		.amdhsa_workgroup_processor_mode 1
		.amdhsa_memory_ordered 1
		.amdhsa_forward_progress 1
		.amdhsa_shared_vgpr_count 0
		.amdhsa_exception_fp_ieee_invalid_op 0
		.amdhsa_exception_fp_denorm_src 0
		.amdhsa_exception_fp_ieee_div_zero 0
		.amdhsa_exception_fp_ieee_overflow 0
		.amdhsa_exception_fp_ieee_underflow 0
		.amdhsa_exception_fp_ieee_inexact 0
		.amdhsa_exception_int_div_zero 0
	.end_amdhsa_kernel
	.section	.text._ZN7rocprim17ROCPRIM_400000_NS6detail17trampoline_kernelINS0_14default_configENS1_27lower_bound_config_selectorIslEEZNS1_14transform_implILb0ES3_S5_N6thrust23THRUST_200600_302600_NS6detail15normal_iteratorINS8_7pointerIsNS8_11hip_rocprim5par_tENS8_11use_defaultESE_EEEENSA_INSB_IlSD_SE_SE_EEEEZNS1_13binary_searchIS3_S5_PsSG_SI_NS1_21lower_bound_search_opENS9_16wrapped_functionI11custom_lessbEEEE10hipError_tPvRmT1_T2_T3_mmT4_T5_P12ihipStream_tbEUlRKsE_EESP_ST_SU_mSV_SY_bEUlT_E_NS1_11comp_targetILNS1_3genE10ELNS1_11target_archE1201ELNS1_3gpuE5ELNS1_3repE0EEENS1_30default_config_static_selectorELNS0_4arch9wavefront6targetE0EEEvSS_,"axG",@progbits,_ZN7rocprim17ROCPRIM_400000_NS6detail17trampoline_kernelINS0_14default_configENS1_27lower_bound_config_selectorIslEEZNS1_14transform_implILb0ES3_S5_N6thrust23THRUST_200600_302600_NS6detail15normal_iteratorINS8_7pointerIsNS8_11hip_rocprim5par_tENS8_11use_defaultESE_EEEENSA_INSB_IlSD_SE_SE_EEEEZNS1_13binary_searchIS3_S5_PsSG_SI_NS1_21lower_bound_search_opENS9_16wrapped_functionI11custom_lessbEEEE10hipError_tPvRmT1_T2_T3_mmT4_T5_P12ihipStream_tbEUlRKsE_EESP_ST_SU_mSV_SY_bEUlT_E_NS1_11comp_targetILNS1_3genE10ELNS1_11target_archE1201ELNS1_3gpuE5ELNS1_3repE0EEENS1_30default_config_static_selectorELNS0_4arch9wavefront6targetE0EEEvSS_,comdat
.Lfunc_end148:
	.size	_ZN7rocprim17ROCPRIM_400000_NS6detail17trampoline_kernelINS0_14default_configENS1_27lower_bound_config_selectorIslEEZNS1_14transform_implILb0ES3_S5_N6thrust23THRUST_200600_302600_NS6detail15normal_iteratorINS8_7pointerIsNS8_11hip_rocprim5par_tENS8_11use_defaultESE_EEEENSA_INSB_IlSD_SE_SE_EEEEZNS1_13binary_searchIS3_S5_PsSG_SI_NS1_21lower_bound_search_opENS9_16wrapped_functionI11custom_lessbEEEE10hipError_tPvRmT1_T2_T3_mmT4_T5_P12ihipStream_tbEUlRKsE_EESP_ST_SU_mSV_SY_bEUlT_E_NS1_11comp_targetILNS1_3genE10ELNS1_11target_archE1201ELNS1_3gpuE5ELNS1_3repE0EEENS1_30default_config_static_selectorELNS0_4arch9wavefront6targetE0EEEvSS_, .Lfunc_end148-_ZN7rocprim17ROCPRIM_400000_NS6detail17trampoline_kernelINS0_14default_configENS1_27lower_bound_config_selectorIslEEZNS1_14transform_implILb0ES3_S5_N6thrust23THRUST_200600_302600_NS6detail15normal_iteratorINS8_7pointerIsNS8_11hip_rocprim5par_tENS8_11use_defaultESE_EEEENSA_INSB_IlSD_SE_SE_EEEEZNS1_13binary_searchIS3_S5_PsSG_SI_NS1_21lower_bound_search_opENS9_16wrapped_functionI11custom_lessbEEEE10hipError_tPvRmT1_T2_T3_mmT4_T5_P12ihipStream_tbEUlRKsE_EESP_ST_SU_mSV_SY_bEUlT_E_NS1_11comp_targetILNS1_3genE10ELNS1_11target_archE1201ELNS1_3gpuE5ELNS1_3repE0EEENS1_30default_config_static_selectorELNS0_4arch9wavefront6targetE0EEEvSS_
                                        ; -- End function
	.set _ZN7rocprim17ROCPRIM_400000_NS6detail17trampoline_kernelINS0_14default_configENS1_27lower_bound_config_selectorIslEEZNS1_14transform_implILb0ES3_S5_N6thrust23THRUST_200600_302600_NS6detail15normal_iteratorINS8_7pointerIsNS8_11hip_rocprim5par_tENS8_11use_defaultESE_EEEENSA_INSB_IlSD_SE_SE_EEEEZNS1_13binary_searchIS3_S5_PsSG_SI_NS1_21lower_bound_search_opENS9_16wrapped_functionI11custom_lessbEEEE10hipError_tPvRmT1_T2_T3_mmT4_T5_P12ihipStream_tbEUlRKsE_EESP_ST_SU_mSV_SY_bEUlT_E_NS1_11comp_targetILNS1_3genE10ELNS1_11target_archE1201ELNS1_3gpuE5ELNS1_3repE0EEENS1_30default_config_static_selectorELNS0_4arch9wavefront6targetE0EEEvSS_.num_vgpr, 0
	.set _ZN7rocprim17ROCPRIM_400000_NS6detail17trampoline_kernelINS0_14default_configENS1_27lower_bound_config_selectorIslEEZNS1_14transform_implILb0ES3_S5_N6thrust23THRUST_200600_302600_NS6detail15normal_iteratorINS8_7pointerIsNS8_11hip_rocprim5par_tENS8_11use_defaultESE_EEEENSA_INSB_IlSD_SE_SE_EEEEZNS1_13binary_searchIS3_S5_PsSG_SI_NS1_21lower_bound_search_opENS9_16wrapped_functionI11custom_lessbEEEE10hipError_tPvRmT1_T2_T3_mmT4_T5_P12ihipStream_tbEUlRKsE_EESP_ST_SU_mSV_SY_bEUlT_E_NS1_11comp_targetILNS1_3genE10ELNS1_11target_archE1201ELNS1_3gpuE5ELNS1_3repE0EEENS1_30default_config_static_selectorELNS0_4arch9wavefront6targetE0EEEvSS_.num_agpr, 0
	.set _ZN7rocprim17ROCPRIM_400000_NS6detail17trampoline_kernelINS0_14default_configENS1_27lower_bound_config_selectorIslEEZNS1_14transform_implILb0ES3_S5_N6thrust23THRUST_200600_302600_NS6detail15normal_iteratorINS8_7pointerIsNS8_11hip_rocprim5par_tENS8_11use_defaultESE_EEEENSA_INSB_IlSD_SE_SE_EEEEZNS1_13binary_searchIS3_S5_PsSG_SI_NS1_21lower_bound_search_opENS9_16wrapped_functionI11custom_lessbEEEE10hipError_tPvRmT1_T2_T3_mmT4_T5_P12ihipStream_tbEUlRKsE_EESP_ST_SU_mSV_SY_bEUlT_E_NS1_11comp_targetILNS1_3genE10ELNS1_11target_archE1201ELNS1_3gpuE5ELNS1_3repE0EEENS1_30default_config_static_selectorELNS0_4arch9wavefront6targetE0EEEvSS_.numbered_sgpr, 0
	.set _ZN7rocprim17ROCPRIM_400000_NS6detail17trampoline_kernelINS0_14default_configENS1_27lower_bound_config_selectorIslEEZNS1_14transform_implILb0ES3_S5_N6thrust23THRUST_200600_302600_NS6detail15normal_iteratorINS8_7pointerIsNS8_11hip_rocprim5par_tENS8_11use_defaultESE_EEEENSA_INSB_IlSD_SE_SE_EEEEZNS1_13binary_searchIS3_S5_PsSG_SI_NS1_21lower_bound_search_opENS9_16wrapped_functionI11custom_lessbEEEE10hipError_tPvRmT1_T2_T3_mmT4_T5_P12ihipStream_tbEUlRKsE_EESP_ST_SU_mSV_SY_bEUlT_E_NS1_11comp_targetILNS1_3genE10ELNS1_11target_archE1201ELNS1_3gpuE5ELNS1_3repE0EEENS1_30default_config_static_selectorELNS0_4arch9wavefront6targetE0EEEvSS_.num_named_barrier, 0
	.set _ZN7rocprim17ROCPRIM_400000_NS6detail17trampoline_kernelINS0_14default_configENS1_27lower_bound_config_selectorIslEEZNS1_14transform_implILb0ES3_S5_N6thrust23THRUST_200600_302600_NS6detail15normal_iteratorINS8_7pointerIsNS8_11hip_rocprim5par_tENS8_11use_defaultESE_EEEENSA_INSB_IlSD_SE_SE_EEEEZNS1_13binary_searchIS3_S5_PsSG_SI_NS1_21lower_bound_search_opENS9_16wrapped_functionI11custom_lessbEEEE10hipError_tPvRmT1_T2_T3_mmT4_T5_P12ihipStream_tbEUlRKsE_EESP_ST_SU_mSV_SY_bEUlT_E_NS1_11comp_targetILNS1_3genE10ELNS1_11target_archE1201ELNS1_3gpuE5ELNS1_3repE0EEENS1_30default_config_static_selectorELNS0_4arch9wavefront6targetE0EEEvSS_.private_seg_size, 0
	.set _ZN7rocprim17ROCPRIM_400000_NS6detail17trampoline_kernelINS0_14default_configENS1_27lower_bound_config_selectorIslEEZNS1_14transform_implILb0ES3_S5_N6thrust23THRUST_200600_302600_NS6detail15normal_iteratorINS8_7pointerIsNS8_11hip_rocprim5par_tENS8_11use_defaultESE_EEEENSA_INSB_IlSD_SE_SE_EEEEZNS1_13binary_searchIS3_S5_PsSG_SI_NS1_21lower_bound_search_opENS9_16wrapped_functionI11custom_lessbEEEE10hipError_tPvRmT1_T2_T3_mmT4_T5_P12ihipStream_tbEUlRKsE_EESP_ST_SU_mSV_SY_bEUlT_E_NS1_11comp_targetILNS1_3genE10ELNS1_11target_archE1201ELNS1_3gpuE5ELNS1_3repE0EEENS1_30default_config_static_selectorELNS0_4arch9wavefront6targetE0EEEvSS_.uses_vcc, 0
	.set _ZN7rocprim17ROCPRIM_400000_NS6detail17trampoline_kernelINS0_14default_configENS1_27lower_bound_config_selectorIslEEZNS1_14transform_implILb0ES3_S5_N6thrust23THRUST_200600_302600_NS6detail15normal_iteratorINS8_7pointerIsNS8_11hip_rocprim5par_tENS8_11use_defaultESE_EEEENSA_INSB_IlSD_SE_SE_EEEEZNS1_13binary_searchIS3_S5_PsSG_SI_NS1_21lower_bound_search_opENS9_16wrapped_functionI11custom_lessbEEEE10hipError_tPvRmT1_T2_T3_mmT4_T5_P12ihipStream_tbEUlRKsE_EESP_ST_SU_mSV_SY_bEUlT_E_NS1_11comp_targetILNS1_3genE10ELNS1_11target_archE1201ELNS1_3gpuE5ELNS1_3repE0EEENS1_30default_config_static_selectorELNS0_4arch9wavefront6targetE0EEEvSS_.uses_flat_scratch, 0
	.set _ZN7rocprim17ROCPRIM_400000_NS6detail17trampoline_kernelINS0_14default_configENS1_27lower_bound_config_selectorIslEEZNS1_14transform_implILb0ES3_S5_N6thrust23THRUST_200600_302600_NS6detail15normal_iteratorINS8_7pointerIsNS8_11hip_rocprim5par_tENS8_11use_defaultESE_EEEENSA_INSB_IlSD_SE_SE_EEEEZNS1_13binary_searchIS3_S5_PsSG_SI_NS1_21lower_bound_search_opENS9_16wrapped_functionI11custom_lessbEEEE10hipError_tPvRmT1_T2_T3_mmT4_T5_P12ihipStream_tbEUlRKsE_EESP_ST_SU_mSV_SY_bEUlT_E_NS1_11comp_targetILNS1_3genE10ELNS1_11target_archE1201ELNS1_3gpuE5ELNS1_3repE0EEENS1_30default_config_static_selectorELNS0_4arch9wavefront6targetE0EEEvSS_.has_dyn_sized_stack, 0
	.set _ZN7rocprim17ROCPRIM_400000_NS6detail17trampoline_kernelINS0_14default_configENS1_27lower_bound_config_selectorIslEEZNS1_14transform_implILb0ES3_S5_N6thrust23THRUST_200600_302600_NS6detail15normal_iteratorINS8_7pointerIsNS8_11hip_rocprim5par_tENS8_11use_defaultESE_EEEENSA_INSB_IlSD_SE_SE_EEEEZNS1_13binary_searchIS3_S5_PsSG_SI_NS1_21lower_bound_search_opENS9_16wrapped_functionI11custom_lessbEEEE10hipError_tPvRmT1_T2_T3_mmT4_T5_P12ihipStream_tbEUlRKsE_EESP_ST_SU_mSV_SY_bEUlT_E_NS1_11comp_targetILNS1_3genE10ELNS1_11target_archE1201ELNS1_3gpuE5ELNS1_3repE0EEENS1_30default_config_static_selectorELNS0_4arch9wavefront6targetE0EEEvSS_.has_recursion, 0
	.set _ZN7rocprim17ROCPRIM_400000_NS6detail17trampoline_kernelINS0_14default_configENS1_27lower_bound_config_selectorIslEEZNS1_14transform_implILb0ES3_S5_N6thrust23THRUST_200600_302600_NS6detail15normal_iteratorINS8_7pointerIsNS8_11hip_rocprim5par_tENS8_11use_defaultESE_EEEENSA_INSB_IlSD_SE_SE_EEEEZNS1_13binary_searchIS3_S5_PsSG_SI_NS1_21lower_bound_search_opENS9_16wrapped_functionI11custom_lessbEEEE10hipError_tPvRmT1_T2_T3_mmT4_T5_P12ihipStream_tbEUlRKsE_EESP_ST_SU_mSV_SY_bEUlT_E_NS1_11comp_targetILNS1_3genE10ELNS1_11target_archE1201ELNS1_3gpuE5ELNS1_3repE0EEENS1_30default_config_static_selectorELNS0_4arch9wavefront6targetE0EEEvSS_.has_indirect_call, 0
	.section	.AMDGPU.csdata,"",@progbits
; Kernel info:
; codeLenInByte = 0
; TotalNumSgprs: 0
; NumVgprs: 0
; ScratchSize: 0
; MemoryBound: 0
; FloatMode: 240
; IeeeMode: 1
; LDSByteSize: 0 bytes/workgroup (compile time only)
; SGPRBlocks: 0
; VGPRBlocks: 0
; NumSGPRsForWavesPerEU: 1
; NumVGPRsForWavesPerEU: 1
; Occupancy: 16
; WaveLimiterHint : 0
; COMPUTE_PGM_RSRC2:SCRATCH_EN: 0
; COMPUTE_PGM_RSRC2:USER_SGPR: 6
; COMPUTE_PGM_RSRC2:TRAP_HANDLER: 0
; COMPUTE_PGM_RSRC2:TGID_X_EN: 1
; COMPUTE_PGM_RSRC2:TGID_Y_EN: 0
; COMPUTE_PGM_RSRC2:TGID_Z_EN: 0
; COMPUTE_PGM_RSRC2:TIDIG_COMP_CNT: 0
	.section	.text._ZN7rocprim17ROCPRIM_400000_NS6detail17trampoline_kernelINS0_14default_configENS1_27lower_bound_config_selectorIslEEZNS1_14transform_implILb0ES3_S5_N6thrust23THRUST_200600_302600_NS6detail15normal_iteratorINS8_7pointerIsNS8_11hip_rocprim5par_tENS8_11use_defaultESE_EEEENSA_INSB_IlSD_SE_SE_EEEEZNS1_13binary_searchIS3_S5_PsSG_SI_NS1_21lower_bound_search_opENS9_16wrapped_functionI11custom_lessbEEEE10hipError_tPvRmT1_T2_T3_mmT4_T5_P12ihipStream_tbEUlRKsE_EESP_ST_SU_mSV_SY_bEUlT_E_NS1_11comp_targetILNS1_3genE10ELNS1_11target_archE1200ELNS1_3gpuE4ELNS1_3repE0EEENS1_30default_config_static_selectorELNS0_4arch9wavefront6targetE0EEEvSS_,"axG",@progbits,_ZN7rocprim17ROCPRIM_400000_NS6detail17trampoline_kernelINS0_14default_configENS1_27lower_bound_config_selectorIslEEZNS1_14transform_implILb0ES3_S5_N6thrust23THRUST_200600_302600_NS6detail15normal_iteratorINS8_7pointerIsNS8_11hip_rocprim5par_tENS8_11use_defaultESE_EEEENSA_INSB_IlSD_SE_SE_EEEEZNS1_13binary_searchIS3_S5_PsSG_SI_NS1_21lower_bound_search_opENS9_16wrapped_functionI11custom_lessbEEEE10hipError_tPvRmT1_T2_T3_mmT4_T5_P12ihipStream_tbEUlRKsE_EESP_ST_SU_mSV_SY_bEUlT_E_NS1_11comp_targetILNS1_3genE10ELNS1_11target_archE1200ELNS1_3gpuE4ELNS1_3repE0EEENS1_30default_config_static_selectorELNS0_4arch9wavefront6targetE0EEEvSS_,comdat
	.protected	_ZN7rocprim17ROCPRIM_400000_NS6detail17trampoline_kernelINS0_14default_configENS1_27lower_bound_config_selectorIslEEZNS1_14transform_implILb0ES3_S5_N6thrust23THRUST_200600_302600_NS6detail15normal_iteratorINS8_7pointerIsNS8_11hip_rocprim5par_tENS8_11use_defaultESE_EEEENSA_INSB_IlSD_SE_SE_EEEEZNS1_13binary_searchIS3_S5_PsSG_SI_NS1_21lower_bound_search_opENS9_16wrapped_functionI11custom_lessbEEEE10hipError_tPvRmT1_T2_T3_mmT4_T5_P12ihipStream_tbEUlRKsE_EESP_ST_SU_mSV_SY_bEUlT_E_NS1_11comp_targetILNS1_3genE10ELNS1_11target_archE1200ELNS1_3gpuE4ELNS1_3repE0EEENS1_30default_config_static_selectorELNS0_4arch9wavefront6targetE0EEEvSS_ ; -- Begin function _ZN7rocprim17ROCPRIM_400000_NS6detail17trampoline_kernelINS0_14default_configENS1_27lower_bound_config_selectorIslEEZNS1_14transform_implILb0ES3_S5_N6thrust23THRUST_200600_302600_NS6detail15normal_iteratorINS8_7pointerIsNS8_11hip_rocprim5par_tENS8_11use_defaultESE_EEEENSA_INSB_IlSD_SE_SE_EEEEZNS1_13binary_searchIS3_S5_PsSG_SI_NS1_21lower_bound_search_opENS9_16wrapped_functionI11custom_lessbEEEE10hipError_tPvRmT1_T2_T3_mmT4_T5_P12ihipStream_tbEUlRKsE_EESP_ST_SU_mSV_SY_bEUlT_E_NS1_11comp_targetILNS1_3genE10ELNS1_11target_archE1200ELNS1_3gpuE4ELNS1_3repE0EEENS1_30default_config_static_selectorELNS0_4arch9wavefront6targetE0EEEvSS_
	.globl	_ZN7rocprim17ROCPRIM_400000_NS6detail17trampoline_kernelINS0_14default_configENS1_27lower_bound_config_selectorIslEEZNS1_14transform_implILb0ES3_S5_N6thrust23THRUST_200600_302600_NS6detail15normal_iteratorINS8_7pointerIsNS8_11hip_rocprim5par_tENS8_11use_defaultESE_EEEENSA_INSB_IlSD_SE_SE_EEEEZNS1_13binary_searchIS3_S5_PsSG_SI_NS1_21lower_bound_search_opENS9_16wrapped_functionI11custom_lessbEEEE10hipError_tPvRmT1_T2_T3_mmT4_T5_P12ihipStream_tbEUlRKsE_EESP_ST_SU_mSV_SY_bEUlT_E_NS1_11comp_targetILNS1_3genE10ELNS1_11target_archE1200ELNS1_3gpuE4ELNS1_3repE0EEENS1_30default_config_static_selectorELNS0_4arch9wavefront6targetE0EEEvSS_
	.p2align	8
	.type	_ZN7rocprim17ROCPRIM_400000_NS6detail17trampoline_kernelINS0_14default_configENS1_27lower_bound_config_selectorIslEEZNS1_14transform_implILb0ES3_S5_N6thrust23THRUST_200600_302600_NS6detail15normal_iteratorINS8_7pointerIsNS8_11hip_rocprim5par_tENS8_11use_defaultESE_EEEENSA_INSB_IlSD_SE_SE_EEEEZNS1_13binary_searchIS3_S5_PsSG_SI_NS1_21lower_bound_search_opENS9_16wrapped_functionI11custom_lessbEEEE10hipError_tPvRmT1_T2_T3_mmT4_T5_P12ihipStream_tbEUlRKsE_EESP_ST_SU_mSV_SY_bEUlT_E_NS1_11comp_targetILNS1_3genE10ELNS1_11target_archE1200ELNS1_3gpuE4ELNS1_3repE0EEENS1_30default_config_static_selectorELNS0_4arch9wavefront6targetE0EEEvSS_,@function
_ZN7rocprim17ROCPRIM_400000_NS6detail17trampoline_kernelINS0_14default_configENS1_27lower_bound_config_selectorIslEEZNS1_14transform_implILb0ES3_S5_N6thrust23THRUST_200600_302600_NS6detail15normal_iteratorINS8_7pointerIsNS8_11hip_rocprim5par_tENS8_11use_defaultESE_EEEENSA_INSB_IlSD_SE_SE_EEEEZNS1_13binary_searchIS3_S5_PsSG_SI_NS1_21lower_bound_search_opENS9_16wrapped_functionI11custom_lessbEEEE10hipError_tPvRmT1_T2_T3_mmT4_T5_P12ihipStream_tbEUlRKsE_EESP_ST_SU_mSV_SY_bEUlT_E_NS1_11comp_targetILNS1_3genE10ELNS1_11target_archE1200ELNS1_3gpuE4ELNS1_3repE0EEENS1_30default_config_static_selectorELNS0_4arch9wavefront6targetE0EEEvSS_: ; @_ZN7rocprim17ROCPRIM_400000_NS6detail17trampoline_kernelINS0_14default_configENS1_27lower_bound_config_selectorIslEEZNS1_14transform_implILb0ES3_S5_N6thrust23THRUST_200600_302600_NS6detail15normal_iteratorINS8_7pointerIsNS8_11hip_rocprim5par_tENS8_11use_defaultESE_EEEENSA_INSB_IlSD_SE_SE_EEEEZNS1_13binary_searchIS3_S5_PsSG_SI_NS1_21lower_bound_search_opENS9_16wrapped_functionI11custom_lessbEEEE10hipError_tPvRmT1_T2_T3_mmT4_T5_P12ihipStream_tbEUlRKsE_EESP_ST_SU_mSV_SY_bEUlT_E_NS1_11comp_targetILNS1_3genE10ELNS1_11target_archE1200ELNS1_3gpuE4ELNS1_3repE0EEENS1_30default_config_static_selectorELNS0_4arch9wavefront6targetE0EEEvSS_
; %bb.0:
	.section	.rodata,"a",@progbits
	.p2align	6, 0x0
	.amdhsa_kernel _ZN7rocprim17ROCPRIM_400000_NS6detail17trampoline_kernelINS0_14default_configENS1_27lower_bound_config_selectorIslEEZNS1_14transform_implILb0ES3_S5_N6thrust23THRUST_200600_302600_NS6detail15normal_iteratorINS8_7pointerIsNS8_11hip_rocprim5par_tENS8_11use_defaultESE_EEEENSA_INSB_IlSD_SE_SE_EEEEZNS1_13binary_searchIS3_S5_PsSG_SI_NS1_21lower_bound_search_opENS9_16wrapped_functionI11custom_lessbEEEE10hipError_tPvRmT1_T2_T3_mmT4_T5_P12ihipStream_tbEUlRKsE_EESP_ST_SU_mSV_SY_bEUlT_E_NS1_11comp_targetILNS1_3genE10ELNS1_11target_archE1200ELNS1_3gpuE4ELNS1_3repE0EEENS1_30default_config_static_selectorELNS0_4arch9wavefront6targetE0EEEvSS_
		.amdhsa_group_segment_fixed_size 0
		.amdhsa_private_segment_fixed_size 0
		.amdhsa_kernarg_size 56
		.amdhsa_user_sgpr_count 6
		.amdhsa_user_sgpr_private_segment_buffer 1
		.amdhsa_user_sgpr_dispatch_ptr 0
		.amdhsa_user_sgpr_queue_ptr 0
		.amdhsa_user_sgpr_kernarg_segment_ptr 1
		.amdhsa_user_sgpr_dispatch_id 0
		.amdhsa_user_sgpr_flat_scratch_init 0
		.amdhsa_user_sgpr_private_segment_size 0
		.amdhsa_wavefront_size32 1
		.amdhsa_uses_dynamic_stack 0
		.amdhsa_system_sgpr_private_segment_wavefront_offset 0
		.amdhsa_system_sgpr_workgroup_id_x 1
		.amdhsa_system_sgpr_workgroup_id_y 0
		.amdhsa_system_sgpr_workgroup_id_z 0
		.amdhsa_system_sgpr_workgroup_info 0
		.amdhsa_system_vgpr_workitem_id 0
		.amdhsa_next_free_vgpr 1
		.amdhsa_next_free_sgpr 1
		.amdhsa_reserve_vcc 0
		.amdhsa_reserve_flat_scratch 0
		.amdhsa_float_round_mode_32 0
		.amdhsa_float_round_mode_16_64 0
		.amdhsa_float_denorm_mode_32 3
		.amdhsa_float_denorm_mode_16_64 3
		.amdhsa_dx10_clamp 1
		.amdhsa_ieee_mode 1
		.amdhsa_fp16_overflow 0
		.amdhsa_workgroup_processor_mode 1
		.amdhsa_memory_ordered 1
		.amdhsa_forward_progress 1
		.amdhsa_shared_vgpr_count 0
		.amdhsa_exception_fp_ieee_invalid_op 0
		.amdhsa_exception_fp_denorm_src 0
		.amdhsa_exception_fp_ieee_div_zero 0
		.amdhsa_exception_fp_ieee_overflow 0
		.amdhsa_exception_fp_ieee_underflow 0
		.amdhsa_exception_fp_ieee_inexact 0
		.amdhsa_exception_int_div_zero 0
	.end_amdhsa_kernel
	.section	.text._ZN7rocprim17ROCPRIM_400000_NS6detail17trampoline_kernelINS0_14default_configENS1_27lower_bound_config_selectorIslEEZNS1_14transform_implILb0ES3_S5_N6thrust23THRUST_200600_302600_NS6detail15normal_iteratorINS8_7pointerIsNS8_11hip_rocprim5par_tENS8_11use_defaultESE_EEEENSA_INSB_IlSD_SE_SE_EEEEZNS1_13binary_searchIS3_S5_PsSG_SI_NS1_21lower_bound_search_opENS9_16wrapped_functionI11custom_lessbEEEE10hipError_tPvRmT1_T2_T3_mmT4_T5_P12ihipStream_tbEUlRKsE_EESP_ST_SU_mSV_SY_bEUlT_E_NS1_11comp_targetILNS1_3genE10ELNS1_11target_archE1200ELNS1_3gpuE4ELNS1_3repE0EEENS1_30default_config_static_selectorELNS0_4arch9wavefront6targetE0EEEvSS_,"axG",@progbits,_ZN7rocprim17ROCPRIM_400000_NS6detail17trampoline_kernelINS0_14default_configENS1_27lower_bound_config_selectorIslEEZNS1_14transform_implILb0ES3_S5_N6thrust23THRUST_200600_302600_NS6detail15normal_iteratorINS8_7pointerIsNS8_11hip_rocprim5par_tENS8_11use_defaultESE_EEEENSA_INSB_IlSD_SE_SE_EEEEZNS1_13binary_searchIS3_S5_PsSG_SI_NS1_21lower_bound_search_opENS9_16wrapped_functionI11custom_lessbEEEE10hipError_tPvRmT1_T2_T3_mmT4_T5_P12ihipStream_tbEUlRKsE_EESP_ST_SU_mSV_SY_bEUlT_E_NS1_11comp_targetILNS1_3genE10ELNS1_11target_archE1200ELNS1_3gpuE4ELNS1_3repE0EEENS1_30default_config_static_selectorELNS0_4arch9wavefront6targetE0EEEvSS_,comdat
.Lfunc_end149:
	.size	_ZN7rocprim17ROCPRIM_400000_NS6detail17trampoline_kernelINS0_14default_configENS1_27lower_bound_config_selectorIslEEZNS1_14transform_implILb0ES3_S5_N6thrust23THRUST_200600_302600_NS6detail15normal_iteratorINS8_7pointerIsNS8_11hip_rocprim5par_tENS8_11use_defaultESE_EEEENSA_INSB_IlSD_SE_SE_EEEEZNS1_13binary_searchIS3_S5_PsSG_SI_NS1_21lower_bound_search_opENS9_16wrapped_functionI11custom_lessbEEEE10hipError_tPvRmT1_T2_T3_mmT4_T5_P12ihipStream_tbEUlRKsE_EESP_ST_SU_mSV_SY_bEUlT_E_NS1_11comp_targetILNS1_3genE10ELNS1_11target_archE1200ELNS1_3gpuE4ELNS1_3repE0EEENS1_30default_config_static_selectorELNS0_4arch9wavefront6targetE0EEEvSS_, .Lfunc_end149-_ZN7rocprim17ROCPRIM_400000_NS6detail17trampoline_kernelINS0_14default_configENS1_27lower_bound_config_selectorIslEEZNS1_14transform_implILb0ES3_S5_N6thrust23THRUST_200600_302600_NS6detail15normal_iteratorINS8_7pointerIsNS8_11hip_rocprim5par_tENS8_11use_defaultESE_EEEENSA_INSB_IlSD_SE_SE_EEEEZNS1_13binary_searchIS3_S5_PsSG_SI_NS1_21lower_bound_search_opENS9_16wrapped_functionI11custom_lessbEEEE10hipError_tPvRmT1_T2_T3_mmT4_T5_P12ihipStream_tbEUlRKsE_EESP_ST_SU_mSV_SY_bEUlT_E_NS1_11comp_targetILNS1_3genE10ELNS1_11target_archE1200ELNS1_3gpuE4ELNS1_3repE0EEENS1_30default_config_static_selectorELNS0_4arch9wavefront6targetE0EEEvSS_
                                        ; -- End function
	.set _ZN7rocprim17ROCPRIM_400000_NS6detail17trampoline_kernelINS0_14default_configENS1_27lower_bound_config_selectorIslEEZNS1_14transform_implILb0ES3_S5_N6thrust23THRUST_200600_302600_NS6detail15normal_iteratorINS8_7pointerIsNS8_11hip_rocprim5par_tENS8_11use_defaultESE_EEEENSA_INSB_IlSD_SE_SE_EEEEZNS1_13binary_searchIS3_S5_PsSG_SI_NS1_21lower_bound_search_opENS9_16wrapped_functionI11custom_lessbEEEE10hipError_tPvRmT1_T2_T3_mmT4_T5_P12ihipStream_tbEUlRKsE_EESP_ST_SU_mSV_SY_bEUlT_E_NS1_11comp_targetILNS1_3genE10ELNS1_11target_archE1200ELNS1_3gpuE4ELNS1_3repE0EEENS1_30default_config_static_selectorELNS0_4arch9wavefront6targetE0EEEvSS_.num_vgpr, 0
	.set _ZN7rocprim17ROCPRIM_400000_NS6detail17trampoline_kernelINS0_14default_configENS1_27lower_bound_config_selectorIslEEZNS1_14transform_implILb0ES3_S5_N6thrust23THRUST_200600_302600_NS6detail15normal_iteratorINS8_7pointerIsNS8_11hip_rocprim5par_tENS8_11use_defaultESE_EEEENSA_INSB_IlSD_SE_SE_EEEEZNS1_13binary_searchIS3_S5_PsSG_SI_NS1_21lower_bound_search_opENS9_16wrapped_functionI11custom_lessbEEEE10hipError_tPvRmT1_T2_T3_mmT4_T5_P12ihipStream_tbEUlRKsE_EESP_ST_SU_mSV_SY_bEUlT_E_NS1_11comp_targetILNS1_3genE10ELNS1_11target_archE1200ELNS1_3gpuE4ELNS1_3repE0EEENS1_30default_config_static_selectorELNS0_4arch9wavefront6targetE0EEEvSS_.num_agpr, 0
	.set _ZN7rocprim17ROCPRIM_400000_NS6detail17trampoline_kernelINS0_14default_configENS1_27lower_bound_config_selectorIslEEZNS1_14transform_implILb0ES3_S5_N6thrust23THRUST_200600_302600_NS6detail15normal_iteratorINS8_7pointerIsNS8_11hip_rocprim5par_tENS8_11use_defaultESE_EEEENSA_INSB_IlSD_SE_SE_EEEEZNS1_13binary_searchIS3_S5_PsSG_SI_NS1_21lower_bound_search_opENS9_16wrapped_functionI11custom_lessbEEEE10hipError_tPvRmT1_T2_T3_mmT4_T5_P12ihipStream_tbEUlRKsE_EESP_ST_SU_mSV_SY_bEUlT_E_NS1_11comp_targetILNS1_3genE10ELNS1_11target_archE1200ELNS1_3gpuE4ELNS1_3repE0EEENS1_30default_config_static_selectorELNS0_4arch9wavefront6targetE0EEEvSS_.numbered_sgpr, 0
	.set _ZN7rocprim17ROCPRIM_400000_NS6detail17trampoline_kernelINS0_14default_configENS1_27lower_bound_config_selectorIslEEZNS1_14transform_implILb0ES3_S5_N6thrust23THRUST_200600_302600_NS6detail15normal_iteratorINS8_7pointerIsNS8_11hip_rocprim5par_tENS8_11use_defaultESE_EEEENSA_INSB_IlSD_SE_SE_EEEEZNS1_13binary_searchIS3_S5_PsSG_SI_NS1_21lower_bound_search_opENS9_16wrapped_functionI11custom_lessbEEEE10hipError_tPvRmT1_T2_T3_mmT4_T5_P12ihipStream_tbEUlRKsE_EESP_ST_SU_mSV_SY_bEUlT_E_NS1_11comp_targetILNS1_3genE10ELNS1_11target_archE1200ELNS1_3gpuE4ELNS1_3repE0EEENS1_30default_config_static_selectorELNS0_4arch9wavefront6targetE0EEEvSS_.num_named_barrier, 0
	.set _ZN7rocprim17ROCPRIM_400000_NS6detail17trampoline_kernelINS0_14default_configENS1_27lower_bound_config_selectorIslEEZNS1_14transform_implILb0ES3_S5_N6thrust23THRUST_200600_302600_NS6detail15normal_iteratorINS8_7pointerIsNS8_11hip_rocprim5par_tENS8_11use_defaultESE_EEEENSA_INSB_IlSD_SE_SE_EEEEZNS1_13binary_searchIS3_S5_PsSG_SI_NS1_21lower_bound_search_opENS9_16wrapped_functionI11custom_lessbEEEE10hipError_tPvRmT1_T2_T3_mmT4_T5_P12ihipStream_tbEUlRKsE_EESP_ST_SU_mSV_SY_bEUlT_E_NS1_11comp_targetILNS1_3genE10ELNS1_11target_archE1200ELNS1_3gpuE4ELNS1_3repE0EEENS1_30default_config_static_selectorELNS0_4arch9wavefront6targetE0EEEvSS_.private_seg_size, 0
	.set _ZN7rocprim17ROCPRIM_400000_NS6detail17trampoline_kernelINS0_14default_configENS1_27lower_bound_config_selectorIslEEZNS1_14transform_implILb0ES3_S5_N6thrust23THRUST_200600_302600_NS6detail15normal_iteratorINS8_7pointerIsNS8_11hip_rocprim5par_tENS8_11use_defaultESE_EEEENSA_INSB_IlSD_SE_SE_EEEEZNS1_13binary_searchIS3_S5_PsSG_SI_NS1_21lower_bound_search_opENS9_16wrapped_functionI11custom_lessbEEEE10hipError_tPvRmT1_T2_T3_mmT4_T5_P12ihipStream_tbEUlRKsE_EESP_ST_SU_mSV_SY_bEUlT_E_NS1_11comp_targetILNS1_3genE10ELNS1_11target_archE1200ELNS1_3gpuE4ELNS1_3repE0EEENS1_30default_config_static_selectorELNS0_4arch9wavefront6targetE0EEEvSS_.uses_vcc, 0
	.set _ZN7rocprim17ROCPRIM_400000_NS6detail17trampoline_kernelINS0_14default_configENS1_27lower_bound_config_selectorIslEEZNS1_14transform_implILb0ES3_S5_N6thrust23THRUST_200600_302600_NS6detail15normal_iteratorINS8_7pointerIsNS8_11hip_rocprim5par_tENS8_11use_defaultESE_EEEENSA_INSB_IlSD_SE_SE_EEEEZNS1_13binary_searchIS3_S5_PsSG_SI_NS1_21lower_bound_search_opENS9_16wrapped_functionI11custom_lessbEEEE10hipError_tPvRmT1_T2_T3_mmT4_T5_P12ihipStream_tbEUlRKsE_EESP_ST_SU_mSV_SY_bEUlT_E_NS1_11comp_targetILNS1_3genE10ELNS1_11target_archE1200ELNS1_3gpuE4ELNS1_3repE0EEENS1_30default_config_static_selectorELNS0_4arch9wavefront6targetE0EEEvSS_.uses_flat_scratch, 0
	.set _ZN7rocprim17ROCPRIM_400000_NS6detail17trampoline_kernelINS0_14default_configENS1_27lower_bound_config_selectorIslEEZNS1_14transform_implILb0ES3_S5_N6thrust23THRUST_200600_302600_NS6detail15normal_iteratorINS8_7pointerIsNS8_11hip_rocprim5par_tENS8_11use_defaultESE_EEEENSA_INSB_IlSD_SE_SE_EEEEZNS1_13binary_searchIS3_S5_PsSG_SI_NS1_21lower_bound_search_opENS9_16wrapped_functionI11custom_lessbEEEE10hipError_tPvRmT1_T2_T3_mmT4_T5_P12ihipStream_tbEUlRKsE_EESP_ST_SU_mSV_SY_bEUlT_E_NS1_11comp_targetILNS1_3genE10ELNS1_11target_archE1200ELNS1_3gpuE4ELNS1_3repE0EEENS1_30default_config_static_selectorELNS0_4arch9wavefront6targetE0EEEvSS_.has_dyn_sized_stack, 0
	.set _ZN7rocprim17ROCPRIM_400000_NS6detail17trampoline_kernelINS0_14default_configENS1_27lower_bound_config_selectorIslEEZNS1_14transform_implILb0ES3_S5_N6thrust23THRUST_200600_302600_NS6detail15normal_iteratorINS8_7pointerIsNS8_11hip_rocprim5par_tENS8_11use_defaultESE_EEEENSA_INSB_IlSD_SE_SE_EEEEZNS1_13binary_searchIS3_S5_PsSG_SI_NS1_21lower_bound_search_opENS9_16wrapped_functionI11custom_lessbEEEE10hipError_tPvRmT1_T2_T3_mmT4_T5_P12ihipStream_tbEUlRKsE_EESP_ST_SU_mSV_SY_bEUlT_E_NS1_11comp_targetILNS1_3genE10ELNS1_11target_archE1200ELNS1_3gpuE4ELNS1_3repE0EEENS1_30default_config_static_selectorELNS0_4arch9wavefront6targetE0EEEvSS_.has_recursion, 0
	.set _ZN7rocprim17ROCPRIM_400000_NS6detail17trampoline_kernelINS0_14default_configENS1_27lower_bound_config_selectorIslEEZNS1_14transform_implILb0ES3_S5_N6thrust23THRUST_200600_302600_NS6detail15normal_iteratorINS8_7pointerIsNS8_11hip_rocprim5par_tENS8_11use_defaultESE_EEEENSA_INSB_IlSD_SE_SE_EEEEZNS1_13binary_searchIS3_S5_PsSG_SI_NS1_21lower_bound_search_opENS9_16wrapped_functionI11custom_lessbEEEE10hipError_tPvRmT1_T2_T3_mmT4_T5_P12ihipStream_tbEUlRKsE_EESP_ST_SU_mSV_SY_bEUlT_E_NS1_11comp_targetILNS1_3genE10ELNS1_11target_archE1200ELNS1_3gpuE4ELNS1_3repE0EEENS1_30default_config_static_selectorELNS0_4arch9wavefront6targetE0EEEvSS_.has_indirect_call, 0
	.section	.AMDGPU.csdata,"",@progbits
; Kernel info:
; codeLenInByte = 0
; TotalNumSgprs: 0
; NumVgprs: 0
; ScratchSize: 0
; MemoryBound: 0
; FloatMode: 240
; IeeeMode: 1
; LDSByteSize: 0 bytes/workgroup (compile time only)
; SGPRBlocks: 0
; VGPRBlocks: 0
; NumSGPRsForWavesPerEU: 1
; NumVGPRsForWavesPerEU: 1
; Occupancy: 16
; WaveLimiterHint : 0
; COMPUTE_PGM_RSRC2:SCRATCH_EN: 0
; COMPUTE_PGM_RSRC2:USER_SGPR: 6
; COMPUTE_PGM_RSRC2:TRAP_HANDLER: 0
; COMPUTE_PGM_RSRC2:TGID_X_EN: 1
; COMPUTE_PGM_RSRC2:TGID_Y_EN: 0
; COMPUTE_PGM_RSRC2:TGID_Z_EN: 0
; COMPUTE_PGM_RSRC2:TIDIG_COMP_CNT: 0
	.section	.text._ZN7rocprim17ROCPRIM_400000_NS6detail17trampoline_kernelINS0_14default_configENS1_27lower_bound_config_selectorIslEEZNS1_14transform_implILb0ES3_S5_N6thrust23THRUST_200600_302600_NS6detail15normal_iteratorINS8_7pointerIsNS8_11hip_rocprim5par_tENS8_11use_defaultESE_EEEENSA_INSB_IlSD_SE_SE_EEEEZNS1_13binary_searchIS3_S5_PsSG_SI_NS1_21lower_bound_search_opENS9_16wrapped_functionI11custom_lessbEEEE10hipError_tPvRmT1_T2_T3_mmT4_T5_P12ihipStream_tbEUlRKsE_EESP_ST_SU_mSV_SY_bEUlT_E_NS1_11comp_targetILNS1_3genE9ELNS1_11target_archE1100ELNS1_3gpuE3ELNS1_3repE0EEENS1_30default_config_static_selectorELNS0_4arch9wavefront6targetE0EEEvSS_,"axG",@progbits,_ZN7rocprim17ROCPRIM_400000_NS6detail17trampoline_kernelINS0_14default_configENS1_27lower_bound_config_selectorIslEEZNS1_14transform_implILb0ES3_S5_N6thrust23THRUST_200600_302600_NS6detail15normal_iteratorINS8_7pointerIsNS8_11hip_rocprim5par_tENS8_11use_defaultESE_EEEENSA_INSB_IlSD_SE_SE_EEEEZNS1_13binary_searchIS3_S5_PsSG_SI_NS1_21lower_bound_search_opENS9_16wrapped_functionI11custom_lessbEEEE10hipError_tPvRmT1_T2_T3_mmT4_T5_P12ihipStream_tbEUlRKsE_EESP_ST_SU_mSV_SY_bEUlT_E_NS1_11comp_targetILNS1_3genE9ELNS1_11target_archE1100ELNS1_3gpuE3ELNS1_3repE0EEENS1_30default_config_static_selectorELNS0_4arch9wavefront6targetE0EEEvSS_,comdat
	.protected	_ZN7rocprim17ROCPRIM_400000_NS6detail17trampoline_kernelINS0_14default_configENS1_27lower_bound_config_selectorIslEEZNS1_14transform_implILb0ES3_S5_N6thrust23THRUST_200600_302600_NS6detail15normal_iteratorINS8_7pointerIsNS8_11hip_rocprim5par_tENS8_11use_defaultESE_EEEENSA_INSB_IlSD_SE_SE_EEEEZNS1_13binary_searchIS3_S5_PsSG_SI_NS1_21lower_bound_search_opENS9_16wrapped_functionI11custom_lessbEEEE10hipError_tPvRmT1_T2_T3_mmT4_T5_P12ihipStream_tbEUlRKsE_EESP_ST_SU_mSV_SY_bEUlT_E_NS1_11comp_targetILNS1_3genE9ELNS1_11target_archE1100ELNS1_3gpuE3ELNS1_3repE0EEENS1_30default_config_static_selectorELNS0_4arch9wavefront6targetE0EEEvSS_ ; -- Begin function _ZN7rocprim17ROCPRIM_400000_NS6detail17trampoline_kernelINS0_14default_configENS1_27lower_bound_config_selectorIslEEZNS1_14transform_implILb0ES3_S5_N6thrust23THRUST_200600_302600_NS6detail15normal_iteratorINS8_7pointerIsNS8_11hip_rocprim5par_tENS8_11use_defaultESE_EEEENSA_INSB_IlSD_SE_SE_EEEEZNS1_13binary_searchIS3_S5_PsSG_SI_NS1_21lower_bound_search_opENS9_16wrapped_functionI11custom_lessbEEEE10hipError_tPvRmT1_T2_T3_mmT4_T5_P12ihipStream_tbEUlRKsE_EESP_ST_SU_mSV_SY_bEUlT_E_NS1_11comp_targetILNS1_3genE9ELNS1_11target_archE1100ELNS1_3gpuE3ELNS1_3repE0EEENS1_30default_config_static_selectorELNS0_4arch9wavefront6targetE0EEEvSS_
	.globl	_ZN7rocprim17ROCPRIM_400000_NS6detail17trampoline_kernelINS0_14default_configENS1_27lower_bound_config_selectorIslEEZNS1_14transform_implILb0ES3_S5_N6thrust23THRUST_200600_302600_NS6detail15normal_iteratorINS8_7pointerIsNS8_11hip_rocprim5par_tENS8_11use_defaultESE_EEEENSA_INSB_IlSD_SE_SE_EEEEZNS1_13binary_searchIS3_S5_PsSG_SI_NS1_21lower_bound_search_opENS9_16wrapped_functionI11custom_lessbEEEE10hipError_tPvRmT1_T2_T3_mmT4_T5_P12ihipStream_tbEUlRKsE_EESP_ST_SU_mSV_SY_bEUlT_E_NS1_11comp_targetILNS1_3genE9ELNS1_11target_archE1100ELNS1_3gpuE3ELNS1_3repE0EEENS1_30default_config_static_selectorELNS0_4arch9wavefront6targetE0EEEvSS_
	.p2align	8
	.type	_ZN7rocprim17ROCPRIM_400000_NS6detail17trampoline_kernelINS0_14default_configENS1_27lower_bound_config_selectorIslEEZNS1_14transform_implILb0ES3_S5_N6thrust23THRUST_200600_302600_NS6detail15normal_iteratorINS8_7pointerIsNS8_11hip_rocprim5par_tENS8_11use_defaultESE_EEEENSA_INSB_IlSD_SE_SE_EEEEZNS1_13binary_searchIS3_S5_PsSG_SI_NS1_21lower_bound_search_opENS9_16wrapped_functionI11custom_lessbEEEE10hipError_tPvRmT1_T2_T3_mmT4_T5_P12ihipStream_tbEUlRKsE_EESP_ST_SU_mSV_SY_bEUlT_E_NS1_11comp_targetILNS1_3genE9ELNS1_11target_archE1100ELNS1_3gpuE3ELNS1_3repE0EEENS1_30default_config_static_selectorELNS0_4arch9wavefront6targetE0EEEvSS_,@function
_ZN7rocprim17ROCPRIM_400000_NS6detail17trampoline_kernelINS0_14default_configENS1_27lower_bound_config_selectorIslEEZNS1_14transform_implILb0ES3_S5_N6thrust23THRUST_200600_302600_NS6detail15normal_iteratorINS8_7pointerIsNS8_11hip_rocprim5par_tENS8_11use_defaultESE_EEEENSA_INSB_IlSD_SE_SE_EEEEZNS1_13binary_searchIS3_S5_PsSG_SI_NS1_21lower_bound_search_opENS9_16wrapped_functionI11custom_lessbEEEE10hipError_tPvRmT1_T2_T3_mmT4_T5_P12ihipStream_tbEUlRKsE_EESP_ST_SU_mSV_SY_bEUlT_E_NS1_11comp_targetILNS1_3genE9ELNS1_11target_archE1100ELNS1_3gpuE3ELNS1_3repE0EEENS1_30default_config_static_selectorELNS0_4arch9wavefront6targetE0EEEvSS_: ; @_ZN7rocprim17ROCPRIM_400000_NS6detail17trampoline_kernelINS0_14default_configENS1_27lower_bound_config_selectorIslEEZNS1_14transform_implILb0ES3_S5_N6thrust23THRUST_200600_302600_NS6detail15normal_iteratorINS8_7pointerIsNS8_11hip_rocprim5par_tENS8_11use_defaultESE_EEEENSA_INSB_IlSD_SE_SE_EEEEZNS1_13binary_searchIS3_S5_PsSG_SI_NS1_21lower_bound_search_opENS9_16wrapped_functionI11custom_lessbEEEE10hipError_tPvRmT1_T2_T3_mmT4_T5_P12ihipStream_tbEUlRKsE_EESP_ST_SU_mSV_SY_bEUlT_E_NS1_11comp_targetILNS1_3genE9ELNS1_11target_archE1100ELNS1_3gpuE3ELNS1_3repE0EEENS1_30default_config_static_selectorELNS0_4arch9wavefront6targetE0EEEvSS_
; %bb.0:
	.section	.rodata,"a",@progbits
	.p2align	6, 0x0
	.amdhsa_kernel _ZN7rocprim17ROCPRIM_400000_NS6detail17trampoline_kernelINS0_14default_configENS1_27lower_bound_config_selectorIslEEZNS1_14transform_implILb0ES3_S5_N6thrust23THRUST_200600_302600_NS6detail15normal_iteratorINS8_7pointerIsNS8_11hip_rocprim5par_tENS8_11use_defaultESE_EEEENSA_INSB_IlSD_SE_SE_EEEEZNS1_13binary_searchIS3_S5_PsSG_SI_NS1_21lower_bound_search_opENS9_16wrapped_functionI11custom_lessbEEEE10hipError_tPvRmT1_T2_T3_mmT4_T5_P12ihipStream_tbEUlRKsE_EESP_ST_SU_mSV_SY_bEUlT_E_NS1_11comp_targetILNS1_3genE9ELNS1_11target_archE1100ELNS1_3gpuE3ELNS1_3repE0EEENS1_30default_config_static_selectorELNS0_4arch9wavefront6targetE0EEEvSS_
		.amdhsa_group_segment_fixed_size 0
		.amdhsa_private_segment_fixed_size 0
		.amdhsa_kernarg_size 56
		.amdhsa_user_sgpr_count 6
		.amdhsa_user_sgpr_private_segment_buffer 1
		.amdhsa_user_sgpr_dispatch_ptr 0
		.amdhsa_user_sgpr_queue_ptr 0
		.amdhsa_user_sgpr_kernarg_segment_ptr 1
		.amdhsa_user_sgpr_dispatch_id 0
		.amdhsa_user_sgpr_flat_scratch_init 0
		.amdhsa_user_sgpr_private_segment_size 0
		.amdhsa_wavefront_size32 1
		.amdhsa_uses_dynamic_stack 0
		.amdhsa_system_sgpr_private_segment_wavefront_offset 0
		.amdhsa_system_sgpr_workgroup_id_x 1
		.amdhsa_system_sgpr_workgroup_id_y 0
		.amdhsa_system_sgpr_workgroup_id_z 0
		.amdhsa_system_sgpr_workgroup_info 0
		.amdhsa_system_vgpr_workitem_id 0
		.amdhsa_next_free_vgpr 1
		.amdhsa_next_free_sgpr 1
		.amdhsa_reserve_vcc 0
		.amdhsa_reserve_flat_scratch 0
		.amdhsa_float_round_mode_32 0
		.amdhsa_float_round_mode_16_64 0
		.amdhsa_float_denorm_mode_32 3
		.amdhsa_float_denorm_mode_16_64 3
		.amdhsa_dx10_clamp 1
		.amdhsa_ieee_mode 1
		.amdhsa_fp16_overflow 0
		.amdhsa_workgroup_processor_mode 1
		.amdhsa_memory_ordered 1
		.amdhsa_forward_progress 1
		.amdhsa_shared_vgpr_count 0
		.amdhsa_exception_fp_ieee_invalid_op 0
		.amdhsa_exception_fp_denorm_src 0
		.amdhsa_exception_fp_ieee_div_zero 0
		.amdhsa_exception_fp_ieee_overflow 0
		.amdhsa_exception_fp_ieee_underflow 0
		.amdhsa_exception_fp_ieee_inexact 0
		.amdhsa_exception_int_div_zero 0
	.end_amdhsa_kernel
	.section	.text._ZN7rocprim17ROCPRIM_400000_NS6detail17trampoline_kernelINS0_14default_configENS1_27lower_bound_config_selectorIslEEZNS1_14transform_implILb0ES3_S5_N6thrust23THRUST_200600_302600_NS6detail15normal_iteratorINS8_7pointerIsNS8_11hip_rocprim5par_tENS8_11use_defaultESE_EEEENSA_INSB_IlSD_SE_SE_EEEEZNS1_13binary_searchIS3_S5_PsSG_SI_NS1_21lower_bound_search_opENS9_16wrapped_functionI11custom_lessbEEEE10hipError_tPvRmT1_T2_T3_mmT4_T5_P12ihipStream_tbEUlRKsE_EESP_ST_SU_mSV_SY_bEUlT_E_NS1_11comp_targetILNS1_3genE9ELNS1_11target_archE1100ELNS1_3gpuE3ELNS1_3repE0EEENS1_30default_config_static_selectorELNS0_4arch9wavefront6targetE0EEEvSS_,"axG",@progbits,_ZN7rocprim17ROCPRIM_400000_NS6detail17trampoline_kernelINS0_14default_configENS1_27lower_bound_config_selectorIslEEZNS1_14transform_implILb0ES3_S5_N6thrust23THRUST_200600_302600_NS6detail15normal_iteratorINS8_7pointerIsNS8_11hip_rocprim5par_tENS8_11use_defaultESE_EEEENSA_INSB_IlSD_SE_SE_EEEEZNS1_13binary_searchIS3_S5_PsSG_SI_NS1_21lower_bound_search_opENS9_16wrapped_functionI11custom_lessbEEEE10hipError_tPvRmT1_T2_T3_mmT4_T5_P12ihipStream_tbEUlRKsE_EESP_ST_SU_mSV_SY_bEUlT_E_NS1_11comp_targetILNS1_3genE9ELNS1_11target_archE1100ELNS1_3gpuE3ELNS1_3repE0EEENS1_30default_config_static_selectorELNS0_4arch9wavefront6targetE0EEEvSS_,comdat
.Lfunc_end150:
	.size	_ZN7rocprim17ROCPRIM_400000_NS6detail17trampoline_kernelINS0_14default_configENS1_27lower_bound_config_selectorIslEEZNS1_14transform_implILb0ES3_S5_N6thrust23THRUST_200600_302600_NS6detail15normal_iteratorINS8_7pointerIsNS8_11hip_rocprim5par_tENS8_11use_defaultESE_EEEENSA_INSB_IlSD_SE_SE_EEEEZNS1_13binary_searchIS3_S5_PsSG_SI_NS1_21lower_bound_search_opENS9_16wrapped_functionI11custom_lessbEEEE10hipError_tPvRmT1_T2_T3_mmT4_T5_P12ihipStream_tbEUlRKsE_EESP_ST_SU_mSV_SY_bEUlT_E_NS1_11comp_targetILNS1_3genE9ELNS1_11target_archE1100ELNS1_3gpuE3ELNS1_3repE0EEENS1_30default_config_static_selectorELNS0_4arch9wavefront6targetE0EEEvSS_, .Lfunc_end150-_ZN7rocprim17ROCPRIM_400000_NS6detail17trampoline_kernelINS0_14default_configENS1_27lower_bound_config_selectorIslEEZNS1_14transform_implILb0ES3_S5_N6thrust23THRUST_200600_302600_NS6detail15normal_iteratorINS8_7pointerIsNS8_11hip_rocprim5par_tENS8_11use_defaultESE_EEEENSA_INSB_IlSD_SE_SE_EEEEZNS1_13binary_searchIS3_S5_PsSG_SI_NS1_21lower_bound_search_opENS9_16wrapped_functionI11custom_lessbEEEE10hipError_tPvRmT1_T2_T3_mmT4_T5_P12ihipStream_tbEUlRKsE_EESP_ST_SU_mSV_SY_bEUlT_E_NS1_11comp_targetILNS1_3genE9ELNS1_11target_archE1100ELNS1_3gpuE3ELNS1_3repE0EEENS1_30default_config_static_selectorELNS0_4arch9wavefront6targetE0EEEvSS_
                                        ; -- End function
	.set _ZN7rocprim17ROCPRIM_400000_NS6detail17trampoline_kernelINS0_14default_configENS1_27lower_bound_config_selectorIslEEZNS1_14transform_implILb0ES3_S5_N6thrust23THRUST_200600_302600_NS6detail15normal_iteratorINS8_7pointerIsNS8_11hip_rocprim5par_tENS8_11use_defaultESE_EEEENSA_INSB_IlSD_SE_SE_EEEEZNS1_13binary_searchIS3_S5_PsSG_SI_NS1_21lower_bound_search_opENS9_16wrapped_functionI11custom_lessbEEEE10hipError_tPvRmT1_T2_T3_mmT4_T5_P12ihipStream_tbEUlRKsE_EESP_ST_SU_mSV_SY_bEUlT_E_NS1_11comp_targetILNS1_3genE9ELNS1_11target_archE1100ELNS1_3gpuE3ELNS1_3repE0EEENS1_30default_config_static_selectorELNS0_4arch9wavefront6targetE0EEEvSS_.num_vgpr, 0
	.set _ZN7rocprim17ROCPRIM_400000_NS6detail17trampoline_kernelINS0_14default_configENS1_27lower_bound_config_selectorIslEEZNS1_14transform_implILb0ES3_S5_N6thrust23THRUST_200600_302600_NS6detail15normal_iteratorINS8_7pointerIsNS8_11hip_rocprim5par_tENS8_11use_defaultESE_EEEENSA_INSB_IlSD_SE_SE_EEEEZNS1_13binary_searchIS3_S5_PsSG_SI_NS1_21lower_bound_search_opENS9_16wrapped_functionI11custom_lessbEEEE10hipError_tPvRmT1_T2_T3_mmT4_T5_P12ihipStream_tbEUlRKsE_EESP_ST_SU_mSV_SY_bEUlT_E_NS1_11comp_targetILNS1_3genE9ELNS1_11target_archE1100ELNS1_3gpuE3ELNS1_3repE0EEENS1_30default_config_static_selectorELNS0_4arch9wavefront6targetE0EEEvSS_.num_agpr, 0
	.set _ZN7rocprim17ROCPRIM_400000_NS6detail17trampoline_kernelINS0_14default_configENS1_27lower_bound_config_selectorIslEEZNS1_14transform_implILb0ES3_S5_N6thrust23THRUST_200600_302600_NS6detail15normal_iteratorINS8_7pointerIsNS8_11hip_rocprim5par_tENS8_11use_defaultESE_EEEENSA_INSB_IlSD_SE_SE_EEEEZNS1_13binary_searchIS3_S5_PsSG_SI_NS1_21lower_bound_search_opENS9_16wrapped_functionI11custom_lessbEEEE10hipError_tPvRmT1_T2_T3_mmT4_T5_P12ihipStream_tbEUlRKsE_EESP_ST_SU_mSV_SY_bEUlT_E_NS1_11comp_targetILNS1_3genE9ELNS1_11target_archE1100ELNS1_3gpuE3ELNS1_3repE0EEENS1_30default_config_static_selectorELNS0_4arch9wavefront6targetE0EEEvSS_.numbered_sgpr, 0
	.set _ZN7rocprim17ROCPRIM_400000_NS6detail17trampoline_kernelINS0_14default_configENS1_27lower_bound_config_selectorIslEEZNS1_14transform_implILb0ES3_S5_N6thrust23THRUST_200600_302600_NS6detail15normal_iteratorINS8_7pointerIsNS8_11hip_rocprim5par_tENS8_11use_defaultESE_EEEENSA_INSB_IlSD_SE_SE_EEEEZNS1_13binary_searchIS3_S5_PsSG_SI_NS1_21lower_bound_search_opENS9_16wrapped_functionI11custom_lessbEEEE10hipError_tPvRmT1_T2_T3_mmT4_T5_P12ihipStream_tbEUlRKsE_EESP_ST_SU_mSV_SY_bEUlT_E_NS1_11comp_targetILNS1_3genE9ELNS1_11target_archE1100ELNS1_3gpuE3ELNS1_3repE0EEENS1_30default_config_static_selectorELNS0_4arch9wavefront6targetE0EEEvSS_.num_named_barrier, 0
	.set _ZN7rocprim17ROCPRIM_400000_NS6detail17trampoline_kernelINS0_14default_configENS1_27lower_bound_config_selectorIslEEZNS1_14transform_implILb0ES3_S5_N6thrust23THRUST_200600_302600_NS6detail15normal_iteratorINS8_7pointerIsNS8_11hip_rocprim5par_tENS8_11use_defaultESE_EEEENSA_INSB_IlSD_SE_SE_EEEEZNS1_13binary_searchIS3_S5_PsSG_SI_NS1_21lower_bound_search_opENS9_16wrapped_functionI11custom_lessbEEEE10hipError_tPvRmT1_T2_T3_mmT4_T5_P12ihipStream_tbEUlRKsE_EESP_ST_SU_mSV_SY_bEUlT_E_NS1_11comp_targetILNS1_3genE9ELNS1_11target_archE1100ELNS1_3gpuE3ELNS1_3repE0EEENS1_30default_config_static_selectorELNS0_4arch9wavefront6targetE0EEEvSS_.private_seg_size, 0
	.set _ZN7rocprim17ROCPRIM_400000_NS6detail17trampoline_kernelINS0_14default_configENS1_27lower_bound_config_selectorIslEEZNS1_14transform_implILb0ES3_S5_N6thrust23THRUST_200600_302600_NS6detail15normal_iteratorINS8_7pointerIsNS8_11hip_rocprim5par_tENS8_11use_defaultESE_EEEENSA_INSB_IlSD_SE_SE_EEEEZNS1_13binary_searchIS3_S5_PsSG_SI_NS1_21lower_bound_search_opENS9_16wrapped_functionI11custom_lessbEEEE10hipError_tPvRmT1_T2_T3_mmT4_T5_P12ihipStream_tbEUlRKsE_EESP_ST_SU_mSV_SY_bEUlT_E_NS1_11comp_targetILNS1_3genE9ELNS1_11target_archE1100ELNS1_3gpuE3ELNS1_3repE0EEENS1_30default_config_static_selectorELNS0_4arch9wavefront6targetE0EEEvSS_.uses_vcc, 0
	.set _ZN7rocprim17ROCPRIM_400000_NS6detail17trampoline_kernelINS0_14default_configENS1_27lower_bound_config_selectorIslEEZNS1_14transform_implILb0ES3_S5_N6thrust23THRUST_200600_302600_NS6detail15normal_iteratorINS8_7pointerIsNS8_11hip_rocprim5par_tENS8_11use_defaultESE_EEEENSA_INSB_IlSD_SE_SE_EEEEZNS1_13binary_searchIS3_S5_PsSG_SI_NS1_21lower_bound_search_opENS9_16wrapped_functionI11custom_lessbEEEE10hipError_tPvRmT1_T2_T3_mmT4_T5_P12ihipStream_tbEUlRKsE_EESP_ST_SU_mSV_SY_bEUlT_E_NS1_11comp_targetILNS1_3genE9ELNS1_11target_archE1100ELNS1_3gpuE3ELNS1_3repE0EEENS1_30default_config_static_selectorELNS0_4arch9wavefront6targetE0EEEvSS_.uses_flat_scratch, 0
	.set _ZN7rocprim17ROCPRIM_400000_NS6detail17trampoline_kernelINS0_14default_configENS1_27lower_bound_config_selectorIslEEZNS1_14transform_implILb0ES3_S5_N6thrust23THRUST_200600_302600_NS6detail15normal_iteratorINS8_7pointerIsNS8_11hip_rocprim5par_tENS8_11use_defaultESE_EEEENSA_INSB_IlSD_SE_SE_EEEEZNS1_13binary_searchIS3_S5_PsSG_SI_NS1_21lower_bound_search_opENS9_16wrapped_functionI11custom_lessbEEEE10hipError_tPvRmT1_T2_T3_mmT4_T5_P12ihipStream_tbEUlRKsE_EESP_ST_SU_mSV_SY_bEUlT_E_NS1_11comp_targetILNS1_3genE9ELNS1_11target_archE1100ELNS1_3gpuE3ELNS1_3repE0EEENS1_30default_config_static_selectorELNS0_4arch9wavefront6targetE0EEEvSS_.has_dyn_sized_stack, 0
	.set _ZN7rocprim17ROCPRIM_400000_NS6detail17trampoline_kernelINS0_14default_configENS1_27lower_bound_config_selectorIslEEZNS1_14transform_implILb0ES3_S5_N6thrust23THRUST_200600_302600_NS6detail15normal_iteratorINS8_7pointerIsNS8_11hip_rocprim5par_tENS8_11use_defaultESE_EEEENSA_INSB_IlSD_SE_SE_EEEEZNS1_13binary_searchIS3_S5_PsSG_SI_NS1_21lower_bound_search_opENS9_16wrapped_functionI11custom_lessbEEEE10hipError_tPvRmT1_T2_T3_mmT4_T5_P12ihipStream_tbEUlRKsE_EESP_ST_SU_mSV_SY_bEUlT_E_NS1_11comp_targetILNS1_3genE9ELNS1_11target_archE1100ELNS1_3gpuE3ELNS1_3repE0EEENS1_30default_config_static_selectorELNS0_4arch9wavefront6targetE0EEEvSS_.has_recursion, 0
	.set _ZN7rocprim17ROCPRIM_400000_NS6detail17trampoline_kernelINS0_14default_configENS1_27lower_bound_config_selectorIslEEZNS1_14transform_implILb0ES3_S5_N6thrust23THRUST_200600_302600_NS6detail15normal_iteratorINS8_7pointerIsNS8_11hip_rocprim5par_tENS8_11use_defaultESE_EEEENSA_INSB_IlSD_SE_SE_EEEEZNS1_13binary_searchIS3_S5_PsSG_SI_NS1_21lower_bound_search_opENS9_16wrapped_functionI11custom_lessbEEEE10hipError_tPvRmT1_T2_T3_mmT4_T5_P12ihipStream_tbEUlRKsE_EESP_ST_SU_mSV_SY_bEUlT_E_NS1_11comp_targetILNS1_3genE9ELNS1_11target_archE1100ELNS1_3gpuE3ELNS1_3repE0EEENS1_30default_config_static_selectorELNS0_4arch9wavefront6targetE0EEEvSS_.has_indirect_call, 0
	.section	.AMDGPU.csdata,"",@progbits
; Kernel info:
; codeLenInByte = 0
; TotalNumSgprs: 0
; NumVgprs: 0
; ScratchSize: 0
; MemoryBound: 0
; FloatMode: 240
; IeeeMode: 1
; LDSByteSize: 0 bytes/workgroup (compile time only)
; SGPRBlocks: 0
; VGPRBlocks: 0
; NumSGPRsForWavesPerEU: 1
; NumVGPRsForWavesPerEU: 1
; Occupancy: 16
; WaveLimiterHint : 0
; COMPUTE_PGM_RSRC2:SCRATCH_EN: 0
; COMPUTE_PGM_RSRC2:USER_SGPR: 6
; COMPUTE_PGM_RSRC2:TRAP_HANDLER: 0
; COMPUTE_PGM_RSRC2:TGID_X_EN: 1
; COMPUTE_PGM_RSRC2:TGID_Y_EN: 0
; COMPUTE_PGM_RSRC2:TGID_Z_EN: 0
; COMPUTE_PGM_RSRC2:TIDIG_COMP_CNT: 0
	.section	.text._ZN7rocprim17ROCPRIM_400000_NS6detail17trampoline_kernelINS0_14default_configENS1_27lower_bound_config_selectorIslEEZNS1_14transform_implILb0ES3_S5_N6thrust23THRUST_200600_302600_NS6detail15normal_iteratorINS8_7pointerIsNS8_11hip_rocprim5par_tENS8_11use_defaultESE_EEEENSA_INSB_IlSD_SE_SE_EEEEZNS1_13binary_searchIS3_S5_PsSG_SI_NS1_21lower_bound_search_opENS9_16wrapped_functionI11custom_lessbEEEE10hipError_tPvRmT1_T2_T3_mmT4_T5_P12ihipStream_tbEUlRKsE_EESP_ST_SU_mSV_SY_bEUlT_E_NS1_11comp_targetILNS1_3genE8ELNS1_11target_archE1030ELNS1_3gpuE2ELNS1_3repE0EEENS1_30default_config_static_selectorELNS0_4arch9wavefront6targetE0EEEvSS_,"axG",@progbits,_ZN7rocprim17ROCPRIM_400000_NS6detail17trampoline_kernelINS0_14default_configENS1_27lower_bound_config_selectorIslEEZNS1_14transform_implILb0ES3_S5_N6thrust23THRUST_200600_302600_NS6detail15normal_iteratorINS8_7pointerIsNS8_11hip_rocprim5par_tENS8_11use_defaultESE_EEEENSA_INSB_IlSD_SE_SE_EEEEZNS1_13binary_searchIS3_S5_PsSG_SI_NS1_21lower_bound_search_opENS9_16wrapped_functionI11custom_lessbEEEE10hipError_tPvRmT1_T2_T3_mmT4_T5_P12ihipStream_tbEUlRKsE_EESP_ST_SU_mSV_SY_bEUlT_E_NS1_11comp_targetILNS1_3genE8ELNS1_11target_archE1030ELNS1_3gpuE2ELNS1_3repE0EEENS1_30default_config_static_selectorELNS0_4arch9wavefront6targetE0EEEvSS_,comdat
	.protected	_ZN7rocprim17ROCPRIM_400000_NS6detail17trampoline_kernelINS0_14default_configENS1_27lower_bound_config_selectorIslEEZNS1_14transform_implILb0ES3_S5_N6thrust23THRUST_200600_302600_NS6detail15normal_iteratorINS8_7pointerIsNS8_11hip_rocprim5par_tENS8_11use_defaultESE_EEEENSA_INSB_IlSD_SE_SE_EEEEZNS1_13binary_searchIS3_S5_PsSG_SI_NS1_21lower_bound_search_opENS9_16wrapped_functionI11custom_lessbEEEE10hipError_tPvRmT1_T2_T3_mmT4_T5_P12ihipStream_tbEUlRKsE_EESP_ST_SU_mSV_SY_bEUlT_E_NS1_11comp_targetILNS1_3genE8ELNS1_11target_archE1030ELNS1_3gpuE2ELNS1_3repE0EEENS1_30default_config_static_selectorELNS0_4arch9wavefront6targetE0EEEvSS_ ; -- Begin function _ZN7rocprim17ROCPRIM_400000_NS6detail17trampoline_kernelINS0_14default_configENS1_27lower_bound_config_selectorIslEEZNS1_14transform_implILb0ES3_S5_N6thrust23THRUST_200600_302600_NS6detail15normal_iteratorINS8_7pointerIsNS8_11hip_rocprim5par_tENS8_11use_defaultESE_EEEENSA_INSB_IlSD_SE_SE_EEEEZNS1_13binary_searchIS3_S5_PsSG_SI_NS1_21lower_bound_search_opENS9_16wrapped_functionI11custom_lessbEEEE10hipError_tPvRmT1_T2_T3_mmT4_T5_P12ihipStream_tbEUlRKsE_EESP_ST_SU_mSV_SY_bEUlT_E_NS1_11comp_targetILNS1_3genE8ELNS1_11target_archE1030ELNS1_3gpuE2ELNS1_3repE0EEENS1_30default_config_static_selectorELNS0_4arch9wavefront6targetE0EEEvSS_
	.globl	_ZN7rocprim17ROCPRIM_400000_NS6detail17trampoline_kernelINS0_14default_configENS1_27lower_bound_config_selectorIslEEZNS1_14transform_implILb0ES3_S5_N6thrust23THRUST_200600_302600_NS6detail15normal_iteratorINS8_7pointerIsNS8_11hip_rocprim5par_tENS8_11use_defaultESE_EEEENSA_INSB_IlSD_SE_SE_EEEEZNS1_13binary_searchIS3_S5_PsSG_SI_NS1_21lower_bound_search_opENS9_16wrapped_functionI11custom_lessbEEEE10hipError_tPvRmT1_T2_T3_mmT4_T5_P12ihipStream_tbEUlRKsE_EESP_ST_SU_mSV_SY_bEUlT_E_NS1_11comp_targetILNS1_3genE8ELNS1_11target_archE1030ELNS1_3gpuE2ELNS1_3repE0EEENS1_30default_config_static_selectorELNS0_4arch9wavefront6targetE0EEEvSS_
	.p2align	8
	.type	_ZN7rocprim17ROCPRIM_400000_NS6detail17trampoline_kernelINS0_14default_configENS1_27lower_bound_config_selectorIslEEZNS1_14transform_implILb0ES3_S5_N6thrust23THRUST_200600_302600_NS6detail15normal_iteratorINS8_7pointerIsNS8_11hip_rocprim5par_tENS8_11use_defaultESE_EEEENSA_INSB_IlSD_SE_SE_EEEEZNS1_13binary_searchIS3_S5_PsSG_SI_NS1_21lower_bound_search_opENS9_16wrapped_functionI11custom_lessbEEEE10hipError_tPvRmT1_T2_T3_mmT4_T5_P12ihipStream_tbEUlRKsE_EESP_ST_SU_mSV_SY_bEUlT_E_NS1_11comp_targetILNS1_3genE8ELNS1_11target_archE1030ELNS1_3gpuE2ELNS1_3repE0EEENS1_30default_config_static_selectorELNS0_4arch9wavefront6targetE0EEEvSS_,@function
_ZN7rocprim17ROCPRIM_400000_NS6detail17trampoline_kernelINS0_14default_configENS1_27lower_bound_config_selectorIslEEZNS1_14transform_implILb0ES3_S5_N6thrust23THRUST_200600_302600_NS6detail15normal_iteratorINS8_7pointerIsNS8_11hip_rocprim5par_tENS8_11use_defaultESE_EEEENSA_INSB_IlSD_SE_SE_EEEEZNS1_13binary_searchIS3_S5_PsSG_SI_NS1_21lower_bound_search_opENS9_16wrapped_functionI11custom_lessbEEEE10hipError_tPvRmT1_T2_T3_mmT4_T5_P12ihipStream_tbEUlRKsE_EESP_ST_SU_mSV_SY_bEUlT_E_NS1_11comp_targetILNS1_3genE8ELNS1_11target_archE1030ELNS1_3gpuE2ELNS1_3repE0EEENS1_30default_config_static_selectorELNS0_4arch9wavefront6targetE0EEEvSS_: ; @_ZN7rocprim17ROCPRIM_400000_NS6detail17trampoline_kernelINS0_14default_configENS1_27lower_bound_config_selectorIslEEZNS1_14transform_implILb0ES3_S5_N6thrust23THRUST_200600_302600_NS6detail15normal_iteratorINS8_7pointerIsNS8_11hip_rocprim5par_tENS8_11use_defaultESE_EEEENSA_INSB_IlSD_SE_SE_EEEEZNS1_13binary_searchIS3_S5_PsSG_SI_NS1_21lower_bound_search_opENS9_16wrapped_functionI11custom_lessbEEEE10hipError_tPvRmT1_T2_T3_mmT4_T5_P12ihipStream_tbEUlRKsE_EESP_ST_SU_mSV_SY_bEUlT_E_NS1_11comp_targetILNS1_3genE8ELNS1_11target_archE1030ELNS1_3gpuE2ELNS1_3repE0EEENS1_30default_config_static_selectorELNS0_4arch9wavefront6targetE0EEEvSS_
; %bb.0:
	s_clause 0x2
	s_load_dwordx8 s[8:15], s[4:5], 0x0
	s_load_dword s2, s[4:5], 0x38
	s_load_dwordx4 s[16:19], s[4:5], 0x20
	s_mov_b32 s5, 0
	s_waitcnt lgkmcnt(0)
	s_lshl_b64 s[0:1], s[10:11], 1
	s_add_u32 s8, s8, s0
	s_addc_u32 s9, s9, s1
	s_lshl_b64 s[0:1], s[10:11], 3
	s_add_u32 s3, s14, s0
	s_addc_u32 s7, s15, s1
	s_lshl_b32 s4, s6, 9
	s_add_i32 s2, s2, -1
	s_lshl_b64 s[0:1], s[4:5], 1
	s_add_u32 s8, s8, s0
	s_addc_u32 s9, s9, s1
	s_cmp_lg_u32 s6, s2
	s_mov_b32 s0, -1
	s_cbranch_scc0 .LBB151_5
; %bb.1:
	v_lshlrev_b32_e32 v1, 1, v0
	s_cmp_lg_u64 s[18:19], 0
	v_add_co_u32 v1, s0, s8, v1
	v_add_co_ci_u32_e64 v2, null, s9, 0, s0
	s_cselect_b32 s0, -1, 0
	s_cmp_eq_u64 s[18:19], 0
	s_clause 0x2
	flat_load_ushort v7, v[1:2] offset:256
	flat_load_ushort v9, v[1:2] offset:512
	;; [unrolled: 1-line block ×3, first 2 shown]
	s_cbranch_scc1 .LBB151_6
; %bb.2:
	flat_load_ushort v5, v[1:2]
	v_mov_b32_e32 v1, 0
	v_mov_b32_e32 v3, s18
	;; [unrolled: 1-line block ×4, first 2 shown]
	s_mov_b32 s1, 0
	s_inst_prefetch 0x1
	.p2align	6
.LBB151_3:                              ; =>This Inner Loop Header: Depth=1
	v_sub_co_u32 v12, vcc_lo, v3, v1
	v_sub_co_ci_u32_e64 v13, null, v4, v2, vcc_lo
	v_lshrrev_b64 v[14:15], 1, v[12:13]
	v_lshrrev_b64 v[12:13], 6, v[12:13]
	v_add_co_u32 v6, vcc_lo, v14, v1
	v_add_co_ci_u32_e64 v8, null, v15, v2, vcc_lo
	v_add_co_u32 v12, vcc_lo, v6, v12
	v_add_co_ci_u32_e64 v13, null, v8, v13, vcc_lo
	v_lshlrev_b64 v[14:15], 1, v[12:13]
	v_add_co_u32 v14, vcc_lo, s16, v14
	v_add_co_ci_u32_e64 v15, null, s17, v15, vcc_lo
	v_add_co_u32 v8, vcc_lo, v12, 1
	v_add_co_ci_u32_e64 v10, null, 0, v13, vcc_lo
	global_load_ushort v6, v[14:15], off
	s_waitcnt vmcnt(0) lgkmcnt(0)
	v_cmp_lt_i16_e32 vcc_lo, v6, v5
	v_cndmask_b32_e32 v4, v13, v4, vcc_lo
	v_cndmask_b32_e32 v3, v12, v3, vcc_lo
	;; [unrolled: 1-line block ×4, first 2 shown]
	v_cmp_ge_u64_e32 vcc_lo, v[1:2], v[3:4]
	s_or_b32 s1, vcc_lo, s1
	s_andn2_b32 exec_lo, exec_lo, s1
	s_cbranch_execnz .LBB151_3
; %bb.4:
	s_inst_prefetch 0x2
	s_or_b32 exec_lo, exec_lo, s1
	s_branch .LBB151_7
.LBB151_5:
	s_mov_b32 s6, s5
                                        ; implicit-def: $vgpr7_vgpr8
                                        ; implicit-def: $vgpr11_vgpr12
	s_and_b32 vcc_lo, exec_lo, s0
	s_cbranch_vccnz .LBB151_20
	s_branch .LBB151_53
.LBB151_6:
	v_mov_b32_e32 v1, 0
	v_mov_b32_e32 v2, 0
.LBB151_7:
	v_mov_b32_e32 v3, 0
	v_cndmask_b32_e64 v10, 0, 1, s0
	v_mov_b32_e32 v4, 0
	s_andn2_b32 vcc_lo, exec_lo, s0
	s_cbranch_vccnz .LBB151_11
; %bb.8:
	v_mov_b32_e32 v5, s18
	v_mov_b32_e32 v6, s19
	s_mov_b32 s0, 0
	s_inst_prefetch 0x1
	.p2align	6
.LBB151_9:                              ; =>This Inner Loop Header: Depth=1
	v_sub_co_u32 v12, vcc_lo, v5, v3
	v_sub_co_ci_u32_e64 v13, null, v6, v4, vcc_lo
	v_lshrrev_b64 v[14:15], 1, v[12:13]
	v_lshrrev_b64 v[12:13], 6, v[12:13]
	v_add_co_u32 v8, vcc_lo, v14, v3
	v_add_co_ci_u32_e64 v14, null, v15, v4, vcc_lo
	v_add_co_u32 v12, vcc_lo, v8, v12
	v_add_co_ci_u32_e64 v13, null, v14, v13, vcc_lo
	v_lshlrev_b64 v[14:15], 1, v[12:13]
	v_add_co_u32 v14, vcc_lo, s16, v14
	v_add_co_ci_u32_e64 v15, null, s17, v15, vcc_lo
	global_load_ushort v8, v[14:15], off
	v_add_co_u32 v14, vcc_lo, v12, 1
	v_add_co_ci_u32_e64 v15, null, 0, v13, vcc_lo
	s_waitcnt vmcnt(0) lgkmcnt(2)
	v_cmp_lt_i16_e32 vcc_lo, v8, v7
	v_cndmask_b32_e32 v6, v13, v6, vcc_lo
	v_cndmask_b32_e32 v5, v12, v5, vcc_lo
	;; [unrolled: 1-line block ×4, first 2 shown]
	v_cmp_ge_u64_e32 vcc_lo, v[3:4], v[5:6]
	s_or_b32 s0, vcc_lo, s0
	s_andn2_b32 exec_lo, exec_lo, s0
	s_cbranch_execnz .LBB151_9
; %bb.10:
	s_inst_prefetch 0x2
	s_or_b32 exec_lo, exec_lo, s0
.LBB151_11:
	v_cmp_ne_u32_e32 vcc_lo, 1, v10
	v_mov_b32_e32 v5, 0
	v_mov_b32_e32 v6, 0
	s_cbranch_vccnz .LBB151_15
; %bb.12:
	s_waitcnt vmcnt(2) lgkmcnt(2)
	v_mov_b32_e32 v7, s18
	v_mov_b32_e32 v8, s19
	s_mov_b32 s0, 0
	s_inst_prefetch 0x1
	.p2align	6
.LBB151_13:                             ; =>This Inner Loop Header: Depth=1
	v_sub_co_u32 v12, vcc_lo, v7, v5
	v_sub_co_ci_u32_e64 v13, null, v8, v6, vcc_lo
	v_lshrrev_b64 v[14:15], 1, v[12:13]
	v_lshrrev_b64 v[12:13], 6, v[12:13]
	v_add_co_u32 v14, vcc_lo, v14, v5
	v_add_co_ci_u32_e64 v15, null, v15, v6, vcc_lo
	v_add_co_u32 v12, vcc_lo, v14, v12
	v_add_co_ci_u32_e64 v13, null, v15, v13, vcc_lo
	v_lshlrev_b64 v[14:15], 1, v[12:13]
	v_add_co_u32 v14, vcc_lo, s16, v14
	v_add_co_ci_u32_e64 v15, null, s17, v15, vcc_lo
	global_load_ushort v14, v[14:15], off
	v_add_co_u32 v15, vcc_lo, v12, 1
	v_add_co_ci_u32_e64 v16, null, 0, v13, vcc_lo
	s_waitcnt vmcnt(0) lgkmcnt(1)
	v_cmp_lt_i16_e32 vcc_lo, v14, v9
	v_cndmask_b32_e32 v8, v13, v8, vcc_lo
	v_cndmask_b32_e32 v7, v12, v7, vcc_lo
	;; [unrolled: 1-line block ×4, first 2 shown]
	v_cmp_ge_u64_e32 vcc_lo, v[5:6], v[7:8]
	s_or_b32 s0, vcc_lo, s0
	s_andn2_b32 exec_lo, exec_lo, s0
	s_cbranch_execnz .LBB151_13
; %bb.14:
	s_inst_prefetch 0x2
	s_or_b32 exec_lo, exec_lo, s0
.LBB151_15:
	v_cmp_ne_u32_e32 vcc_lo, 1, v10
	s_waitcnt vmcnt(2) lgkmcnt(2)
	v_mov_b32_e32 v7, 0
	v_mov_b32_e32 v8, 0
	s_cbranch_vccnz .LBB151_19
; %bb.16:
	s_waitcnt vmcnt(1) lgkmcnt(1)
	v_mov_b32_e32 v9, s18
	v_mov_b32_e32 v10, s19
	s_mov_b32 s0, 0
	s_inst_prefetch 0x1
	.p2align	6
.LBB151_17:                             ; =>This Inner Loop Header: Depth=1
	v_sub_co_u32 v12, vcc_lo, v9, v7
	v_sub_co_ci_u32_e64 v13, null, v10, v8, vcc_lo
	v_lshrrev_b64 v[14:15], 1, v[12:13]
	v_lshrrev_b64 v[12:13], 6, v[12:13]
	v_add_co_u32 v14, vcc_lo, v14, v7
	v_add_co_ci_u32_e64 v15, null, v15, v8, vcc_lo
	v_add_co_u32 v12, vcc_lo, v14, v12
	v_add_co_ci_u32_e64 v13, null, v15, v13, vcc_lo
	v_lshlrev_b64 v[14:15], 1, v[12:13]
	v_add_co_u32 v14, vcc_lo, s16, v14
	v_add_co_ci_u32_e64 v15, null, s17, v15, vcc_lo
	global_load_ushort v14, v[14:15], off
	v_add_co_u32 v15, vcc_lo, v12, 1
	v_add_co_ci_u32_e64 v16, null, 0, v13, vcc_lo
	s_waitcnt vmcnt(0) lgkmcnt(0)
	v_cmp_lt_i16_e32 vcc_lo, v14, v11
	v_cndmask_b32_e32 v10, v13, v10, vcc_lo
	v_cndmask_b32_e32 v9, v12, v9, vcc_lo
	;; [unrolled: 1-line block ×4, first 2 shown]
	v_cmp_ge_u64_e32 vcc_lo, v[7:8], v[9:10]
	s_or_b32 s0, vcc_lo, s0
	s_andn2_b32 exec_lo, exec_lo, s0
	s_cbranch_execnz .LBB151_17
; %bb.18:
	s_inst_prefetch 0x2
	s_or_b32 exec_lo, exec_lo, s0
.LBB151_19:
	s_waitcnt vmcnt(1) lgkmcnt(1)
	v_lshlrev_b32_e32 v9, 3, v0
	s_lshl_b64 s[0:1], s[4:5], 3
	s_mov_b32 s6, -1
	s_add_u32 s0, s3, s0
	s_addc_u32 s1, s7, s1
	s_waitcnt vmcnt(0) lgkmcnt(0)
	v_add_co_u32 v11, s0, s0, v9
	v_add_co_ci_u32_e64 v12, null, s1, 0, s0
	v_add_co_u32 v9, vcc_lo, 0x800, v11
	v_add_co_ci_u32_e64 v10, null, 0, v12, vcc_lo
	flat_store_dwordx2 v[11:12], v[1:2]
	flat_store_dwordx2 v[11:12], v[3:4] offset:1024
	flat_store_dwordx2 v[9:10], v[5:6]
	s_branch .LBB151_53
.LBB151_20:
	v_mov_b32_e32 v1, 0
	s_sub_i32 s6, s12, s4
	v_cmp_gt_u32_e64 s0, s6, v0
	v_mov_b32_e32 v2, v1
	s_and_saveexec_b32 s1, s0
	s_cbranch_execz .LBB151_22
; %bb.21:
	v_lshlrev_b32_e32 v2, 1, v0
	v_mov_b32_e32 v4, v1
	v_mov_b32_e32 v5, v1
	v_add_co_u32 v2, s2, s8, v2
	v_add_co_ci_u32_e64 v3, null, s9, 0, s2
	flat_load_short_d16 v4, v[2:3]
	s_waitcnt vmcnt(0) lgkmcnt(0)
	v_mov_b32_e32 v1, v4
	v_mov_b32_e32 v2, v5
.LBB151_22:
	s_or_b32 exec_lo, exec_lo, s1
	v_or_b32_e32 v3, 0x80, v0
	v_cmp_gt_u32_e64 s1, s6, v3
	s_and_saveexec_b32 s2, s1
	s_cbranch_execz .LBB151_24
; %bb.23:
	v_lshlrev_b32_e32 v3, 1, v0
	v_add_co_u32 v3, s10, s8, v3
	v_add_co_ci_u32_e64 v4, null, s9, 0, s10
	flat_load_short_d16_hi v1, v[3:4] offset:256
.LBB151_24:
	s_or_b32 exec_lo, exec_lo, s2
	v_or_b32_e32 v3, 0x100, v0
	v_cmp_gt_u32_e64 s2, s6, v3
	s_and_saveexec_b32 s10, s2
	s_cbranch_execz .LBB151_26
; %bb.25:
	v_lshlrev_b32_e32 v3, 1, v0
	v_add_co_u32 v3, s11, s8, v3
	v_add_co_ci_u32_e64 v4, null, s9, 0, s11
	flat_load_short_d16 v2, v[3:4] offset:512
.LBB151_26:
	s_or_b32 exec_lo, exec_lo, s10
	v_or_b32_e32 v3, 0x180, v0
	v_cmp_gt_u32_e64 s6, s6, v3
	s_and_saveexec_b32 s10, s6
	s_cbranch_execz .LBB151_28
; %bb.27:
	v_lshlrev_b32_e32 v3, 1, v0
	v_add_co_u32 v3, s8, s8, v3
	v_add_co_ci_u32_e64 v4, null, s9, 0, s8
	s_waitcnt vmcnt(0) lgkmcnt(0)
	flat_load_short_d16_hi v2, v[3:4] offset:768
.LBB151_28:
	s_or_b32 exec_lo, exec_lo, s10
	s_cmp_lg_u64 s[18:19], 0
                                        ; implicit-def: $vgpr3_vgpr4
	s_cselect_b32 s8, -1, 0
	s_and_saveexec_b32 s9, s0
	s_cbranch_execz .LBB151_33
; %bb.29:
	v_mov_b32_e32 v3, 0
	v_mov_b32_e32 v4, 0
	s_andn2_b32 vcc_lo, exec_lo, s8
	s_cbranch_vccnz .LBB151_33
; %bb.30:
	v_mov_b32_e32 v5, s18
	v_mov_b32_e32 v6, s19
	s_mov_b32 s10, 0
	s_inst_prefetch 0x1
	.p2align	6
.LBB151_31:                             ; =>This Inner Loop Header: Depth=1
	v_sub_co_u32 v7, vcc_lo, v5, v3
	v_sub_co_ci_u32_e64 v8, null, v6, v4, vcc_lo
	v_lshrrev_b64 v[9:10], 1, v[7:8]
	v_lshrrev_b64 v[7:8], 6, v[7:8]
	v_add_co_u32 v9, vcc_lo, v9, v3
	v_add_co_ci_u32_e64 v10, null, v10, v4, vcc_lo
	v_add_co_u32 v7, vcc_lo, v9, v7
	v_add_co_ci_u32_e64 v8, null, v10, v8, vcc_lo
	v_lshlrev_b64 v[9:10], 1, v[7:8]
	v_add_co_u32 v9, vcc_lo, s16, v9
	v_add_co_ci_u32_e64 v10, null, s17, v10, vcc_lo
	global_load_ushort v9, v[9:10], off
	v_add_co_u32 v10, vcc_lo, v7, 1
	v_add_co_ci_u32_e64 v11, null, 0, v8, vcc_lo
	s_waitcnt vmcnt(0) lgkmcnt(0)
	v_cmp_lt_i16_e32 vcc_lo, v9, v1
	v_cndmask_b32_e32 v6, v8, v6, vcc_lo
	v_cndmask_b32_e32 v5, v7, v5, vcc_lo
	;; [unrolled: 1-line block ×4, first 2 shown]
	v_cmp_ge_u64_e32 vcc_lo, v[3:4], v[5:6]
	s_or_b32 s10, vcc_lo, s10
	s_andn2_b32 exec_lo, exec_lo, s10
	s_cbranch_execnz .LBB151_31
; %bb.32:
	s_inst_prefetch 0x2
	s_or_b32 exec_lo, exec_lo, s10
.LBB151_33:
	s_or_b32 exec_lo, exec_lo, s9
                                        ; implicit-def: $vgpr5_vgpr6
	s_and_saveexec_b32 s9, s1
	s_cbranch_execz .LBB151_38
; %bb.34:
	v_mov_b32_e32 v5, 0
	v_mov_b32_e32 v6, 0
	s_andn2_b32 vcc_lo, exec_lo, s8
	s_cbranch_vccnz .LBB151_38
; %bb.35:
	v_mov_b32_e32 v7, s18
	v_mov_b32_e32 v8, s19
	s_mov_b32 s10, 0
	s_inst_prefetch 0x1
	.p2align	6
.LBB151_36:                             ; =>This Inner Loop Header: Depth=1
	v_sub_co_u32 v9, vcc_lo, v7, v5
	v_sub_co_ci_u32_e64 v10, null, v8, v6, vcc_lo
	v_lshrrev_b64 v[11:12], 1, v[9:10]
	v_lshrrev_b64 v[9:10], 6, v[9:10]
	v_add_co_u32 v11, vcc_lo, v11, v5
	v_add_co_ci_u32_e64 v12, null, v12, v6, vcc_lo
	v_add_co_u32 v9, vcc_lo, v11, v9
	v_add_co_ci_u32_e64 v10, null, v12, v10, vcc_lo
	v_lshlrev_b64 v[11:12], 1, v[9:10]
	v_add_co_u32 v11, vcc_lo, s16, v11
	v_add_co_ci_u32_e64 v12, null, s17, v12, vcc_lo
	global_load_ushort v11, v[11:12], off
	v_add_co_u32 v12, vcc_lo, v9, 1
	v_add_co_ci_u32_e64 v13, null, 0, v10, vcc_lo
	s_waitcnt vmcnt(0) lgkmcnt(0)
	v_cmp_lt_i16_sdwa vcc_lo, v11, v1 src0_sel:DWORD src1_sel:WORD_1
	v_cndmask_b32_e32 v8, v10, v8, vcc_lo
	v_cndmask_b32_e32 v7, v9, v7, vcc_lo
	;; [unrolled: 1-line block ×4, first 2 shown]
	v_cmp_ge_u64_e32 vcc_lo, v[5:6], v[7:8]
	s_or_b32 s10, vcc_lo, s10
	s_andn2_b32 exec_lo, exec_lo, s10
	s_cbranch_execnz .LBB151_36
; %bb.37:
	s_inst_prefetch 0x2
	s_or_b32 exec_lo, exec_lo, s10
.LBB151_38:
	s_or_b32 exec_lo, exec_lo, s9
                                        ; implicit-def: $vgpr9_vgpr10
	s_and_saveexec_b32 s9, s2
	s_cbranch_execz .LBB151_43
; %bb.39:
	v_mov_b32_e32 v9, 0
	v_mov_b32_e32 v10, 0
	s_andn2_b32 vcc_lo, exec_lo, s8
	s_cbranch_vccnz .LBB151_43
; %bb.40:
	v_mov_b32_e32 v7, s18
	v_mov_b32_e32 v8, s19
	s_mov_b32 s10, 0
	s_inst_prefetch 0x1
	.p2align	6
.LBB151_41:                             ; =>This Inner Loop Header: Depth=1
	v_sub_co_u32 v11, vcc_lo, v7, v9
	v_sub_co_ci_u32_e64 v12, null, v8, v10, vcc_lo
	v_lshrrev_b64 v[13:14], 1, v[11:12]
	v_lshrrev_b64 v[11:12], 6, v[11:12]
	s_waitcnt vmcnt(0) lgkmcnt(0)
	v_add_co_u32 v1, vcc_lo, v13, v9
	v_add_co_ci_u32_e64 v13, null, v14, v10, vcc_lo
	v_add_co_u32 v11, vcc_lo, v1, v11
	v_add_co_ci_u32_e64 v12, null, v13, v12, vcc_lo
	v_lshlrev_b64 v[13:14], 1, v[11:12]
	v_add_co_u32 v13, vcc_lo, s16, v13
	v_add_co_ci_u32_e64 v14, null, s17, v14, vcc_lo
	global_load_ushort v1, v[13:14], off
	v_add_co_u32 v13, vcc_lo, v11, 1
	v_add_co_ci_u32_e64 v14, null, 0, v12, vcc_lo
	s_waitcnt vmcnt(0)
	v_cmp_lt_i16_e32 vcc_lo, v1, v2
	v_cndmask_b32_e32 v8, v12, v8, vcc_lo
	v_cndmask_b32_e32 v7, v11, v7, vcc_lo
	;; [unrolled: 1-line block ×4, first 2 shown]
	v_cmp_ge_u64_e32 vcc_lo, v[9:10], v[7:8]
	s_or_b32 s10, vcc_lo, s10
	s_andn2_b32 exec_lo, exec_lo, s10
	s_cbranch_execnz .LBB151_41
; %bb.42:
	s_inst_prefetch 0x2
	s_or_b32 exec_lo, exec_lo, s10
.LBB151_43:
	s_or_b32 exec_lo, exec_lo, s9
                                        ; implicit-def: $vgpr7_vgpr8
	s_and_saveexec_b32 s9, s6
	s_cbranch_execz .LBB151_48
; %bb.44:
	v_mov_b32_e32 v7, 0
	v_mov_b32_e32 v8, 0
	s_andn2_b32 vcc_lo, exec_lo, s8
	s_cbranch_vccnz .LBB151_48
; %bb.45:
	v_mov_b32_e32 v11, s18
	v_mov_b32_e32 v12, s19
	s_mov_b32 s8, 0
	s_inst_prefetch 0x1
	.p2align	6
.LBB151_46:                             ; =>This Inner Loop Header: Depth=1
	v_sub_co_u32 v13, vcc_lo, v11, v7
	v_sub_co_ci_u32_e64 v14, null, v12, v8, vcc_lo
	v_lshrrev_b64 v[15:16], 1, v[13:14]
	v_lshrrev_b64 v[13:14], 6, v[13:14]
	s_waitcnt vmcnt(0) lgkmcnt(0)
	v_add_co_u32 v1, vcc_lo, v15, v7
	v_add_co_ci_u32_e64 v15, null, v16, v8, vcc_lo
	v_add_co_u32 v13, vcc_lo, v1, v13
	v_add_co_ci_u32_e64 v14, null, v15, v14, vcc_lo
	v_lshlrev_b64 v[15:16], 1, v[13:14]
	v_add_co_u32 v15, vcc_lo, s16, v15
	v_add_co_ci_u32_e64 v16, null, s17, v16, vcc_lo
	global_load_ushort v1, v[15:16], off
	v_add_co_u32 v15, vcc_lo, v13, 1
	v_add_co_ci_u32_e64 v16, null, 0, v14, vcc_lo
	s_waitcnt vmcnt(0)
	v_cmp_lt_i16_sdwa vcc_lo, v1, v2 src0_sel:DWORD src1_sel:WORD_1
	v_cndmask_b32_e32 v12, v14, v12, vcc_lo
	v_cndmask_b32_e32 v11, v13, v11, vcc_lo
	;; [unrolled: 1-line block ×4, first 2 shown]
	v_cmp_ge_u64_e32 vcc_lo, v[7:8], v[11:12]
	s_or_b32 s8, vcc_lo, s8
	s_andn2_b32 exec_lo, exec_lo, s8
	s_cbranch_execnz .LBB151_46
; %bb.47:
	s_inst_prefetch 0x2
	s_or_b32 exec_lo, exec_lo, s8
.LBB151_48:
	s_or_b32 exec_lo, exec_lo, s9
	v_lshlrev_b32_e32 v0, 3, v0
	s_lshl_b64 s[4:5], s[4:5], 3
	s_add_u32 s3, s3, s4
	s_addc_u32 s4, s7, s5
	v_add_co_u32 v11, s3, s3, v0
	v_add_co_ci_u32_e64 v12, null, s4, 0, s3
	s_and_saveexec_b32 s3, s0
	s_xor_b32 s0, exec_lo, s3
	s_cbranch_execnz .LBB151_56
; %bb.49:
	s_or_b32 exec_lo, exec_lo, s0
	s_and_saveexec_b32 s0, s1
	s_cbranch_execnz .LBB151_57
.LBB151_50:
	s_or_b32 exec_lo, exec_lo, s0
	s_and_saveexec_b32 s0, s2
	s_cbranch_execz .LBB151_52
.LBB151_51:
	v_add_co_u32 v0, vcc_lo, 0x800, v11
	s_waitcnt vmcnt(0) lgkmcnt(0)
	v_add_co_ci_u32_e64 v1, null, 0, v12, vcc_lo
	flat_store_dwordx2 v[0:1], v[9:10]
.LBB151_52:
	s_or_b32 exec_lo, exec_lo, s0
.LBB151_53:
	s_and_saveexec_b32 s0, s6
	s_cbranch_execnz .LBB151_55
; %bb.54:
	s_endpgm
.LBB151_55:
	v_add_co_u32 v0, vcc_lo, 0x800, v11
	s_waitcnt vmcnt(0) lgkmcnt(0)
	v_add_co_ci_u32_e64 v1, null, 0, v12, vcc_lo
	flat_store_dwordx2 v[0:1], v[7:8] offset:1024
	s_endpgm
.LBB151_56:
	flat_store_dwordx2 v[11:12], v[3:4]
	s_or_b32 exec_lo, exec_lo, s0
	s_and_saveexec_b32 s0, s1
	s_cbranch_execz .LBB151_50
.LBB151_57:
	flat_store_dwordx2 v[11:12], v[5:6] offset:1024
	s_or_b32 exec_lo, exec_lo, s0
	s_and_saveexec_b32 s0, s2
	s_cbranch_execnz .LBB151_51
	s_branch .LBB151_52
	.section	.rodata,"a",@progbits
	.p2align	6, 0x0
	.amdhsa_kernel _ZN7rocprim17ROCPRIM_400000_NS6detail17trampoline_kernelINS0_14default_configENS1_27lower_bound_config_selectorIslEEZNS1_14transform_implILb0ES3_S5_N6thrust23THRUST_200600_302600_NS6detail15normal_iteratorINS8_7pointerIsNS8_11hip_rocprim5par_tENS8_11use_defaultESE_EEEENSA_INSB_IlSD_SE_SE_EEEEZNS1_13binary_searchIS3_S5_PsSG_SI_NS1_21lower_bound_search_opENS9_16wrapped_functionI11custom_lessbEEEE10hipError_tPvRmT1_T2_T3_mmT4_T5_P12ihipStream_tbEUlRKsE_EESP_ST_SU_mSV_SY_bEUlT_E_NS1_11comp_targetILNS1_3genE8ELNS1_11target_archE1030ELNS1_3gpuE2ELNS1_3repE0EEENS1_30default_config_static_selectorELNS0_4arch9wavefront6targetE0EEEvSS_
		.amdhsa_group_segment_fixed_size 0
		.amdhsa_private_segment_fixed_size 0
		.amdhsa_kernarg_size 312
		.amdhsa_user_sgpr_count 6
		.amdhsa_user_sgpr_private_segment_buffer 1
		.amdhsa_user_sgpr_dispatch_ptr 0
		.amdhsa_user_sgpr_queue_ptr 0
		.amdhsa_user_sgpr_kernarg_segment_ptr 1
		.amdhsa_user_sgpr_dispatch_id 0
		.amdhsa_user_sgpr_flat_scratch_init 0
		.amdhsa_user_sgpr_private_segment_size 0
		.amdhsa_wavefront_size32 1
		.amdhsa_uses_dynamic_stack 0
		.amdhsa_system_sgpr_private_segment_wavefront_offset 0
		.amdhsa_system_sgpr_workgroup_id_x 1
		.amdhsa_system_sgpr_workgroup_id_y 0
		.amdhsa_system_sgpr_workgroup_id_z 0
		.amdhsa_system_sgpr_workgroup_info 0
		.amdhsa_system_vgpr_workitem_id 0
		.amdhsa_next_free_vgpr 17
		.amdhsa_next_free_sgpr 20
		.amdhsa_reserve_vcc 1
		.amdhsa_reserve_flat_scratch 1
		.amdhsa_float_round_mode_32 0
		.amdhsa_float_round_mode_16_64 0
		.amdhsa_float_denorm_mode_32 3
		.amdhsa_float_denorm_mode_16_64 3
		.amdhsa_dx10_clamp 1
		.amdhsa_ieee_mode 1
		.amdhsa_fp16_overflow 0
		.amdhsa_workgroup_processor_mode 1
		.amdhsa_memory_ordered 1
		.amdhsa_forward_progress 1
		.amdhsa_shared_vgpr_count 0
		.amdhsa_exception_fp_ieee_invalid_op 0
		.amdhsa_exception_fp_denorm_src 0
		.amdhsa_exception_fp_ieee_div_zero 0
		.amdhsa_exception_fp_ieee_overflow 0
		.amdhsa_exception_fp_ieee_underflow 0
		.amdhsa_exception_fp_ieee_inexact 0
		.amdhsa_exception_int_div_zero 0
	.end_amdhsa_kernel
	.section	.text._ZN7rocprim17ROCPRIM_400000_NS6detail17trampoline_kernelINS0_14default_configENS1_27lower_bound_config_selectorIslEEZNS1_14transform_implILb0ES3_S5_N6thrust23THRUST_200600_302600_NS6detail15normal_iteratorINS8_7pointerIsNS8_11hip_rocprim5par_tENS8_11use_defaultESE_EEEENSA_INSB_IlSD_SE_SE_EEEEZNS1_13binary_searchIS3_S5_PsSG_SI_NS1_21lower_bound_search_opENS9_16wrapped_functionI11custom_lessbEEEE10hipError_tPvRmT1_T2_T3_mmT4_T5_P12ihipStream_tbEUlRKsE_EESP_ST_SU_mSV_SY_bEUlT_E_NS1_11comp_targetILNS1_3genE8ELNS1_11target_archE1030ELNS1_3gpuE2ELNS1_3repE0EEENS1_30default_config_static_selectorELNS0_4arch9wavefront6targetE0EEEvSS_,"axG",@progbits,_ZN7rocprim17ROCPRIM_400000_NS6detail17trampoline_kernelINS0_14default_configENS1_27lower_bound_config_selectorIslEEZNS1_14transform_implILb0ES3_S5_N6thrust23THRUST_200600_302600_NS6detail15normal_iteratorINS8_7pointerIsNS8_11hip_rocprim5par_tENS8_11use_defaultESE_EEEENSA_INSB_IlSD_SE_SE_EEEEZNS1_13binary_searchIS3_S5_PsSG_SI_NS1_21lower_bound_search_opENS9_16wrapped_functionI11custom_lessbEEEE10hipError_tPvRmT1_T2_T3_mmT4_T5_P12ihipStream_tbEUlRKsE_EESP_ST_SU_mSV_SY_bEUlT_E_NS1_11comp_targetILNS1_3genE8ELNS1_11target_archE1030ELNS1_3gpuE2ELNS1_3repE0EEENS1_30default_config_static_selectorELNS0_4arch9wavefront6targetE0EEEvSS_,comdat
.Lfunc_end151:
	.size	_ZN7rocprim17ROCPRIM_400000_NS6detail17trampoline_kernelINS0_14default_configENS1_27lower_bound_config_selectorIslEEZNS1_14transform_implILb0ES3_S5_N6thrust23THRUST_200600_302600_NS6detail15normal_iteratorINS8_7pointerIsNS8_11hip_rocprim5par_tENS8_11use_defaultESE_EEEENSA_INSB_IlSD_SE_SE_EEEEZNS1_13binary_searchIS3_S5_PsSG_SI_NS1_21lower_bound_search_opENS9_16wrapped_functionI11custom_lessbEEEE10hipError_tPvRmT1_T2_T3_mmT4_T5_P12ihipStream_tbEUlRKsE_EESP_ST_SU_mSV_SY_bEUlT_E_NS1_11comp_targetILNS1_3genE8ELNS1_11target_archE1030ELNS1_3gpuE2ELNS1_3repE0EEENS1_30default_config_static_selectorELNS0_4arch9wavefront6targetE0EEEvSS_, .Lfunc_end151-_ZN7rocprim17ROCPRIM_400000_NS6detail17trampoline_kernelINS0_14default_configENS1_27lower_bound_config_selectorIslEEZNS1_14transform_implILb0ES3_S5_N6thrust23THRUST_200600_302600_NS6detail15normal_iteratorINS8_7pointerIsNS8_11hip_rocprim5par_tENS8_11use_defaultESE_EEEENSA_INSB_IlSD_SE_SE_EEEEZNS1_13binary_searchIS3_S5_PsSG_SI_NS1_21lower_bound_search_opENS9_16wrapped_functionI11custom_lessbEEEE10hipError_tPvRmT1_T2_T3_mmT4_T5_P12ihipStream_tbEUlRKsE_EESP_ST_SU_mSV_SY_bEUlT_E_NS1_11comp_targetILNS1_3genE8ELNS1_11target_archE1030ELNS1_3gpuE2ELNS1_3repE0EEENS1_30default_config_static_selectorELNS0_4arch9wavefront6targetE0EEEvSS_
                                        ; -- End function
	.set _ZN7rocprim17ROCPRIM_400000_NS6detail17trampoline_kernelINS0_14default_configENS1_27lower_bound_config_selectorIslEEZNS1_14transform_implILb0ES3_S5_N6thrust23THRUST_200600_302600_NS6detail15normal_iteratorINS8_7pointerIsNS8_11hip_rocprim5par_tENS8_11use_defaultESE_EEEENSA_INSB_IlSD_SE_SE_EEEEZNS1_13binary_searchIS3_S5_PsSG_SI_NS1_21lower_bound_search_opENS9_16wrapped_functionI11custom_lessbEEEE10hipError_tPvRmT1_T2_T3_mmT4_T5_P12ihipStream_tbEUlRKsE_EESP_ST_SU_mSV_SY_bEUlT_E_NS1_11comp_targetILNS1_3genE8ELNS1_11target_archE1030ELNS1_3gpuE2ELNS1_3repE0EEENS1_30default_config_static_selectorELNS0_4arch9wavefront6targetE0EEEvSS_.num_vgpr, 17
	.set _ZN7rocprim17ROCPRIM_400000_NS6detail17trampoline_kernelINS0_14default_configENS1_27lower_bound_config_selectorIslEEZNS1_14transform_implILb0ES3_S5_N6thrust23THRUST_200600_302600_NS6detail15normal_iteratorINS8_7pointerIsNS8_11hip_rocprim5par_tENS8_11use_defaultESE_EEEENSA_INSB_IlSD_SE_SE_EEEEZNS1_13binary_searchIS3_S5_PsSG_SI_NS1_21lower_bound_search_opENS9_16wrapped_functionI11custom_lessbEEEE10hipError_tPvRmT1_T2_T3_mmT4_T5_P12ihipStream_tbEUlRKsE_EESP_ST_SU_mSV_SY_bEUlT_E_NS1_11comp_targetILNS1_3genE8ELNS1_11target_archE1030ELNS1_3gpuE2ELNS1_3repE0EEENS1_30default_config_static_selectorELNS0_4arch9wavefront6targetE0EEEvSS_.num_agpr, 0
	.set _ZN7rocprim17ROCPRIM_400000_NS6detail17trampoline_kernelINS0_14default_configENS1_27lower_bound_config_selectorIslEEZNS1_14transform_implILb0ES3_S5_N6thrust23THRUST_200600_302600_NS6detail15normal_iteratorINS8_7pointerIsNS8_11hip_rocprim5par_tENS8_11use_defaultESE_EEEENSA_INSB_IlSD_SE_SE_EEEEZNS1_13binary_searchIS3_S5_PsSG_SI_NS1_21lower_bound_search_opENS9_16wrapped_functionI11custom_lessbEEEE10hipError_tPvRmT1_T2_T3_mmT4_T5_P12ihipStream_tbEUlRKsE_EESP_ST_SU_mSV_SY_bEUlT_E_NS1_11comp_targetILNS1_3genE8ELNS1_11target_archE1030ELNS1_3gpuE2ELNS1_3repE0EEENS1_30default_config_static_selectorELNS0_4arch9wavefront6targetE0EEEvSS_.numbered_sgpr, 20
	.set _ZN7rocprim17ROCPRIM_400000_NS6detail17trampoline_kernelINS0_14default_configENS1_27lower_bound_config_selectorIslEEZNS1_14transform_implILb0ES3_S5_N6thrust23THRUST_200600_302600_NS6detail15normal_iteratorINS8_7pointerIsNS8_11hip_rocprim5par_tENS8_11use_defaultESE_EEEENSA_INSB_IlSD_SE_SE_EEEEZNS1_13binary_searchIS3_S5_PsSG_SI_NS1_21lower_bound_search_opENS9_16wrapped_functionI11custom_lessbEEEE10hipError_tPvRmT1_T2_T3_mmT4_T5_P12ihipStream_tbEUlRKsE_EESP_ST_SU_mSV_SY_bEUlT_E_NS1_11comp_targetILNS1_3genE8ELNS1_11target_archE1030ELNS1_3gpuE2ELNS1_3repE0EEENS1_30default_config_static_selectorELNS0_4arch9wavefront6targetE0EEEvSS_.num_named_barrier, 0
	.set _ZN7rocprim17ROCPRIM_400000_NS6detail17trampoline_kernelINS0_14default_configENS1_27lower_bound_config_selectorIslEEZNS1_14transform_implILb0ES3_S5_N6thrust23THRUST_200600_302600_NS6detail15normal_iteratorINS8_7pointerIsNS8_11hip_rocprim5par_tENS8_11use_defaultESE_EEEENSA_INSB_IlSD_SE_SE_EEEEZNS1_13binary_searchIS3_S5_PsSG_SI_NS1_21lower_bound_search_opENS9_16wrapped_functionI11custom_lessbEEEE10hipError_tPvRmT1_T2_T3_mmT4_T5_P12ihipStream_tbEUlRKsE_EESP_ST_SU_mSV_SY_bEUlT_E_NS1_11comp_targetILNS1_3genE8ELNS1_11target_archE1030ELNS1_3gpuE2ELNS1_3repE0EEENS1_30default_config_static_selectorELNS0_4arch9wavefront6targetE0EEEvSS_.private_seg_size, 0
	.set _ZN7rocprim17ROCPRIM_400000_NS6detail17trampoline_kernelINS0_14default_configENS1_27lower_bound_config_selectorIslEEZNS1_14transform_implILb0ES3_S5_N6thrust23THRUST_200600_302600_NS6detail15normal_iteratorINS8_7pointerIsNS8_11hip_rocprim5par_tENS8_11use_defaultESE_EEEENSA_INSB_IlSD_SE_SE_EEEEZNS1_13binary_searchIS3_S5_PsSG_SI_NS1_21lower_bound_search_opENS9_16wrapped_functionI11custom_lessbEEEE10hipError_tPvRmT1_T2_T3_mmT4_T5_P12ihipStream_tbEUlRKsE_EESP_ST_SU_mSV_SY_bEUlT_E_NS1_11comp_targetILNS1_3genE8ELNS1_11target_archE1030ELNS1_3gpuE2ELNS1_3repE0EEENS1_30default_config_static_selectorELNS0_4arch9wavefront6targetE0EEEvSS_.uses_vcc, 1
	.set _ZN7rocprim17ROCPRIM_400000_NS6detail17trampoline_kernelINS0_14default_configENS1_27lower_bound_config_selectorIslEEZNS1_14transform_implILb0ES3_S5_N6thrust23THRUST_200600_302600_NS6detail15normal_iteratorINS8_7pointerIsNS8_11hip_rocprim5par_tENS8_11use_defaultESE_EEEENSA_INSB_IlSD_SE_SE_EEEEZNS1_13binary_searchIS3_S5_PsSG_SI_NS1_21lower_bound_search_opENS9_16wrapped_functionI11custom_lessbEEEE10hipError_tPvRmT1_T2_T3_mmT4_T5_P12ihipStream_tbEUlRKsE_EESP_ST_SU_mSV_SY_bEUlT_E_NS1_11comp_targetILNS1_3genE8ELNS1_11target_archE1030ELNS1_3gpuE2ELNS1_3repE0EEENS1_30default_config_static_selectorELNS0_4arch9wavefront6targetE0EEEvSS_.uses_flat_scratch, 1
	.set _ZN7rocprim17ROCPRIM_400000_NS6detail17trampoline_kernelINS0_14default_configENS1_27lower_bound_config_selectorIslEEZNS1_14transform_implILb0ES3_S5_N6thrust23THRUST_200600_302600_NS6detail15normal_iteratorINS8_7pointerIsNS8_11hip_rocprim5par_tENS8_11use_defaultESE_EEEENSA_INSB_IlSD_SE_SE_EEEEZNS1_13binary_searchIS3_S5_PsSG_SI_NS1_21lower_bound_search_opENS9_16wrapped_functionI11custom_lessbEEEE10hipError_tPvRmT1_T2_T3_mmT4_T5_P12ihipStream_tbEUlRKsE_EESP_ST_SU_mSV_SY_bEUlT_E_NS1_11comp_targetILNS1_3genE8ELNS1_11target_archE1030ELNS1_3gpuE2ELNS1_3repE0EEENS1_30default_config_static_selectorELNS0_4arch9wavefront6targetE0EEEvSS_.has_dyn_sized_stack, 0
	.set _ZN7rocprim17ROCPRIM_400000_NS6detail17trampoline_kernelINS0_14default_configENS1_27lower_bound_config_selectorIslEEZNS1_14transform_implILb0ES3_S5_N6thrust23THRUST_200600_302600_NS6detail15normal_iteratorINS8_7pointerIsNS8_11hip_rocprim5par_tENS8_11use_defaultESE_EEEENSA_INSB_IlSD_SE_SE_EEEEZNS1_13binary_searchIS3_S5_PsSG_SI_NS1_21lower_bound_search_opENS9_16wrapped_functionI11custom_lessbEEEE10hipError_tPvRmT1_T2_T3_mmT4_T5_P12ihipStream_tbEUlRKsE_EESP_ST_SU_mSV_SY_bEUlT_E_NS1_11comp_targetILNS1_3genE8ELNS1_11target_archE1030ELNS1_3gpuE2ELNS1_3repE0EEENS1_30default_config_static_selectorELNS0_4arch9wavefront6targetE0EEEvSS_.has_recursion, 0
	.set _ZN7rocprim17ROCPRIM_400000_NS6detail17trampoline_kernelINS0_14default_configENS1_27lower_bound_config_selectorIslEEZNS1_14transform_implILb0ES3_S5_N6thrust23THRUST_200600_302600_NS6detail15normal_iteratorINS8_7pointerIsNS8_11hip_rocprim5par_tENS8_11use_defaultESE_EEEENSA_INSB_IlSD_SE_SE_EEEEZNS1_13binary_searchIS3_S5_PsSG_SI_NS1_21lower_bound_search_opENS9_16wrapped_functionI11custom_lessbEEEE10hipError_tPvRmT1_T2_T3_mmT4_T5_P12ihipStream_tbEUlRKsE_EESP_ST_SU_mSV_SY_bEUlT_E_NS1_11comp_targetILNS1_3genE8ELNS1_11target_archE1030ELNS1_3gpuE2ELNS1_3repE0EEENS1_30default_config_static_selectorELNS0_4arch9wavefront6targetE0EEEvSS_.has_indirect_call, 0
	.section	.AMDGPU.csdata,"",@progbits
; Kernel info:
; codeLenInByte = 2672
; TotalNumSgprs: 22
; NumVgprs: 17
; ScratchSize: 0
; MemoryBound: 0
; FloatMode: 240
; IeeeMode: 1
; LDSByteSize: 0 bytes/workgroup (compile time only)
; SGPRBlocks: 0
; VGPRBlocks: 2
; NumSGPRsForWavesPerEU: 22
; NumVGPRsForWavesPerEU: 17
; Occupancy: 16
; WaveLimiterHint : 1
; COMPUTE_PGM_RSRC2:SCRATCH_EN: 0
; COMPUTE_PGM_RSRC2:USER_SGPR: 6
; COMPUTE_PGM_RSRC2:TRAP_HANDLER: 0
; COMPUTE_PGM_RSRC2:TGID_X_EN: 1
; COMPUTE_PGM_RSRC2:TGID_Y_EN: 0
; COMPUTE_PGM_RSRC2:TGID_Z_EN: 0
; COMPUTE_PGM_RSRC2:TIDIG_COMP_CNT: 0
	.section	.text._ZN7rocprim17ROCPRIM_400000_NS6detail17trampoline_kernelINS0_14default_configENS1_27lower_bound_config_selectorIslEEZNS1_14transform_implILb0ES3_S5_N6thrust23THRUST_200600_302600_NS6detail15normal_iteratorINS8_7pointerIsNS8_11hip_rocprim5par_tENS8_11use_defaultESE_EEEENSA_INSB_IlSD_SE_SE_EEEEZNS1_13binary_searchIS3_S5_PsSG_SI_NS1_21lower_bound_search_opENS9_16wrapped_functionINS8_6system6detail7generic6detail18binary_search_lessEbEEEE10hipError_tPvRmT1_T2_T3_mmT4_T5_P12ihipStream_tbEUlRKsE_EEST_SX_SY_mSZ_S12_bEUlT_E_NS1_11comp_targetILNS1_3genE0ELNS1_11target_archE4294967295ELNS1_3gpuE0ELNS1_3repE0EEENS1_30default_config_static_selectorELNS0_4arch9wavefront6targetE0EEEvSW_,"axG",@progbits,_ZN7rocprim17ROCPRIM_400000_NS6detail17trampoline_kernelINS0_14default_configENS1_27lower_bound_config_selectorIslEEZNS1_14transform_implILb0ES3_S5_N6thrust23THRUST_200600_302600_NS6detail15normal_iteratorINS8_7pointerIsNS8_11hip_rocprim5par_tENS8_11use_defaultESE_EEEENSA_INSB_IlSD_SE_SE_EEEEZNS1_13binary_searchIS3_S5_PsSG_SI_NS1_21lower_bound_search_opENS9_16wrapped_functionINS8_6system6detail7generic6detail18binary_search_lessEbEEEE10hipError_tPvRmT1_T2_T3_mmT4_T5_P12ihipStream_tbEUlRKsE_EEST_SX_SY_mSZ_S12_bEUlT_E_NS1_11comp_targetILNS1_3genE0ELNS1_11target_archE4294967295ELNS1_3gpuE0ELNS1_3repE0EEENS1_30default_config_static_selectorELNS0_4arch9wavefront6targetE0EEEvSW_,comdat
	.protected	_ZN7rocprim17ROCPRIM_400000_NS6detail17trampoline_kernelINS0_14default_configENS1_27lower_bound_config_selectorIslEEZNS1_14transform_implILb0ES3_S5_N6thrust23THRUST_200600_302600_NS6detail15normal_iteratorINS8_7pointerIsNS8_11hip_rocprim5par_tENS8_11use_defaultESE_EEEENSA_INSB_IlSD_SE_SE_EEEEZNS1_13binary_searchIS3_S5_PsSG_SI_NS1_21lower_bound_search_opENS9_16wrapped_functionINS8_6system6detail7generic6detail18binary_search_lessEbEEEE10hipError_tPvRmT1_T2_T3_mmT4_T5_P12ihipStream_tbEUlRKsE_EEST_SX_SY_mSZ_S12_bEUlT_E_NS1_11comp_targetILNS1_3genE0ELNS1_11target_archE4294967295ELNS1_3gpuE0ELNS1_3repE0EEENS1_30default_config_static_selectorELNS0_4arch9wavefront6targetE0EEEvSW_ ; -- Begin function _ZN7rocprim17ROCPRIM_400000_NS6detail17trampoline_kernelINS0_14default_configENS1_27lower_bound_config_selectorIslEEZNS1_14transform_implILb0ES3_S5_N6thrust23THRUST_200600_302600_NS6detail15normal_iteratorINS8_7pointerIsNS8_11hip_rocprim5par_tENS8_11use_defaultESE_EEEENSA_INSB_IlSD_SE_SE_EEEEZNS1_13binary_searchIS3_S5_PsSG_SI_NS1_21lower_bound_search_opENS9_16wrapped_functionINS8_6system6detail7generic6detail18binary_search_lessEbEEEE10hipError_tPvRmT1_T2_T3_mmT4_T5_P12ihipStream_tbEUlRKsE_EEST_SX_SY_mSZ_S12_bEUlT_E_NS1_11comp_targetILNS1_3genE0ELNS1_11target_archE4294967295ELNS1_3gpuE0ELNS1_3repE0EEENS1_30default_config_static_selectorELNS0_4arch9wavefront6targetE0EEEvSW_
	.globl	_ZN7rocprim17ROCPRIM_400000_NS6detail17trampoline_kernelINS0_14default_configENS1_27lower_bound_config_selectorIslEEZNS1_14transform_implILb0ES3_S5_N6thrust23THRUST_200600_302600_NS6detail15normal_iteratorINS8_7pointerIsNS8_11hip_rocprim5par_tENS8_11use_defaultESE_EEEENSA_INSB_IlSD_SE_SE_EEEEZNS1_13binary_searchIS3_S5_PsSG_SI_NS1_21lower_bound_search_opENS9_16wrapped_functionINS8_6system6detail7generic6detail18binary_search_lessEbEEEE10hipError_tPvRmT1_T2_T3_mmT4_T5_P12ihipStream_tbEUlRKsE_EEST_SX_SY_mSZ_S12_bEUlT_E_NS1_11comp_targetILNS1_3genE0ELNS1_11target_archE4294967295ELNS1_3gpuE0ELNS1_3repE0EEENS1_30default_config_static_selectorELNS0_4arch9wavefront6targetE0EEEvSW_
	.p2align	8
	.type	_ZN7rocprim17ROCPRIM_400000_NS6detail17trampoline_kernelINS0_14default_configENS1_27lower_bound_config_selectorIslEEZNS1_14transform_implILb0ES3_S5_N6thrust23THRUST_200600_302600_NS6detail15normal_iteratorINS8_7pointerIsNS8_11hip_rocprim5par_tENS8_11use_defaultESE_EEEENSA_INSB_IlSD_SE_SE_EEEEZNS1_13binary_searchIS3_S5_PsSG_SI_NS1_21lower_bound_search_opENS9_16wrapped_functionINS8_6system6detail7generic6detail18binary_search_lessEbEEEE10hipError_tPvRmT1_T2_T3_mmT4_T5_P12ihipStream_tbEUlRKsE_EEST_SX_SY_mSZ_S12_bEUlT_E_NS1_11comp_targetILNS1_3genE0ELNS1_11target_archE4294967295ELNS1_3gpuE0ELNS1_3repE0EEENS1_30default_config_static_selectorELNS0_4arch9wavefront6targetE0EEEvSW_,@function
_ZN7rocprim17ROCPRIM_400000_NS6detail17trampoline_kernelINS0_14default_configENS1_27lower_bound_config_selectorIslEEZNS1_14transform_implILb0ES3_S5_N6thrust23THRUST_200600_302600_NS6detail15normal_iteratorINS8_7pointerIsNS8_11hip_rocprim5par_tENS8_11use_defaultESE_EEEENSA_INSB_IlSD_SE_SE_EEEEZNS1_13binary_searchIS3_S5_PsSG_SI_NS1_21lower_bound_search_opENS9_16wrapped_functionINS8_6system6detail7generic6detail18binary_search_lessEbEEEE10hipError_tPvRmT1_T2_T3_mmT4_T5_P12ihipStream_tbEUlRKsE_EEST_SX_SY_mSZ_S12_bEUlT_E_NS1_11comp_targetILNS1_3genE0ELNS1_11target_archE4294967295ELNS1_3gpuE0ELNS1_3repE0EEENS1_30default_config_static_selectorELNS0_4arch9wavefront6targetE0EEEvSW_: ; @_ZN7rocprim17ROCPRIM_400000_NS6detail17trampoline_kernelINS0_14default_configENS1_27lower_bound_config_selectorIslEEZNS1_14transform_implILb0ES3_S5_N6thrust23THRUST_200600_302600_NS6detail15normal_iteratorINS8_7pointerIsNS8_11hip_rocprim5par_tENS8_11use_defaultESE_EEEENSA_INSB_IlSD_SE_SE_EEEEZNS1_13binary_searchIS3_S5_PsSG_SI_NS1_21lower_bound_search_opENS9_16wrapped_functionINS8_6system6detail7generic6detail18binary_search_lessEbEEEE10hipError_tPvRmT1_T2_T3_mmT4_T5_P12ihipStream_tbEUlRKsE_EEST_SX_SY_mSZ_S12_bEUlT_E_NS1_11comp_targetILNS1_3genE0ELNS1_11target_archE4294967295ELNS1_3gpuE0ELNS1_3repE0EEENS1_30default_config_static_selectorELNS0_4arch9wavefront6targetE0EEEvSW_
; %bb.0:
	.section	.rodata,"a",@progbits
	.p2align	6, 0x0
	.amdhsa_kernel _ZN7rocprim17ROCPRIM_400000_NS6detail17trampoline_kernelINS0_14default_configENS1_27lower_bound_config_selectorIslEEZNS1_14transform_implILb0ES3_S5_N6thrust23THRUST_200600_302600_NS6detail15normal_iteratorINS8_7pointerIsNS8_11hip_rocprim5par_tENS8_11use_defaultESE_EEEENSA_INSB_IlSD_SE_SE_EEEEZNS1_13binary_searchIS3_S5_PsSG_SI_NS1_21lower_bound_search_opENS9_16wrapped_functionINS8_6system6detail7generic6detail18binary_search_lessEbEEEE10hipError_tPvRmT1_T2_T3_mmT4_T5_P12ihipStream_tbEUlRKsE_EEST_SX_SY_mSZ_S12_bEUlT_E_NS1_11comp_targetILNS1_3genE0ELNS1_11target_archE4294967295ELNS1_3gpuE0ELNS1_3repE0EEENS1_30default_config_static_selectorELNS0_4arch9wavefront6targetE0EEEvSW_
		.amdhsa_group_segment_fixed_size 0
		.amdhsa_private_segment_fixed_size 0
		.amdhsa_kernarg_size 56
		.amdhsa_user_sgpr_count 6
		.amdhsa_user_sgpr_private_segment_buffer 1
		.amdhsa_user_sgpr_dispatch_ptr 0
		.amdhsa_user_sgpr_queue_ptr 0
		.amdhsa_user_sgpr_kernarg_segment_ptr 1
		.amdhsa_user_sgpr_dispatch_id 0
		.amdhsa_user_sgpr_flat_scratch_init 0
		.amdhsa_user_sgpr_private_segment_size 0
		.amdhsa_wavefront_size32 1
		.amdhsa_uses_dynamic_stack 0
		.amdhsa_system_sgpr_private_segment_wavefront_offset 0
		.amdhsa_system_sgpr_workgroup_id_x 1
		.amdhsa_system_sgpr_workgroup_id_y 0
		.amdhsa_system_sgpr_workgroup_id_z 0
		.amdhsa_system_sgpr_workgroup_info 0
		.amdhsa_system_vgpr_workitem_id 0
		.amdhsa_next_free_vgpr 1
		.amdhsa_next_free_sgpr 1
		.amdhsa_reserve_vcc 0
		.amdhsa_reserve_flat_scratch 0
		.amdhsa_float_round_mode_32 0
		.amdhsa_float_round_mode_16_64 0
		.amdhsa_float_denorm_mode_32 3
		.amdhsa_float_denorm_mode_16_64 3
		.amdhsa_dx10_clamp 1
		.amdhsa_ieee_mode 1
		.amdhsa_fp16_overflow 0
		.amdhsa_workgroup_processor_mode 1
		.amdhsa_memory_ordered 1
		.amdhsa_forward_progress 1
		.amdhsa_shared_vgpr_count 0
		.amdhsa_exception_fp_ieee_invalid_op 0
		.amdhsa_exception_fp_denorm_src 0
		.amdhsa_exception_fp_ieee_div_zero 0
		.amdhsa_exception_fp_ieee_overflow 0
		.amdhsa_exception_fp_ieee_underflow 0
		.amdhsa_exception_fp_ieee_inexact 0
		.amdhsa_exception_int_div_zero 0
	.end_amdhsa_kernel
	.section	.text._ZN7rocprim17ROCPRIM_400000_NS6detail17trampoline_kernelINS0_14default_configENS1_27lower_bound_config_selectorIslEEZNS1_14transform_implILb0ES3_S5_N6thrust23THRUST_200600_302600_NS6detail15normal_iteratorINS8_7pointerIsNS8_11hip_rocprim5par_tENS8_11use_defaultESE_EEEENSA_INSB_IlSD_SE_SE_EEEEZNS1_13binary_searchIS3_S5_PsSG_SI_NS1_21lower_bound_search_opENS9_16wrapped_functionINS8_6system6detail7generic6detail18binary_search_lessEbEEEE10hipError_tPvRmT1_T2_T3_mmT4_T5_P12ihipStream_tbEUlRKsE_EEST_SX_SY_mSZ_S12_bEUlT_E_NS1_11comp_targetILNS1_3genE0ELNS1_11target_archE4294967295ELNS1_3gpuE0ELNS1_3repE0EEENS1_30default_config_static_selectorELNS0_4arch9wavefront6targetE0EEEvSW_,"axG",@progbits,_ZN7rocprim17ROCPRIM_400000_NS6detail17trampoline_kernelINS0_14default_configENS1_27lower_bound_config_selectorIslEEZNS1_14transform_implILb0ES3_S5_N6thrust23THRUST_200600_302600_NS6detail15normal_iteratorINS8_7pointerIsNS8_11hip_rocprim5par_tENS8_11use_defaultESE_EEEENSA_INSB_IlSD_SE_SE_EEEEZNS1_13binary_searchIS3_S5_PsSG_SI_NS1_21lower_bound_search_opENS9_16wrapped_functionINS8_6system6detail7generic6detail18binary_search_lessEbEEEE10hipError_tPvRmT1_T2_T3_mmT4_T5_P12ihipStream_tbEUlRKsE_EEST_SX_SY_mSZ_S12_bEUlT_E_NS1_11comp_targetILNS1_3genE0ELNS1_11target_archE4294967295ELNS1_3gpuE0ELNS1_3repE0EEENS1_30default_config_static_selectorELNS0_4arch9wavefront6targetE0EEEvSW_,comdat
.Lfunc_end152:
	.size	_ZN7rocprim17ROCPRIM_400000_NS6detail17trampoline_kernelINS0_14default_configENS1_27lower_bound_config_selectorIslEEZNS1_14transform_implILb0ES3_S5_N6thrust23THRUST_200600_302600_NS6detail15normal_iteratorINS8_7pointerIsNS8_11hip_rocprim5par_tENS8_11use_defaultESE_EEEENSA_INSB_IlSD_SE_SE_EEEEZNS1_13binary_searchIS3_S5_PsSG_SI_NS1_21lower_bound_search_opENS9_16wrapped_functionINS8_6system6detail7generic6detail18binary_search_lessEbEEEE10hipError_tPvRmT1_T2_T3_mmT4_T5_P12ihipStream_tbEUlRKsE_EEST_SX_SY_mSZ_S12_bEUlT_E_NS1_11comp_targetILNS1_3genE0ELNS1_11target_archE4294967295ELNS1_3gpuE0ELNS1_3repE0EEENS1_30default_config_static_selectorELNS0_4arch9wavefront6targetE0EEEvSW_, .Lfunc_end152-_ZN7rocprim17ROCPRIM_400000_NS6detail17trampoline_kernelINS0_14default_configENS1_27lower_bound_config_selectorIslEEZNS1_14transform_implILb0ES3_S5_N6thrust23THRUST_200600_302600_NS6detail15normal_iteratorINS8_7pointerIsNS8_11hip_rocprim5par_tENS8_11use_defaultESE_EEEENSA_INSB_IlSD_SE_SE_EEEEZNS1_13binary_searchIS3_S5_PsSG_SI_NS1_21lower_bound_search_opENS9_16wrapped_functionINS8_6system6detail7generic6detail18binary_search_lessEbEEEE10hipError_tPvRmT1_T2_T3_mmT4_T5_P12ihipStream_tbEUlRKsE_EEST_SX_SY_mSZ_S12_bEUlT_E_NS1_11comp_targetILNS1_3genE0ELNS1_11target_archE4294967295ELNS1_3gpuE0ELNS1_3repE0EEENS1_30default_config_static_selectorELNS0_4arch9wavefront6targetE0EEEvSW_
                                        ; -- End function
	.set _ZN7rocprim17ROCPRIM_400000_NS6detail17trampoline_kernelINS0_14default_configENS1_27lower_bound_config_selectorIslEEZNS1_14transform_implILb0ES3_S5_N6thrust23THRUST_200600_302600_NS6detail15normal_iteratorINS8_7pointerIsNS8_11hip_rocprim5par_tENS8_11use_defaultESE_EEEENSA_INSB_IlSD_SE_SE_EEEEZNS1_13binary_searchIS3_S5_PsSG_SI_NS1_21lower_bound_search_opENS9_16wrapped_functionINS8_6system6detail7generic6detail18binary_search_lessEbEEEE10hipError_tPvRmT1_T2_T3_mmT4_T5_P12ihipStream_tbEUlRKsE_EEST_SX_SY_mSZ_S12_bEUlT_E_NS1_11comp_targetILNS1_3genE0ELNS1_11target_archE4294967295ELNS1_3gpuE0ELNS1_3repE0EEENS1_30default_config_static_selectorELNS0_4arch9wavefront6targetE0EEEvSW_.num_vgpr, 0
	.set _ZN7rocprim17ROCPRIM_400000_NS6detail17trampoline_kernelINS0_14default_configENS1_27lower_bound_config_selectorIslEEZNS1_14transform_implILb0ES3_S5_N6thrust23THRUST_200600_302600_NS6detail15normal_iteratorINS8_7pointerIsNS8_11hip_rocprim5par_tENS8_11use_defaultESE_EEEENSA_INSB_IlSD_SE_SE_EEEEZNS1_13binary_searchIS3_S5_PsSG_SI_NS1_21lower_bound_search_opENS9_16wrapped_functionINS8_6system6detail7generic6detail18binary_search_lessEbEEEE10hipError_tPvRmT1_T2_T3_mmT4_T5_P12ihipStream_tbEUlRKsE_EEST_SX_SY_mSZ_S12_bEUlT_E_NS1_11comp_targetILNS1_3genE0ELNS1_11target_archE4294967295ELNS1_3gpuE0ELNS1_3repE0EEENS1_30default_config_static_selectorELNS0_4arch9wavefront6targetE0EEEvSW_.num_agpr, 0
	.set _ZN7rocprim17ROCPRIM_400000_NS6detail17trampoline_kernelINS0_14default_configENS1_27lower_bound_config_selectorIslEEZNS1_14transform_implILb0ES3_S5_N6thrust23THRUST_200600_302600_NS6detail15normal_iteratorINS8_7pointerIsNS8_11hip_rocprim5par_tENS8_11use_defaultESE_EEEENSA_INSB_IlSD_SE_SE_EEEEZNS1_13binary_searchIS3_S5_PsSG_SI_NS1_21lower_bound_search_opENS9_16wrapped_functionINS8_6system6detail7generic6detail18binary_search_lessEbEEEE10hipError_tPvRmT1_T2_T3_mmT4_T5_P12ihipStream_tbEUlRKsE_EEST_SX_SY_mSZ_S12_bEUlT_E_NS1_11comp_targetILNS1_3genE0ELNS1_11target_archE4294967295ELNS1_3gpuE0ELNS1_3repE0EEENS1_30default_config_static_selectorELNS0_4arch9wavefront6targetE0EEEvSW_.numbered_sgpr, 0
	.set _ZN7rocprim17ROCPRIM_400000_NS6detail17trampoline_kernelINS0_14default_configENS1_27lower_bound_config_selectorIslEEZNS1_14transform_implILb0ES3_S5_N6thrust23THRUST_200600_302600_NS6detail15normal_iteratorINS8_7pointerIsNS8_11hip_rocprim5par_tENS8_11use_defaultESE_EEEENSA_INSB_IlSD_SE_SE_EEEEZNS1_13binary_searchIS3_S5_PsSG_SI_NS1_21lower_bound_search_opENS9_16wrapped_functionINS8_6system6detail7generic6detail18binary_search_lessEbEEEE10hipError_tPvRmT1_T2_T3_mmT4_T5_P12ihipStream_tbEUlRKsE_EEST_SX_SY_mSZ_S12_bEUlT_E_NS1_11comp_targetILNS1_3genE0ELNS1_11target_archE4294967295ELNS1_3gpuE0ELNS1_3repE0EEENS1_30default_config_static_selectorELNS0_4arch9wavefront6targetE0EEEvSW_.num_named_barrier, 0
	.set _ZN7rocprim17ROCPRIM_400000_NS6detail17trampoline_kernelINS0_14default_configENS1_27lower_bound_config_selectorIslEEZNS1_14transform_implILb0ES3_S5_N6thrust23THRUST_200600_302600_NS6detail15normal_iteratorINS8_7pointerIsNS8_11hip_rocprim5par_tENS8_11use_defaultESE_EEEENSA_INSB_IlSD_SE_SE_EEEEZNS1_13binary_searchIS3_S5_PsSG_SI_NS1_21lower_bound_search_opENS9_16wrapped_functionINS8_6system6detail7generic6detail18binary_search_lessEbEEEE10hipError_tPvRmT1_T2_T3_mmT4_T5_P12ihipStream_tbEUlRKsE_EEST_SX_SY_mSZ_S12_bEUlT_E_NS1_11comp_targetILNS1_3genE0ELNS1_11target_archE4294967295ELNS1_3gpuE0ELNS1_3repE0EEENS1_30default_config_static_selectorELNS0_4arch9wavefront6targetE0EEEvSW_.private_seg_size, 0
	.set _ZN7rocprim17ROCPRIM_400000_NS6detail17trampoline_kernelINS0_14default_configENS1_27lower_bound_config_selectorIslEEZNS1_14transform_implILb0ES3_S5_N6thrust23THRUST_200600_302600_NS6detail15normal_iteratorINS8_7pointerIsNS8_11hip_rocprim5par_tENS8_11use_defaultESE_EEEENSA_INSB_IlSD_SE_SE_EEEEZNS1_13binary_searchIS3_S5_PsSG_SI_NS1_21lower_bound_search_opENS9_16wrapped_functionINS8_6system6detail7generic6detail18binary_search_lessEbEEEE10hipError_tPvRmT1_T2_T3_mmT4_T5_P12ihipStream_tbEUlRKsE_EEST_SX_SY_mSZ_S12_bEUlT_E_NS1_11comp_targetILNS1_3genE0ELNS1_11target_archE4294967295ELNS1_3gpuE0ELNS1_3repE0EEENS1_30default_config_static_selectorELNS0_4arch9wavefront6targetE0EEEvSW_.uses_vcc, 0
	.set _ZN7rocprim17ROCPRIM_400000_NS6detail17trampoline_kernelINS0_14default_configENS1_27lower_bound_config_selectorIslEEZNS1_14transform_implILb0ES3_S5_N6thrust23THRUST_200600_302600_NS6detail15normal_iteratorINS8_7pointerIsNS8_11hip_rocprim5par_tENS8_11use_defaultESE_EEEENSA_INSB_IlSD_SE_SE_EEEEZNS1_13binary_searchIS3_S5_PsSG_SI_NS1_21lower_bound_search_opENS9_16wrapped_functionINS8_6system6detail7generic6detail18binary_search_lessEbEEEE10hipError_tPvRmT1_T2_T3_mmT4_T5_P12ihipStream_tbEUlRKsE_EEST_SX_SY_mSZ_S12_bEUlT_E_NS1_11comp_targetILNS1_3genE0ELNS1_11target_archE4294967295ELNS1_3gpuE0ELNS1_3repE0EEENS1_30default_config_static_selectorELNS0_4arch9wavefront6targetE0EEEvSW_.uses_flat_scratch, 0
	.set _ZN7rocprim17ROCPRIM_400000_NS6detail17trampoline_kernelINS0_14default_configENS1_27lower_bound_config_selectorIslEEZNS1_14transform_implILb0ES3_S5_N6thrust23THRUST_200600_302600_NS6detail15normal_iteratorINS8_7pointerIsNS8_11hip_rocprim5par_tENS8_11use_defaultESE_EEEENSA_INSB_IlSD_SE_SE_EEEEZNS1_13binary_searchIS3_S5_PsSG_SI_NS1_21lower_bound_search_opENS9_16wrapped_functionINS8_6system6detail7generic6detail18binary_search_lessEbEEEE10hipError_tPvRmT1_T2_T3_mmT4_T5_P12ihipStream_tbEUlRKsE_EEST_SX_SY_mSZ_S12_bEUlT_E_NS1_11comp_targetILNS1_3genE0ELNS1_11target_archE4294967295ELNS1_3gpuE0ELNS1_3repE0EEENS1_30default_config_static_selectorELNS0_4arch9wavefront6targetE0EEEvSW_.has_dyn_sized_stack, 0
	.set _ZN7rocprim17ROCPRIM_400000_NS6detail17trampoline_kernelINS0_14default_configENS1_27lower_bound_config_selectorIslEEZNS1_14transform_implILb0ES3_S5_N6thrust23THRUST_200600_302600_NS6detail15normal_iteratorINS8_7pointerIsNS8_11hip_rocprim5par_tENS8_11use_defaultESE_EEEENSA_INSB_IlSD_SE_SE_EEEEZNS1_13binary_searchIS3_S5_PsSG_SI_NS1_21lower_bound_search_opENS9_16wrapped_functionINS8_6system6detail7generic6detail18binary_search_lessEbEEEE10hipError_tPvRmT1_T2_T3_mmT4_T5_P12ihipStream_tbEUlRKsE_EEST_SX_SY_mSZ_S12_bEUlT_E_NS1_11comp_targetILNS1_3genE0ELNS1_11target_archE4294967295ELNS1_3gpuE0ELNS1_3repE0EEENS1_30default_config_static_selectorELNS0_4arch9wavefront6targetE0EEEvSW_.has_recursion, 0
	.set _ZN7rocprim17ROCPRIM_400000_NS6detail17trampoline_kernelINS0_14default_configENS1_27lower_bound_config_selectorIslEEZNS1_14transform_implILb0ES3_S5_N6thrust23THRUST_200600_302600_NS6detail15normal_iteratorINS8_7pointerIsNS8_11hip_rocprim5par_tENS8_11use_defaultESE_EEEENSA_INSB_IlSD_SE_SE_EEEEZNS1_13binary_searchIS3_S5_PsSG_SI_NS1_21lower_bound_search_opENS9_16wrapped_functionINS8_6system6detail7generic6detail18binary_search_lessEbEEEE10hipError_tPvRmT1_T2_T3_mmT4_T5_P12ihipStream_tbEUlRKsE_EEST_SX_SY_mSZ_S12_bEUlT_E_NS1_11comp_targetILNS1_3genE0ELNS1_11target_archE4294967295ELNS1_3gpuE0ELNS1_3repE0EEENS1_30default_config_static_selectorELNS0_4arch9wavefront6targetE0EEEvSW_.has_indirect_call, 0
	.section	.AMDGPU.csdata,"",@progbits
; Kernel info:
; codeLenInByte = 0
; TotalNumSgprs: 0
; NumVgprs: 0
; ScratchSize: 0
; MemoryBound: 0
; FloatMode: 240
; IeeeMode: 1
; LDSByteSize: 0 bytes/workgroup (compile time only)
; SGPRBlocks: 0
; VGPRBlocks: 0
; NumSGPRsForWavesPerEU: 1
; NumVGPRsForWavesPerEU: 1
; Occupancy: 16
; WaveLimiterHint : 0
; COMPUTE_PGM_RSRC2:SCRATCH_EN: 0
; COMPUTE_PGM_RSRC2:USER_SGPR: 6
; COMPUTE_PGM_RSRC2:TRAP_HANDLER: 0
; COMPUTE_PGM_RSRC2:TGID_X_EN: 1
; COMPUTE_PGM_RSRC2:TGID_Y_EN: 0
; COMPUTE_PGM_RSRC2:TGID_Z_EN: 0
; COMPUTE_PGM_RSRC2:TIDIG_COMP_CNT: 0
	.section	.text._ZN7rocprim17ROCPRIM_400000_NS6detail17trampoline_kernelINS0_14default_configENS1_27lower_bound_config_selectorIslEEZNS1_14transform_implILb0ES3_S5_N6thrust23THRUST_200600_302600_NS6detail15normal_iteratorINS8_7pointerIsNS8_11hip_rocprim5par_tENS8_11use_defaultESE_EEEENSA_INSB_IlSD_SE_SE_EEEEZNS1_13binary_searchIS3_S5_PsSG_SI_NS1_21lower_bound_search_opENS9_16wrapped_functionINS8_6system6detail7generic6detail18binary_search_lessEbEEEE10hipError_tPvRmT1_T2_T3_mmT4_T5_P12ihipStream_tbEUlRKsE_EEST_SX_SY_mSZ_S12_bEUlT_E_NS1_11comp_targetILNS1_3genE5ELNS1_11target_archE942ELNS1_3gpuE9ELNS1_3repE0EEENS1_30default_config_static_selectorELNS0_4arch9wavefront6targetE0EEEvSW_,"axG",@progbits,_ZN7rocprim17ROCPRIM_400000_NS6detail17trampoline_kernelINS0_14default_configENS1_27lower_bound_config_selectorIslEEZNS1_14transform_implILb0ES3_S5_N6thrust23THRUST_200600_302600_NS6detail15normal_iteratorINS8_7pointerIsNS8_11hip_rocprim5par_tENS8_11use_defaultESE_EEEENSA_INSB_IlSD_SE_SE_EEEEZNS1_13binary_searchIS3_S5_PsSG_SI_NS1_21lower_bound_search_opENS9_16wrapped_functionINS8_6system6detail7generic6detail18binary_search_lessEbEEEE10hipError_tPvRmT1_T2_T3_mmT4_T5_P12ihipStream_tbEUlRKsE_EEST_SX_SY_mSZ_S12_bEUlT_E_NS1_11comp_targetILNS1_3genE5ELNS1_11target_archE942ELNS1_3gpuE9ELNS1_3repE0EEENS1_30default_config_static_selectorELNS0_4arch9wavefront6targetE0EEEvSW_,comdat
	.protected	_ZN7rocprim17ROCPRIM_400000_NS6detail17trampoline_kernelINS0_14default_configENS1_27lower_bound_config_selectorIslEEZNS1_14transform_implILb0ES3_S5_N6thrust23THRUST_200600_302600_NS6detail15normal_iteratorINS8_7pointerIsNS8_11hip_rocprim5par_tENS8_11use_defaultESE_EEEENSA_INSB_IlSD_SE_SE_EEEEZNS1_13binary_searchIS3_S5_PsSG_SI_NS1_21lower_bound_search_opENS9_16wrapped_functionINS8_6system6detail7generic6detail18binary_search_lessEbEEEE10hipError_tPvRmT1_T2_T3_mmT4_T5_P12ihipStream_tbEUlRKsE_EEST_SX_SY_mSZ_S12_bEUlT_E_NS1_11comp_targetILNS1_3genE5ELNS1_11target_archE942ELNS1_3gpuE9ELNS1_3repE0EEENS1_30default_config_static_selectorELNS0_4arch9wavefront6targetE0EEEvSW_ ; -- Begin function _ZN7rocprim17ROCPRIM_400000_NS6detail17trampoline_kernelINS0_14default_configENS1_27lower_bound_config_selectorIslEEZNS1_14transform_implILb0ES3_S5_N6thrust23THRUST_200600_302600_NS6detail15normal_iteratorINS8_7pointerIsNS8_11hip_rocprim5par_tENS8_11use_defaultESE_EEEENSA_INSB_IlSD_SE_SE_EEEEZNS1_13binary_searchIS3_S5_PsSG_SI_NS1_21lower_bound_search_opENS9_16wrapped_functionINS8_6system6detail7generic6detail18binary_search_lessEbEEEE10hipError_tPvRmT1_T2_T3_mmT4_T5_P12ihipStream_tbEUlRKsE_EEST_SX_SY_mSZ_S12_bEUlT_E_NS1_11comp_targetILNS1_3genE5ELNS1_11target_archE942ELNS1_3gpuE9ELNS1_3repE0EEENS1_30default_config_static_selectorELNS0_4arch9wavefront6targetE0EEEvSW_
	.globl	_ZN7rocprim17ROCPRIM_400000_NS6detail17trampoline_kernelINS0_14default_configENS1_27lower_bound_config_selectorIslEEZNS1_14transform_implILb0ES3_S5_N6thrust23THRUST_200600_302600_NS6detail15normal_iteratorINS8_7pointerIsNS8_11hip_rocprim5par_tENS8_11use_defaultESE_EEEENSA_INSB_IlSD_SE_SE_EEEEZNS1_13binary_searchIS3_S5_PsSG_SI_NS1_21lower_bound_search_opENS9_16wrapped_functionINS8_6system6detail7generic6detail18binary_search_lessEbEEEE10hipError_tPvRmT1_T2_T3_mmT4_T5_P12ihipStream_tbEUlRKsE_EEST_SX_SY_mSZ_S12_bEUlT_E_NS1_11comp_targetILNS1_3genE5ELNS1_11target_archE942ELNS1_3gpuE9ELNS1_3repE0EEENS1_30default_config_static_selectorELNS0_4arch9wavefront6targetE0EEEvSW_
	.p2align	8
	.type	_ZN7rocprim17ROCPRIM_400000_NS6detail17trampoline_kernelINS0_14default_configENS1_27lower_bound_config_selectorIslEEZNS1_14transform_implILb0ES3_S5_N6thrust23THRUST_200600_302600_NS6detail15normal_iteratorINS8_7pointerIsNS8_11hip_rocprim5par_tENS8_11use_defaultESE_EEEENSA_INSB_IlSD_SE_SE_EEEEZNS1_13binary_searchIS3_S5_PsSG_SI_NS1_21lower_bound_search_opENS9_16wrapped_functionINS8_6system6detail7generic6detail18binary_search_lessEbEEEE10hipError_tPvRmT1_T2_T3_mmT4_T5_P12ihipStream_tbEUlRKsE_EEST_SX_SY_mSZ_S12_bEUlT_E_NS1_11comp_targetILNS1_3genE5ELNS1_11target_archE942ELNS1_3gpuE9ELNS1_3repE0EEENS1_30default_config_static_selectorELNS0_4arch9wavefront6targetE0EEEvSW_,@function
_ZN7rocprim17ROCPRIM_400000_NS6detail17trampoline_kernelINS0_14default_configENS1_27lower_bound_config_selectorIslEEZNS1_14transform_implILb0ES3_S5_N6thrust23THRUST_200600_302600_NS6detail15normal_iteratorINS8_7pointerIsNS8_11hip_rocprim5par_tENS8_11use_defaultESE_EEEENSA_INSB_IlSD_SE_SE_EEEEZNS1_13binary_searchIS3_S5_PsSG_SI_NS1_21lower_bound_search_opENS9_16wrapped_functionINS8_6system6detail7generic6detail18binary_search_lessEbEEEE10hipError_tPvRmT1_T2_T3_mmT4_T5_P12ihipStream_tbEUlRKsE_EEST_SX_SY_mSZ_S12_bEUlT_E_NS1_11comp_targetILNS1_3genE5ELNS1_11target_archE942ELNS1_3gpuE9ELNS1_3repE0EEENS1_30default_config_static_selectorELNS0_4arch9wavefront6targetE0EEEvSW_: ; @_ZN7rocprim17ROCPRIM_400000_NS6detail17trampoline_kernelINS0_14default_configENS1_27lower_bound_config_selectorIslEEZNS1_14transform_implILb0ES3_S5_N6thrust23THRUST_200600_302600_NS6detail15normal_iteratorINS8_7pointerIsNS8_11hip_rocprim5par_tENS8_11use_defaultESE_EEEENSA_INSB_IlSD_SE_SE_EEEEZNS1_13binary_searchIS3_S5_PsSG_SI_NS1_21lower_bound_search_opENS9_16wrapped_functionINS8_6system6detail7generic6detail18binary_search_lessEbEEEE10hipError_tPvRmT1_T2_T3_mmT4_T5_P12ihipStream_tbEUlRKsE_EEST_SX_SY_mSZ_S12_bEUlT_E_NS1_11comp_targetILNS1_3genE5ELNS1_11target_archE942ELNS1_3gpuE9ELNS1_3repE0EEENS1_30default_config_static_selectorELNS0_4arch9wavefront6targetE0EEEvSW_
; %bb.0:
	.section	.rodata,"a",@progbits
	.p2align	6, 0x0
	.amdhsa_kernel _ZN7rocprim17ROCPRIM_400000_NS6detail17trampoline_kernelINS0_14default_configENS1_27lower_bound_config_selectorIslEEZNS1_14transform_implILb0ES3_S5_N6thrust23THRUST_200600_302600_NS6detail15normal_iteratorINS8_7pointerIsNS8_11hip_rocprim5par_tENS8_11use_defaultESE_EEEENSA_INSB_IlSD_SE_SE_EEEEZNS1_13binary_searchIS3_S5_PsSG_SI_NS1_21lower_bound_search_opENS9_16wrapped_functionINS8_6system6detail7generic6detail18binary_search_lessEbEEEE10hipError_tPvRmT1_T2_T3_mmT4_T5_P12ihipStream_tbEUlRKsE_EEST_SX_SY_mSZ_S12_bEUlT_E_NS1_11comp_targetILNS1_3genE5ELNS1_11target_archE942ELNS1_3gpuE9ELNS1_3repE0EEENS1_30default_config_static_selectorELNS0_4arch9wavefront6targetE0EEEvSW_
		.amdhsa_group_segment_fixed_size 0
		.amdhsa_private_segment_fixed_size 0
		.amdhsa_kernarg_size 56
		.amdhsa_user_sgpr_count 6
		.amdhsa_user_sgpr_private_segment_buffer 1
		.amdhsa_user_sgpr_dispatch_ptr 0
		.amdhsa_user_sgpr_queue_ptr 0
		.amdhsa_user_sgpr_kernarg_segment_ptr 1
		.amdhsa_user_sgpr_dispatch_id 0
		.amdhsa_user_sgpr_flat_scratch_init 0
		.amdhsa_user_sgpr_private_segment_size 0
		.amdhsa_wavefront_size32 1
		.amdhsa_uses_dynamic_stack 0
		.amdhsa_system_sgpr_private_segment_wavefront_offset 0
		.amdhsa_system_sgpr_workgroup_id_x 1
		.amdhsa_system_sgpr_workgroup_id_y 0
		.amdhsa_system_sgpr_workgroup_id_z 0
		.amdhsa_system_sgpr_workgroup_info 0
		.amdhsa_system_vgpr_workitem_id 0
		.amdhsa_next_free_vgpr 1
		.amdhsa_next_free_sgpr 1
		.amdhsa_reserve_vcc 0
		.amdhsa_reserve_flat_scratch 0
		.amdhsa_float_round_mode_32 0
		.amdhsa_float_round_mode_16_64 0
		.amdhsa_float_denorm_mode_32 3
		.amdhsa_float_denorm_mode_16_64 3
		.amdhsa_dx10_clamp 1
		.amdhsa_ieee_mode 1
		.amdhsa_fp16_overflow 0
		.amdhsa_workgroup_processor_mode 1
		.amdhsa_memory_ordered 1
		.amdhsa_forward_progress 1
		.amdhsa_shared_vgpr_count 0
		.amdhsa_exception_fp_ieee_invalid_op 0
		.amdhsa_exception_fp_denorm_src 0
		.amdhsa_exception_fp_ieee_div_zero 0
		.amdhsa_exception_fp_ieee_overflow 0
		.amdhsa_exception_fp_ieee_underflow 0
		.amdhsa_exception_fp_ieee_inexact 0
		.amdhsa_exception_int_div_zero 0
	.end_amdhsa_kernel
	.section	.text._ZN7rocprim17ROCPRIM_400000_NS6detail17trampoline_kernelINS0_14default_configENS1_27lower_bound_config_selectorIslEEZNS1_14transform_implILb0ES3_S5_N6thrust23THRUST_200600_302600_NS6detail15normal_iteratorINS8_7pointerIsNS8_11hip_rocprim5par_tENS8_11use_defaultESE_EEEENSA_INSB_IlSD_SE_SE_EEEEZNS1_13binary_searchIS3_S5_PsSG_SI_NS1_21lower_bound_search_opENS9_16wrapped_functionINS8_6system6detail7generic6detail18binary_search_lessEbEEEE10hipError_tPvRmT1_T2_T3_mmT4_T5_P12ihipStream_tbEUlRKsE_EEST_SX_SY_mSZ_S12_bEUlT_E_NS1_11comp_targetILNS1_3genE5ELNS1_11target_archE942ELNS1_3gpuE9ELNS1_3repE0EEENS1_30default_config_static_selectorELNS0_4arch9wavefront6targetE0EEEvSW_,"axG",@progbits,_ZN7rocprim17ROCPRIM_400000_NS6detail17trampoline_kernelINS0_14default_configENS1_27lower_bound_config_selectorIslEEZNS1_14transform_implILb0ES3_S5_N6thrust23THRUST_200600_302600_NS6detail15normal_iteratorINS8_7pointerIsNS8_11hip_rocprim5par_tENS8_11use_defaultESE_EEEENSA_INSB_IlSD_SE_SE_EEEEZNS1_13binary_searchIS3_S5_PsSG_SI_NS1_21lower_bound_search_opENS9_16wrapped_functionINS8_6system6detail7generic6detail18binary_search_lessEbEEEE10hipError_tPvRmT1_T2_T3_mmT4_T5_P12ihipStream_tbEUlRKsE_EEST_SX_SY_mSZ_S12_bEUlT_E_NS1_11comp_targetILNS1_3genE5ELNS1_11target_archE942ELNS1_3gpuE9ELNS1_3repE0EEENS1_30default_config_static_selectorELNS0_4arch9wavefront6targetE0EEEvSW_,comdat
.Lfunc_end153:
	.size	_ZN7rocprim17ROCPRIM_400000_NS6detail17trampoline_kernelINS0_14default_configENS1_27lower_bound_config_selectorIslEEZNS1_14transform_implILb0ES3_S5_N6thrust23THRUST_200600_302600_NS6detail15normal_iteratorINS8_7pointerIsNS8_11hip_rocprim5par_tENS8_11use_defaultESE_EEEENSA_INSB_IlSD_SE_SE_EEEEZNS1_13binary_searchIS3_S5_PsSG_SI_NS1_21lower_bound_search_opENS9_16wrapped_functionINS8_6system6detail7generic6detail18binary_search_lessEbEEEE10hipError_tPvRmT1_T2_T3_mmT4_T5_P12ihipStream_tbEUlRKsE_EEST_SX_SY_mSZ_S12_bEUlT_E_NS1_11comp_targetILNS1_3genE5ELNS1_11target_archE942ELNS1_3gpuE9ELNS1_3repE0EEENS1_30default_config_static_selectorELNS0_4arch9wavefront6targetE0EEEvSW_, .Lfunc_end153-_ZN7rocprim17ROCPRIM_400000_NS6detail17trampoline_kernelINS0_14default_configENS1_27lower_bound_config_selectorIslEEZNS1_14transform_implILb0ES3_S5_N6thrust23THRUST_200600_302600_NS6detail15normal_iteratorINS8_7pointerIsNS8_11hip_rocprim5par_tENS8_11use_defaultESE_EEEENSA_INSB_IlSD_SE_SE_EEEEZNS1_13binary_searchIS3_S5_PsSG_SI_NS1_21lower_bound_search_opENS9_16wrapped_functionINS8_6system6detail7generic6detail18binary_search_lessEbEEEE10hipError_tPvRmT1_T2_T3_mmT4_T5_P12ihipStream_tbEUlRKsE_EEST_SX_SY_mSZ_S12_bEUlT_E_NS1_11comp_targetILNS1_3genE5ELNS1_11target_archE942ELNS1_3gpuE9ELNS1_3repE0EEENS1_30default_config_static_selectorELNS0_4arch9wavefront6targetE0EEEvSW_
                                        ; -- End function
	.set _ZN7rocprim17ROCPRIM_400000_NS6detail17trampoline_kernelINS0_14default_configENS1_27lower_bound_config_selectorIslEEZNS1_14transform_implILb0ES3_S5_N6thrust23THRUST_200600_302600_NS6detail15normal_iteratorINS8_7pointerIsNS8_11hip_rocprim5par_tENS8_11use_defaultESE_EEEENSA_INSB_IlSD_SE_SE_EEEEZNS1_13binary_searchIS3_S5_PsSG_SI_NS1_21lower_bound_search_opENS9_16wrapped_functionINS8_6system6detail7generic6detail18binary_search_lessEbEEEE10hipError_tPvRmT1_T2_T3_mmT4_T5_P12ihipStream_tbEUlRKsE_EEST_SX_SY_mSZ_S12_bEUlT_E_NS1_11comp_targetILNS1_3genE5ELNS1_11target_archE942ELNS1_3gpuE9ELNS1_3repE0EEENS1_30default_config_static_selectorELNS0_4arch9wavefront6targetE0EEEvSW_.num_vgpr, 0
	.set _ZN7rocprim17ROCPRIM_400000_NS6detail17trampoline_kernelINS0_14default_configENS1_27lower_bound_config_selectorIslEEZNS1_14transform_implILb0ES3_S5_N6thrust23THRUST_200600_302600_NS6detail15normal_iteratorINS8_7pointerIsNS8_11hip_rocprim5par_tENS8_11use_defaultESE_EEEENSA_INSB_IlSD_SE_SE_EEEEZNS1_13binary_searchIS3_S5_PsSG_SI_NS1_21lower_bound_search_opENS9_16wrapped_functionINS8_6system6detail7generic6detail18binary_search_lessEbEEEE10hipError_tPvRmT1_T2_T3_mmT4_T5_P12ihipStream_tbEUlRKsE_EEST_SX_SY_mSZ_S12_bEUlT_E_NS1_11comp_targetILNS1_3genE5ELNS1_11target_archE942ELNS1_3gpuE9ELNS1_3repE0EEENS1_30default_config_static_selectorELNS0_4arch9wavefront6targetE0EEEvSW_.num_agpr, 0
	.set _ZN7rocprim17ROCPRIM_400000_NS6detail17trampoline_kernelINS0_14default_configENS1_27lower_bound_config_selectorIslEEZNS1_14transform_implILb0ES3_S5_N6thrust23THRUST_200600_302600_NS6detail15normal_iteratorINS8_7pointerIsNS8_11hip_rocprim5par_tENS8_11use_defaultESE_EEEENSA_INSB_IlSD_SE_SE_EEEEZNS1_13binary_searchIS3_S5_PsSG_SI_NS1_21lower_bound_search_opENS9_16wrapped_functionINS8_6system6detail7generic6detail18binary_search_lessEbEEEE10hipError_tPvRmT1_T2_T3_mmT4_T5_P12ihipStream_tbEUlRKsE_EEST_SX_SY_mSZ_S12_bEUlT_E_NS1_11comp_targetILNS1_3genE5ELNS1_11target_archE942ELNS1_3gpuE9ELNS1_3repE0EEENS1_30default_config_static_selectorELNS0_4arch9wavefront6targetE0EEEvSW_.numbered_sgpr, 0
	.set _ZN7rocprim17ROCPRIM_400000_NS6detail17trampoline_kernelINS0_14default_configENS1_27lower_bound_config_selectorIslEEZNS1_14transform_implILb0ES3_S5_N6thrust23THRUST_200600_302600_NS6detail15normal_iteratorINS8_7pointerIsNS8_11hip_rocprim5par_tENS8_11use_defaultESE_EEEENSA_INSB_IlSD_SE_SE_EEEEZNS1_13binary_searchIS3_S5_PsSG_SI_NS1_21lower_bound_search_opENS9_16wrapped_functionINS8_6system6detail7generic6detail18binary_search_lessEbEEEE10hipError_tPvRmT1_T2_T3_mmT4_T5_P12ihipStream_tbEUlRKsE_EEST_SX_SY_mSZ_S12_bEUlT_E_NS1_11comp_targetILNS1_3genE5ELNS1_11target_archE942ELNS1_3gpuE9ELNS1_3repE0EEENS1_30default_config_static_selectorELNS0_4arch9wavefront6targetE0EEEvSW_.num_named_barrier, 0
	.set _ZN7rocprim17ROCPRIM_400000_NS6detail17trampoline_kernelINS0_14default_configENS1_27lower_bound_config_selectorIslEEZNS1_14transform_implILb0ES3_S5_N6thrust23THRUST_200600_302600_NS6detail15normal_iteratorINS8_7pointerIsNS8_11hip_rocprim5par_tENS8_11use_defaultESE_EEEENSA_INSB_IlSD_SE_SE_EEEEZNS1_13binary_searchIS3_S5_PsSG_SI_NS1_21lower_bound_search_opENS9_16wrapped_functionINS8_6system6detail7generic6detail18binary_search_lessEbEEEE10hipError_tPvRmT1_T2_T3_mmT4_T5_P12ihipStream_tbEUlRKsE_EEST_SX_SY_mSZ_S12_bEUlT_E_NS1_11comp_targetILNS1_3genE5ELNS1_11target_archE942ELNS1_3gpuE9ELNS1_3repE0EEENS1_30default_config_static_selectorELNS0_4arch9wavefront6targetE0EEEvSW_.private_seg_size, 0
	.set _ZN7rocprim17ROCPRIM_400000_NS6detail17trampoline_kernelINS0_14default_configENS1_27lower_bound_config_selectorIslEEZNS1_14transform_implILb0ES3_S5_N6thrust23THRUST_200600_302600_NS6detail15normal_iteratorINS8_7pointerIsNS8_11hip_rocprim5par_tENS8_11use_defaultESE_EEEENSA_INSB_IlSD_SE_SE_EEEEZNS1_13binary_searchIS3_S5_PsSG_SI_NS1_21lower_bound_search_opENS9_16wrapped_functionINS8_6system6detail7generic6detail18binary_search_lessEbEEEE10hipError_tPvRmT1_T2_T3_mmT4_T5_P12ihipStream_tbEUlRKsE_EEST_SX_SY_mSZ_S12_bEUlT_E_NS1_11comp_targetILNS1_3genE5ELNS1_11target_archE942ELNS1_3gpuE9ELNS1_3repE0EEENS1_30default_config_static_selectorELNS0_4arch9wavefront6targetE0EEEvSW_.uses_vcc, 0
	.set _ZN7rocprim17ROCPRIM_400000_NS6detail17trampoline_kernelINS0_14default_configENS1_27lower_bound_config_selectorIslEEZNS1_14transform_implILb0ES3_S5_N6thrust23THRUST_200600_302600_NS6detail15normal_iteratorINS8_7pointerIsNS8_11hip_rocprim5par_tENS8_11use_defaultESE_EEEENSA_INSB_IlSD_SE_SE_EEEEZNS1_13binary_searchIS3_S5_PsSG_SI_NS1_21lower_bound_search_opENS9_16wrapped_functionINS8_6system6detail7generic6detail18binary_search_lessEbEEEE10hipError_tPvRmT1_T2_T3_mmT4_T5_P12ihipStream_tbEUlRKsE_EEST_SX_SY_mSZ_S12_bEUlT_E_NS1_11comp_targetILNS1_3genE5ELNS1_11target_archE942ELNS1_3gpuE9ELNS1_3repE0EEENS1_30default_config_static_selectorELNS0_4arch9wavefront6targetE0EEEvSW_.uses_flat_scratch, 0
	.set _ZN7rocprim17ROCPRIM_400000_NS6detail17trampoline_kernelINS0_14default_configENS1_27lower_bound_config_selectorIslEEZNS1_14transform_implILb0ES3_S5_N6thrust23THRUST_200600_302600_NS6detail15normal_iteratorINS8_7pointerIsNS8_11hip_rocprim5par_tENS8_11use_defaultESE_EEEENSA_INSB_IlSD_SE_SE_EEEEZNS1_13binary_searchIS3_S5_PsSG_SI_NS1_21lower_bound_search_opENS9_16wrapped_functionINS8_6system6detail7generic6detail18binary_search_lessEbEEEE10hipError_tPvRmT1_T2_T3_mmT4_T5_P12ihipStream_tbEUlRKsE_EEST_SX_SY_mSZ_S12_bEUlT_E_NS1_11comp_targetILNS1_3genE5ELNS1_11target_archE942ELNS1_3gpuE9ELNS1_3repE0EEENS1_30default_config_static_selectorELNS0_4arch9wavefront6targetE0EEEvSW_.has_dyn_sized_stack, 0
	.set _ZN7rocprim17ROCPRIM_400000_NS6detail17trampoline_kernelINS0_14default_configENS1_27lower_bound_config_selectorIslEEZNS1_14transform_implILb0ES3_S5_N6thrust23THRUST_200600_302600_NS6detail15normal_iteratorINS8_7pointerIsNS8_11hip_rocprim5par_tENS8_11use_defaultESE_EEEENSA_INSB_IlSD_SE_SE_EEEEZNS1_13binary_searchIS3_S5_PsSG_SI_NS1_21lower_bound_search_opENS9_16wrapped_functionINS8_6system6detail7generic6detail18binary_search_lessEbEEEE10hipError_tPvRmT1_T2_T3_mmT4_T5_P12ihipStream_tbEUlRKsE_EEST_SX_SY_mSZ_S12_bEUlT_E_NS1_11comp_targetILNS1_3genE5ELNS1_11target_archE942ELNS1_3gpuE9ELNS1_3repE0EEENS1_30default_config_static_selectorELNS0_4arch9wavefront6targetE0EEEvSW_.has_recursion, 0
	.set _ZN7rocprim17ROCPRIM_400000_NS6detail17trampoline_kernelINS0_14default_configENS1_27lower_bound_config_selectorIslEEZNS1_14transform_implILb0ES3_S5_N6thrust23THRUST_200600_302600_NS6detail15normal_iteratorINS8_7pointerIsNS8_11hip_rocprim5par_tENS8_11use_defaultESE_EEEENSA_INSB_IlSD_SE_SE_EEEEZNS1_13binary_searchIS3_S5_PsSG_SI_NS1_21lower_bound_search_opENS9_16wrapped_functionINS8_6system6detail7generic6detail18binary_search_lessEbEEEE10hipError_tPvRmT1_T2_T3_mmT4_T5_P12ihipStream_tbEUlRKsE_EEST_SX_SY_mSZ_S12_bEUlT_E_NS1_11comp_targetILNS1_3genE5ELNS1_11target_archE942ELNS1_3gpuE9ELNS1_3repE0EEENS1_30default_config_static_selectorELNS0_4arch9wavefront6targetE0EEEvSW_.has_indirect_call, 0
	.section	.AMDGPU.csdata,"",@progbits
; Kernel info:
; codeLenInByte = 0
; TotalNumSgprs: 0
; NumVgprs: 0
; ScratchSize: 0
; MemoryBound: 0
; FloatMode: 240
; IeeeMode: 1
; LDSByteSize: 0 bytes/workgroup (compile time only)
; SGPRBlocks: 0
; VGPRBlocks: 0
; NumSGPRsForWavesPerEU: 1
; NumVGPRsForWavesPerEU: 1
; Occupancy: 16
; WaveLimiterHint : 0
; COMPUTE_PGM_RSRC2:SCRATCH_EN: 0
; COMPUTE_PGM_RSRC2:USER_SGPR: 6
; COMPUTE_PGM_RSRC2:TRAP_HANDLER: 0
; COMPUTE_PGM_RSRC2:TGID_X_EN: 1
; COMPUTE_PGM_RSRC2:TGID_Y_EN: 0
; COMPUTE_PGM_RSRC2:TGID_Z_EN: 0
; COMPUTE_PGM_RSRC2:TIDIG_COMP_CNT: 0
	.section	.text._ZN7rocprim17ROCPRIM_400000_NS6detail17trampoline_kernelINS0_14default_configENS1_27lower_bound_config_selectorIslEEZNS1_14transform_implILb0ES3_S5_N6thrust23THRUST_200600_302600_NS6detail15normal_iteratorINS8_7pointerIsNS8_11hip_rocprim5par_tENS8_11use_defaultESE_EEEENSA_INSB_IlSD_SE_SE_EEEEZNS1_13binary_searchIS3_S5_PsSG_SI_NS1_21lower_bound_search_opENS9_16wrapped_functionINS8_6system6detail7generic6detail18binary_search_lessEbEEEE10hipError_tPvRmT1_T2_T3_mmT4_T5_P12ihipStream_tbEUlRKsE_EEST_SX_SY_mSZ_S12_bEUlT_E_NS1_11comp_targetILNS1_3genE4ELNS1_11target_archE910ELNS1_3gpuE8ELNS1_3repE0EEENS1_30default_config_static_selectorELNS0_4arch9wavefront6targetE0EEEvSW_,"axG",@progbits,_ZN7rocprim17ROCPRIM_400000_NS6detail17trampoline_kernelINS0_14default_configENS1_27lower_bound_config_selectorIslEEZNS1_14transform_implILb0ES3_S5_N6thrust23THRUST_200600_302600_NS6detail15normal_iteratorINS8_7pointerIsNS8_11hip_rocprim5par_tENS8_11use_defaultESE_EEEENSA_INSB_IlSD_SE_SE_EEEEZNS1_13binary_searchIS3_S5_PsSG_SI_NS1_21lower_bound_search_opENS9_16wrapped_functionINS8_6system6detail7generic6detail18binary_search_lessEbEEEE10hipError_tPvRmT1_T2_T3_mmT4_T5_P12ihipStream_tbEUlRKsE_EEST_SX_SY_mSZ_S12_bEUlT_E_NS1_11comp_targetILNS1_3genE4ELNS1_11target_archE910ELNS1_3gpuE8ELNS1_3repE0EEENS1_30default_config_static_selectorELNS0_4arch9wavefront6targetE0EEEvSW_,comdat
	.protected	_ZN7rocprim17ROCPRIM_400000_NS6detail17trampoline_kernelINS0_14default_configENS1_27lower_bound_config_selectorIslEEZNS1_14transform_implILb0ES3_S5_N6thrust23THRUST_200600_302600_NS6detail15normal_iteratorINS8_7pointerIsNS8_11hip_rocprim5par_tENS8_11use_defaultESE_EEEENSA_INSB_IlSD_SE_SE_EEEEZNS1_13binary_searchIS3_S5_PsSG_SI_NS1_21lower_bound_search_opENS9_16wrapped_functionINS8_6system6detail7generic6detail18binary_search_lessEbEEEE10hipError_tPvRmT1_T2_T3_mmT4_T5_P12ihipStream_tbEUlRKsE_EEST_SX_SY_mSZ_S12_bEUlT_E_NS1_11comp_targetILNS1_3genE4ELNS1_11target_archE910ELNS1_3gpuE8ELNS1_3repE0EEENS1_30default_config_static_selectorELNS0_4arch9wavefront6targetE0EEEvSW_ ; -- Begin function _ZN7rocprim17ROCPRIM_400000_NS6detail17trampoline_kernelINS0_14default_configENS1_27lower_bound_config_selectorIslEEZNS1_14transform_implILb0ES3_S5_N6thrust23THRUST_200600_302600_NS6detail15normal_iteratorINS8_7pointerIsNS8_11hip_rocprim5par_tENS8_11use_defaultESE_EEEENSA_INSB_IlSD_SE_SE_EEEEZNS1_13binary_searchIS3_S5_PsSG_SI_NS1_21lower_bound_search_opENS9_16wrapped_functionINS8_6system6detail7generic6detail18binary_search_lessEbEEEE10hipError_tPvRmT1_T2_T3_mmT4_T5_P12ihipStream_tbEUlRKsE_EEST_SX_SY_mSZ_S12_bEUlT_E_NS1_11comp_targetILNS1_3genE4ELNS1_11target_archE910ELNS1_3gpuE8ELNS1_3repE0EEENS1_30default_config_static_selectorELNS0_4arch9wavefront6targetE0EEEvSW_
	.globl	_ZN7rocprim17ROCPRIM_400000_NS6detail17trampoline_kernelINS0_14default_configENS1_27lower_bound_config_selectorIslEEZNS1_14transform_implILb0ES3_S5_N6thrust23THRUST_200600_302600_NS6detail15normal_iteratorINS8_7pointerIsNS8_11hip_rocprim5par_tENS8_11use_defaultESE_EEEENSA_INSB_IlSD_SE_SE_EEEEZNS1_13binary_searchIS3_S5_PsSG_SI_NS1_21lower_bound_search_opENS9_16wrapped_functionINS8_6system6detail7generic6detail18binary_search_lessEbEEEE10hipError_tPvRmT1_T2_T3_mmT4_T5_P12ihipStream_tbEUlRKsE_EEST_SX_SY_mSZ_S12_bEUlT_E_NS1_11comp_targetILNS1_3genE4ELNS1_11target_archE910ELNS1_3gpuE8ELNS1_3repE0EEENS1_30default_config_static_selectorELNS0_4arch9wavefront6targetE0EEEvSW_
	.p2align	8
	.type	_ZN7rocprim17ROCPRIM_400000_NS6detail17trampoline_kernelINS0_14default_configENS1_27lower_bound_config_selectorIslEEZNS1_14transform_implILb0ES3_S5_N6thrust23THRUST_200600_302600_NS6detail15normal_iteratorINS8_7pointerIsNS8_11hip_rocprim5par_tENS8_11use_defaultESE_EEEENSA_INSB_IlSD_SE_SE_EEEEZNS1_13binary_searchIS3_S5_PsSG_SI_NS1_21lower_bound_search_opENS9_16wrapped_functionINS8_6system6detail7generic6detail18binary_search_lessEbEEEE10hipError_tPvRmT1_T2_T3_mmT4_T5_P12ihipStream_tbEUlRKsE_EEST_SX_SY_mSZ_S12_bEUlT_E_NS1_11comp_targetILNS1_3genE4ELNS1_11target_archE910ELNS1_3gpuE8ELNS1_3repE0EEENS1_30default_config_static_selectorELNS0_4arch9wavefront6targetE0EEEvSW_,@function
_ZN7rocprim17ROCPRIM_400000_NS6detail17trampoline_kernelINS0_14default_configENS1_27lower_bound_config_selectorIslEEZNS1_14transform_implILb0ES3_S5_N6thrust23THRUST_200600_302600_NS6detail15normal_iteratorINS8_7pointerIsNS8_11hip_rocprim5par_tENS8_11use_defaultESE_EEEENSA_INSB_IlSD_SE_SE_EEEEZNS1_13binary_searchIS3_S5_PsSG_SI_NS1_21lower_bound_search_opENS9_16wrapped_functionINS8_6system6detail7generic6detail18binary_search_lessEbEEEE10hipError_tPvRmT1_T2_T3_mmT4_T5_P12ihipStream_tbEUlRKsE_EEST_SX_SY_mSZ_S12_bEUlT_E_NS1_11comp_targetILNS1_3genE4ELNS1_11target_archE910ELNS1_3gpuE8ELNS1_3repE0EEENS1_30default_config_static_selectorELNS0_4arch9wavefront6targetE0EEEvSW_: ; @_ZN7rocprim17ROCPRIM_400000_NS6detail17trampoline_kernelINS0_14default_configENS1_27lower_bound_config_selectorIslEEZNS1_14transform_implILb0ES3_S5_N6thrust23THRUST_200600_302600_NS6detail15normal_iteratorINS8_7pointerIsNS8_11hip_rocprim5par_tENS8_11use_defaultESE_EEEENSA_INSB_IlSD_SE_SE_EEEEZNS1_13binary_searchIS3_S5_PsSG_SI_NS1_21lower_bound_search_opENS9_16wrapped_functionINS8_6system6detail7generic6detail18binary_search_lessEbEEEE10hipError_tPvRmT1_T2_T3_mmT4_T5_P12ihipStream_tbEUlRKsE_EEST_SX_SY_mSZ_S12_bEUlT_E_NS1_11comp_targetILNS1_3genE4ELNS1_11target_archE910ELNS1_3gpuE8ELNS1_3repE0EEENS1_30default_config_static_selectorELNS0_4arch9wavefront6targetE0EEEvSW_
; %bb.0:
	.section	.rodata,"a",@progbits
	.p2align	6, 0x0
	.amdhsa_kernel _ZN7rocprim17ROCPRIM_400000_NS6detail17trampoline_kernelINS0_14default_configENS1_27lower_bound_config_selectorIslEEZNS1_14transform_implILb0ES3_S5_N6thrust23THRUST_200600_302600_NS6detail15normal_iteratorINS8_7pointerIsNS8_11hip_rocprim5par_tENS8_11use_defaultESE_EEEENSA_INSB_IlSD_SE_SE_EEEEZNS1_13binary_searchIS3_S5_PsSG_SI_NS1_21lower_bound_search_opENS9_16wrapped_functionINS8_6system6detail7generic6detail18binary_search_lessEbEEEE10hipError_tPvRmT1_T2_T3_mmT4_T5_P12ihipStream_tbEUlRKsE_EEST_SX_SY_mSZ_S12_bEUlT_E_NS1_11comp_targetILNS1_3genE4ELNS1_11target_archE910ELNS1_3gpuE8ELNS1_3repE0EEENS1_30default_config_static_selectorELNS0_4arch9wavefront6targetE0EEEvSW_
		.amdhsa_group_segment_fixed_size 0
		.amdhsa_private_segment_fixed_size 0
		.amdhsa_kernarg_size 56
		.amdhsa_user_sgpr_count 6
		.amdhsa_user_sgpr_private_segment_buffer 1
		.amdhsa_user_sgpr_dispatch_ptr 0
		.amdhsa_user_sgpr_queue_ptr 0
		.amdhsa_user_sgpr_kernarg_segment_ptr 1
		.amdhsa_user_sgpr_dispatch_id 0
		.amdhsa_user_sgpr_flat_scratch_init 0
		.amdhsa_user_sgpr_private_segment_size 0
		.amdhsa_wavefront_size32 1
		.amdhsa_uses_dynamic_stack 0
		.amdhsa_system_sgpr_private_segment_wavefront_offset 0
		.amdhsa_system_sgpr_workgroup_id_x 1
		.amdhsa_system_sgpr_workgroup_id_y 0
		.amdhsa_system_sgpr_workgroup_id_z 0
		.amdhsa_system_sgpr_workgroup_info 0
		.amdhsa_system_vgpr_workitem_id 0
		.amdhsa_next_free_vgpr 1
		.amdhsa_next_free_sgpr 1
		.amdhsa_reserve_vcc 0
		.amdhsa_reserve_flat_scratch 0
		.amdhsa_float_round_mode_32 0
		.amdhsa_float_round_mode_16_64 0
		.amdhsa_float_denorm_mode_32 3
		.amdhsa_float_denorm_mode_16_64 3
		.amdhsa_dx10_clamp 1
		.amdhsa_ieee_mode 1
		.amdhsa_fp16_overflow 0
		.amdhsa_workgroup_processor_mode 1
		.amdhsa_memory_ordered 1
		.amdhsa_forward_progress 1
		.amdhsa_shared_vgpr_count 0
		.amdhsa_exception_fp_ieee_invalid_op 0
		.amdhsa_exception_fp_denorm_src 0
		.amdhsa_exception_fp_ieee_div_zero 0
		.amdhsa_exception_fp_ieee_overflow 0
		.amdhsa_exception_fp_ieee_underflow 0
		.amdhsa_exception_fp_ieee_inexact 0
		.amdhsa_exception_int_div_zero 0
	.end_amdhsa_kernel
	.section	.text._ZN7rocprim17ROCPRIM_400000_NS6detail17trampoline_kernelINS0_14default_configENS1_27lower_bound_config_selectorIslEEZNS1_14transform_implILb0ES3_S5_N6thrust23THRUST_200600_302600_NS6detail15normal_iteratorINS8_7pointerIsNS8_11hip_rocprim5par_tENS8_11use_defaultESE_EEEENSA_INSB_IlSD_SE_SE_EEEEZNS1_13binary_searchIS3_S5_PsSG_SI_NS1_21lower_bound_search_opENS9_16wrapped_functionINS8_6system6detail7generic6detail18binary_search_lessEbEEEE10hipError_tPvRmT1_T2_T3_mmT4_T5_P12ihipStream_tbEUlRKsE_EEST_SX_SY_mSZ_S12_bEUlT_E_NS1_11comp_targetILNS1_3genE4ELNS1_11target_archE910ELNS1_3gpuE8ELNS1_3repE0EEENS1_30default_config_static_selectorELNS0_4arch9wavefront6targetE0EEEvSW_,"axG",@progbits,_ZN7rocprim17ROCPRIM_400000_NS6detail17trampoline_kernelINS0_14default_configENS1_27lower_bound_config_selectorIslEEZNS1_14transform_implILb0ES3_S5_N6thrust23THRUST_200600_302600_NS6detail15normal_iteratorINS8_7pointerIsNS8_11hip_rocprim5par_tENS8_11use_defaultESE_EEEENSA_INSB_IlSD_SE_SE_EEEEZNS1_13binary_searchIS3_S5_PsSG_SI_NS1_21lower_bound_search_opENS9_16wrapped_functionINS8_6system6detail7generic6detail18binary_search_lessEbEEEE10hipError_tPvRmT1_T2_T3_mmT4_T5_P12ihipStream_tbEUlRKsE_EEST_SX_SY_mSZ_S12_bEUlT_E_NS1_11comp_targetILNS1_3genE4ELNS1_11target_archE910ELNS1_3gpuE8ELNS1_3repE0EEENS1_30default_config_static_selectorELNS0_4arch9wavefront6targetE0EEEvSW_,comdat
.Lfunc_end154:
	.size	_ZN7rocprim17ROCPRIM_400000_NS6detail17trampoline_kernelINS0_14default_configENS1_27lower_bound_config_selectorIslEEZNS1_14transform_implILb0ES3_S5_N6thrust23THRUST_200600_302600_NS6detail15normal_iteratorINS8_7pointerIsNS8_11hip_rocprim5par_tENS8_11use_defaultESE_EEEENSA_INSB_IlSD_SE_SE_EEEEZNS1_13binary_searchIS3_S5_PsSG_SI_NS1_21lower_bound_search_opENS9_16wrapped_functionINS8_6system6detail7generic6detail18binary_search_lessEbEEEE10hipError_tPvRmT1_T2_T3_mmT4_T5_P12ihipStream_tbEUlRKsE_EEST_SX_SY_mSZ_S12_bEUlT_E_NS1_11comp_targetILNS1_3genE4ELNS1_11target_archE910ELNS1_3gpuE8ELNS1_3repE0EEENS1_30default_config_static_selectorELNS0_4arch9wavefront6targetE0EEEvSW_, .Lfunc_end154-_ZN7rocprim17ROCPRIM_400000_NS6detail17trampoline_kernelINS0_14default_configENS1_27lower_bound_config_selectorIslEEZNS1_14transform_implILb0ES3_S5_N6thrust23THRUST_200600_302600_NS6detail15normal_iteratorINS8_7pointerIsNS8_11hip_rocprim5par_tENS8_11use_defaultESE_EEEENSA_INSB_IlSD_SE_SE_EEEEZNS1_13binary_searchIS3_S5_PsSG_SI_NS1_21lower_bound_search_opENS9_16wrapped_functionINS8_6system6detail7generic6detail18binary_search_lessEbEEEE10hipError_tPvRmT1_T2_T3_mmT4_T5_P12ihipStream_tbEUlRKsE_EEST_SX_SY_mSZ_S12_bEUlT_E_NS1_11comp_targetILNS1_3genE4ELNS1_11target_archE910ELNS1_3gpuE8ELNS1_3repE0EEENS1_30default_config_static_selectorELNS0_4arch9wavefront6targetE0EEEvSW_
                                        ; -- End function
	.set _ZN7rocprim17ROCPRIM_400000_NS6detail17trampoline_kernelINS0_14default_configENS1_27lower_bound_config_selectorIslEEZNS1_14transform_implILb0ES3_S5_N6thrust23THRUST_200600_302600_NS6detail15normal_iteratorINS8_7pointerIsNS8_11hip_rocprim5par_tENS8_11use_defaultESE_EEEENSA_INSB_IlSD_SE_SE_EEEEZNS1_13binary_searchIS3_S5_PsSG_SI_NS1_21lower_bound_search_opENS9_16wrapped_functionINS8_6system6detail7generic6detail18binary_search_lessEbEEEE10hipError_tPvRmT1_T2_T3_mmT4_T5_P12ihipStream_tbEUlRKsE_EEST_SX_SY_mSZ_S12_bEUlT_E_NS1_11comp_targetILNS1_3genE4ELNS1_11target_archE910ELNS1_3gpuE8ELNS1_3repE0EEENS1_30default_config_static_selectorELNS0_4arch9wavefront6targetE0EEEvSW_.num_vgpr, 0
	.set _ZN7rocprim17ROCPRIM_400000_NS6detail17trampoline_kernelINS0_14default_configENS1_27lower_bound_config_selectorIslEEZNS1_14transform_implILb0ES3_S5_N6thrust23THRUST_200600_302600_NS6detail15normal_iteratorINS8_7pointerIsNS8_11hip_rocprim5par_tENS8_11use_defaultESE_EEEENSA_INSB_IlSD_SE_SE_EEEEZNS1_13binary_searchIS3_S5_PsSG_SI_NS1_21lower_bound_search_opENS9_16wrapped_functionINS8_6system6detail7generic6detail18binary_search_lessEbEEEE10hipError_tPvRmT1_T2_T3_mmT4_T5_P12ihipStream_tbEUlRKsE_EEST_SX_SY_mSZ_S12_bEUlT_E_NS1_11comp_targetILNS1_3genE4ELNS1_11target_archE910ELNS1_3gpuE8ELNS1_3repE0EEENS1_30default_config_static_selectorELNS0_4arch9wavefront6targetE0EEEvSW_.num_agpr, 0
	.set _ZN7rocprim17ROCPRIM_400000_NS6detail17trampoline_kernelINS0_14default_configENS1_27lower_bound_config_selectorIslEEZNS1_14transform_implILb0ES3_S5_N6thrust23THRUST_200600_302600_NS6detail15normal_iteratorINS8_7pointerIsNS8_11hip_rocprim5par_tENS8_11use_defaultESE_EEEENSA_INSB_IlSD_SE_SE_EEEEZNS1_13binary_searchIS3_S5_PsSG_SI_NS1_21lower_bound_search_opENS9_16wrapped_functionINS8_6system6detail7generic6detail18binary_search_lessEbEEEE10hipError_tPvRmT1_T2_T3_mmT4_T5_P12ihipStream_tbEUlRKsE_EEST_SX_SY_mSZ_S12_bEUlT_E_NS1_11comp_targetILNS1_3genE4ELNS1_11target_archE910ELNS1_3gpuE8ELNS1_3repE0EEENS1_30default_config_static_selectorELNS0_4arch9wavefront6targetE0EEEvSW_.numbered_sgpr, 0
	.set _ZN7rocprim17ROCPRIM_400000_NS6detail17trampoline_kernelINS0_14default_configENS1_27lower_bound_config_selectorIslEEZNS1_14transform_implILb0ES3_S5_N6thrust23THRUST_200600_302600_NS6detail15normal_iteratorINS8_7pointerIsNS8_11hip_rocprim5par_tENS8_11use_defaultESE_EEEENSA_INSB_IlSD_SE_SE_EEEEZNS1_13binary_searchIS3_S5_PsSG_SI_NS1_21lower_bound_search_opENS9_16wrapped_functionINS8_6system6detail7generic6detail18binary_search_lessEbEEEE10hipError_tPvRmT1_T2_T3_mmT4_T5_P12ihipStream_tbEUlRKsE_EEST_SX_SY_mSZ_S12_bEUlT_E_NS1_11comp_targetILNS1_3genE4ELNS1_11target_archE910ELNS1_3gpuE8ELNS1_3repE0EEENS1_30default_config_static_selectorELNS0_4arch9wavefront6targetE0EEEvSW_.num_named_barrier, 0
	.set _ZN7rocprim17ROCPRIM_400000_NS6detail17trampoline_kernelINS0_14default_configENS1_27lower_bound_config_selectorIslEEZNS1_14transform_implILb0ES3_S5_N6thrust23THRUST_200600_302600_NS6detail15normal_iteratorINS8_7pointerIsNS8_11hip_rocprim5par_tENS8_11use_defaultESE_EEEENSA_INSB_IlSD_SE_SE_EEEEZNS1_13binary_searchIS3_S5_PsSG_SI_NS1_21lower_bound_search_opENS9_16wrapped_functionINS8_6system6detail7generic6detail18binary_search_lessEbEEEE10hipError_tPvRmT1_T2_T3_mmT4_T5_P12ihipStream_tbEUlRKsE_EEST_SX_SY_mSZ_S12_bEUlT_E_NS1_11comp_targetILNS1_3genE4ELNS1_11target_archE910ELNS1_3gpuE8ELNS1_3repE0EEENS1_30default_config_static_selectorELNS0_4arch9wavefront6targetE0EEEvSW_.private_seg_size, 0
	.set _ZN7rocprim17ROCPRIM_400000_NS6detail17trampoline_kernelINS0_14default_configENS1_27lower_bound_config_selectorIslEEZNS1_14transform_implILb0ES3_S5_N6thrust23THRUST_200600_302600_NS6detail15normal_iteratorINS8_7pointerIsNS8_11hip_rocprim5par_tENS8_11use_defaultESE_EEEENSA_INSB_IlSD_SE_SE_EEEEZNS1_13binary_searchIS3_S5_PsSG_SI_NS1_21lower_bound_search_opENS9_16wrapped_functionINS8_6system6detail7generic6detail18binary_search_lessEbEEEE10hipError_tPvRmT1_T2_T3_mmT4_T5_P12ihipStream_tbEUlRKsE_EEST_SX_SY_mSZ_S12_bEUlT_E_NS1_11comp_targetILNS1_3genE4ELNS1_11target_archE910ELNS1_3gpuE8ELNS1_3repE0EEENS1_30default_config_static_selectorELNS0_4arch9wavefront6targetE0EEEvSW_.uses_vcc, 0
	.set _ZN7rocprim17ROCPRIM_400000_NS6detail17trampoline_kernelINS0_14default_configENS1_27lower_bound_config_selectorIslEEZNS1_14transform_implILb0ES3_S5_N6thrust23THRUST_200600_302600_NS6detail15normal_iteratorINS8_7pointerIsNS8_11hip_rocprim5par_tENS8_11use_defaultESE_EEEENSA_INSB_IlSD_SE_SE_EEEEZNS1_13binary_searchIS3_S5_PsSG_SI_NS1_21lower_bound_search_opENS9_16wrapped_functionINS8_6system6detail7generic6detail18binary_search_lessEbEEEE10hipError_tPvRmT1_T2_T3_mmT4_T5_P12ihipStream_tbEUlRKsE_EEST_SX_SY_mSZ_S12_bEUlT_E_NS1_11comp_targetILNS1_3genE4ELNS1_11target_archE910ELNS1_3gpuE8ELNS1_3repE0EEENS1_30default_config_static_selectorELNS0_4arch9wavefront6targetE0EEEvSW_.uses_flat_scratch, 0
	.set _ZN7rocprim17ROCPRIM_400000_NS6detail17trampoline_kernelINS0_14default_configENS1_27lower_bound_config_selectorIslEEZNS1_14transform_implILb0ES3_S5_N6thrust23THRUST_200600_302600_NS6detail15normal_iteratorINS8_7pointerIsNS8_11hip_rocprim5par_tENS8_11use_defaultESE_EEEENSA_INSB_IlSD_SE_SE_EEEEZNS1_13binary_searchIS3_S5_PsSG_SI_NS1_21lower_bound_search_opENS9_16wrapped_functionINS8_6system6detail7generic6detail18binary_search_lessEbEEEE10hipError_tPvRmT1_T2_T3_mmT4_T5_P12ihipStream_tbEUlRKsE_EEST_SX_SY_mSZ_S12_bEUlT_E_NS1_11comp_targetILNS1_3genE4ELNS1_11target_archE910ELNS1_3gpuE8ELNS1_3repE0EEENS1_30default_config_static_selectorELNS0_4arch9wavefront6targetE0EEEvSW_.has_dyn_sized_stack, 0
	.set _ZN7rocprim17ROCPRIM_400000_NS6detail17trampoline_kernelINS0_14default_configENS1_27lower_bound_config_selectorIslEEZNS1_14transform_implILb0ES3_S5_N6thrust23THRUST_200600_302600_NS6detail15normal_iteratorINS8_7pointerIsNS8_11hip_rocprim5par_tENS8_11use_defaultESE_EEEENSA_INSB_IlSD_SE_SE_EEEEZNS1_13binary_searchIS3_S5_PsSG_SI_NS1_21lower_bound_search_opENS9_16wrapped_functionINS8_6system6detail7generic6detail18binary_search_lessEbEEEE10hipError_tPvRmT1_T2_T3_mmT4_T5_P12ihipStream_tbEUlRKsE_EEST_SX_SY_mSZ_S12_bEUlT_E_NS1_11comp_targetILNS1_3genE4ELNS1_11target_archE910ELNS1_3gpuE8ELNS1_3repE0EEENS1_30default_config_static_selectorELNS0_4arch9wavefront6targetE0EEEvSW_.has_recursion, 0
	.set _ZN7rocprim17ROCPRIM_400000_NS6detail17trampoline_kernelINS0_14default_configENS1_27lower_bound_config_selectorIslEEZNS1_14transform_implILb0ES3_S5_N6thrust23THRUST_200600_302600_NS6detail15normal_iteratorINS8_7pointerIsNS8_11hip_rocprim5par_tENS8_11use_defaultESE_EEEENSA_INSB_IlSD_SE_SE_EEEEZNS1_13binary_searchIS3_S5_PsSG_SI_NS1_21lower_bound_search_opENS9_16wrapped_functionINS8_6system6detail7generic6detail18binary_search_lessEbEEEE10hipError_tPvRmT1_T2_T3_mmT4_T5_P12ihipStream_tbEUlRKsE_EEST_SX_SY_mSZ_S12_bEUlT_E_NS1_11comp_targetILNS1_3genE4ELNS1_11target_archE910ELNS1_3gpuE8ELNS1_3repE0EEENS1_30default_config_static_selectorELNS0_4arch9wavefront6targetE0EEEvSW_.has_indirect_call, 0
	.section	.AMDGPU.csdata,"",@progbits
; Kernel info:
; codeLenInByte = 0
; TotalNumSgprs: 0
; NumVgprs: 0
; ScratchSize: 0
; MemoryBound: 0
; FloatMode: 240
; IeeeMode: 1
; LDSByteSize: 0 bytes/workgroup (compile time only)
; SGPRBlocks: 0
; VGPRBlocks: 0
; NumSGPRsForWavesPerEU: 1
; NumVGPRsForWavesPerEU: 1
; Occupancy: 16
; WaveLimiterHint : 0
; COMPUTE_PGM_RSRC2:SCRATCH_EN: 0
; COMPUTE_PGM_RSRC2:USER_SGPR: 6
; COMPUTE_PGM_RSRC2:TRAP_HANDLER: 0
; COMPUTE_PGM_RSRC2:TGID_X_EN: 1
; COMPUTE_PGM_RSRC2:TGID_Y_EN: 0
; COMPUTE_PGM_RSRC2:TGID_Z_EN: 0
; COMPUTE_PGM_RSRC2:TIDIG_COMP_CNT: 0
	.section	.text._ZN7rocprim17ROCPRIM_400000_NS6detail17trampoline_kernelINS0_14default_configENS1_27lower_bound_config_selectorIslEEZNS1_14transform_implILb0ES3_S5_N6thrust23THRUST_200600_302600_NS6detail15normal_iteratorINS8_7pointerIsNS8_11hip_rocprim5par_tENS8_11use_defaultESE_EEEENSA_INSB_IlSD_SE_SE_EEEEZNS1_13binary_searchIS3_S5_PsSG_SI_NS1_21lower_bound_search_opENS9_16wrapped_functionINS8_6system6detail7generic6detail18binary_search_lessEbEEEE10hipError_tPvRmT1_T2_T3_mmT4_T5_P12ihipStream_tbEUlRKsE_EEST_SX_SY_mSZ_S12_bEUlT_E_NS1_11comp_targetILNS1_3genE3ELNS1_11target_archE908ELNS1_3gpuE7ELNS1_3repE0EEENS1_30default_config_static_selectorELNS0_4arch9wavefront6targetE0EEEvSW_,"axG",@progbits,_ZN7rocprim17ROCPRIM_400000_NS6detail17trampoline_kernelINS0_14default_configENS1_27lower_bound_config_selectorIslEEZNS1_14transform_implILb0ES3_S5_N6thrust23THRUST_200600_302600_NS6detail15normal_iteratorINS8_7pointerIsNS8_11hip_rocprim5par_tENS8_11use_defaultESE_EEEENSA_INSB_IlSD_SE_SE_EEEEZNS1_13binary_searchIS3_S5_PsSG_SI_NS1_21lower_bound_search_opENS9_16wrapped_functionINS8_6system6detail7generic6detail18binary_search_lessEbEEEE10hipError_tPvRmT1_T2_T3_mmT4_T5_P12ihipStream_tbEUlRKsE_EEST_SX_SY_mSZ_S12_bEUlT_E_NS1_11comp_targetILNS1_3genE3ELNS1_11target_archE908ELNS1_3gpuE7ELNS1_3repE0EEENS1_30default_config_static_selectorELNS0_4arch9wavefront6targetE0EEEvSW_,comdat
	.protected	_ZN7rocprim17ROCPRIM_400000_NS6detail17trampoline_kernelINS0_14default_configENS1_27lower_bound_config_selectorIslEEZNS1_14transform_implILb0ES3_S5_N6thrust23THRUST_200600_302600_NS6detail15normal_iteratorINS8_7pointerIsNS8_11hip_rocprim5par_tENS8_11use_defaultESE_EEEENSA_INSB_IlSD_SE_SE_EEEEZNS1_13binary_searchIS3_S5_PsSG_SI_NS1_21lower_bound_search_opENS9_16wrapped_functionINS8_6system6detail7generic6detail18binary_search_lessEbEEEE10hipError_tPvRmT1_T2_T3_mmT4_T5_P12ihipStream_tbEUlRKsE_EEST_SX_SY_mSZ_S12_bEUlT_E_NS1_11comp_targetILNS1_3genE3ELNS1_11target_archE908ELNS1_3gpuE7ELNS1_3repE0EEENS1_30default_config_static_selectorELNS0_4arch9wavefront6targetE0EEEvSW_ ; -- Begin function _ZN7rocprim17ROCPRIM_400000_NS6detail17trampoline_kernelINS0_14default_configENS1_27lower_bound_config_selectorIslEEZNS1_14transform_implILb0ES3_S5_N6thrust23THRUST_200600_302600_NS6detail15normal_iteratorINS8_7pointerIsNS8_11hip_rocprim5par_tENS8_11use_defaultESE_EEEENSA_INSB_IlSD_SE_SE_EEEEZNS1_13binary_searchIS3_S5_PsSG_SI_NS1_21lower_bound_search_opENS9_16wrapped_functionINS8_6system6detail7generic6detail18binary_search_lessEbEEEE10hipError_tPvRmT1_T2_T3_mmT4_T5_P12ihipStream_tbEUlRKsE_EEST_SX_SY_mSZ_S12_bEUlT_E_NS1_11comp_targetILNS1_3genE3ELNS1_11target_archE908ELNS1_3gpuE7ELNS1_3repE0EEENS1_30default_config_static_selectorELNS0_4arch9wavefront6targetE0EEEvSW_
	.globl	_ZN7rocprim17ROCPRIM_400000_NS6detail17trampoline_kernelINS0_14default_configENS1_27lower_bound_config_selectorIslEEZNS1_14transform_implILb0ES3_S5_N6thrust23THRUST_200600_302600_NS6detail15normal_iteratorINS8_7pointerIsNS8_11hip_rocprim5par_tENS8_11use_defaultESE_EEEENSA_INSB_IlSD_SE_SE_EEEEZNS1_13binary_searchIS3_S5_PsSG_SI_NS1_21lower_bound_search_opENS9_16wrapped_functionINS8_6system6detail7generic6detail18binary_search_lessEbEEEE10hipError_tPvRmT1_T2_T3_mmT4_T5_P12ihipStream_tbEUlRKsE_EEST_SX_SY_mSZ_S12_bEUlT_E_NS1_11comp_targetILNS1_3genE3ELNS1_11target_archE908ELNS1_3gpuE7ELNS1_3repE0EEENS1_30default_config_static_selectorELNS0_4arch9wavefront6targetE0EEEvSW_
	.p2align	8
	.type	_ZN7rocprim17ROCPRIM_400000_NS6detail17trampoline_kernelINS0_14default_configENS1_27lower_bound_config_selectorIslEEZNS1_14transform_implILb0ES3_S5_N6thrust23THRUST_200600_302600_NS6detail15normal_iteratorINS8_7pointerIsNS8_11hip_rocprim5par_tENS8_11use_defaultESE_EEEENSA_INSB_IlSD_SE_SE_EEEEZNS1_13binary_searchIS3_S5_PsSG_SI_NS1_21lower_bound_search_opENS9_16wrapped_functionINS8_6system6detail7generic6detail18binary_search_lessEbEEEE10hipError_tPvRmT1_T2_T3_mmT4_T5_P12ihipStream_tbEUlRKsE_EEST_SX_SY_mSZ_S12_bEUlT_E_NS1_11comp_targetILNS1_3genE3ELNS1_11target_archE908ELNS1_3gpuE7ELNS1_3repE0EEENS1_30default_config_static_selectorELNS0_4arch9wavefront6targetE0EEEvSW_,@function
_ZN7rocprim17ROCPRIM_400000_NS6detail17trampoline_kernelINS0_14default_configENS1_27lower_bound_config_selectorIslEEZNS1_14transform_implILb0ES3_S5_N6thrust23THRUST_200600_302600_NS6detail15normal_iteratorINS8_7pointerIsNS8_11hip_rocprim5par_tENS8_11use_defaultESE_EEEENSA_INSB_IlSD_SE_SE_EEEEZNS1_13binary_searchIS3_S5_PsSG_SI_NS1_21lower_bound_search_opENS9_16wrapped_functionINS8_6system6detail7generic6detail18binary_search_lessEbEEEE10hipError_tPvRmT1_T2_T3_mmT4_T5_P12ihipStream_tbEUlRKsE_EEST_SX_SY_mSZ_S12_bEUlT_E_NS1_11comp_targetILNS1_3genE3ELNS1_11target_archE908ELNS1_3gpuE7ELNS1_3repE0EEENS1_30default_config_static_selectorELNS0_4arch9wavefront6targetE0EEEvSW_: ; @_ZN7rocprim17ROCPRIM_400000_NS6detail17trampoline_kernelINS0_14default_configENS1_27lower_bound_config_selectorIslEEZNS1_14transform_implILb0ES3_S5_N6thrust23THRUST_200600_302600_NS6detail15normal_iteratorINS8_7pointerIsNS8_11hip_rocprim5par_tENS8_11use_defaultESE_EEEENSA_INSB_IlSD_SE_SE_EEEEZNS1_13binary_searchIS3_S5_PsSG_SI_NS1_21lower_bound_search_opENS9_16wrapped_functionINS8_6system6detail7generic6detail18binary_search_lessEbEEEE10hipError_tPvRmT1_T2_T3_mmT4_T5_P12ihipStream_tbEUlRKsE_EEST_SX_SY_mSZ_S12_bEUlT_E_NS1_11comp_targetILNS1_3genE3ELNS1_11target_archE908ELNS1_3gpuE7ELNS1_3repE0EEENS1_30default_config_static_selectorELNS0_4arch9wavefront6targetE0EEEvSW_
; %bb.0:
	.section	.rodata,"a",@progbits
	.p2align	6, 0x0
	.amdhsa_kernel _ZN7rocprim17ROCPRIM_400000_NS6detail17trampoline_kernelINS0_14default_configENS1_27lower_bound_config_selectorIslEEZNS1_14transform_implILb0ES3_S5_N6thrust23THRUST_200600_302600_NS6detail15normal_iteratorINS8_7pointerIsNS8_11hip_rocprim5par_tENS8_11use_defaultESE_EEEENSA_INSB_IlSD_SE_SE_EEEEZNS1_13binary_searchIS3_S5_PsSG_SI_NS1_21lower_bound_search_opENS9_16wrapped_functionINS8_6system6detail7generic6detail18binary_search_lessEbEEEE10hipError_tPvRmT1_T2_T3_mmT4_T5_P12ihipStream_tbEUlRKsE_EEST_SX_SY_mSZ_S12_bEUlT_E_NS1_11comp_targetILNS1_3genE3ELNS1_11target_archE908ELNS1_3gpuE7ELNS1_3repE0EEENS1_30default_config_static_selectorELNS0_4arch9wavefront6targetE0EEEvSW_
		.amdhsa_group_segment_fixed_size 0
		.amdhsa_private_segment_fixed_size 0
		.amdhsa_kernarg_size 56
		.amdhsa_user_sgpr_count 6
		.amdhsa_user_sgpr_private_segment_buffer 1
		.amdhsa_user_sgpr_dispatch_ptr 0
		.amdhsa_user_sgpr_queue_ptr 0
		.amdhsa_user_sgpr_kernarg_segment_ptr 1
		.amdhsa_user_sgpr_dispatch_id 0
		.amdhsa_user_sgpr_flat_scratch_init 0
		.amdhsa_user_sgpr_private_segment_size 0
		.amdhsa_wavefront_size32 1
		.amdhsa_uses_dynamic_stack 0
		.amdhsa_system_sgpr_private_segment_wavefront_offset 0
		.amdhsa_system_sgpr_workgroup_id_x 1
		.amdhsa_system_sgpr_workgroup_id_y 0
		.amdhsa_system_sgpr_workgroup_id_z 0
		.amdhsa_system_sgpr_workgroup_info 0
		.amdhsa_system_vgpr_workitem_id 0
		.amdhsa_next_free_vgpr 1
		.amdhsa_next_free_sgpr 1
		.amdhsa_reserve_vcc 0
		.amdhsa_reserve_flat_scratch 0
		.amdhsa_float_round_mode_32 0
		.amdhsa_float_round_mode_16_64 0
		.amdhsa_float_denorm_mode_32 3
		.amdhsa_float_denorm_mode_16_64 3
		.amdhsa_dx10_clamp 1
		.amdhsa_ieee_mode 1
		.amdhsa_fp16_overflow 0
		.amdhsa_workgroup_processor_mode 1
		.amdhsa_memory_ordered 1
		.amdhsa_forward_progress 1
		.amdhsa_shared_vgpr_count 0
		.amdhsa_exception_fp_ieee_invalid_op 0
		.amdhsa_exception_fp_denorm_src 0
		.amdhsa_exception_fp_ieee_div_zero 0
		.amdhsa_exception_fp_ieee_overflow 0
		.amdhsa_exception_fp_ieee_underflow 0
		.amdhsa_exception_fp_ieee_inexact 0
		.amdhsa_exception_int_div_zero 0
	.end_amdhsa_kernel
	.section	.text._ZN7rocprim17ROCPRIM_400000_NS6detail17trampoline_kernelINS0_14default_configENS1_27lower_bound_config_selectorIslEEZNS1_14transform_implILb0ES3_S5_N6thrust23THRUST_200600_302600_NS6detail15normal_iteratorINS8_7pointerIsNS8_11hip_rocprim5par_tENS8_11use_defaultESE_EEEENSA_INSB_IlSD_SE_SE_EEEEZNS1_13binary_searchIS3_S5_PsSG_SI_NS1_21lower_bound_search_opENS9_16wrapped_functionINS8_6system6detail7generic6detail18binary_search_lessEbEEEE10hipError_tPvRmT1_T2_T3_mmT4_T5_P12ihipStream_tbEUlRKsE_EEST_SX_SY_mSZ_S12_bEUlT_E_NS1_11comp_targetILNS1_3genE3ELNS1_11target_archE908ELNS1_3gpuE7ELNS1_3repE0EEENS1_30default_config_static_selectorELNS0_4arch9wavefront6targetE0EEEvSW_,"axG",@progbits,_ZN7rocprim17ROCPRIM_400000_NS6detail17trampoline_kernelINS0_14default_configENS1_27lower_bound_config_selectorIslEEZNS1_14transform_implILb0ES3_S5_N6thrust23THRUST_200600_302600_NS6detail15normal_iteratorINS8_7pointerIsNS8_11hip_rocprim5par_tENS8_11use_defaultESE_EEEENSA_INSB_IlSD_SE_SE_EEEEZNS1_13binary_searchIS3_S5_PsSG_SI_NS1_21lower_bound_search_opENS9_16wrapped_functionINS8_6system6detail7generic6detail18binary_search_lessEbEEEE10hipError_tPvRmT1_T2_T3_mmT4_T5_P12ihipStream_tbEUlRKsE_EEST_SX_SY_mSZ_S12_bEUlT_E_NS1_11comp_targetILNS1_3genE3ELNS1_11target_archE908ELNS1_3gpuE7ELNS1_3repE0EEENS1_30default_config_static_selectorELNS0_4arch9wavefront6targetE0EEEvSW_,comdat
.Lfunc_end155:
	.size	_ZN7rocprim17ROCPRIM_400000_NS6detail17trampoline_kernelINS0_14default_configENS1_27lower_bound_config_selectorIslEEZNS1_14transform_implILb0ES3_S5_N6thrust23THRUST_200600_302600_NS6detail15normal_iteratorINS8_7pointerIsNS8_11hip_rocprim5par_tENS8_11use_defaultESE_EEEENSA_INSB_IlSD_SE_SE_EEEEZNS1_13binary_searchIS3_S5_PsSG_SI_NS1_21lower_bound_search_opENS9_16wrapped_functionINS8_6system6detail7generic6detail18binary_search_lessEbEEEE10hipError_tPvRmT1_T2_T3_mmT4_T5_P12ihipStream_tbEUlRKsE_EEST_SX_SY_mSZ_S12_bEUlT_E_NS1_11comp_targetILNS1_3genE3ELNS1_11target_archE908ELNS1_3gpuE7ELNS1_3repE0EEENS1_30default_config_static_selectorELNS0_4arch9wavefront6targetE0EEEvSW_, .Lfunc_end155-_ZN7rocprim17ROCPRIM_400000_NS6detail17trampoline_kernelINS0_14default_configENS1_27lower_bound_config_selectorIslEEZNS1_14transform_implILb0ES3_S5_N6thrust23THRUST_200600_302600_NS6detail15normal_iteratorINS8_7pointerIsNS8_11hip_rocprim5par_tENS8_11use_defaultESE_EEEENSA_INSB_IlSD_SE_SE_EEEEZNS1_13binary_searchIS3_S5_PsSG_SI_NS1_21lower_bound_search_opENS9_16wrapped_functionINS8_6system6detail7generic6detail18binary_search_lessEbEEEE10hipError_tPvRmT1_T2_T3_mmT4_T5_P12ihipStream_tbEUlRKsE_EEST_SX_SY_mSZ_S12_bEUlT_E_NS1_11comp_targetILNS1_3genE3ELNS1_11target_archE908ELNS1_3gpuE7ELNS1_3repE0EEENS1_30default_config_static_selectorELNS0_4arch9wavefront6targetE0EEEvSW_
                                        ; -- End function
	.set _ZN7rocprim17ROCPRIM_400000_NS6detail17trampoline_kernelINS0_14default_configENS1_27lower_bound_config_selectorIslEEZNS1_14transform_implILb0ES3_S5_N6thrust23THRUST_200600_302600_NS6detail15normal_iteratorINS8_7pointerIsNS8_11hip_rocprim5par_tENS8_11use_defaultESE_EEEENSA_INSB_IlSD_SE_SE_EEEEZNS1_13binary_searchIS3_S5_PsSG_SI_NS1_21lower_bound_search_opENS9_16wrapped_functionINS8_6system6detail7generic6detail18binary_search_lessEbEEEE10hipError_tPvRmT1_T2_T3_mmT4_T5_P12ihipStream_tbEUlRKsE_EEST_SX_SY_mSZ_S12_bEUlT_E_NS1_11comp_targetILNS1_3genE3ELNS1_11target_archE908ELNS1_3gpuE7ELNS1_3repE0EEENS1_30default_config_static_selectorELNS0_4arch9wavefront6targetE0EEEvSW_.num_vgpr, 0
	.set _ZN7rocprim17ROCPRIM_400000_NS6detail17trampoline_kernelINS0_14default_configENS1_27lower_bound_config_selectorIslEEZNS1_14transform_implILb0ES3_S5_N6thrust23THRUST_200600_302600_NS6detail15normal_iteratorINS8_7pointerIsNS8_11hip_rocprim5par_tENS8_11use_defaultESE_EEEENSA_INSB_IlSD_SE_SE_EEEEZNS1_13binary_searchIS3_S5_PsSG_SI_NS1_21lower_bound_search_opENS9_16wrapped_functionINS8_6system6detail7generic6detail18binary_search_lessEbEEEE10hipError_tPvRmT1_T2_T3_mmT4_T5_P12ihipStream_tbEUlRKsE_EEST_SX_SY_mSZ_S12_bEUlT_E_NS1_11comp_targetILNS1_3genE3ELNS1_11target_archE908ELNS1_3gpuE7ELNS1_3repE0EEENS1_30default_config_static_selectorELNS0_4arch9wavefront6targetE0EEEvSW_.num_agpr, 0
	.set _ZN7rocprim17ROCPRIM_400000_NS6detail17trampoline_kernelINS0_14default_configENS1_27lower_bound_config_selectorIslEEZNS1_14transform_implILb0ES3_S5_N6thrust23THRUST_200600_302600_NS6detail15normal_iteratorINS8_7pointerIsNS8_11hip_rocprim5par_tENS8_11use_defaultESE_EEEENSA_INSB_IlSD_SE_SE_EEEEZNS1_13binary_searchIS3_S5_PsSG_SI_NS1_21lower_bound_search_opENS9_16wrapped_functionINS8_6system6detail7generic6detail18binary_search_lessEbEEEE10hipError_tPvRmT1_T2_T3_mmT4_T5_P12ihipStream_tbEUlRKsE_EEST_SX_SY_mSZ_S12_bEUlT_E_NS1_11comp_targetILNS1_3genE3ELNS1_11target_archE908ELNS1_3gpuE7ELNS1_3repE0EEENS1_30default_config_static_selectorELNS0_4arch9wavefront6targetE0EEEvSW_.numbered_sgpr, 0
	.set _ZN7rocprim17ROCPRIM_400000_NS6detail17trampoline_kernelINS0_14default_configENS1_27lower_bound_config_selectorIslEEZNS1_14transform_implILb0ES3_S5_N6thrust23THRUST_200600_302600_NS6detail15normal_iteratorINS8_7pointerIsNS8_11hip_rocprim5par_tENS8_11use_defaultESE_EEEENSA_INSB_IlSD_SE_SE_EEEEZNS1_13binary_searchIS3_S5_PsSG_SI_NS1_21lower_bound_search_opENS9_16wrapped_functionINS8_6system6detail7generic6detail18binary_search_lessEbEEEE10hipError_tPvRmT1_T2_T3_mmT4_T5_P12ihipStream_tbEUlRKsE_EEST_SX_SY_mSZ_S12_bEUlT_E_NS1_11comp_targetILNS1_3genE3ELNS1_11target_archE908ELNS1_3gpuE7ELNS1_3repE0EEENS1_30default_config_static_selectorELNS0_4arch9wavefront6targetE0EEEvSW_.num_named_barrier, 0
	.set _ZN7rocprim17ROCPRIM_400000_NS6detail17trampoline_kernelINS0_14default_configENS1_27lower_bound_config_selectorIslEEZNS1_14transform_implILb0ES3_S5_N6thrust23THRUST_200600_302600_NS6detail15normal_iteratorINS8_7pointerIsNS8_11hip_rocprim5par_tENS8_11use_defaultESE_EEEENSA_INSB_IlSD_SE_SE_EEEEZNS1_13binary_searchIS3_S5_PsSG_SI_NS1_21lower_bound_search_opENS9_16wrapped_functionINS8_6system6detail7generic6detail18binary_search_lessEbEEEE10hipError_tPvRmT1_T2_T3_mmT4_T5_P12ihipStream_tbEUlRKsE_EEST_SX_SY_mSZ_S12_bEUlT_E_NS1_11comp_targetILNS1_3genE3ELNS1_11target_archE908ELNS1_3gpuE7ELNS1_3repE0EEENS1_30default_config_static_selectorELNS0_4arch9wavefront6targetE0EEEvSW_.private_seg_size, 0
	.set _ZN7rocprim17ROCPRIM_400000_NS6detail17trampoline_kernelINS0_14default_configENS1_27lower_bound_config_selectorIslEEZNS1_14transform_implILb0ES3_S5_N6thrust23THRUST_200600_302600_NS6detail15normal_iteratorINS8_7pointerIsNS8_11hip_rocprim5par_tENS8_11use_defaultESE_EEEENSA_INSB_IlSD_SE_SE_EEEEZNS1_13binary_searchIS3_S5_PsSG_SI_NS1_21lower_bound_search_opENS9_16wrapped_functionINS8_6system6detail7generic6detail18binary_search_lessEbEEEE10hipError_tPvRmT1_T2_T3_mmT4_T5_P12ihipStream_tbEUlRKsE_EEST_SX_SY_mSZ_S12_bEUlT_E_NS1_11comp_targetILNS1_3genE3ELNS1_11target_archE908ELNS1_3gpuE7ELNS1_3repE0EEENS1_30default_config_static_selectorELNS0_4arch9wavefront6targetE0EEEvSW_.uses_vcc, 0
	.set _ZN7rocprim17ROCPRIM_400000_NS6detail17trampoline_kernelINS0_14default_configENS1_27lower_bound_config_selectorIslEEZNS1_14transform_implILb0ES3_S5_N6thrust23THRUST_200600_302600_NS6detail15normal_iteratorINS8_7pointerIsNS8_11hip_rocprim5par_tENS8_11use_defaultESE_EEEENSA_INSB_IlSD_SE_SE_EEEEZNS1_13binary_searchIS3_S5_PsSG_SI_NS1_21lower_bound_search_opENS9_16wrapped_functionINS8_6system6detail7generic6detail18binary_search_lessEbEEEE10hipError_tPvRmT1_T2_T3_mmT4_T5_P12ihipStream_tbEUlRKsE_EEST_SX_SY_mSZ_S12_bEUlT_E_NS1_11comp_targetILNS1_3genE3ELNS1_11target_archE908ELNS1_3gpuE7ELNS1_3repE0EEENS1_30default_config_static_selectorELNS0_4arch9wavefront6targetE0EEEvSW_.uses_flat_scratch, 0
	.set _ZN7rocprim17ROCPRIM_400000_NS6detail17trampoline_kernelINS0_14default_configENS1_27lower_bound_config_selectorIslEEZNS1_14transform_implILb0ES3_S5_N6thrust23THRUST_200600_302600_NS6detail15normal_iteratorINS8_7pointerIsNS8_11hip_rocprim5par_tENS8_11use_defaultESE_EEEENSA_INSB_IlSD_SE_SE_EEEEZNS1_13binary_searchIS3_S5_PsSG_SI_NS1_21lower_bound_search_opENS9_16wrapped_functionINS8_6system6detail7generic6detail18binary_search_lessEbEEEE10hipError_tPvRmT1_T2_T3_mmT4_T5_P12ihipStream_tbEUlRKsE_EEST_SX_SY_mSZ_S12_bEUlT_E_NS1_11comp_targetILNS1_3genE3ELNS1_11target_archE908ELNS1_3gpuE7ELNS1_3repE0EEENS1_30default_config_static_selectorELNS0_4arch9wavefront6targetE0EEEvSW_.has_dyn_sized_stack, 0
	.set _ZN7rocprim17ROCPRIM_400000_NS6detail17trampoline_kernelINS0_14default_configENS1_27lower_bound_config_selectorIslEEZNS1_14transform_implILb0ES3_S5_N6thrust23THRUST_200600_302600_NS6detail15normal_iteratorINS8_7pointerIsNS8_11hip_rocprim5par_tENS8_11use_defaultESE_EEEENSA_INSB_IlSD_SE_SE_EEEEZNS1_13binary_searchIS3_S5_PsSG_SI_NS1_21lower_bound_search_opENS9_16wrapped_functionINS8_6system6detail7generic6detail18binary_search_lessEbEEEE10hipError_tPvRmT1_T2_T3_mmT4_T5_P12ihipStream_tbEUlRKsE_EEST_SX_SY_mSZ_S12_bEUlT_E_NS1_11comp_targetILNS1_3genE3ELNS1_11target_archE908ELNS1_3gpuE7ELNS1_3repE0EEENS1_30default_config_static_selectorELNS0_4arch9wavefront6targetE0EEEvSW_.has_recursion, 0
	.set _ZN7rocprim17ROCPRIM_400000_NS6detail17trampoline_kernelINS0_14default_configENS1_27lower_bound_config_selectorIslEEZNS1_14transform_implILb0ES3_S5_N6thrust23THRUST_200600_302600_NS6detail15normal_iteratorINS8_7pointerIsNS8_11hip_rocprim5par_tENS8_11use_defaultESE_EEEENSA_INSB_IlSD_SE_SE_EEEEZNS1_13binary_searchIS3_S5_PsSG_SI_NS1_21lower_bound_search_opENS9_16wrapped_functionINS8_6system6detail7generic6detail18binary_search_lessEbEEEE10hipError_tPvRmT1_T2_T3_mmT4_T5_P12ihipStream_tbEUlRKsE_EEST_SX_SY_mSZ_S12_bEUlT_E_NS1_11comp_targetILNS1_3genE3ELNS1_11target_archE908ELNS1_3gpuE7ELNS1_3repE0EEENS1_30default_config_static_selectorELNS0_4arch9wavefront6targetE0EEEvSW_.has_indirect_call, 0
	.section	.AMDGPU.csdata,"",@progbits
; Kernel info:
; codeLenInByte = 0
; TotalNumSgprs: 0
; NumVgprs: 0
; ScratchSize: 0
; MemoryBound: 0
; FloatMode: 240
; IeeeMode: 1
; LDSByteSize: 0 bytes/workgroup (compile time only)
; SGPRBlocks: 0
; VGPRBlocks: 0
; NumSGPRsForWavesPerEU: 1
; NumVGPRsForWavesPerEU: 1
; Occupancy: 16
; WaveLimiterHint : 0
; COMPUTE_PGM_RSRC2:SCRATCH_EN: 0
; COMPUTE_PGM_RSRC2:USER_SGPR: 6
; COMPUTE_PGM_RSRC2:TRAP_HANDLER: 0
; COMPUTE_PGM_RSRC2:TGID_X_EN: 1
; COMPUTE_PGM_RSRC2:TGID_Y_EN: 0
; COMPUTE_PGM_RSRC2:TGID_Z_EN: 0
; COMPUTE_PGM_RSRC2:TIDIG_COMP_CNT: 0
	.section	.text._ZN7rocprim17ROCPRIM_400000_NS6detail17trampoline_kernelINS0_14default_configENS1_27lower_bound_config_selectorIslEEZNS1_14transform_implILb0ES3_S5_N6thrust23THRUST_200600_302600_NS6detail15normal_iteratorINS8_7pointerIsNS8_11hip_rocprim5par_tENS8_11use_defaultESE_EEEENSA_INSB_IlSD_SE_SE_EEEEZNS1_13binary_searchIS3_S5_PsSG_SI_NS1_21lower_bound_search_opENS9_16wrapped_functionINS8_6system6detail7generic6detail18binary_search_lessEbEEEE10hipError_tPvRmT1_T2_T3_mmT4_T5_P12ihipStream_tbEUlRKsE_EEST_SX_SY_mSZ_S12_bEUlT_E_NS1_11comp_targetILNS1_3genE2ELNS1_11target_archE906ELNS1_3gpuE6ELNS1_3repE0EEENS1_30default_config_static_selectorELNS0_4arch9wavefront6targetE0EEEvSW_,"axG",@progbits,_ZN7rocprim17ROCPRIM_400000_NS6detail17trampoline_kernelINS0_14default_configENS1_27lower_bound_config_selectorIslEEZNS1_14transform_implILb0ES3_S5_N6thrust23THRUST_200600_302600_NS6detail15normal_iteratorINS8_7pointerIsNS8_11hip_rocprim5par_tENS8_11use_defaultESE_EEEENSA_INSB_IlSD_SE_SE_EEEEZNS1_13binary_searchIS3_S5_PsSG_SI_NS1_21lower_bound_search_opENS9_16wrapped_functionINS8_6system6detail7generic6detail18binary_search_lessEbEEEE10hipError_tPvRmT1_T2_T3_mmT4_T5_P12ihipStream_tbEUlRKsE_EEST_SX_SY_mSZ_S12_bEUlT_E_NS1_11comp_targetILNS1_3genE2ELNS1_11target_archE906ELNS1_3gpuE6ELNS1_3repE0EEENS1_30default_config_static_selectorELNS0_4arch9wavefront6targetE0EEEvSW_,comdat
	.protected	_ZN7rocprim17ROCPRIM_400000_NS6detail17trampoline_kernelINS0_14default_configENS1_27lower_bound_config_selectorIslEEZNS1_14transform_implILb0ES3_S5_N6thrust23THRUST_200600_302600_NS6detail15normal_iteratorINS8_7pointerIsNS8_11hip_rocprim5par_tENS8_11use_defaultESE_EEEENSA_INSB_IlSD_SE_SE_EEEEZNS1_13binary_searchIS3_S5_PsSG_SI_NS1_21lower_bound_search_opENS9_16wrapped_functionINS8_6system6detail7generic6detail18binary_search_lessEbEEEE10hipError_tPvRmT1_T2_T3_mmT4_T5_P12ihipStream_tbEUlRKsE_EEST_SX_SY_mSZ_S12_bEUlT_E_NS1_11comp_targetILNS1_3genE2ELNS1_11target_archE906ELNS1_3gpuE6ELNS1_3repE0EEENS1_30default_config_static_selectorELNS0_4arch9wavefront6targetE0EEEvSW_ ; -- Begin function _ZN7rocprim17ROCPRIM_400000_NS6detail17trampoline_kernelINS0_14default_configENS1_27lower_bound_config_selectorIslEEZNS1_14transform_implILb0ES3_S5_N6thrust23THRUST_200600_302600_NS6detail15normal_iteratorINS8_7pointerIsNS8_11hip_rocprim5par_tENS8_11use_defaultESE_EEEENSA_INSB_IlSD_SE_SE_EEEEZNS1_13binary_searchIS3_S5_PsSG_SI_NS1_21lower_bound_search_opENS9_16wrapped_functionINS8_6system6detail7generic6detail18binary_search_lessEbEEEE10hipError_tPvRmT1_T2_T3_mmT4_T5_P12ihipStream_tbEUlRKsE_EEST_SX_SY_mSZ_S12_bEUlT_E_NS1_11comp_targetILNS1_3genE2ELNS1_11target_archE906ELNS1_3gpuE6ELNS1_3repE0EEENS1_30default_config_static_selectorELNS0_4arch9wavefront6targetE0EEEvSW_
	.globl	_ZN7rocprim17ROCPRIM_400000_NS6detail17trampoline_kernelINS0_14default_configENS1_27lower_bound_config_selectorIslEEZNS1_14transform_implILb0ES3_S5_N6thrust23THRUST_200600_302600_NS6detail15normal_iteratorINS8_7pointerIsNS8_11hip_rocprim5par_tENS8_11use_defaultESE_EEEENSA_INSB_IlSD_SE_SE_EEEEZNS1_13binary_searchIS3_S5_PsSG_SI_NS1_21lower_bound_search_opENS9_16wrapped_functionINS8_6system6detail7generic6detail18binary_search_lessEbEEEE10hipError_tPvRmT1_T2_T3_mmT4_T5_P12ihipStream_tbEUlRKsE_EEST_SX_SY_mSZ_S12_bEUlT_E_NS1_11comp_targetILNS1_3genE2ELNS1_11target_archE906ELNS1_3gpuE6ELNS1_3repE0EEENS1_30default_config_static_selectorELNS0_4arch9wavefront6targetE0EEEvSW_
	.p2align	8
	.type	_ZN7rocprim17ROCPRIM_400000_NS6detail17trampoline_kernelINS0_14default_configENS1_27lower_bound_config_selectorIslEEZNS1_14transform_implILb0ES3_S5_N6thrust23THRUST_200600_302600_NS6detail15normal_iteratorINS8_7pointerIsNS8_11hip_rocprim5par_tENS8_11use_defaultESE_EEEENSA_INSB_IlSD_SE_SE_EEEEZNS1_13binary_searchIS3_S5_PsSG_SI_NS1_21lower_bound_search_opENS9_16wrapped_functionINS8_6system6detail7generic6detail18binary_search_lessEbEEEE10hipError_tPvRmT1_T2_T3_mmT4_T5_P12ihipStream_tbEUlRKsE_EEST_SX_SY_mSZ_S12_bEUlT_E_NS1_11comp_targetILNS1_3genE2ELNS1_11target_archE906ELNS1_3gpuE6ELNS1_3repE0EEENS1_30default_config_static_selectorELNS0_4arch9wavefront6targetE0EEEvSW_,@function
_ZN7rocprim17ROCPRIM_400000_NS6detail17trampoline_kernelINS0_14default_configENS1_27lower_bound_config_selectorIslEEZNS1_14transform_implILb0ES3_S5_N6thrust23THRUST_200600_302600_NS6detail15normal_iteratorINS8_7pointerIsNS8_11hip_rocprim5par_tENS8_11use_defaultESE_EEEENSA_INSB_IlSD_SE_SE_EEEEZNS1_13binary_searchIS3_S5_PsSG_SI_NS1_21lower_bound_search_opENS9_16wrapped_functionINS8_6system6detail7generic6detail18binary_search_lessEbEEEE10hipError_tPvRmT1_T2_T3_mmT4_T5_P12ihipStream_tbEUlRKsE_EEST_SX_SY_mSZ_S12_bEUlT_E_NS1_11comp_targetILNS1_3genE2ELNS1_11target_archE906ELNS1_3gpuE6ELNS1_3repE0EEENS1_30default_config_static_selectorELNS0_4arch9wavefront6targetE0EEEvSW_: ; @_ZN7rocprim17ROCPRIM_400000_NS6detail17trampoline_kernelINS0_14default_configENS1_27lower_bound_config_selectorIslEEZNS1_14transform_implILb0ES3_S5_N6thrust23THRUST_200600_302600_NS6detail15normal_iteratorINS8_7pointerIsNS8_11hip_rocprim5par_tENS8_11use_defaultESE_EEEENSA_INSB_IlSD_SE_SE_EEEEZNS1_13binary_searchIS3_S5_PsSG_SI_NS1_21lower_bound_search_opENS9_16wrapped_functionINS8_6system6detail7generic6detail18binary_search_lessEbEEEE10hipError_tPvRmT1_T2_T3_mmT4_T5_P12ihipStream_tbEUlRKsE_EEST_SX_SY_mSZ_S12_bEUlT_E_NS1_11comp_targetILNS1_3genE2ELNS1_11target_archE906ELNS1_3gpuE6ELNS1_3repE0EEENS1_30default_config_static_selectorELNS0_4arch9wavefront6targetE0EEEvSW_
; %bb.0:
	.section	.rodata,"a",@progbits
	.p2align	6, 0x0
	.amdhsa_kernel _ZN7rocprim17ROCPRIM_400000_NS6detail17trampoline_kernelINS0_14default_configENS1_27lower_bound_config_selectorIslEEZNS1_14transform_implILb0ES3_S5_N6thrust23THRUST_200600_302600_NS6detail15normal_iteratorINS8_7pointerIsNS8_11hip_rocprim5par_tENS8_11use_defaultESE_EEEENSA_INSB_IlSD_SE_SE_EEEEZNS1_13binary_searchIS3_S5_PsSG_SI_NS1_21lower_bound_search_opENS9_16wrapped_functionINS8_6system6detail7generic6detail18binary_search_lessEbEEEE10hipError_tPvRmT1_T2_T3_mmT4_T5_P12ihipStream_tbEUlRKsE_EEST_SX_SY_mSZ_S12_bEUlT_E_NS1_11comp_targetILNS1_3genE2ELNS1_11target_archE906ELNS1_3gpuE6ELNS1_3repE0EEENS1_30default_config_static_selectorELNS0_4arch9wavefront6targetE0EEEvSW_
		.amdhsa_group_segment_fixed_size 0
		.amdhsa_private_segment_fixed_size 0
		.amdhsa_kernarg_size 56
		.amdhsa_user_sgpr_count 6
		.amdhsa_user_sgpr_private_segment_buffer 1
		.amdhsa_user_sgpr_dispatch_ptr 0
		.amdhsa_user_sgpr_queue_ptr 0
		.amdhsa_user_sgpr_kernarg_segment_ptr 1
		.amdhsa_user_sgpr_dispatch_id 0
		.amdhsa_user_sgpr_flat_scratch_init 0
		.amdhsa_user_sgpr_private_segment_size 0
		.amdhsa_wavefront_size32 1
		.amdhsa_uses_dynamic_stack 0
		.amdhsa_system_sgpr_private_segment_wavefront_offset 0
		.amdhsa_system_sgpr_workgroup_id_x 1
		.amdhsa_system_sgpr_workgroup_id_y 0
		.amdhsa_system_sgpr_workgroup_id_z 0
		.amdhsa_system_sgpr_workgroup_info 0
		.amdhsa_system_vgpr_workitem_id 0
		.amdhsa_next_free_vgpr 1
		.amdhsa_next_free_sgpr 1
		.amdhsa_reserve_vcc 0
		.amdhsa_reserve_flat_scratch 0
		.amdhsa_float_round_mode_32 0
		.amdhsa_float_round_mode_16_64 0
		.amdhsa_float_denorm_mode_32 3
		.amdhsa_float_denorm_mode_16_64 3
		.amdhsa_dx10_clamp 1
		.amdhsa_ieee_mode 1
		.amdhsa_fp16_overflow 0
		.amdhsa_workgroup_processor_mode 1
		.amdhsa_memory_ordered 1
		.amdhsa_forward_progress 1
		.amdhsa_shared_vgpr_count 0
		.amdhsa_exception_fp_ieee_invalid_op 0
		.amdhsa_exception_fp_denorm_src 0
		.amdhsa_exception_fp_ieee_div_zero 0
		.amdhsa_exception_fp_ieee_overflow 0
		.amdhsa_exception_fp_ieee_underflow 0
		.amdhsa_exception_fp_ieee_inexact 0
		.amdhsa_exception_int_div_zero 0
	.end_amdhsa_kernel
	.section	.text._ZN7rocprim17ROCPRIM_400000_NS6detail17trampoline_kernelINS0_14default_configENS1_27lower_bound_config_selectorIslEEZNS1_14transform_implILb0ES3_S5_N6thrust23THRUST_200600_302600_NS6detail15normal_iteratorINS8_7pointerIsNS8_11hip_rocprim5par_tENS8_11use_defaultESE_EEEENSA_INSB_IlSD_SE_SE_EEEEZNS1_13binary_searchIS3_S5_PsSG_SI_NS1_21lower_bound_search_opENS9_16wrapped_functionINS8_6system6detail7generic6detail18binary_search_lessEbEEEE10hipError_tPvRmT1_T2_T3_mmT4_T5_P12ihipStream_tbEUlRKsE_EEST_SX_SY_mSZ_S12_bEUlT_E_NS1_11comp_targetILNS1_3genE2ELNS1_11target_archE906ELNS1_3gpuE6ELNS1_3repE0EEENS1_30default_config_static_selectorELNS0_4arch9wavefront6targetE0EEEvSW_,"axG",@progbits,_ZN7rocprim17ROCPRIM_400000_NS6detail17trampoline_kernelINS0_14default_configENS1_27lower_bound_config_selectorIslEEZNS1_14transform_implILb0ES3_S5_N6thrust23THRUST_200600_302600_NS6detail15normal_iteratorINS8_7pointerIsNS8_11hip_rocprim5par_tENS8_11use_defaultESE_EEEENSA_INSB_IlSD_SE_SE_EEEEZNS1_13binary_searchIS3_S5_PsSG_SI_NS1_21lower_bound_search_opENS9_16wrapped_functionINS8_6system6detail7generic6detail18binary_search_lessEbEEEE10hipError_tPvRmT1_T2_T3_mmT4_T5_P12ihipStream_tbEUlRKsE_EEST_SX_SY_mSZ_S12_bEUlT_E_NS1_11comp_targetILNS1_3genE2ELNS1_11target_archE906ELNS1_3gpuE6ELNS1_3repE0EEENS1_30default_config_static_selectorELNS0_4arch9wavefront6targetE0EEEvSW_,comdat
.Lfunc_end156:
	.size	_ZN7rocprim17ROCPRIM_400000_NS6detail17trampoline_kernelINS0_14default_configENS1_27lower_bound_config_selectorIslEEZNS1_14transform_implILb0ES3_S5_N6thrust23THRUST_200600_302600_NS6detail15normal_iteratorINS8_7pointerIsNS8_11hip_rocprim5par_tENS8_11use_defaultESE_EEEENSA_INSB_IlSD_SE_SE_EEEEZNS1_13binary_searchIS3_S5_PsSG_SI_NS1_21lower_bound_search_opENS9_16wrapped_functionINS8_6system6detail7generic6detail18binary_search_lessEbEEEE10hipError_tPvRmT1_T2_T3_mmT4_T5_P12ihipStream_tbEUlRKsE_EEST_SX_SY_mSZ_S12_bEUlT_E_NS1_11comp_targetILNS1_3genE2ELNS1_11target_archE906ELNS1_3gpuE6ELNS1_3repE0EEENS1_30default_config_static_selectorELNS0_4arch9wavefront6targetE0EEEvSW_, .Lfunc_end156-_ZN7rocprim17ROCPRIM_400000_NS6detail17trampoline_kernelINS0_14default_configENS1_27lower_bound_config_selectorIslEEZNS1_14transform_implILb0ES3_S5_N6thrust23THRUST_200600_302600_NS6detail15normal_iteratorINS8_7pointerIsNS8_11hip_rocprim5par_tENS8_11use_defaultESE_EEEENSA_INSB_IlSD_SE_SE_EEEEZNS1_13binary_searchIS3_S5_PsSG_SI_NS1_21lower_bound_search_opENS9_16wrapped_functionINS8_6system6detail7generic6detail18binary_search_lessEbEEEE10hipError_tPvRmT1_T2_T3_mmT4_T5_P12ihipStream_tbEUlRKsE_EEST_SX_SY_mSZ_S12_bEUlT_E_NS1_11comp_targetILNS1_3genE2ELNS1_11target_archE906ELNS1_3gpuE6ELNS1_3repE0EEENS1_30default_config_static_selectorELNS0_4arch9wavefront6targetE0EEEvSW_
                                        ; -- End function
	.set _ZN7rocprim17ROCPRIM_400000_NS6detail17trampoline_kernelINS0_14default_configENS1_27lower_bound_config_selectorIslEEZNS1_14transform_implILb0ES3_S5_N6thrust23THRUST_200600_302600_NS6detail15normal_iteratorINS8_7pointerIsNS8_11hip_rocprim5par_tENS8_11use_defaultESE_EEEENSA_INSB_IlSD_SE_SE_EEEEZNS1_13binary_searchIS3_S5_PsSG_SI_NS1_21lower_bound_search_opENS9_16wrapped_functionINS8_6system6detail7generic6detail18binary_search_lessEbEEEE10hipError_tPvRmT1_T2_T3_mmT4_T5_P12ihipStream_tbEUlRKsE_EEST_SX_SY_mSZ_S12_bEUlT_E_NS1_11comp_targetILNS1_3genE2ELNS1_11target_archE906ELNS1_3gpuE6ELNS1_3repE0EEENS1_30default_config_static_selectorELNS0_4arch9wavefront6targetE0EEEvSW_.num_vgpr, 0
	.set _ZN7rocprim17ROCPRIM_400000_NS6detail17trampoline_kernelINS0_14default_configENS1_27lower_bound_config_selectorIslEEZNS1_14transform_implILb0ES3_S5_N6thrust23THRUST_200600_302600_NS6detail15normal_iteratorINS8_7pointerIsNS8_11hip_rocprim5par_tENS8_11use_defaultESE_EEEENSA_INSB_IlSD_SE_SE_EEEEZNS1_13binary_searchIS3_S5_PsSG_SI_NS1_21lower_bound_search_opENS9_16wrapped_functionINS8_6system6detail7generic6detail18binary_search_lessEbEEEE10hipError_tPvRmT1_T2_T3_mmT4_T5_P12ihipStream_tbEUlRKsE_EEST_SX_SY_mSZ_S12_bEUlT_E_NS1_11comp_targetILNS1_3genE2ELNS1_11target_archE906ELNS1_3gpuE6ELNS1_3repE0EEENS1_30default_config_static_selectorELNS0_4arch9wavefront6targetE0EEEvSW_.num_agpr, 0
	.set _ZN7rocprim17ROCPRIM_400000_NS6detail17trampoline_kernelINS0_14default_configENS1_27lower_bound_config_selectorIslEEZNS1_14transform_implILb0ES3_S5_N6thrust23THRUST_200600_302600_NS6detail15normal_iteratorINS8_7pointerIsNS8_11hip_rocprim5par_tENS8_11use_defaultESE_EEEENSA_INSB_IlSD_SE_SE_EEEEZNS1_13binary_searchIS3_S5_PsSG_SI_NS1_21lower_bound_search_opENS9_16wrapped_functionINS8_6system6detail7generic6detail18binary_search_lessEbEEEE10hipError_tPvRmT1_T2_T3_mmT4_T5_P12ihipStream_tbEUlRKsE_EEST_SX_SY_mSZ_S12_bEUlT_E_NS1_11comp_targetILNS1_3genE2ELNS1_11target_archE906ELNS1_3gpuE6ELNS1_3repE0EEENS1_30default_config_static_selectorELNS0_4arch9wavefront6targetE0EEEvSW_.numbered_sgpr, 0
	.set _ZN7rocprim17ROCPRIM_400000_NS6detail17trampoline_kernelINS0_14default_configENS1_27lower_bound_config_selectorIslEEZNS1_14transform_implILb0ES3_S5_N6thrust23THRUST_200600_302600_NS6detail15normal_iteratorINS8_7pointerIsNS8_11hip_rocprim5par_tENS8_11use_defaultESE_EEEENSA_INSB_IlSD_SE_SE_EEEEZNS1_13binary_searchIS3_S5_PsSG_SI_NS1_21lower_bound_search_opENS9_16wrapped_functionINS8_6system6detail7generic6detail18binary_search_lessEbEEEE10hipError_tPvRmT1_T2_T3_mmT4_T5_P12ihipStream_tbEUlRKsE_EEST_SX_SY_mSZ_S12_bEUlT_E_NS1_11comp_targetILNS1_3genE2ELNS1_11target_archE906ELNS1_3gpuE6ELNS1_3repE0EEENS1_30default_config_static_selectorELNS0_4arch9wavefront6targetE0EEEvSW_.num_named_barrier, 0
	.set _ZN7rocprim17ROCPRIM_400000_NS6detail17trampoline_kernelINS0_14default_configENS1_27lower_bound_config_selectorIslEEZNS1_14transform_implILb0ES3_S5_N6thrust23THRUST_200600_302600_NS6detail15normal_iteratorINS8_7pointerIsNS8_11hip_rocprim5par_tENS8_11use_defaultESE_EEEENSA_INSB_IlSD_SE_SE_EEEEZNS1_13binary_searchIS3_S5_PsSG_SI_NS1_21lower_bound_search_opENS9_16wrapped_functionINS8_6system6detail7generic6detail18binary_search_lessEbEEEE10hipError_tPvRmT1_T2_T3_mmT4_T5_P12ihipStream_tbEUlRKsE_EEST_SX_SY_mSZ_S12_bEUlT_E_NS1_11comp_targetILNS1_3genE2ELNS1_11target_archE906ELNS1_3gpuE6ELNS1_3repE0EEENS1_30default_config_static_selectorELNS0_4arch9wavefront6targetE0EEEvSW_.private_seg_size, 0
	.set _ZN7rocprim17ROCPRIM_400000_NS6detail17trampoline_kernelINS0_14default_configENS1_27lower_bound_config_selectorIslEEZNS1_14transform_implILb0ES3_S5_N6thrust23THRUST_200600_302600_NS6detail15normal_iteratorINS8_7pointerIsNS8_11hip_rocprim5par_tENS8_11use_defaultESE_EEEENSA_INSB_IlSD_SE_SE_EEEEZNS1_13binary_searchIS3_S5_PsSG_SI_NS1_21lower_bound_search_opENS9_16wrapped_functionINS8_6system6detail7generic6detail18binary_search_lessEbEEEE10hipError_tPvRmT1_T2_T3_mmT4_T5_P12ihipStream_tbEUlRKsE_EEST_SX_SY_mSZ_S12_bEUlT_E_NS1_11comp_targetILNS1_3genE2ELNS1_11target_archE906ELNS1_3gpuE6ELNS1_3repE0EEENS1_30default_config_static_selectorELNS0_4arch9wavefront6targetE0EEEvSW_.uses_vcc, 0
	.set _ZN7rocprim17ROCPRIM_400000_NS6detail17trampoline_kernelINS0_14default_configENS1_27lower_bound_config_selectorIslEEZNS1_14transform_implILb0ES3_S5_N6thrust23THRUST_200600_302600_NS6detail15normal_iteratorINS8_7pointerIsNS8_11hip_rocprim5par_tENS8_11use_defaultESE_EEEENSA_INSB_IlSD_SE_SE_EEEEZNS1_13binary_searchIS3_S5_PsSG_SI_NS1_21lower_bound_search_opENS9_16wrapped_functionINS8_6system6detail7generic6detail18binary_search_lessEbEEEE10hipError_tPvRmT1_T2_T3_mmT4_T5_P12ihipStream_tbEUlRKsE_EEST_SX_SY_mSZ_S12_bEUlT_E_NS1_11comp_targetILNS1_3genE2ELNS1_11target_archE906ELNS1_3gpuE6ELNS1_3repE0EEENS1_30default_config_static_selectorELNS0_4arch9wavefront6targetE0EEEvSW_.uses_flat_scratch, 0
	.set _ZN7rocprim17ROCPRIM_400000_NS6detail17trampoline_kernelINS0_14default_configENS1_27lower_bound_config_selectorIslEEZNS1_14transform_implILb0ES3_S5_N6thrust23THRUST_200600_302600_NS6detail15normal_iteratorINS8_7pointerIsNS8_11hip_rocprim5par_tENS8_11use_defaultESE_EEEENSA_INSB_IlSD_SE_SE_EEEEZNS1_13binary_searchIS3_S5_PsSG_SI_NS1_21lower_bound_search_opENS9_16wrapped_functionINS8_6system6detail7generic6detail18binary_search_lessEbEEEE10hipError_tPvRmT1_T2_T3_mmT4_T5_P12ihipStream_tbEUlRKsE_EEST_SX_SY_mSZ_S12_bEUlT_E_NS1_11comp_targetILNS1_3genE2ELNS1_11target_archE906ELNS1_3gpuE6ELNS1_3repE0EEENS1_30default_config_static_selectorELNS0_4arch9wavefront6targetE0EEEvSW_.has_dyn_sized_stack, 0
	.set _ZN7rocprim17ROCPRIM_400000_NS6detail17trampoline_kernelINS0_14default_configENS1_27lower_bound_config_selectorIslEEZNS1_14transform_implILb0ES3_S5_N6thrust23THRUST_200600_302600_NS6detail15normal_iteratorINS8_7pointerIsNS8_11hip_rocprim5par_tENS8_11use_defaultESE_EEEENSA_INSB_IlSD_SE_SE_EEEEZNS1_13binary_searchIS3_S5_PsSG_SI_NS1_21lower_bound_search_opENS9_16wrapped_functionINS8_6system6detail7generic6detail18binary_search_lessEbEEEE10hipError_tPvRmT1_T2_T3_mmT4_T5_P12ihipStream_tbEUlRKsE_EEST_SX_SY_mSZ_S12_bEUlT_E_NS1_11comp_targetILNS1_3genE2ELNS1_11target_archE906ELNS1_3gpuE6ELNS1_3repE0EEENS1_30default_config_static_selectorELNS0_4arch9wavefront6targetE0EEEvSW_.has_recursion, 0
	.set _ZN7rocprim17ROCPRIM_400000_NS6detail17trampoline_kernelINS0_14default_configENS1_27lower_bound_config_selectorIslEEZNS1_14transform_implILb0ES3_S5_N6thrust23THRUST_200600_302600_NS6detail15normal_iteratorINS8_7pointerIsNS8_11hip_rocprim5par_tENS8_11use_defaultESE_EEEENSA_INSB_IlSD_SE_SE_EEEEZNS1_13binary_searchIS3_S5_PsSG_SI_NS1_21lower_bound_search_opENS9_16wrapped_functionINS8_6system6detail7generic6detail18binary_search_lessEbEEEE10hipError_tPvRmT1_T2_T3_mmT4_T5_P12ihipStream_tbEUlRKsE_EEST_SX_SY_mSZ_S12_bEUlT_E_NS1_11comp_targetILNS1_3genE2ELNS1_11target_archE906ELNS1_3gpuE6ELNS1_3repE0EEENS1_30default_config_static_selectorELNS0_4arch9wavefront6targetE0EEEvSW_.has_indirect_call, 0
	.section	.AMDGPU.csdata,"",@progbits
; Kernel info:
; codeLenInByte = 0
; TotalNumSgprs: 0
; NumVgprs: 0
; ScratchSize: 0
; MemoryBound: 0
; FloatMode: 240
; IeeeMode: 1
; LDSByteSize: 0 bytes/workgroup (compile time only)
; SGPRBlocks: 0
; VGPRBlocks: 0
; NumSGPRsForWavesPerEU: 1
; NumVGPRsForWavesPerEU: 1
; Occupancy: 16
; WaveLimiterHint : 0
; COMPUTE_PGM_RSRC2:SCRATCH_EN: 0
; COMPUTE_PGM_RSRC2:USER_SGPR: 6
; COMPUTE_PGM_RSRC2:TRAP_HANDLER: 0
; COMPUTE_PGM_RSRC2:TGID_X_EN: 1
; COMPUTE_PGM_RSRC2:TGID_Y_EN: 0
; COMPUTE_PGM_RSRC2:TGID_Z_EN: 0
; COMPUTE_PGM_RSRC2:TIDIG_COMP_CNT: 0
	.section	.text._ZN7rocprim17ROCPRIM_400000_NS6detail17trampoline_kernelINS0_14default_configENS1_27lower_bound_config_selectorIslEEZNS1_14transform_implILb0ES3_S5_N6thrust23THRUST_200600_302600_NS6detail15normal_iteratorINS8_7pointerIsNS8_11hip_rocprim5par_tENS8_11use_defaultESE_EEEENSA_INSB_IlSD_SE_SE_EEEEZNS1_13binary_searchIS3_S5_PsSG_SI_NS1_21lower_bound_search_opENS9_16wrapped_functionINS8_6system6detail7generic6detail18binary_search_lessEbEEEE10hipError_tPvRmT1_T2_T3_mmT4_T5_P12ihipStream_tbEUlRKsE_EEST_SX_SY_mSZ_S12_bEUlT_E_NS1_11comp_targetILNS1_3genE10ELNS1_11target_archE1201ELNS1_3gpuE5ELNS1_3repE0EEENS1_30default_config_static_selectorELNS0_4arch9wavefront6targetE0EEEvSW_,"axG",@progbits,_ZN7rocprim17ROCPRIM_400000_NS6detail17trampoline_kernelINS0_14default_configENS1_27lower_bound_config_selectorIslEEZNS1_14transform_implILb0ES3_S5_N6thrust23THRUST_200600_302600_NS6detail15normal_iteratorINS8_7pointerIsNS8_11hip_rocprim5par_tENS8_11use_defaultESE_EEEENSA_INSB_IlSD_SE_SE_EEEEZNS1_13binary_searchIS3_S5_PsSG_SI_NS1_21lower_bound_search_opENS9_16wrapped_functionINS8_6system6detail7generic6detail18binary_search_lessEbEEEE10hipError_tPvRmT1_T2_T3_mmT4_T5_P12ihipStream_tbEUlRKsE_EEST_SX_SY_mSZ_S12_bEUlT_E_NS1_11comp_targetILNS1_3genE10ELNS1_11target_archE1201ELNS1_3gpuE5ELNS1_3repE0EEENS1_30default_config_static_selectorELNS0_4arch9wavefront6targetE0EEEvSW_,comdat
	.protected	_ZN7rocprim17ROCPRIM_400000_NS6detail17trampoline_kernelINS0_14default_configENS1_27lower_bound_config_selectorIslEEZNS1_14transform_implILb0ES3_S5_N6thrust23THRUST_200600_302600_NS6detail15normal_iteratorINS8_7pointerIsNS8_11hip_rocprim5par_tENS8_11use_defaultESE_EEEENSA_INSB_IlSD_SE_SE_EEEEZNS1_13binary_searchIS3_S5_PsSG_SI_NS1_21lower_bound_search_opENS9_16wrapped_functionINS8_6system6detail7generic6detail18binary_search_lessEbEEEE10hipError_tPvRmT1_T2_T3_mmT4_T5_P12ihipStream_tbEUlRKsE_EEST_SX_SY_mSZ_S12_bEUlT_E_NS1_11comp_targetILNS1_3genE10ELNS1_11target_archE1201ELNS1_3gpuE5ELNS1_3repE0EEENS1_30default_config_static_selectorELNS0_4arch9wavefront6targetE0EEEvSW_ ; -- Begin function _ZN7rocprim17ROCPRIM_400000_NS6detail17trampoline_kernelINS0_14default_configENS1_27lower_bound_config_selectorIslEEZNS1_14transform_implILb0ES3_S5_N6thrust23THRUST_200600_302600_NS6detail15normal_iteratorINS8_7pointerIsNS8_11hip_rocprim5par_tENS8_11use_defaultESE_EEEENSA_INSB_IlSD_SE_SE_EEEEZNS1_13binary_searchIS3_S5_PsSG_SI_NS1_21lower_bound_search_opENS9_16wrapped_functionINS8_6system6detail7generic6detail18binary_search_lessEbEEEE10hipError_tPvRmT1_T2_T3_mmT4_T5_P12ihipStream_tbEUlRKsE_EEST_SX_SY_mSZ_S12_bEUlT_E_NS1_11comp_targetILNS1_3genE10ELNS1_11target_archE1201ELNS1_3gpuE5ELNS1_3repE0EEENS1_30default_config_static_selectorELNS0_4arch9wavefront6targetE0EEEvSW_
	.globl	_ZN7rocprim17ROCPRIM_400000_NS6detail17trampoline_kernelINS0_14default_configENS1_27lower_bound_config_selectorIslEEZNS1_14transform_implILb0ES3_S5_N6thrust23THRUST_200600_302600_NS6detail15normal_iteratorINS8_7pointerIsNS8_11hip_rocprim5par_tENS8_11use_defaultESE_EEEENSA_INSB_IlSD_SE_SE_EEEEZNS1_13binary_searchIS3_S5_PsSG_SI_NS1_21lower_bound_search_opENS9_16wrapped_functionINS8_6system6detail7generic6detail18binary_search_lessEbEEEE10hipError_tPvRmT1_T2_T3_mmT4_T5_P12ihipStream_tbEUlRKsE_EEST_SX_SY_mSZ_S12_bEUlT_E_NS1_11comp_targetILNS1_3genE10ELNS1_11target_archE1201ELNS1_3gpuE5ELNS1_3repE0EEENS1_30default_config_static_selectorELNS0_4arch9wavefront6targetE0EEEvSW_
	.p2align	8
	.type	_ZN7rocprim17ROCPRIM_400000_NS6detail17trampoline_kernelINS0_14default_configENS1_27lower_bound_config_selectorIslEEZNS1_14transform_implILb0ES3_S5_N6thrust23THRUST_200600_302600_NS6detail15normal_iteratorINS8_7pointerIsNS8_11hip_rocprim5par_tENS8_11use_defaultESE_EEEENSA_INSB_IlSD_SE_SE_EEEEZNS1_13binary_searchIS3_S5_PsSG_SI_NS1_21lower_bound_search_opENS9_16wrapped_functionINS8_6system6detail7generic6detail18binary_search_lessEbEEEE10hipError_tPvRmT1_T2_T3_mmT4_T5_P12ihipStream_tbEUlRKsE_EEST_SX_SY_mSZ_S12_bEUlT_E_NS1_11comp_targetILNS1_3genE10ELNS1_11target_archE1201ELNS1_3gpuE5ELNS1_3repE0EEENS1_30default_config_static_selectorELNS0_4arch9wavefront6targetE0EEEvSW_,@function
_ZN7rocprim17ROCPRIM_400000_NS6detail17trampoline_kernelINS0_14default_configENS1_27lower_bound_config_selectorIslEEZNS1_14transform_implILb0ES3_S5_N6thrust23THRUST_200600_302600_NS6detail15normal_iteratorINS8_7pointerIsNS8_11hip_rocprim5par_tENS8_11use_defaultESE_EEEENSA_INSB_IlSD_SE_SE_EEEEZNS1_13binary_searchIS3_S5_PsSG_SI_NS1_21lower_bound_search_opENS9_16wrapped_functionINS8_6system6detail7generic6detail18binary_search_lessEbEEEE10hipError_tPvRmT1_T2_T3_mmT4_T5_P12ihipStream_tbEUlRKsE_EEST_SX_SY_mSZ_S12_bEUlT_E_NS1_11comp_targetILNS1_3genE10ELNS1_11target_archE1201ELNS1_3gpuE5ELNS1_3repE0EEENS1_30default_config_static_selectorELNS0_4arch9wavefront6targetE0EEEvSW_: ; @_ZN7rocprim17ROCPRIM_400000_NS6detail17trampoline_kernelINS0_14default_configENS1_27lower_bound_config_selectorIslEEZNS1_14transform_implILb0ES3_S5_N6thrust23THRUST_200600_302600_NS6detail15normal_iteratorINS8_7pointerIsNS8_11hip_rocprim5par_tENS8_11use_defaultESE_EEEENSA_INSB_IlSD_SE_SE_EEEEZNS1_13binary_searchIS3_S5_PsSG_SI_NS1_21lower_bound_search_opENS9_16wrapped_functionINS8_6system6detail7generic6detail18binary_search_lessEbEEEE10hipError_tPvRmT1_T2_T3_mmT4_T5_P12ihipStream_tbEUlRKsE_EEST_SX_SY_mSZ_S12_bEUlT_E_NS1_11comp_targetILNS1_3genE10ELNS1_11target_archE1201ELNS1_3gpuE5ELNS1_3repE0EEENS1_30default_config_static_selectorELNS0_4arch9wavefront6targetE0EEEvSW_
; %bb.0:
	.section	.rodata,"a",@progbits
	.p2align	6, 0x0
	.amdhsa_kernel _ZN7rocprim17ROCPRIM_400000_NS6detail17trampoline_kernelINS0_14default_configENS1_27lower_bound_config_selectorIslEEZNS1_14transform_implILb0ES3_S5_N6thrust23THRUST_200600_302600_NS6detail15normal_iteratorINS8_7pointerIsNS8_11hip_rocprim5par_tENS8_11use_defaultESE_EEEENSA_INSB_IlSD_SE_SE_EEEEZNS1_13binary_searchIS3_S5_PsSG_SI_NS1_21lower_bound_search_opENS9_16wrapped_functionINS8_6system6detail7generic6detail18binary_search_lessEbEEEE10hipError_tPvRmT1_T2_T3_mmT4_T5_P12ihipStream_tbEUlRKsE_EEST_SX_SY_mSZ_S12_bEUlT_E_NS1_11comp_targetILNS1_3genE10ELNS1_11target_archE1201ELNS1_3gpuE5ELNS1_3repE0EEENS1_30default_config_static_selectorELNS0_4arch9wavefront6targetE0EEEvSW_
		.amdhsa_group_segment_fixed_size 0
		.amdhsa_private_segment_fixed_size 0
		.amdhsa_kernarg_size 56
		.amdhsa_user_sgpr_count 6
		.amdhsa_user_sgpr_private_segment_buffer 1
		.amdhsa_user_sgpr_dispatch_ptr 0
		.amdhsa_user_sgpr_queue_ptr 0
		.amdhsa_user_sgpr_kernarg_segment_ptr 1
		.amdhsa_user_sgpr_dispatch_id 0
		.amdhsa_user_sgpr_flat_scratch_init 0
		.amdhsa_user_sgpr_private_segment_size 0
		.amdhsa_wavefront_size32 1
		.amdhsa_uses_dynamic_stack 0
		.amdhsa_system_sgpr_private_segment_wavefront_offset 0
		.amdhsa_system_sgpr_workgroup_id_x 1
		.amdhsa_system_sgpr_workgroup_id_y 0
		.amdhsa_system_sgpr_workgroup_id_z 0
		.amdhsa_system_sgpr_workgroup_info 0
		.amdhsa_system_vgpr_workitem_id 0
		.amdhsa_next_free_vgpr 1
		.amdhsa_next_free_sgpr 1
		.amdhsa_reserve_vcc 0
		.amdhsa_reserve_flat_scratch 0
		.amdhsa_float_round_mode_32 0
		.amdhsa_float_round_mode_16_64 0
		.amdhsa_float_denorm_mode_32 3
		.amdhsa_float_denorm_mode_16_64 3
		.amdhsa_dx10_clamp 1
		.amdhsa_ieee_mode 1
		.amdhsa_fp16_overflow 0
		.amdhsa_workgroup_processor_mode 1
		.amdhsa_memory_ordered 1
		.amdhsa_forward_progress 1
		.amdhsa_shared_vgpr_count 0
		.amdhsa_exception_fp_ieee_invalid_op 0
		.amdhsa_exception_fp_denorm_src 0
		.amdhsa_exception_fp_ieee_div_zero 0
		.amdhsa_exception_fp_ieee_overflow 0
		.amdhsa_exception_fp_ieee_underflow 0
		.amdhsa_exception_fp_ieee_inexact 0
		.amdhsa_exception_int_div_zero 0
	.end_amdhsa_kernel
	.section	.text._ZN7rocprim17ROCPRIM_400000_NS6detail17trampoline_kernelINS0_14default_configENS1_27lower_bound_config_selectorIslEEZNS1_14transform_implILb0ES3_S5_N6thrust23THRUST_200600_302600_NS6detail15normal_iteratorINS8_7pointerIsNS8_11hip_rocprim5par_tENS8_11use_defaultESE_EEEENSA_INSB_IlSD_SE_SE_EEEEZNS1_13binary_searchIS3_S5_PsSG_SI_NS1_21lower_bound_search_opENS9_16wrapped_functionINS8_6system6detail7generic6detail18binary_search_lessEbEEEE10hipError_tPvRmT1_T2_T3_mmT4_T5_P12ihipStream_tbEUlRKsE_EEST_SX_SY_mSZ_S12_bEUlT_E_NS1_11comp_targetILNS1_3genE10ELNS1_11target_archE1201ELNS1_3gpuE5ELNS1_3repE0EEENS1_30default_config_static_selectorELNS0_4arch9wavefront6targetE0EEEvSW_,"axG",@progbits,_ZN7rocprim17ROCPRIM_400000_NS6detail17trampoline_kernelINS0_14default_configENS1_27lower_bound_config_selectorIslEEZNS1_14transform_implILb0ES3_S5_N6thrust23THRUST_200600_302600_NS6detail15normal_iteratorINS8_7pointerIsNS8_11hip_rocprim5par_tENS8_11use_defaultESE_EEEENSA_INSB_IlSD_SE_SE_EEEEZNS1_13binary_searchIS3_S5_PsSG_SI_NS1_21lower_bound_search_opENS9_16wrapped_functionINS8_6system6detail7generic6detail18binary_search_lessEbEEEE10hipError_tPvRmT1_T2_T3_mmT4_T5_P12ihipStream_tbEUlRKsE_EEST_SX_SY_mSZ_S12_bEUlT_E_NS1_11comp_targetILNS1_3genE10ELNS1_11target_archE1201ELNS1_3gpuE5ELNS1_3repE0EEENS1_30default_config_static_selectorELNS0_4arch9wavefront6targetE0EEEvSW_,comdat
.Lfunc_end157:
	.size	_ZN7rocprim17ROCPRIM_400000_NS6detail17trampoline_kernelINS0_14default_configENS1_27lower_bound_config_selectorIslEEZNS1_14transform_implILb0ES3_S5_N6thrust23THRUST_200600_302600_NS6detail15normal_iteratorINS8_7pointerIsNS8_11hip_rocprim5par_tENS8_11use_defaultESE_EEEENSA_INSB_IlSD_SE_SE_EEEEZNS1_13binary_searchIS3_S5_PsSG_SI_NS1_21lower_bound_search_opENS9_16wrapped_functionINS8_6system6detail7generic6detail18binary_search_lessEbEEEE10hipError_tPvRmT1_T2_T3_mmT4_T5_P12ihipStream_tbEUlRKsE_EEST_SX_SY_mSZ_S12_bEUlT_E_NS1_11comp_targetILNS1_3genE10ELNS1_11target_archE1201ELNS1_3gpuE5ELNS1_3repE0EEENS1_30default_config_static_selectorELNS0_4arch9wavefront6targetE0EEEvSW_, .Lfunc_end157-_ZN7rocprim17ROCPRIM_400000_NS6detail17trampoline_kernelINS0_14default_configENS1_27lower_bound_config_selectorIslEEZNS1_14transform_implILb0ES3_S5_N6thrust23THRUST_200600_302600_NS6detail15normal_iteratorINS8_7pointerIsNS8_11hip_rocprim5par_tENS8_11use_defaultESE_EEEENSA_INSB_IlSD_SE_SE_EEEEZNS1_13binary_searchIS3_S5_PsSG_SI_NS1_21lower_bound_search_opENS9_16wrapped_functionINS8_6system6detail7generic6detail18binary_search_lessEbEEEE10hipError_tPvRmT1_T2_T3_mmT4_T5_P12ihipStream_tbEUlRKsE_EEST_SX_SY_mSZ_S12_bEUlT_E_NS1_11comp_targetILNS1_3genE10ELNS1_11target_archE1201ELNS1_3gpuE5ELNS1_3repE0EEENS1_30default_config_static_selectorELNS0_4arch9wavefront6targetE0EEEvSW_
                                        ; -- End function
	.set _ZN7rocprim17ROCPRIM_400000_NS6detail17trampoline_kernelINS0_14default_configENS1_27lower_bound_config_selectorIslEEZNS1_14transform_implILb0ES3_S5_N6thrust23THRUST_200600_302600_NS6detail15normal_iteratorINS8_7pointerIsNS8_11hip_rocprim5par_tENS8_11use_defaultESE_EEEENSA_INSB_IlSD_SE_SE_EEEEZNS1_13binary_searchIS3_S5_PsSG_SI_NS1_21lower_bound_search_opENS9_16wrapped_functionINS8_6system6detail7generic6detail18binary_search_lessEbEEEE10hipError_tPvRmT1_T2_T3_mmT4_T5_P12ihipStream_tbEUlRKsE_EEST_SX_SY_mSZ_S12_bEUlT_E_NS1_11comp_targetILNS1_3genE10ELNS1_11target_archE1201ELNS1_3gpuE5ELNS1_3repE0EEENS1_30default_config_static_selectorELNS0_4arch9wavefront6targetE0EEEvSW_.num_vgpr, 0
	.set _ZN7rocprim17ROCPRIM_400000_NS6detail17trampoline_kernelINS0_14default_configENS1_27lower_bound_config_selectorIslEEZNS1_14transform_implILb0ES3_S5_N6thrust23THRUST_200600_302600_NS6detail15normal_iteratorINS8_7pointerIsNS8_11hip_rocprim5par_tENS8_11use_defaultESE_EEEENSA_INSB_IlSD_SE_SE_EEEEZNS1_13binary_searchIS3_S5_PsSG_SI_NS1_21lower_bound_search_opENS9_16wrapped_functionINS8_6system6detail7generic6detail18binary_search_lessEbEEEE10hipError_tPvRmT1_T2_T3_mmT4_T5_P12ihipStream_tbEUlRKsE_EEST_SX_SY_mSZ_S12_bEUlT_E_NS1_11comp_targetILNS1_3genE10ELNS1_11target_archE1201ELNS1_3gpuE5ELNS1_3repE0EEENS1_30default_config_static_selectorELNS0_4arch9wavefront6targetE0EEEvSW_.num_agpr, 0
	.set _ZN7rocprim17ROCPRIM_400000_NS6detail17trampoline_kernelINS0_14default_configENS1_27lower_bound_config_selectorIslEEZNS1_14transform_implILb0ES3_S5_N6thrust23THRUST_200600_302600_NS6detail15normal_iteratorINS8_7pointerIsNS8_11hip_rocprim5par_tENS8_11use_defaultESE_EEEENSA_INSB_IlSD_SE_SE_EEEEZNS1_13binary_searchIS3_S5_PsSG_SI_NS1_21lower_bound_search_opENS9_16wrapped_functionINS8_6system6detail7generic6detail18binary_search_lessEbEEEE10hipError_tPvRmT1_T2_T3_mmT4_T5_P12ihipStream_tbEUlRKsE_EEST_SX_SY_mSZ_S12_bEUlT_E_NS1_11comp_targetILNS1_3genE10ELNS1_11target_archE1201ELNS1_3gpuE5ELNS1_3repE0EEENS1_30default_config_static_selectorELNS0_4arch9wavefront6targetE0EEEvSW_.numbered_sgpr, 0
	.set _ZN7rocprim17ROCPRIM_400000_NS6detail17trampoline_kernelINS0_14default_configENS1_27lower_bound_config_selectorIslEEZNS1_14transform_implILb0ES3_S5_N6thrust23THRUST_200600_302600_NS6detail15normal_iteratorINS8_7pointerIsNS8_11hip_rocprim5par_tENS8_11use_defaultESE_EEEENSA_INSB_IlSD_SE_SE_EEEEZNS1_13binary_searchIS3_S5_PsSG_SI_NS1_21lower_bound_search_opENS9_16wrapped_functionINS8_6system6detail7generic6detail18binary_search_lessEbEEEE10hipError_tPvRmT1_T2_T3_mmT4_T5_P12ihipStream_tbEUlRKsE_EEST_SX_SY_mSZ_S12_bEUlT_E_NS1_11comp_targetILNS1_3genE10ELNS1_11target_archE1201ELNS1_3gpuE5ELNS1_3repE0EEENS1_30default_config_static_selectorELNS0_4arch9wavefront6targetE0EEEvSW_.num_named_barrier, 0
	.set _ZN7rocprim17ROCPRIM_400000_NS6detail17trampoline_kernelINS0_14default_configENS1_27lower_bound_config_selectorIslEEZNS1_14transform_implILb0ES3_S5_N6thrust23THRUST_200600_302600_NS6detail15normal_iteratorINS8_7pointerIsNS8_11hip_rocprim5par_tENS8_11use_defaultESE_EEEENSA_INSB_IlSD_SE_SE_EEEEZNS1_13binary_searchIS3_S5_PsSG_SI_NS1_21lower_bound_search_opENS9_16wrapped_functionINS8_6system6detail7generic6detail18binary_search_lessEbEEEE10hipError_tPvRmT1_T2_T3_mmT4_T5_P12ihipStream_tbEUlRKsE_EEST_SX_SY_mSZ_S12_bEUlT_E_NS1_11comp_targetILNS1_3genE10ELNS1_11target_archE1201ELNS1_3gpuE5ELNS1_3repE0EEENS1_30default_config_static_selectorELNS0_4arch9wavefront6targetE0EEEvSW_.private_seg_size, 0
	.set _ZN7rocprim17ROCPRIM_400000_NS6detail17trampoline_kernelINS0_14default_configENS1_27lower_bound_config_selectorIslEEZNS1_14transform_implILb0ES3_S5_N6thrust23THRUST_200600_302600_NS6detail15normal_iteratorINS8_7pointerIsNS8_11hip_rocprim5par_tENS8_11use_defaultESE_EEEENSA_INSB_IlSD_SE_SE_EEEEZNS1_13binary_searchIS3_S5_PsSG_SI_NS1_21lower_bound_search_opENS9_16wrapped_functionINS8_6system6detail7generic6detail18binary_search_lessEbEEEE10hipError_tPvRmT1_T2_T3_mmT4_T5_P12ihipStream_tbEUlRKsE_EEST_SX_SY_mSZ_S12_bEUlT_E_NS1_11comp_targetILNS1_3genE10ELNS1_11target_archE1201ELNS1_3gpuE5ELNS1_3repE0EEENS1_30default_config_static_selectorELNS0_4arch9wavefront6targetE0EEEvSW_.uses_vcc, 0
	.set _ZN7rocprim17ROCPRIM_400000_NS6detail17trampoline_kernelINS0_14default_configENS1_27lower_bound_config_selectorIslEEZNS1_14transform_implILb0ES3_S5_N6thrust23THRUST_200600_302600_NS6detail15normal_iteratorINS8_7pointerIsNS8_11hip_rocprim5par_tENS8_11use_defaultESE_EEEENSA_INSB_IlSD_SE_SE_EEEEZNS1_13binary_searchIS3_S5_PsSG_SI_NS1_21lower_bound_search_opENS9_16wrapped_functionINS8_6system6detail7generic6detail18binary_search_lessEbEEEE10hipError_tPvRmT1_T2_T3_mmT4_T5_P12ihipStream_tbEUlRKsE_EEST_SX_SY_mSZ_S12_bEUlT_E_NS1_11comp_targetILNS1_3genE10ELNS1_11target_archE1201ELNS1_3gpuE5ELNS1_3repE0EEENS1_30default_config_static_selectorELNS0_4arch9wavefront6targetE0EEEvSW_.uses_flat_scratch, 0
	.set _ZN7rocprim17ROCPRIM_400000_NS6detail17trampoline_kernelINS0_14default_configENS1_27lower_bound_config_selectorIslEEZNS1_14transform_implILb0ES3_S5_N6thrust23THRUST_200600_302600_NS6detail15normal_iteratorINS8_7pointerIsNS8_11hip_rocprim5par_tENS8_11use_defaultESE_EEEENSA_INSB_IlSD_SE_SE_EEEEZNS1_13binary_searchIS3_S5_PsSG_SI_NS1_21lower_bound_search_opENS9_16wrapped_functionINS8_6system6detail7generic6detail18binary_search_lessEbEEEE10hipError_tPvRmT1_T2_T3_mmT4_T5_P12ihipStream_tbEUlRKsE_EEST_SX_SY_mSZ_S12_bEUlT_E_NS1_11comp_targetILNS1_3genE10ELNS1_11target_archE1201ELNS1_3gpuE5ELNS1_3repE0EEENS1_30default_config_static_selectorELNS0_4arch9wavefront6targetE0EEEvSW_.has_dyn_sized_stack, 0
	.set _ZN7rocprim17ROCPRIM_400000_NS6detail17trampoline_kernelINS0_14default_configENS1_27lower_bound_config_selectorIslEEZNS1_14transform_implILb0ES3_S5_N6thrust23THRUST_200600_302600_NS6detail15normal_iteratorINS8_7pointerIsNS8_11hip_rocprim5par_tENS8_11use_defaultESE_EEEENSA_INSB_IlSD_SE_SE_EEEEZNS1_13binary_searchIS3_S5_PsSG_SI_NS1_21lower_bound_search_opENS9_16wrapped_functionINS8_6system6detail7generic6detail18binary_search_lessEbEEEE10hipError_tPvRmT1_T2_T3_mmT4_T5_P12ihipStream_tbEUlRKsE_EEST_SX_SY_mSZ_S12_bEUlT_E_NS1_11comp_targetILNS1_3genE10ELNS1_11target_archE1201ELNS1_3gpuE5ELNS1_3repE0EEENS1_30default_config_static_selectorELNS0_4arch9wavefront6targetE0EEEvSW_.has_recursion, 0
	.set _ZN7rocprim17ROCPRIM_400000_NS6detail17trampoline_kernelINS0_14default_configENS1_27lower_bound_config_selectorIslEEZNS1_14transform_implILb0ES3_S5_N6thrust23THRUST_200600_302600_NS6detail15normal_iteratorINS8_7pointerIsNS8_11hip_rocprim5par_tENS8_11use_defaultESE_EEEENSA_INSB_IlSD_SE_SE_EEEEZNS1_13binary_searchIS3_S5_PsSG_SI_NS1_21lower_bound_search_opENS9_16wrapped_functionINS8_6system6detail7generic6detail18binary_search_lessEbEEEE10hipError_tPvRmT1_T2_T3_mmT4_T5_P12ihipStream_tbEUlRKsE_EEST_SX_SY_mSZ_S12_bEUlT_E_NS1_11comp_targetILNS1_3genE10ELNS1_11target_archE1201ELNS1_3gpuE5ELNS1_3repE0EEENS1_30default_config_static_selectorELNS0_4arch9wavefront6targetE0EEEvSW_.has_indirect_call, 0
	.section	.AMDGPU.csdata,"",@progbits
; Kernel info:
; codeLenInByte = 0
; TotalNumSgprs: 0
; NumVgprs: 0
; ScratchSize: 0
; MemoryBound: 0
; FloatMode: 240
; IeeeMode: 1
; LDSByteSize: 0 bytes/workgroup (compile time only)
; SGPRBlocks: 0
; VGPRBlocks: 0
; NumSGPRsForWavesPerEU: 1
; NumVGPRsForWavesPerEU: 1
; Occupancy: 16
; WaveLimiterHint : 0
; COMPUTE_PGM_RSRC2:SCRATCH_EN: 0
; COMPUTE_PGM_RSRC2:USER_SGPR: 6
; COMPUTE_PGM_RSRC2:TRAP_HANDLER: 0
; COMPUTE_PGM_RSRC2:TGID_X_EN: 1
; COMPUTE_PGM_RSRC2:TGID_Y_EN: 0
; COMPUTE_PGM_RSRC2:TGID_Z_EN: 0
; COMPUTE_PGM_RSRC2:TIDIG_COMP_CNT: 0
	.section	.text._ZN7rocprim17ROCPRIM_400000_NS6detail17trampoline_kernelINS0_14default_configENS1_27lower_bound_config_selectorIslEEZNS1_14transform_implILb0ES3_S5_N6thrust23THRUST_200600_302600_NS6detail15normal_iteratorINS8_7pointerIsNS8_11hip_rocprim5par_tENS8_11use_defaultESE_EEEENSA_INSB_IlSD_SE_SE_EEEEZNS1_13binary_searchIS3_S5_PsSG_SI_NS1_21lower_bound_search_opENS9_16wrapped_functionINS8_6system6detail7generic6detail18binary_search_lessEbEEEE10hipError_tPvRmT1_T2_T3_mmT4_T5_P12ihipStream_tbEUlRKsE_EEST_SX_SY_mSZ_S12_bEUlT_E_NS1_11comp_targetILNS1_3genE10ELNS1_11target_archE1200ELNS1_3gpuE4ELNS1_3repE0EEENS1_30default_config_static_selectorELNS0_4arch9wavefront6targetE0EEEvSW_,"axG",@progbits,_ZN7rocprim17ROCPRIM_400000_NS6detail17trampoline_kernelINS0_14default_configENS1_27lower_bound_config_selectorIslEEZNS1_14transform_implILb0ES3_S5_N6thrust23THRUST_200600_302600_NS6detail15normal_iteratorINS8_7pointerIsNS8_11hip_rocprim5par_tENS8_11use_defaultESE_EEEENSA_INSB_IlSD_SE_SE_EEEEZNS1_13binary_searchIS3_S5_PsSG_SI_NS1_21lower_bound_search_opENS9_16wrapped_functionINS8_6system6detail7generic6detail18binary_search_lessEbEEEE10hipError_tPvRmT1_T2_T3_mmT4_T5_P12ihipStream_tbEUlRKsE_EEST_SX_SY_mSZ_S12_bEUlT_E_NS1_11comp_targetILNS1_3genE10ELNS1_11target_archE1200ELNS1_3gpuE4ELNS1_3repE0EEENS1_30default_config_static_selectorELNS0_4arch9wavefront6targetE0EEEvSW_,comdat
	.protected	_ZN7rocprim17ROCPRIM_400000_NS6detail17trampoline_kernelINS0_14default_configENS1_27lower_bound_config_selectorIslEEZNS1_14transform_implILb0ES3_S5_N6thrust23THRUST_200600_302600_NS6detail15normal_iteratorINS8_7pointerIsNS8_11hip_rocprim5par_tENS8_11use_defaultESE_EEEENSA_INSB_IlSD_SE_SE_EEEEZNS1_13binary_searchIS3_S5_PsSG_SI_NS1_21lower_bound_search_opENS9_16wrapped_functionINS8_6system6detail7generic6detail18binary_search_lessEbEEEE10hipError_tPvRmT1_T2_T3_mmT4_T5_P12ihipStream_tbEUlRKsE_EEST_SX_SY_mSZ_S12_bEUlT_E_NS1_11comp_targetILNS1_3genE10ELNS1_11target_archE1200ELNS1_3gpuE4ELNS1_3repE0EEENS1_30default_config_static_selectorELNS0_4arch9wavefront6targetE0EEEvSW_ ; -- Begin function _ZN7rocprim17ROCPRIM_400000_NS6detail17trampoline_kernelINS0_14default_configENS1_27lower_bound_config_selectorIslEEZNS1_14transform_implILb0ES3_S5_N6thrust23THRUST_200600_302600_NS6detail15normal_iteratorINS8_7pointerIsNS8_11hip_rocprim5par_tENS8_11use_defaultESE_EEEENSA_INSB_IlSD_SE_SE_EEEEZNS1_13binary_searchIS3_S5_PsSG_SI_NS1_21lower_bound_search_opENS9_16wrapped_functionINS8_6system6detail7generic6detail18binary_search_lessEbEEEE10hipError_tPvRmT1_T2_T3_mmT4_T5_P12ihipStream_tbEUlRKsE_EEST_SX_SY_mSZ_S12_bEUlT_E_NS1_11comp_targetILNS1_3genE10ELNS1_11target_archE1200ELNS1_3gpuE4ELNS1_3repE0EEENS1_30default_config_static_selectorELNS0_4arch9wavefront6targetE0EEEvSW_
	.globl	_ZN7rocprim17ROCPRIM_400000_NS6detail17trampoline_kernelINS0_14default_configENS1_27lower_bound_config_selectorIslEEZNS1_14transform_implILb0ES3_S5_N6thrust23THRUST_200600_302600_NS6detail15normal_iteratorINS8_7pointerIsNS8_11hip_rocprim5par_tENS8_11use_defaultESE_EEEENSA_INSB_IlSD_SE_SE_EEEEZNS1_13binary_searchIS3_S5_PsSG_SI_NS1_21lower_bound_search_opENS9_16wrapped_functionINS8_6system6detail7generic6detail18binary_search_lessEbEEEE10hipError_tPvRmT1_T2_T3_mmT4_T5_P12ihipStream_tbEUlRKsE_EEST_SX_SY_mSZ_S12_bEUlT_E_NS1_11comp_targetILNS1_3genE10ELNS1_11target_archE1200ELNS1_3gpuE4ELNS1_3repE0EEENS1_30default_config_static_selectorELNS0_4arch9wavefront6targetE0EEEvSW_
	.p2align	8
	.type	_ZN7rocprim17ROCPRIM_400000_NS6detail17trampoline_kernelINS0_14default_configENS1_27lower_bound_config_selectorIslEEZNS1_14transform_implILb0ES3_S5_N6thrust23THRUST_200600_302600_NS6detail15normal_iteratorINS8_7pointerIsNS8_11hip_rocprim5par_tENS8_11use_defaultESE_EEEENSA_INSB_IlSD_SE_SE_EEEEZNS1_13binary_searchIS3_S5_PsSG_SI_NS1_21lower_bound_search_opENS9_16wrapped_functionINS8_6system6detail7generic6detail18binary_search_lessEbEEEE10hipError_tPvRmT1_T2_T3_mmT4_T5_P12ihipStream_tbEUlRKsE_EEST_SX_SY_mSZ_S12_bEUlT_E_NS1_11comp_targetILNS1_3genE10ELNS1_11target_archE1200ELNS1_3gpuE4ELNS1_3repE0EEENS1_30default_config_static_selectorELNS0_4arch9wavefront6targetE0EEEvSW_,@function
_ZN7rocprim17ROCPRIM_400000_NS6detail17trampoline_kernelINS0_14default_configENS1_27lower_bound_config_selectorIslEEZNS1_14transform_implILb0ES3_S5_N6thrust23THRUST_200600_302600_NS6detail15normal_iteratorINS8_7pointerIsNS8_11hip_rocprim5par_tENS8_11use_defaultESE_EEEENSA_INSB_IlSD_SE_SE_EEEEZNS1_13binary_searchIS3_S5_PsSG_SI_NS1_21lower_bound_search_opENS9_16wrapped_functionINS8_6system6detail7generic6detail18binary_search_lessEbEEEE10hipError_tPvRmT1_T2_T3_mmT4_T5_P12ihipStream_tbEUlRKsE_EEST_SX_SY_mSZ_S12_bEUlT_E_NS1_11comp_targetILNS1_3genE10ELNS1_11target_archE1200ELNS1_3gpuE4ELNS1_3repE0EEENS1_30default_config_static_selectorELNS0_4arch9wavefront6targetE0EEEvSW_: ; @_ZN7rocprim17ROCPRIM_400000_NS6detail17trampoline_kernelINS0_14default_configENS1_27lower_bound_config_selectorIslEEZNS1_14transform_implILb0ES3_S5_N6thrust23THRUST_200600_302600_NS6detail15normal_iteratorINS8_7pointerIsNS8_11hip_rocprim5par_tENS8_11use_defaultESE_EEEENSA_INSB_IlSD_SE_SE_EEEEZNS1_13binary_searchIS3_S5_PsSG_SI_NS1_21lower_bound_search_opENS9_16wrapped_functionINS8_6system6detail7generic6detail18binary_search_lessEbEEEE10hipError_tPvRmT1_T2_T3_mmT4_T5_P12ihipStream_tbEUlRKsE_EEST_SX_SY_mSZ_S12_bEUlT_E_NS1_11comp_targetILNS1_3genE10ELNS1_11target_archE1200ELNS1_3gpuE4ELNS1_3repE0EEENS1_30default_config_static_selectorELNS0_4arch9wavefront6targetE0EEEvSW_
; %bb.0:
	.section	.rodata,"a",@progbits
	.p2align	6, 0x0
	.amdhsa_kernel _ZN7rocprim17ROCPRIM_400000_NS6detail17trampoline_kernelINS0_14default_configENS1_27lower_bound_config_selectorIslEEZNS1_14transform_implILb0ES3_S5_N6thrust23THRUST_200600_302600_NS6detail15normal_iteratorINS8_7pointerIsNS8_11hip_rocprim5par_tENS8_11use_defaultESE_EEEENSA_INSB_IlSD_SE_SE_EEEEZNS1_13binary_searchIS3_S5_PsSG_SI_NS1_21lower_bound_search_opENS9_16wrapped_functionINS8_6system6detail7generic6detail18binary_search_lessEbEEEE10hipError_tPvRmT1_T2_T3_mmT4_T5_P12ihipStream_tbEUlRKsE_EEST_SX_SY_mSZ_S12_bEUlT_E_NS1_11comp_targetILNS1_3genE10ELNS1_11target_archE1200ELNS1_3gpuE4ELNS1_3repE0EEENS1_30default_config_static_selectorELNS0_4arch9wavefront6targetE0EEEvSW_
		.amdhsa_group_segment_fixed_size 0
		.amdhsa_private_segment_fixed_size 0
		.amdhsa_kernarg_size 56
		.amdhsa_user_sgpr_count 6
		.amdhsa_user_sgpr_private_segment_buffer 1
		.amdhsa_user_sgpr_dispatch_ptr 0
		.amdhsa_user_sgpr_queue_ptr 0
		.amdhsa_user_sgpr_kernarg_segment_ptr 1
		.amdhsa_user_sgpr_dispatch_id 0
		.amdhsa_user_sgpr_flat_scratch_init 0
		.amdhsa_user_sgpr_private_segment_size 0
		.amdhsa_wavefront_size32 1
		.amdhsa_uses_dynamic_stack 0
		.amdhsa_system_sgpr_private_segment_wavefront_offset 0
		.amdhsa_system_sgpr_workgroup_id_x 1
		.amdhsa_system_sgpr_workgroup_id_y 0
		.amdhsa_system_sgpr_workgroup_id_z 0
		.amdhsa_system_sgpr_workgroup_info 0
		.amdhsa_system_vgpr_workitem_id 0
		.amdhsa_next_free_vgpr 1
		.amdhsa_next_free_sgpr 1
		.amdhsa_reserve_vcc 0
		.amdhsa_reserve_flat_scratch 0
		.amdhsa_float_round_mode_32 0
		.amdhsa_float_round_mode_16_64 0
		.amdhsa_float_denorm_mode_32 3
		.amdhsa_float_denorm_mode_16_64 3
		.amdhsa_dx10_clamp 1
		.amdhsa_ieee_mode 1
		.amdhsa_fp16_overflow 0
		.amdhsa_workgroup_processor_mode 1
		.amdhsa_memory_ordered 1
		.amdhsa_forward_progress 1
		.amdhsa_shared_vgpr_count 0
		.amdhsa_exception_fp_ieee_invalid_op 0
		.amdhsa_exception_fp_denorm_src 0
		.amdhsa_exception_fp_ieee_div_zero 0
		.amdhsa_exception_fp_ieee_overflow 0
		.amdhsa_exception_fp_ieee_underflow 0
		.amdhsa_exception_fp_ieee_inexact 0
		.amdhsa_exception_int_div_zero 0
	.end_amdhsa_kernel
	.section	.text._ZN7rocprim17ROCPRIM_400000_NS6detail17trampoline_kernelINS0_14default_configENS1_27lower_bound_config_selectorIslEEZNS1_14transform_implILb0ES3_S5_N6thrust23THRUST_200600_302600_NS6detail15normal_iteratorINS8_7pointerIsNS8_11hip_rocprim5par_tENS8_11use_defaultESE_EEEENSA_INSB_IlSD_SE_SE_EEEEZNS1_13binary_searchIS3_S5_PsSG_SI_NS1_21lower_bound_search_opENS9_16wrapped_functionINS8_6system6detail7generic6detail18binary_search_lessEbEEEE10hipError_tPvRmT1_T2_T3_mmT4_T5_P12ihipStream_tbEUlRKsE_EEST_SX_SY_mSZ_S12_bEUlT_E_NS1_11comp_targetILNS1_3genE10ELNS1_11target_archE1200ELNS1_3gpuE4ELNS1_3repE0EEENS1_30default_config_static_selectorELNS0_4arch9wavefront6targetE0EEEvSW_,"axG",@progbits,_ZN7rocprim17ROCPRIM_400000_NS6detail17trampoline_kernelINS0_14default_configENS1_27lower_bound_config_selectorIslEEZNS1_14transform_implILb0ES3_S5_N6thrust23THRUST_200600_302600_NS6detail15normal_iteratorINS8_7pointerIsNS8_11hip_rocprim5par_tENS8_11use_defaultESE_EEEENSA_INSB_IlSD_SE_SE_EEEEZNS1_13binary_searchIS3_S5_PsSG_SI_NS1_21lower_bound_search_opENS9_16wrapped_functionINS8_6system6detail7generic6detail18binary_search_lessEbEEEE10hipError_tPvRmT1_T2_T3_mmT4_T5_P12ihipStream_tbEUlRKsE_EEST_SX_SY_mSZ_S12_bEUlT_E_NS1_11comp_targetILNS1_3genE10ELNS1_11target_archE1200ELNS1_3gpuE4ELNS1_3repE0EEENS1_30default_config_static_selectorELNS0_4arch9wavefront6targetE0EEEvSW_,comdat
.Lfunc_end158:
	.size	_ZN7rocprim17ROCPRIM_400000_NS6detail17trampoline_kernelINS0_14default_configENS1_27lower_bound_config_selectorIslEEZNS1_14transform_implILb0ES3_S5_N6thrust23THRUST_200600_302600_NS6detail15normal_iteratorINS8_7pointerIsNS8_11hip_rocprim5par_tENS8_11use_defaultESE_EEEENSA_INSB_IlSD_SE_SE_EEEEZNS1_13binary_searchIS3_S5_PsSG_SI_NS1_21lower_bound_search_opENS9_16wrapped_functionINS8_6system6detail7generic6detail18binary_search_lessEbEEEE10hipError_tPvRmT1_T2_T3_mmT4_T5_P12ihipStream_tbEUlRKsE_EEST_SX_SY_mSZ_S12_bEUlT_E_NS1_11comp_targetILNS1_3genE10ELNS1_11target_archE1200ELNS1_3gpuE4ELNS1_3repE0EEENS1_30default_config_static_selectorELNS0_4arch9wavefront6targetE0EEEvSW_, .Lfunc_end158-_ZN7rocprim17ROCPRIM_400000_NS6detail17trampoline_kernelINS0_14default_configENS1_27lower_bound_config_selectorIslEEZNS1_14transform_implILb0ES3_S5_N6thrust23THRUST_200600_302600_NS6detail15normal_iteratorINS8_7pointerIsNS8_11hip_rocprim5par_tENS8_11use_defaultESE_EEEENSA_INSB_IlSD_SE_SE_EEEEZNS1_13binary_searchIS3_S5_PsSG_SI_NS1_21lower_bound_search_opENS9_16wrapped_functionINS8_6system6detail7generic6detail18binary_search_lessEbEEEE10hipError_tPvRmT1_T2_T3_mmT4_T5_P12ihipStream_tbEUlRKsE_EEST_SX_SY_mSZ_S12_bEUlT_E_NS1_11comp_targetILNS1_3genE10ELNS1_11target_archE1200ELNS1_3gpuE4ELNS1_3repE0EEENS1_30default_config_static_selectorELNS0_4arch9wavefront6targetE0EEEvSW_
                                        ; -- End function
	.set _ZN7rocprim17ROCPRIM_400000_NS6detail17trampoline_kernelINS0_14default_configENS1_27lower_bound_config_selectorIslEEZNS1_14transform_implILb0ES3_S5_N6thrust23THRUST_200600_302600_NS6detail15normal_iteratorINS8_7pointerIsNS8_11hip_rocprim5par_tENS8_11use_defaultESE_EEEENSA_INSB_IlSD_SE_SE_EEEEZNS1_13binary_searchIS3_S5_PsSG_SI_NS1_21lower_bound_search_opENS9_16wrapped_functionINS8_6system6detail7generic6detail18binary_search_lessEbEEEE10hipError_tPvRmT1_T2_T3_mmT4_T5_P12ihipStream_tbEUlRKsE_EEST_SX_SY_mSZ_S12_bEUlT_E_NS1_11comp_targetILNS1_3genE10ELNS1_11target_archE1200ELNS1_3gpuE4ELNS1_3repE0EEENS1_30default_config_static_selectorELNS0_4arch9wavefront6targetE0EEEvSW_.num_vgpr, 0
	.set _ZN7rocprim17ROCPRIM_400000_NS6detail17trampoline_kernelINS0_14default_configENS1_27lower_bound_config_selectorIslEEZNS1_14transform_implILb0ES3_S5_N6thrust23THRUST_200600_302600_NS6detail15normal_iteratorINS8_7pointerIsNS8_11hip_rocprim5par_tENS8_11use_defaultESE_EEEENSA_INSB_IlSD_SE_SE_EEEEZNS1_13binary_searchIS3_S5_PsSG_SI_NS1_21lower_bound_search_opENS9_16wrapped_functionINS8_6system6detail7generic6detail18binary_search_lessEbEEEE10hipError_tPvRmT1_T2_T3_mmT4_T5_P12ihipStream_tbEUlRKsE_EEST_SX_SY_mSZ_S12_bEUlT_E_NS1_11comp_targetILNS1_3genE10ELNS1_11target_archE1200ELNS1_3gpuE4ELNS1_3repE0EEENS1_30default_config_static_selectorELNS0_4arch9wavefront6targetE0EEEvSW_.num_agpr, 0
	.set _ZN7rocprim17ROCPRIM_400000_NS6detail17trampoline_kernelINS0_14default_configENS1_27lower_bound_config_selectorIslEEZNS1_14transform_implILb0ES3_S5_N6thrust23THRUST_200600_302600_NS6detail15normal_iteratorINS8_7pointerIsNS8_11hip_rocprim5par_tENS8_11use_defaultESE_EEEENSA_INSB_IlSD_SE_SE_EEEEZNS1_13binary_searchIS3_S5_PsSG_SI_NS1_21lower_bound_search_opENS9_16wrapped_functionINS8_6system6detail7generic6detail18binary_search_lessEbEEEE10hipError_tPvRmT1_T2_T3_mmT4_T5_P12ihipStream_tbEUlRKsE_EEST_SX_SY_mSZ_S12_bEUlT_E_NS1_11comp_targetILNS1_3genE10ELNS1_11target_archE1200ELNS1_3gpuE4ELNS1_3repE0EEENS1_30default_config_static_selectorELNS0_4arch9wavefront6targetE0EEEvSW_.numbered_sgpr, 0
	.set _ZN7rocprim17ROCPRIM_400000_NS6detail17trampoline_kernelINS0_14default_configENS1_27lower_bound_config_selectorIslEEZNS1_14transform_implILb0ES3_S5_N6thrust23THRUST_200600_302600_NS6detail15normal_iteratorINS8_7pointerIsNS8_11hip_rocprim5par_tENS8_11use_defaultESE_EEEENSA_INSB_IlSD_SE_SE_EEEEZNS1_13binary_searchIS3_S5_PsSG_SI_NS1_21lower_bound_search_opENS9_16wrapped_functionINS8_6system6detail7generic6detail18binary_search_lessEbEEEE10hipError_tPvRmT1_T2_T3_mmT4_T5_P12ihipStream_tbEUlRKsE_EEST_SX_SY_mSZ_S12_bEUlT_E_NS1_11comp_targetILNS1_3genE10ELNS1_11target_archE1200ELNS1_3gpuE4ELNS1_3repE0EEENS1_30default_config_static_selectorELNS0_4arch9wavefront6targetE0EEEvSW_.num_named_barrier, 0
	.set _ZN7rocprim17ROCPRIM_400000_NS6detail17trampoline_kernelINS0_14default_configENS1_27lower_bound_config_selectorIslEEZNS1_14transform_implILb0ES3_S5_N6thrust23THRUST_200600_302600_NS6detail15normal_iteratorINS8_7pointerIsNS8_11hip_rocprim5par_tENS8_11use_defaultESE_EEEENSA_INSB_IlSD_SE_SE_EEEEZNS1_13binary_searchIS3_S5_PsSG_SI_NS1_21lower_bound_search_opENS9_16wrapped_functionINS8_6system6detail7generic6detail18binary_search_lessEbEEEE10hipError_tPvRmT1_T2_T3_mmT4_T5_P12ihipStream_tbEUlRKsE_EEST_SX_SY_mSZ_S12_bEUlT_E_NS1_11comp_targetILNS1_3genE10ELNS1_11target_archE1200ELNS1_3gpuE4ELNS1_3repE0EEENS1_30default_config_static_selectorELNS0_4arch9wavefront6targetE0EEEvSW_.private_seg_size, 0
	.set _ZN7rocprim17ROCPRIM_400000_NS6detail17trampoline_kernelINS0_14default_configENS1_27lower_bound_config_selectorIslEEZNS1_14transform_implILb0ES3_S5_N6thrust23THRUST_200600_302600_NS6detail15normal_iteratorINS8_7pointerIsNS8_11hip_rocprim5par_tENS8_11use_defaultESE_EEEENSA_INSB_IlSD_SE_SE_EEEEZNS1_13binary_searchIS3_S5_PsSG_SI_NS1_21lower_bound_search_opENS9_16wrapped_functionINS8_6system6detail7generic6detail18binary_search_lessEbEEEE10hipError_tPvRmT1_T2_T3_mmT4_T5_P12ihipStream_tbEUlRKsE_EEST_SX_SY_mSZ_S12_bEUlT_E_NS1_11comp_targetILNS1_3genE10ELNS1_11target_archE1200ELNS1_3gpuE4ELNS1_3repE0EEENS1_30default_config_static_selectorELNS0_4arch9wavefront6targetE0EEEvSW_.uses_vcc, 0
	.set _ZN7rocprim17ROCPRIM_400000_NS6detail17trampoline_kernelINS0_14default_configENS1_27lower_bound_config_selectorIslEEZNS1_14transform_implILb0ES3_S5_N6thrust23THRUST_200600_302600_NS6detail15normal_iteratorINS8_7pointerIsNS8_11hip_rocprim5par_tENS8_11use_defaultESE_EEEENSA_INSB_IlSD_SE_SE_EEEEZNS1_13binary_searchIS3_S5_PsSG_SI_NS1_21lower_bound_search_opENS9_16wrapped_functionINS8_6system6detail7generic6detail18binary_search_lessEbEEEE10hipError_tPvRmT1_T2_T3_mmT4_T5_P12ihipStream_tbEUlRKsE_EEST_SX_SY_mSZ_S12_bEUlT_E_NS1_11comp_targetILNS1_3genE10ELNS1_11target_archE1200ELNS1_3gpuE4ELNS1_3repE0EEENS1_30default_config_static_selectorELNS0_4arch9wavefront6targetE0EEEvSW_.uses_flat_scratch, 0
	.set _ZN7rocprim17ROCPRIM_400000_NS6detail17trampoline_kernelINS0_14default_configENS1_27lower_bound_config_selectorIslEEZNS1_14transform_implILb0ES3_S5_N6thrust23THRUST_200600_302600_NS6detail15normal_iteratorINS8_7pointerIsNS8_11hip_rocprim5par_tENS8_11use_defaultESE_EEEENSA_INSB_IlSD_SE_SE_EEEEZNS1_13binary_searchIS3_S5_PsSG_SI_NS1_21lower_bound_search_opENS9_16wrapped_functionINS8_6system6detail7generic6detail18binary_search_lessEbEEEE10hipError_tPvRmT1_T2_T3_mmT4_T5_P12ihipStream_tbEUlRKsE_EEST_SX_SY_mSZ_S12_bEUlT_E_NS1_11comp_targetILNS1_3genE10ELNS1_11target_archE1200ELNS1_3gpuE4ELNS1_3repE0EEENS1_30default_config_static_selectorELNS0_4arch9wavefront6targetE0EEEvSW_.has_dyn_sized_stack, 0
	.set _ZN7rocprim17ROCPRIM_400000_NS6detail17trampoline_kernelINS0_14default_configENS1_27lower_bound_config_selectorIslEEZNS1_14transform_implILb0ES3_S5_N6thrust23THRUST_200600_302600_NS6detail15normal_iteratorINS8_7pointerIsNS8_11hip_rocprim5par_tENS8_11use_defaultESE_EEEENSA_INSB_IlSD_SE_SE_EEEEZNS1_13binary_searchIS3_S5_PsSG_SI_NS1_21lower_bound_search_opENS9_16wrapped_functionINS8_6system6detail7generic6detail18binary_search_lessEbEEEE10hipError_tPvRmT1_T2_T3_mmT4_T5_P12ihipStream_tbEUlRKsE_EEST_SX_SY_mSZ_S12_bEUlT_E_NS1_11comp_targetILNS1_3genE10ELNS1_11target_archE1200ELNS1_3gpuE4ELNS1_3repE0EEENS1_30default_config_static_selectorELNS0_4arch9wavefront6targetE0EEEvSW_.has_recursion, 0
	.set _ZN7rocprim17ROCPRIM_400000_NS6detail17trampoline_kernelINS0_14default_configENS1_27lower_bound_config_selectorIslEEZNS1_14transform_implILb0ES3_S5_N6thrust23THRUST_200600_302600_NS6detail15normal_iteratorINS8_7pointerIsNS8_11hip_rocprim5par_tENS8_11use_defaultESE_EEEENSA_INSB_IlSD_SE_SE_EEEEZNS1_13binary_searchIS3_S5_PsSG_SI_NS1_21lower_bound_search_opENS9_16wrapped_functionINS8_6system6detail7generic6detail18binary_search_lessEbEEEE10hipError_tPvRmT1_T2_T3_mmT4_T5_P12ihipStream_tbEUlRKsE_EEST_SX_SY_mSZ_S12_bEUlT_E_NS1_11comp_targetILNS1_3genE10ELNS1_11target_archE1200ELNS1_3gpuE4ELNS1_3repE0EEENS1_30default_config_static_selectorELNS0_4arch9wavefront6targetE0EEEvSW_.has_indirect_call, 0
	.section	.AMDGPU.csdata,"",@progbits
; Kernel info:
; codeLenInByte = 0
; TotalNumSgprs: 0
; NumVgprs: 0
; ScratchSize: 0
; MemoryBound: 0
; FloatMode: 240
; IeeeMode: 1
; LDSByteSize: 0 bytes/workgroup (compile time only)
; SGPRBlocks: 0
; VGPRBlocks: 0
; NumSGPRsForWavesPerEU: 1
; NumVGPRsForWavesPerEU: 1
; Occupancy: 16
; WaveLimiterHint : 0
; COMPUTE_PGM_RSRC2:SCRATCH_EN: 0
; COMPUTE_PGM_RSRC2:USER_SGPR: 6
; COMPUTE_PGM_RSRC2:TRAP_HANDLER: 0
; COMPUTE_PGM_RSRC2:TGID_X_EN: 1
; COMPUTE_PGM_RSRC2:TGID_Y_EN: 0
; COMPUTE_PGM_RSRC2:TGID_Z_EN: 0
; COMPUTE_PGM_RSRC2:TIDIG_COMP_CNT: 0
	.section	.text._ZN7rocprim17ROCPRIM_400000_NS6detail17trampoline_kernelINS0_14default_configENS1_27lower_bound_config_selectorIslEEZNS1_14transform_implILb0ES3_S5_N6thrust23THRUST_200600_302600_NS6detail15normal_iteratorINS8_7pointerIsNS8_11hip_rocprim5par_tENS8_11use_defaultESE_EEEENSA_INSB_IlSD_SE_SE_EEEEZNS1_13binary_searchIS3_S5_PsSG_SI_NS1_21lower_bound_search_opENS9_16wrapped_functionINS8_6system6detail7generic6detail18binary_search_lessEbEEEE10hipError_tPvRmT1_T2_T3_mmT4_T5_P12ihipStream_tbEUlRKsE_EEST_SX_SY_mSZ_S12_bEUlT_E_NS1_11comp_targetILNS1_3genE9ELNS1_11target_archE1100ELNS1_3gpuE3ELNS1_3repE0EEENS1_30default_config_static_selectorELNS0_4arch9wavefront6targetE0EEEvSW_,"axG",@progbits,_ZN7rocprim17ROCPRIM_400000_NS6detail17trampoline_kernelINS0_14default_configENS1_27lower_bound_config_selectorIslEEZNS1_14transform_implILb0ES3_S5_N6thrust23THRUST_200600_302600_NS6detail15normal_iteratorINS8_7pointerIsNS8_11hip_rocprim5par_tENS8_11use_defaultESE_EEEENSA_INSB_IlSD_SE_SE_EEEEZNS1_13binary_searchIS3_S5_PsSG_SI_NS1_21lower_bound_search_opENS9_16wrapped_functionINS8_6system6detail7generic6detail18binary_search_lessEbEEEE10hipError_tPvRmT1_T2_T3_mmT4_T5_P12ihipStream_tbEUlRKsE_EEST_SX_SY_mSZ_S12_bEUlT_E_NS1_11comp_targetILNS1_3genE9ELNS1_11target_archE1100ELNS1_3gpuE3ELNS1_3repE0EEENS1_30default_config_static_selectorELNS0_4arch9wavefront6targetE0EEEvSW_,comdat
	.protected	_ZN7rocprim17ROCPRIM_400000_NS6detail17trampoline_kernelINS0_14default_configENS1_27lower_bound_config_selectorIslEEZNS1_14transform_implILb0ES3_S5_N6thrust23THRUST_200600_302600_NS6detail15normal_iteratorINS8_7pointerIsNS8_11hip_rocprim5par_tENS8_11use_defaultESE_EEEENSA_INSB_IlSD_SE_SE_EEEEZNS1_13binary_searchIS3_S5_PsSG_SI_NS1_21lower_bound_search_opENS9_16wrapped_functionINS8_6system6detail7generic6detail18binary_search_lessEbEEEE10hipError_tPvRmT1_T2_T3_mmT4_T5_P12ihipStream_tbEUlRKsE_EEST_SX_SY_mSZ_S12_bEUlT_E_NS1_11comp_targetILNS1_3genE9ELNS1_11target_archE1100ELNS1_3gpuE3ELNS1_3repE0EEENS1_30default_config_static_selectorELNS0_4arch9wavefront6targetE0EEEvSW_ ; -- Begin function _ZN7rocprim17ROCPRIM_400000_NS6detail17trampoline_kernelINS0_14default_configENS1_27lower_bound_config_selectorIslEEZNS1_14transform_implILb0ES3_S5_N6thrust23THRUST_200600_302600_NS6detail15normal_iteratorINS8_7pointerIsNS8_11hip_rocprim5par_tENS8_11use_defaultESE_EEEENSA_INSB_IlSD_SE_SE_EEEEZNS1_13binary_searchIS3_S5_PsSG_SI_NS1_21lower_bound_search_opENS9_16wrapped_functionINS8_6system6detail7generic6detail18binary_search_lessEbEEEE10hipError_tPvRmT1_T2_T3_mmT4_T5_P12ihipStream_tbEUlRKsE_EEST_SX_SY_mSZ_S12_bEUlT_E_NS1_11comp_targetILNS1_3genE9ELNS1_11target_archE1100ELNS1_3gpuE3ELNS1_3repE0EEENS1_30default_config_static_selectorELNS0_4arch9wavefront6targetE0EEEvSW_
	.globl	_ZN7rocprim17ROCPRIM_400000_NS6detail17trampoline_kernelINS0_14default_configENS1_27lower_bound_config_selectorIslEEZNS1_14transform_implILb0ES3_S5_N6thrust23THRUST_200600_302600_NS6detail15normal_iteratorINS8_7pointerIsNS8_11hip_rocprim5par_tENS8_11use_defaultESE_EEEENSA_INSB_IlSD_SE_SE_EEEEZNS1_13binary_searchIS3_S5_PsSG_SI_NS1_21lower_bound_search_opENS9_16wrapped_functionINS8_6system6detail7generic6detail18binary_search_lessEbEEEE10hipError_tPvRmT1_T2_T3_mmT4_T5_P12ihipStream_tbEUlRKsE_EEST_SX_SY_mSZ_S12_bEUlT_E_NS1_11comp_targetILNS1_3genE9ELNS1_11target_archE1100ELNS1_3gpuE3ELNS1_3repE0EEENS1_30default_config_static_selectorELNS0_4arch9wavefront6targetE0EEEvSW_
	.p2align	8
	.type	_ZN7rocprim17ROCPRIM_400000_NS6detail17trampoline_kernelINS0_14default_configENS1_27lower_bound_config_selectorIslEEZNS1_14transform_implILb0ES3_S5_N6thrust23THRUST_200600_302600_NS6detail15normal_iteratorINS8_7pointerIsNS8_11hip_rocprim5par_tENS8_11use_defaultESE_EEEENSA_INSB_IlSD_SE_SE_EEEEZNS1_13binary_searchIS3_S5_PsSG_SI_NS1_21lower_bound_search_opENS9_16wrapped_functionINS8_6system6detail7generic6detail18binary_search_lessEbEEEE10hipError_tPvRmT1_T2_T3_mmT4_T5_P12ihipStream_tbEUlRKsE_EEST_SX_SY_mSZ_S12_bEUlT_E_NS1_11comp_targetILNS1_3genE9ELNS1_11target_archE1100ELNS1_3gpuE3ELNS1_3repE0EEENS1_30default_config_static_selectorELNS0_4arch9wavefront6targetE0EEEvSW_,@function
_ZN7rocprim17ROCPRIM_400000_NS6detail17trampoline_kernelINS0_14default_configENS1_27lower_bound_config_selectorIslEEZNS1_14transform_implILb0ES3_S5_N6thrust23THRUST_200600_302600_NS6detail15normal_iteratorINS8_7pointerIsNS8_11hip_rocprim5par_tENS8_11use_defaultESE_EEEENSA_INSB_IlSD_SE_SE_EEEEZNS1_13binary_searchIS3_S5_PsSG_SI_NS1_21lower_bound_search_opENS9_16wrapped_functionINS8_6system6detail7generic6detail18binary_search_lessEbEEEE10hipError_tPvRmT1_T2_T3_mmT4_T5_P12ihipStream_tbEUlRKsE_EEST_SX_SY_mSZ_S12_bEUlT_E_NS1_11comp_targetILNS1_3genE9ELNS1_11target_archE1100ELNS1_3gpuE3ELNS1_3repE0EEENS1_30default_config_static_selectorELNS0_4arch9wavefront6targetE0EEEvSW_: ; @_ZN7rocprim17ROCPRIM_400000_NS6detail17trampoline_kernelINS0_14default_configENS1_27lower_bound_config_selectorIslEEZNS1_14transform_implILb0ES3_S5_N6thrust23THRUST_200600_302600_NS6detail15normal_iteratorINS8_7pointerIsNS8_11hip_rocprim5par_tENS8_11use_defaultESE_EEEENSA_INSB_IlSD_SE_SE_EEEEZNS1_13binary_searchIS3_S5_PsSG_SI_NS1_21lower_bound_search_opENS9_16wrapped_functionINS8_6system6detail7generic6detail18binary_search_lessEbEEEE10hipError_tPvRmT1_T2_T3_mmT4_T5_P12ihipStream_tbEUlRKsE_EEST_SX_SY_mSZ_S12_bEUlT_E_NS1_11comp_targetILNS1_3genE9ELNS1_11target_archE1100ELNS1_3gpuE3ELNS1_3repE0EEENS1_30default_config_static_selectorELNS0_4arch9wavefront6targetE0EEEvSW_
; %bb.0:
	.section	.rodata,"a",@progbits
	.p2align	6, 0x0
	.amdhsa_kernel _ZN7rocprim17ROCPRIM_400000_NS6detail17trampoline_kernelINS0_14default_configENS1_27lower_bound_config_selectorIslEEZNS1_14transform_implILb0ES3_S5_N6thrust23THRUST_200600_302600_NS6detail15normal_iteratorINS8_7pointerIsNS8_11hip_rocprim5par_tENS8_11use_defaultESE_EEEENSA_INSB_IlSD_SE_SE_EEEEZNS1_13binary_searchIS3_S5_PsSG_SI_NS1_21lower_bound_search_opENS9_16wrapped_functionINS8_6system6detail7generic6detail18binary_search_lessEbEEEE10hipError_tPvRmT1_T2_T3_mmT4_T5_P12ihipStream_tbEUlRKsE_EEST_SX_SY_mSZ_S12_bEUlT_E_NS1_11comp_targetILNS1_3genE9ELNS1_11target_archE1100ELNS1_3gpuE3ELNS1_3repE0EEENS1_30default_config_static_selectorELNS0_4arch9wavefront6targetE0EEEvSW_
		.amdhsa_group_segment_fixed_size 0
		.amdhsa_private_segment_fixed_size 0
		.amdhsa_kernarg_size 56
		.amdhsa_user_sgpr_count 6
		.amdhsa_user_sgpr_private_segment_buffer 1
		.amdhsa_user_sgpr_dispatch_ptr 0
		.amdhsa_user_sgpr_queue_ptr 0
		.amdhsa_user_sgpr_kernarg_segment_ptr 1
		.amdhsa_user_sgpr_dispatch_id 0
		.amdhsa_user_sgpr_flat_scratch_init 0
		.amdhsa_user_sgpr_private_segment_size 0
		.amdhsa_wavefront_size32 1
		.amdhsa_uses_dynamic_stack 0
		.amdhsa_system_sgpr_private_segment_wavefront_offset 0
		.amdhsa_system_sgpr_workgroup_id_x 1
		.amdhsa_system_sgpr_workgroup_id_y 0
		.amdhsa_system_sgpr_workgroup_id_z 0
		.amdhsa_system_sgpr_workgroup_info 0
		.amdhsa_system_vgpr_workitem_id 0
		.amdhsa_next_free_vgpr 1
		.amdhsa_next_free_sgpr 1
		.amdhsa_reserve_vcc 0
		.amdhsa_reserve_flat_scratch 0
		.amdhsa_float_round_mode_32 0
		.amdhsa_float_round_mode_16_64 0
		.amdhsa_float_denorm_mode_32 3
		.amdhsa_float_denorm_mode_16_64 3
		.amdhsa_dx10_clamp 1
		.amdhsa_ieee_mode 1
		.amdhsa_fp16_overflow 0
		.amdhsa_workgroup_processor_mode 1
		.amdhsa_memory_ordered 1
		.amdhsa_forward_progress 1
		.amdhsa_shared_vgpr_count 0
		.amdhsa_exception_fp_ieee_invalid_op 0
		.amdhsa_exception_fp_denorm_src 0
		.amdhsa_exception_fp_ieee_div_zero 0
		.amdhsa_exception_fp_ieee_overflow 0
		.amdhsa_exception_fp_ieee_underflow 0
		.amdhsa_exception_fp_ieee_inexact 0
		.amdhsa_exception_int_div_zero 0
	.end_amdhsa_kernel
	.section	.text._ZN7rocprim17ROCPRIM_400000_NS6detail17trampoline_kernelINS0_14default_configENS1_27lower_bound_config_selectorIslEEZNS1_14transform_implILb0ES3_S5_N6thrust23THRUST_200600_302600_NS6detail15normal_iteratorINS8_7pointerIsNS8_11hip_rocprim5par_tENS8_11use_defaultESE_EEEENSA_INSB_IlSD_SE_SE_EEEEZNS1_13binary_searchIS3_S5_PsSG_SI_NS1_21lower_bound_search_opENS9_16wrapped_functionINS8_6system6detail7generic6detail18binary_search_lessEbEEEE10hipError_tPvRmT1_T2_T3_mmT4_T5_P12ihipStream_tbEUlRKsE_EEST_SX_SY_mSZ_S12_bEUlT_E_NS1_11comp_targetILNS1_3genE9ELNS1_11target_archE1100ELNS1_3gpuE3ELNS1_3repE0EEENS1_30default_config_static_selectorELNS0_4arch9wavefront6targetE0EEEvSW_,"axG",@progbits,_ZN7rocprim17ROCPRIM_400000_NS6detail17trampoline_kernelINS0_14default_configENS1_27lower_bound_config_selectorIslEEZNS1_14transform_implILb0ES3_S5_N6thrust23THRUST_200600_302600_NS6detail15normal_iteratorINS8_7pointerIsNS8_11hip_rocprim5par_tENS8_11use_defaultESE_EEEENSA_INSB_IlSD_SE_SE_EEEEZNS1_13binary_searchIS3_S5_PsSG_SI_NS1_21lower_bound_search_opENS9_16wrapped_functionINS8_6system6detail7generic6detail18binary_search_lessEbEEEE10hipError_tPvRmT1_T2_T3_mmT4_T5_P12ihipStream_tbEUlRKsE_EEST_SX_SY_mSZ_S12_bEUlT_E_NS1_11comp_targetILNS1_3genE9ELNS1_11target_archE1100ELNS1_3gpuE3ELNS1_3repE0EEENS1_30default_config_static_selectorELNS0_4arch9wavefront6targetE0EEEvSW_,comdat
.Lfunc_end159:
	.size	_ZN7rocprim17ROCPRIM_400000_NS6detail17trampoline_kernelINS0_14default_configENS1_27lower_bound_config_selectorIslEEZNS1_14transform_implILb0ES3_S5_N6thrust23THRUST_200600_302600_NS6detail15normal_iteratorINS8_7pointerIsNS8_11hip_rocprim5par_tENS8_11use_defaultESE_EEEENSA_INSB_IlSD_SE_SE_EEEEZNS1_13binary_searchIS3_S5_PsSG_SI_NS1_21lower_bound_search_opENS9_16wrapped_functionINS8_6system6detail7generic6detail18binary_search_lessEbEEEE10hipError_tPvRmT1_T2_T3_mmT4_T5_P12ihipStream_tbEUlRKsE_EEST_SX_SY_mSZ_S12_bEUlT_E_NS1_11comp_targetILNS1_3genE9ELNS1_11target_archE1100ELNS1_3gpuE3ELNS1_3repE0EEENS1_30default_config_static_selectorELNS0_4arch9wavefront6targetE0EEEvSW_, .Lfunc_end159-_ZN7rocprim17ROCPRIM_400000_NS6detail17trampoline_kernelINS0_14default_configENS1_27lower_bound_config_selectorIslEEZNS1_14transform_implILb0ES3_S5_N6thrust23THRUST_200600_302600_NS6detail15normal_iteratorINS8_7pointerIsNS8_11hip_rocprim5par_tENS8_11use_defaultESE_EEEENSA_INSB_IlSD_SE_SE_EEEEZNS1_13binary_searchIS3_S5_PsSG_SI_NS1_21lower_bound_search_opENS9_16wrapped_functionINS8_6system6detail7generic6detail18binary_search_lessEbEEEE10hipError_tPvRmT1_T2_T3_mmT4_T5_P12ihipStream_tbEUlRKsE_EEST_SX_SY_mSZ_S12_bEUlT_E_NS1_11comp_targetILNS1_3genE9ELNS1_11target_archE1100ELNS1_3gpuE3ELNS1_3repE0EEENS1_30default_config_static_selectorELNS0_4arch9wavefront6targetE0EEEvSW_
                                        ; -- End function
	.set _ZN7rocprim17ROCPRIM_400000_NS6detail17trampoline_kernelINS0_14default_configENS1_27lower_bound_config_selectorIslEEZNS1_14transform_implILb0ES3_S5_N6thrust23THRUST_200600_302600_NS6detail15normal_iteratorINS8_7pointerIsNS8_11hip_rocprim5par_tENS8_11use_defaultESE_EEEENSA_INSB_IlSD_SE_SE_EEEEZNS1_13binary_searchIS3_S5_PsSG_SI_NS1_21lower_bound_search_opENS9_16wrapped_functionINS8_6system6detail7generic6detail18binary_search_lessEbEEEE10hipError_tPvRmT1_T2_T3_mmT4_T5_P12ihipStream_tbEUlRKsE_EEST_SX_SY_mSZ_S12_bEUlT_E_NS1_11comp_targetILNS1_3genE9ELNS1_11target_archE1100ELNS1_3gpuE3ELNS1_3repE0EEENS1_30default_config_static_selectorELNS0_4arch9wavefront6targetE0EEEvSW_.num_vgpr, 0
	.set _ZN7rocprim17ROCPRIM_400000_NS6detail17trampoline_kernelINS0_14default_configENS1_27lower_bound_config_selectorIslEEZNS1_14transform_implILb0ES3_S5_N6thrust23THRUST_200600_302600_NS6detail15normal_iteratorINS8_7pointerIsNS8_11hip_rocprim5par_tENS8_11use_defaultESE_EEEENSA_INSB_IlSD_SE_SE_EEEEZNS1_13binary_searchIS3_S5_PsSG_SI_NS1_21lower_bound_search_opENS9_16wrapped_functionINS8_6system6detail7generic6detail18binary_search_lessEbEEEE10hipError_tPvRmT1_T2_T3_mmT4_T5_P12ihipStream_tbEUlRKsE_EEST_SX_SY_mSZ_S12_bEUlT_E_NS1_11comp_targetILNS1_3genE9ELNS1_11target_archE1100ELNS1_3gpuE3ELNS1_3repE0EEENS1_30default_config_static_selectorELNS0_4arch9wavefront6targetE0EEEvSW_.num_agpr, 0
	.set _ZN7rocprim17ROCPRIM_400000_NS6detail17trampoline_kernelINS0_14default_configENS1_27lower_bound_config_selectorIslEEZNS1_14transform_implILb0ES3_S5_N6thrust23THRUST_200600_302600_NS6detail15normal_iteratorINS8_7pointerIsNS8_11hip_rocprim5par_tENS8_11use_defaultESE_EEEENSA_INSB_IlSD_SE_SE_EEEEZNS1_13binary_searchIS3_S5_PsSG_SI_NS1_21lower_bound_search_opENS9_16wrapped_functionINS8_6system6detail7generic6detail18binary_search_lessEbEEEE10hipError_tPvRmT1_T2_T3_mmT4_T5_P12ihipStream_tbEUlRKsE_EEST_SX_SY_mSZ_S12_bEUlT_E_NS1_11comp_targetILNS1_3genE9ELNS1_11target_archE1100ELNS1_3gpuE3ELNS1_3repE0EEENS1_30default_config_static_selectorELNS0_4arch9wavefront6targetE0EEEvSW_.numbered_sgpr, 0
	.set _ZN7rocprim17ROCPRIM_400000_NS6detail17trampoline_kernelINS0_14default_configENS1_27lower_bound_config_selectorIslEEZNS1_14transform_implILb0ES3_S5_N6thrust23THRUST_200600_302600_NS6detail15normal_iteratorINS8_7pointerIsNS8_11hip_rocprim5par_tENS8_11use_defaultESE_EEEENSA_INSB_IlSD_SE_SE_EEEEZNS1_13binary_searchIS3_S5_PsSG_SI_NS1_21lower_bound_search_opENS9_16wrapped_functionINS8_6system6detail7generic6detail18binary_search_lessEbEEEE10hipError_tPvRmT1_T2_T3_mmT4_T5_P12ihipStream_tbEUlRKsE_EEST_SX_SY_mSZ_S12_bEUlT_E_NS1_11comp_targetILNS1_3genE9ELNS1_11target_archE1100ELNS1_3gpuE3ELNS1_3repE0EEENS1_30default_config_static_selectorELNS0_4arch9wavefront6targetE0EEEvSW_.num_named_barrier, 0
	.set _ZN7rocprim17ROCPRIM_400000_NS6detail17trampoline_kernelINS0_14default_configENS1_27lower_bound_config_selectorIslEEZNS1_14transform_implILb0ES3_S5_N6thrust23THRUST_200600_302600_NS6detail15normal_iteratorINS8_7pointerIsNS8_11hip_rocprim5par_tENS8_11use_defaultESE_EEEENSA_INSB_IlSD_SE_SE_EEEEZNS1_13binary_searchIS3_S5_PsSG_SI_NS1_21lower_bound_search_opENS9_16wrapped_functionINS8_6system6detail7generic6detail18binary_search_lessEbEEEE10hipError_tPvRmT1_T2_T3_mmT4_T5_P12ihipStream_tbEUlRKsE_EEST_SX_SY_mSZ_S12_bEUlT_E_NS1_11comp_targetILNS1_3genE9ELNS1_11target_archE1100ELNS1_3gpuE3ELNS1_3repE0EEENS1_30default_config_static_selectorELNS0_4arch9wavefront6targetE0EEEvSW_.private_seg_size, 0
	.set _ZN7rocprim17ROCPRIM_400000_NS6detail17trampoline_kernelINS0_14default_configENS1_27lower_bound_config_selectorIslEEZNS1_14transform_implILb0ES3_S5_N6thrust23THRUST_200600_302600_NS6detail15normal_iteratorINS8_7pointerIsNS8_11hip_rocprim5par_tENS8_11use_defaultESE_EEEENSA_INSB_IlSD_SE_SE_EEEEZNS1_13binary_searchIS3_S5_PsSG_SI_NS1_21lower_bound_search_opENS9_16wrapped_functionINS8_6system6detail7generic6detail18binary_search_lessEbEEEE10hipError_tPvRmT1_T2_T3_mmT4_T5_P12ihipStream_tbEUlRKsE_EEST_SX_SY_mSZ_S12_bEUlT_E_NS1_11comp_targetILNS1_3genE9ELNS1_11target_archE1100ELNS1_3gpuE3ELNS1_3repE0EEENS1_30default_config_static_selectorELNS0_4arch9wavefront6targetE0EEEvSW_.uses_vcc, 0
	.set _ZN7rocprim17ROCPRIM_400000_NS6detail17trampoline_kernelINS0_14default_configENS1_27lower_bound_config_selectorIslEEZNS1_14transform_implILb0ES3_S5_N6thrust23THRUST_200600_302600_NS6detail15normal_iteratorINS8_7pointerIsNS8_11hip_rocprim5par_tENS8_11use_defaultESE_EEEENSA_INSB_IlSD_SE_SE_EEEEZNS1_13binary_searchIS3_S5_PsSG_SI_NS1_21lower_bound_search_opENS9_16wrapped_functionINS8_6system6detail7generic6detail18binary_search_lessEbEEEE10hipError_tPvRmT1_T2_T3_mmT4_T5_P12ihipStream_tbEUlRKsE_EEST_SX_SY_mSZ_S12_bEUlT_E_NS1_11comp_targetILNS1_3genE9ELNS1_11target_archE1100ELNS1_3gpuE3ELNS1_3repE0EEENS1_30default_config_static_selectorELNS0_4arch9wavefront6targetE0EEEvSW_.uses_flat_scratch, 0
	.set _ZN7rocprim17ROCPRIM_400000_NS6detail17trampoline_kernelINS0_14default_configENS1_27lower_bound_config_selectorIslEEZNS1_14transform_implILb0ES3_S5_N6thrust23THRUST_200600_302600_NS6detail15normal_iteratorINS8_7pointerIsNS8_11hip_rocprim5par_tENS8_11use_defaultESE_EEEENSA_INSB_IlSD_SE_SE_EEEEZNS1_13binary_searchIS3_S5_PsSG_SI_NS1_21lower_bound_search_opENS9_16wrapped_functionINS8_6system6detail7generic6detail18binary_search_lessEbEEEE10hipError_tPvRmT1_T2_T3_mmT4_T5_P12ihipStream_tbEUlRKsE_EEST_SX_SY_mSZ_S12_bEUlT_E_NS1_11comp_targetILNS1_3genE9ELNS1_11target_archE1100ELNS1_3gpuE3ELNS1_3repE0EEENS1_30default_config_static_selectorELNS0_4arch9wavefront6targetE0EEEvSW_.has_dyn_sized_stack, 0
	.set _ZN7rocprim17ROCPRIM_400000_NS6detail17trampoline_kernelINS0_14default_configENS1_27lower_bound_config_selectorIslEEZNS1_14transform_implILb0ES3_S5_N6thrust23THRUST_200600_302600_NS6detail15normal_iteratorINS8_7pointerIsNS8_11hip_rocprim5par_tENS8_11use_defaultESE_EEEENSA_INSB_IlSD_SE_SE_EEEEZNS1_13binary_searchIS3_S5_PsSG_SI_NS1_21lower_bound_search_opENS9_16wrapped_functionINS8_6system6detail7generic6detail18binary_search_lessEbEEEE10hipError_tPvRmT1_T2_T3_mmT4_T5_P12ihipStream_tbEUlRKsE_EEST_SX_SY_mSZ_S12_bEUlT_E_NS1_11comp_targetILNS1_3genE9ELNS1_11target_archE1100ELNS1_3gpuE3ELNS1_3repE0EEENS1_30default_config_static_selectorELNS0_4arch9wavefront6targetE0EEEvSW_.has_recursion, 0
	.set _ZN7rocprim17ROCPRIM_400000_NS6detail17trampoline_kernelINS0_14default_configENS1_27lower_bound_config_selectorIslEEZNS1_14transform_implILb0ES3_S5_N6thrust23THRUST_200600_302600_NS6detail15normal_iteratorINS8_7pointerIsNS8_11hip_rocprim5par_tENS8_11use_defaultESE_EEEENSA_INSB_IlSD_SE_SE_EEEEZNS1_13binary_searchIS3_S5_PsSG_SI_NS1_21lower_bound_search_opENS9_16wrapped_functionINS8_6system6detail7generic6detail18binary_search_lessEbEEEE10hipError_tPvRmT1_T2_T3_mmT4_T5_P12ihipStream_tbEUlRKsE_EEST_SX_SY_mSZ_S12_bEUlT_E_NS1_11comp_targetILNS1_3genE9ELNS1_11target_archE1100ELNS1_3gpuE3ELNS1_3repE0EEENS1_30default_config_static_selectorELNS0_4arch9wavefront6targetE0EEEvSW_.has_indirect_call, 0
	.section	.AMDGPU.csdata,"",@progbits
; Kernel info:
; codeLenInByte = 0
; TotalNumSgprs: 0
; NumVgprs: 0
; ScratchSize: 0
; MemoryBound: 0
; FloatMode: 240
; IeeeMode: 1
; LDSByteSize: 0 bytes/workgroup (compile time only)
; SGPRBlocks: 0
; VGPRBlocks: 0
; NumSGPRsForWavesPerEU: 1
; NumVGPRsForWavesPerEU: 1
; Occupancy: 16
; WaveLimiterHint : 0
; COMPUTE_PGM_RSRC2:SCRATCH_EN: 0
; COMPUTE_PGM_RSRC2:USER_SGPR: 6
; COMPUTE_PGM_RSRC2:TRAP_HANDLER: 0
; COMPUTE_PGM_RSRC2:TGID_X_EN: 1
; COMPUTE_PGM_RSRC2:TGID_Y_EN: 0
; COMPUTE_PGM_RSRC2:TGID_Z_EN: 0
; COMPUTE_PGM_RSRC2:TIDIG_COMP_CNT: 0
	.section	.text._ZN7rocprim17ROCPRIM_400000_NS6detail17trampoline_kernelINS0_14default_configENS1_27lower_bound_config_selectorIslEEZNS1_14transform_implILb0ES3_S5_N6thrust23THRUST_200600_302600_NS6detail15normal_iteratorINS8_7pointerIsNS8_11hip_rocprim5par_tENS8_11use_defaultESE_EEEENSA_INSB_IlSD_SE_SE_EEEEZNS1_13binary_searchIS3_S5_PsSG_SI_NS1_21lower_bound_search_opENS9_16wrapped_functionINS8_6system6detail7generic6detail18binary_search_lessEbEEEE10hipError_tPvRmT1_T2_T3_mmT4_T5_P12ihipStream_tbEUlRKsE_EEST_SX_SY_mSZ_S12_bEUlT_E_NS1_11comp_targetILNS1_3genE8ELNS1_11target_archE1030ELNS1_3gpuE2ELNS1_3repE0EEENS1_30default_config_static_selectorELNS0_4arch9wavefront6targetE0EEEvSW_,"axG",@progbits,_ZN7rocprim17ROCPRIM_400000_NS6detail17trampoline_kernelINS0_14default_configENS1_27lower_bound_config_selectorIslEEZNS1_14transform_implILb0ES3_S5_N6thrust23THRUST_200600_302600_NS6detail15normal_iteratorINS8_7pointerIsNS8_11hip_rocprim5par_tENS8_11use_defaultESE_EEEENSA_INSB_IlSD_SE_SE_EEEEZNS1_13binary_searchIS3_S5_PsSG_SI_NS1_21lower_bound_search_opENS9_16wrapped_functionINS8_6system6detail7generic6detail18binary_search_lessEbEEEE10hipError_tPvRmT1_T2_T3_mmT4_T5_P12ihipStream_tbEUlRKsE_EEST_SX_SY_mSZ_S12_bEUlT_E_NS1_11comp_targetILNS1_3genE8ELNS1_11target_archE1030ELNS1_3gpuE2ELNS1_3repE0EEENS1_30default_config_static_selectorELNS0_4arch9wavefront6targetE0EEEvSW_,comdat
	.protected	_ZN7rocprim17ROCPRIM_400000_NS6detail17trampoline_kernelINS0_14default_configENS1_27lower_bound_config_selectorIslEEZNS1_14transform_implILb0ES3_S5_N6thrust23THRUST_200600_302600_NS6detail15normal_iteratorINS8_7pointerIsNS8_11hip_rocprim5par_tENS8_11use_defaultESE_EEEENSA_INSB_IlSD_SE_SE_EEEEZNS1_13binary_searchIS3_S5_PsSG_SI_NS1_21lower_bound_search_opENS9_16wrapped_functionINS8_6system6detail7generic6detail18binary_search_lessEbEEEE10hipError_tPvRmT1_T2_T3_mmT4_T5_P12ihipStream_tbEUlRKsE_EEST_SX_SY_mSZ_S12_bEUlT_E_NS1_11comp_targetILNS1_3genE8ELNS1_11target_archE1030ELNS1_3gpuE2ELNS1_3repE0EEENS1_30default_config_static_selectorELNS0_4arch9wavefront6targetE0EEEvSW_ ; -- Begin function _ZN7rocprim17ROCPRIM_400000_NS6detail17trampoline_kernelINS0_14default_configENS1_27lower_bound_config_selectorIslEEZNS1_14transform_implILb0ES3_S5_N6thrust23THRUST_200600_302600_NS6detail15normal_iteratorINS8_7pointerIsNS8_11hip_rocprim5par_tENS8_11use_defaultESE_EEEENSA_INSB_IlSD_SE_SE_EEEEZNS1_13binary_searchIS3_S5_PsSG_SI_NS1_21lower_bound_search_opENS9_16wrapped_functionINS8_6system6detail7generic6detail18binary_search_lessEbEEEE10hipError_tPvRmT1_T2_T3_mmT4_T5_P12ihipStream_tbEUlRKsE_EEST_SX_SY_mSZ_S12_bEUlT_E_NS1_11comp_targetILNS1_3genE8ELNS1_11target_archE1030ELNS1_3gpuE2ELNS1_3repE0EEENS1_30default_config_static_selectorELNS0_4arch9wavefront6targetE0EEEvSW_
	.globl	_ZN7rocprim17ROCPRIM_400000_NS6detail17trampoline_kernelINS0_14default_configENS1_27lower_bound_config_selectorIslEEZNS1_14transform_implILb0ES3_S5_N6thrust23THRUST_200600_302600_NS6detail15normal_iteratorINS8_7pointerIsNS8_11hip_rocprim5par_tENS8_11use_defaultESE_EEEENSA_INSB_IlSD_SE_SE_EEEEZNS1_13binary_searchIS3_S5_PsSG_SI_NS1_21lower_bound_search_opENS9_16wrapped_functionINS8_6system6detail7generic6detail18binary_search_lessEbEEEE10hipError_tPvRmT1_T2_T3_mmT4_T5_P12ihipStream_tbEUlRKsE_EEST_SX_SY_mSZ_S12_bEUlT_E_NS1_11comp_targetILNS1_3genE8ELNS1_11target_archE1030ELNS1_3gpuE2ELNS1_3repE0EEENS1_30default_config_static_selectorELNS0_4arch9wavefront6targetE0EEEvSW_
	.p2align	8
	.type	_ZN7rocprim17ROCPRIM_400000_NS6detail17trampoline_kernelINS0_14default_configENS1_27lower_bound_config_selectorIslEEZNS1_14transform_implILb0ES3_S5_N6thrust23THRUST_200600_302600_NS6detail15normal_iteratorINS8_7pointerIsNS8_11hip_rocprim5par_tENS8_11use_defaultESE_EEEENSA_INSB_IlSD_SE_SE_EEEEZNS1_13binary_searchIS3_S5_PsSG_SI_NS1_21lower_bound_search_opENS9_16wrapped_functionINS8_6system6detail7generic6detail18binary_search_lessEbEEEE10hipError_tPvRmT1_T2_T3_mmT4_T5_P12ihipStream_tbEUlRKsE_EEST_SX_SY_mSZ_S12_bEUlT_E_NS1_11comp_targetILNS1_3genE8ELNS1_11target_archE1030ELNS1_3gpuE2ELNS1_3repE0EEENS1_30default_config_static_selectorELNS0_4arch9wavefront6targetE0EEEvSW_,@function
_ZN7rocprim17ROCPRIM_400000_NS6detail17trampoline_kernelINS0_14default_configENS1_27lower_bound_config_selectorIslEEZNS1_14transform_implILb0ES3_S5_N6thrust23THRUST_200600_302600_NS6detail15normal_iteratorINS8_7pointerIsNS8_11hip_rocprim5par_tENS8_11use_defaultESE_EEEENSA_INSB_IlSD_SE_SE_EEEEZNS1_13binary_searchIS3_S5_PsSG_SI_NS1_21lower_bound_search_opENS9_16wrapped_functionINS8_6system6detail7generic6detail18binary_search_lessEbEEEE10hipError_tPvRmT1_T2_T3_mmT4_T5_P12ihipStream_tbEUlRKsE_EEST_SX_SY_mSZ_S12_bEUlT_E_NS1_11comp_targetILNS1_3genE8ELNS1_11target_archE1030ELNS1_3gpuE2ELNS1_3repE0EEENS1_30default_config_static_selectorELNS0_4arch9wavefront6targetE0EEEvSW_: ; @_ZN7rocprim17ROCPRIM_400000_NS6detail17trampoline_kernelINS0_14default_configENS1_27lower_bound_config_selectorIslEEZNS1_14transform_implILb0ES3_S5_N6thrust23THRUST_200600_302600_NS6detail15normal_iteratorINS8_7pointerIsNS8_11hip_rocprim5par_tENS8_11use_defaultESE_EEEENSA_INSB_IlSD_SE_SE_EEEEZNS1_13binary_searchIS3_S5_PsSG_SI_NS1_21lower_bound_search_opENS9_16wrapped_functionINS8_6system6detail7generic6detail18binary_search_lessEbEEEE10hipError_tPvRmT1_T2_T3_mmT4_T5_P12ihipStream_tbEUlRKsE_EEST_SX_SY_mSZ_S12_bEUlT_E_NS1_11comp_targetILNS1_3genE8ELNS1_11target_archE1030ELNS1_3gpuE2ELNS1_3repE0EEENS1_30default_config_static_selectorELNS0_4arch9wavefront6targetE0EEEvSW_
; %bb.0:
	s_clause 0x2
	s_load_dwordx8 s[8:15], s[4:5], 0x0
	s_load_dword s2, s[4:5], 0x38
	s_load_dwordx4 s[16:19], s[4:5], 0x20
	s_mov_b32 s5, 0
	s_waitcnt lgkmcnt(0)
	s_lshl_b64 s[0:1], s[10:11], 1
	s_add_u32 s8, s8, s0
	s_addc_u32 s9, s9, s1
	s_lshl_b64 s[0:1], s[10:11], 3
	s_add_u32 s3, s14, s0
	s_addc_u32 s7, s15, s1
	s_lshl_b32 s4, s6, 9
	s_add_i32 s2, s2, -1
	s_lshl_b64 s[0:1], s[4:5], 1
	s_add_u32 s8, s8, s0
	s_addc_u32 s9, s9, s1
	s_cmp_lg_u32 s6, s2
	s_mov_b32 s0, -1
	s_cbranch_scc0 .LBB160_5
; %bb.1:
	v_lshlrev_b32_e32 v1, 1, v0
	s_cmp_lg_u64 s[18:19], 0
	v_add_co_u32 v1, s0, s8, v1
	v_add_co_ci_u32_e64 v2, null, s9, 0, s0
	s_cselect_b32 s0, -1, 0
	s_cmp_eq_u64 s[18:19], 0
	s_clause 0x2
	flat_load_ushort v7, v[1:2] offset:256
	flat_load_ushort v9, v[1:2] offset:512
	;; [unrolled: 1-line block ×3, first 2 shown]
	s_cbranch_scc1 .LBB160_6
; %bb.2:
	flat_load_ushort v5, v[1:2]
	v_mov_b32_e32 v1, 0
	v_mov_b32_e32 v3, s18
	;; [unrolled: 1-line block ×4, first 2 shown]
	s_mov_b32 s1, 0
	s_inst_prefetch 0x1
	.p2align	6
.LBB160_3:                              ; =>This Inner Loop Header: Depth=1
	v_sub_co_u32 v12, vcc_lo, v3, v1
	v_sub_co_ci_u32_e64 v13, null, v4, v2, vcc_lo
	v_lshrrev_b64 v[14:15], 1, v[12:13]
	v_lshrrev_b64 v[12:13], 6, v[12:13]
	v_add_co_u32 v6, vcc_lo, v14, v1
	v_add_co_ci_u32_e64 v8, null, v15, v2, vcc_lo
	v_add_co_u32 v12, vcc_lo, v6, v12
	v_add_co_ci_u32_e64 v13, null, v8, v13, vcc_lo
	v_lshlrev_b64 v[14:15], 1, v[12:13]
	v_add_co_u32 v14, vcc_lo, s16, v14
	v_add_co_ci_u32_e64 v15, null, s17, v15, vcc_lo
	v_add_co_u32 v8, vcc_lo, v12, 1
	v_add_co_ci_u32_e64 v10, null, 0, v13, vcc_lo
	global_load_ushort v6, v[14:15], off
	s_waitcnt vmcnt(0) lgkmcnt(0)
	v_cmp_lt_i16_e32 vcc_lo, v6, v5
	v_cndmask_b32_e32 v4, v13, v4, vcc_lo
	v_cndmask_b32_e32 v3, v12, v3, vcc_lo
	;; [unrolled: 1-line block ×4, first 2 shown]
	v_cmp_ge_u64_e32 vcc_lo, v[1:2], v[3:4]
	s_or_b32 s1, vcc_lo, s1
	s_andn2_b32 exec_lo, exec_lo, s1
	s_cbranch_execnz .LBB160_3
; %bb.4:
	s_inst_prefetch 0x2
	s_or_b32 exec_lo, exec_lo, s1
	s_branch .LBB160_7
.LBB160_5:
	s_mov_b32 s6, s5
                                        ; implicit-def: $vgpr7_vgpr8
                                        ; implicit-def: $vgpr11_vgpr12
	s_and_b32 vcc_lo, exec_lo, s0
	s_cbranch_vccnz .LBB160_20
	s_branch .LBB160_53
.LBB160_6:
	v_mov_b32_e32 v1, 0
	v_mov_b32_e32 v2, 0
.LBB160_7:
	v_mov_b32_e32 v3, 0
	v_cndmask_b32_e64 v10, 0, 1, s0
	v_mov_b32_e32 v4, 0
	s_andn2_b32 vcc_lo, exec_lo, s0
	s_cbranch_vccnz .LBB160_11
; %bb.8:
	v_mov_b32_e32 v5, s18
	v_mov_b32_e32 v6, s19
	s_mov_b32 s0, 0
	s_inst_prefetch 0x1
	.p2align	6
.LBB160_9:                              ; =>This Inner Loop Header: Depth=1
	v_sub_co_u32 v12, vcc_lo, v5, v3
	v_sub_co_ci_u32_e64 v13, null, v6, v4, vcc_lo
	v_lshrrev_b64 v[14:15], 1, v[12:13]
	v_lshrrev_b64 v[12:13], 6, v[12:13]
	v_add_co_u32 v8, vcc_lo, v14, v3
	v_add_co_ci_u32_e64 v14, null, v15, v4, vcc_lo
	v_add_co_u32 v12, vcc_lo, v8, v12
	v_add_co_ci_u32_e64 v13, null, v14, v13, vcc_lo
	v_lshlrev_b64 v[14:15], 1, v[12:13]
	v_add_co_u32 v14, vcc_lo, s16, v14
	v_add_co_ci_u32_e64 v15, null, s17, v15, vcc_lo
	global_load_ushort v8, v[14:15], off
	v_add_co_u32 v14, vcc_lo, v12, 1
	v_add_co_ci_u32_e64 v15, null, 0, v13, vcc_lo
	s_waitcnt vmcnt(0) lgkmcnt(2)
	v_cmp_lt_i16_e32 vcc_lo, v8, v7
	v_cndmask_b32_e32 v6, v13, v6, vcc_lo
	v_cndmask_b32_e32 v5, v12, v5, vcc_lo
	;; [unrolled: 1-line block ×4, first 2 shown]
	v_cmp_ge_u64_e32 vcc_lo, v[3:4], v[5:6]
	s_or_b32 s0, vcc_lo, s0
	s_andn2_b32 exec_lo, exec_lo, s0
	s_cbranch_execnz .LBB160_9
; %bb.10:
	s_inst_prefetch 0x2
	s_or_b32 exec_lo, exec_lo, s0
.LBB160_11:
	v_cmp_ne_u32_e32 vcc_lo, 1, v10
	v_mov_b32_e32 v5, 0
	v_mov_b32_e32 v6, 0
	s_cbranch_vccnz .LBB160_15
; %bb.12:
	s_waitcnt vmcnt(2) lgkmcnt(2)
	v_mov_b32_e32 v7, s18
	v_mov_b32_e32 v8, s19
	s_mov_b32 s0, 0
	s_inst_prefetch 0x1
	.p2align	6
.LBB160_13:                             ; =>This Inner Loop Header: Depth=1
	v_sub_co_u32 v12, vcc_lo, v7, v5
	v_sub_co_ci_u32_e64 v13, null, v8, v6, vcc_lo
	v_lshrrev_b64 v[14:15], 1, v[12:13]
	v_lshrrev_b64 v[12:13], 6, v[12:13]
	v_add_co_u32 v14, vcc_lo, v14, v5
	v_add_co_ci_u32_e64 v15, null, v15, v6, vcc_lo
	v_add_co_u32 v12, vcc_lo, v14, v12
	v_add_co_ci_u32_e64 v13, null, v15, v13, vcc_lo
	v_lshlrev_b64 v[14:15], 1, v[12:13]
	v_add_co_u32 v14, vcc_lo, s16, v14
	v_add_co_ci_u32_e64 v15, null, s17, v15, vcc_lo
	global_load_ushort v14, v[14:15], off
	v_add_co_u32 v15, vcc_lo, v12, 1
	v_add_co_ci_u32_e64 v16, null, 0, v13, vcc_lo
	s_waitcnt vmcnt(0) lgkmcnt(1)
	v_cmp_lt_i16_e32 vcc_lo, v14, v9
	v_cndmask_b32_e32 v8, v13, v8, vcc_lo
	v_cndmask_b32_e32 v7, v12, v7, vcc_lo
	;; [unrolled: 1-line block ×4, first 2 shown]
	v_cmp_ge_u64_e32 vcc_lo, v[5:6], v[7:8]
	s_or_b32 s0, vcc_lo, s0
	s_andn2_b32 exec_lo, exec_lo, s0
	s_cbranch_execnz .LBB160_13
; %bb.14:
	s_inst_prefetch 0x2
	s_or_b32 exec_lo, exec_lo, s0
.LBB160_15:
	v_cmp_ne_u32_e32 vcc_lo, 1, v10
	s_waitcnt vmcnt(2) lgkmcnt(2)
	v_mov_b32_e32 v7, 0
	v_mov_b32_e32 v8, 0
	s_cbranch_vccnz .LBB160_19
; %bb.16:
	s_waitcnt vmcnt(1) lgkmcnt(1)
	v_mov_b32_e32 v9, s18
	v_mov_b32_e32 v10, s19
	s_mov_b32 s0, 0
	s_inst_prefetch 0x1
	.p2align	6
.LBB160_17:                             ; =>This Inner Loop Header: Depth=1
	v_sub_co_u32 v12, vcc_lo, v9, v7
	v_sub_co_ci_u32_e64 v13, null, v10, v8, vcc_lo
	v_lshrrev_b64 v[14:15], 1, v[12:13]
	v_lshrrev_b64 v[12:13], 6, v[12:13]
	v_add_co_u32 v14, vcc_lo, v14, v7
	v_add_co_ci_u32_e64 v15, null, v15, v8, vcc_lo
	v_add_co_u32 v12, vcc_lo, v14, v12
	v_add_co_ci_u32_e64 v13, null, v15, v13, vcc_lo
	v_lshlrev_b64 v[14:15], 1, v[12:13]
	v_add_co_u32 v14, vcc_lo, s16, v14
	v_add_co_ci_u32_e64 v15, null, s17, v15, vcc_lo
	global_load_ushort v14, v[14:15], off
	v_add_co_u32 v15, vcc_lo, v12, 1
	v_add_co_ci_u32_e64 v16, null, 0, v13, vcc_lo
	s_waitcnt vmcnt(0) lgkmcnt(0)
	v_cmp_lt_i16_e32 vcc_lo, v14, v11
	v_cndmask_b32_e32 v10, v13, v10, vcc_lo
	v_cndmask_b32_e32 v9, v12, v9, vcc_lo
	;; [unrolled: 1-line block ×4, first 2 shown]
	v_cmp_ge_u64_e32 vcc_lo, v[7:8], v[9:10]
	s_or_b32 s0, vcc_lo, s0
	s_andn2_b32 exec_lo, exec_lo, s0
	s_cbranch_execnz .LBB160_17
; %bb.18:
	s_inst_prefetch 0x2
	s_or_b32 exec_lo, exec_lo, s0
.LBB160_19:
	s_waitcnt vmcnt(1) lgkmcnt(1)
	v_lshlrev_b32_e32 v9, 3, v0
	s_lshl_b64 s[0:1], s[4:5], 3
	s_mov_b32 s6, -1
	s_add_u32 s0, s3, s0
	s_addc_u32 s1, s7, s1
	s_waitcnt vmcnt(0) lgkmcnt(0)
	v_add_co_u32 v11, s0, s0, v9
	v_add_co_ci_u32_e64 v12, null, s1, 0, s0
	v_add_co_u32 v9, vcc_lo, 0x800, v11
	v_add_co_ci_u32_e64 v10, null, 0, v12, vcc_lo
	flat_store_dwordx2 v[11:12], v[1:2]
	flat_store_dwordx2 v[11:12], v[3:4] offset:1024
	flat_store_dwordx2 v[9:10], v[5:6]
	s_branch .LBB160_53
.LBB160_20:
	v_mov_b32_e32 v1, 0
	s_sub_i32 s6, s12, s4
	v_cmp_gt_u32_e64 s0, s6, v0
	v_mov_b32_e32 v2, v1
	s_and_saveexec_b32 s1, s0
	s_cbranch_execz .LBB160_22
; %bb.21:
	v_lshlrev_b32_e32 v2, 1, v0
	v_mov_b32_e32 v4, v1
	v_mov_b32_e32 v5, v1
	v_add_co_u32 v2, s2, s8, v2
	v_add_co_ci_u32_e64 v3, null, s9, 0, s2
	flat_load_short_d16 v4, v[2:3]
	s_waitcnt vmcnt(0) lgkmcnt(0)
	v_mov_b32_e32 v1, v4
	v_mov_b32_e32 v2, v5
.LBB160_22:
	s_or_b32 exec_lo, exec_lo, s1
	v_or_b32_e32 v3, 0x80, v0
	v_cmp_gt_u32_e64 s1, s6, v3
	s_and_saveexec_b32 s2, s1
	s_cbranch_execz .LBB160_24
; %bb.23:
	v_lshlrev_b32_e32 v3, 1, v0
	v_add_co_u32 v3, s10, s8, v3
	v_add_co_ci_u32_e64 v4, null, s9, 0, s10
	flat_load_short_d16_hi v1, v[3:4] offset:256
.LBB160_24:
	s_or_b32 exec_lo, exec_lo, s2
	v_or_b32_e32 v3, 0x100, v0
	v_cmp_gt_u32_e64 s2, s6, v3
	s_and_saveexec_b32 s10, s2
	s_cbranch_execz .LBB160_26
; %bb.25:
	v_lshlrev_b32_e32 v3, 1, v0
	v_add_co_u32 v3, s11, s8, v3
	v_add_co_ci_u32_e64 v4, null, s9, 0, s11
	flat_load_short_d16 v2, v[3:4] offset:512
.LBB160_26:
	s_or_b32 exec_lo, exec_lo, s10
	v_or_b32_e32 v3, 0x180, v0
	v_cmp_gt_u32_e64 s6, s6, v3
	s_and_saveexec_b32 s10, s6
	s_cbranch_execz .LBB160_28
; %bb.27:
	v_lshlrev_b32_e32 v3, 1, v0
	v_add_co_u32 v3, s8, s8, v3
	v_add_co_ci_u32_e64 v4, null, s9, 0, s8
	s_waitcnt vmcnt(0) lgkmcnt(0)
	flat_load_short_d16_hi v2, v[3:4] offset:768
.LBB160_28:
	s_or_b32 exec_lo, exec_lo, s10
	s_cmp_lg_u64 s[18:19], 0
                                        ; implicit-def: $vgpr3_vgpr4
	s_cselect_b32 s8, -1, 0
	s_and_saveexec_b32 s9, s0
	s_cbranch_execz .LBB160_33
; %bb.29:
	v_mov_b32_e32 v3, 0
	v_mov_b32_e32 v4, 0
	s_andn2_b32 vcc_lo, exec_lo, s8
	s_cbranch_vccnz .LBB160_33
; %bb.30:
	v_mov_b32_e32 v5, s18
	v_mov_b32_e32 v6, s19
	s_mov_b32 s10, 0
	s_inst_prefetch 0x1
	.p2align	6
.LBB160_31:                             ; =>This Inner Loop Header: Depth=1
	v_sub_co_u32 v7, vcc_lo, v5, v3
	v_sub_co_ci_u32_e64 v8, null, v6, v4, vcc_lo
	v_lshrrev_b64 v[9:10], 1, v[7:8]
	v_lshrrev_b64 v[7:8], 6, v[7:8]
	v_add_co_u32 v9, vcc_lo, v9, v3
	v_add_co_ci_u32_e64 v10, null, v10, v4, vcc_lo
	v_add_co_u32 v7, vcc_lo, v9, v7
	v_add_co_ci_u32_e64 v8, null, v10, v8, vcc_lo
	v_lshlrev_b64 v[9:10], 1, v[7:8]
	v_add_co_u32 v9, vcc_lo, s16, v9
	v_add_co_ci_u32_e64 v10, null, s17, v10, vcc_lo
	global_load_ushort v9, v[9:10], off
	v_add_co_u32 v10, vcc_lo, v7, 1
	v_add_co_ci_u32_e64 v11, null, 0, v8, vcc_lo
	s_waitcnt vmcnt(0) lgkmcnt(0)
	v_cmp_lt_i16_e32 vcc_lo, v9, v1
	v_cndmask_b32_e32 v6, v8, v6, vcc_lo
	v_cndmask_b32_e32 v5, v7, v5, vcc_lo
	;; [unrolled: 1-line block ×4, first 2 shown]
	v_cmp_ge_u64_e32 vcc_lo, v[3:4], v[5:6]
	s_or_b32 s10, vcc_lo, s10
	s_andn2_b32 exec_lo, exec_lo, s10
	s_cbranch_execnz .LBB160_31
; %bb.32:
	s_inst_prefetch 0x2
	s_or_b32 exec_lo, exec_lo, s10
.LBB160_33:
	s_or_b32 exec_lo, exec_lo, s9
                                        ; implicit-def: $vgpr5_vgpr6
	s_and_saveexec_b32 s9, s1
	s_cbranch_execz .LBB160_38
; %bb.34:
	v_mov_b32_e32 v5, 0
	v_mov_b32_e32 v6, 0
	s_andn2_b32 vcc_lo, exec_lo, s8
	s_cbranch_vccnz .LBB160_38
; %bb.35:
	v_mov_b32_e32 v7, s18
	v_mov_b32_e32 v8, s19
	s_mov_b32 s10, 0
	s_inst_prefetch 0x1
	.p2align	6
.LBB160_36:                             ; =>This Inner Loop Header: Depth=1
	v_sub_co_u32 v9, vcc_lo, v7, v5
	v_sub_co_ci_u32_e64 v10, null, v8, v6, vcc_lo
	v_lshrrev_b64 v[11:12], 1, v[9:10]
	v_lshrrev_b64 v[9:10], 6, v[9:10]
	v_add_co_u32 v11, vcc_lo, v11, v5
	v_add_co_ci_u32_e64 v12, null, v12, v6, vcc_lo
	v_add_co_u32 v9, vcc_lo, v11, v9
	v_add_co_ci_u32_e64 v10, null, v12, v10, vcc_lo
	v_lshlrev_b64 v[11:12], 1, v[9:10]
	v_add_co_u32 v11, vcc_lo, s16, v11
	v_add_co_ci_u32_e64 v12, null, s17, v12, vcc_lo
	global_load_ushort v11, v[11:12], off
	v_add_co_u32 v12, vcc_lo, v9, 1
	v_add_co_ci_u32_e64 v13, null, 0, v10, vcc_lo
	s_waitcnt vmcnt(0) lgkmcnt(0)
	v_cmp_lt_i16_sdwa vcc_lo, v11, v1 src0_sel:DWORD src1_sel:WORD_1
	v_cndmask_b32_e32 v8, v10, v8, vcc_lo
	v_cndmask_b32_e32 v7, v9, v7, vcc_lo
	;; [unrolled: 1-line block ×4, first 2 shown]
	v_cmp_ge_u64_e32 vcc_lo, v[5:6], v[7:8]
	s_or_b32 s10, vcc_lo, s10
	s_andn2_b32 exec_lo, exec_lo, s10
	s_cbranch_execnz .LBB160_36
; %bb.37:
	s_inst_prefetch 0x2
	s_or_b32 exec_lo, exec_lo, s10
.LBB160_38:
	s_or_b32 exec_lo, exec_lo, s9
                                        ; implicit-def: $vgpr9_vgpr10
	s_and_saveexec_b32 s9, s2
	s_cbranch_execz .LBB160_43
; %bb.39:
	v_mov_b32_e32 v9, 0
	v_mov_b32_e32 v10, 0
	s_andn2_b32 vcc_lo, exec_lo, s8
	s_cbranch_vccnz .LBB160_43
; %bb.40:
	v_mov_b32_e32 v7, s18
	v_mov_b32_e32 v8, s19
	s_mov_b32 s10, 0
	s_inst_prefetch 0x1
	.p2align	6
.LBB160_41:                             ; =>This Inner Loop Header: Depth=1
	v_sub_co_u32 v11, vcc_lo, v7, v9
	v_sub_co_ci_u32_e64 v12, null, v8, v10, vcc_lo
	v_lshrrev_b64 v[13:14], 1, v[11:12]
	v_lshrrev_b64 v[11:12], 6, v[11:12]
	s_waitcnt vmcnt(0) lgkmcnt(0)
	v_add_co_u32 v1, vcc_lo, v13, v9
	v_add_co_ci_u32_e64 v13, null, v14, v10, vcc_lo
	v_add_co_u32 v11, vcc_lo, v1, v11
	v_add_co_ci_u32_e64 v12, null, v13, v12, vcc_lo
	v_lshlrev_b64 v[13:14], 1, v[11:12]
	v_add_co_u32 v13, vcc_lo, s16, v13
	v_add_co_ci_u32_e64 v14, null, s17, v14, vcc_lo
	global_load_ushort v1, v[13:14], off
	v_add_co_u32 v13, vcc_lo, v11, 1
	v_add_co_ci_u32_e64 v14, null, 0, v12, vcc_lo
	s_waitcnt vmcnt(0)
	v_cmp_lt_i16_e32 vcc_lo, v1, v2
	v_cndmask_b32_e32 v8, v12, v8, vcc_lo
	v_cndmask_b32_e32 v7, v11, v7, vcc_lo
	;; [unrolled: 1-line block ×4, first 2 shown]
	v_cmp_ge_u64_e32 vcc_lo, v[9:10], v[7:8]
	s_or_b32 s10, vcc_lo, s10
	s_andn2_b32 exec_lo, exec_lo, s10
	s_cbranch_execnz .LBB160_41
; %bb.42:
	s_inst_prefetch 0x2
	s_or_b32 exec_lo, exec_lo, s10
.LBB160_43:
	s_or_b32 exec_lo, exec_lo, s9
                                        ; implicit-def: $vgpr7_vgpr8
	s_and_saveexec_b32 s9, s6
	s_cbranch_execz .LBB160_48
; %bb.44:
	v_mov_b32_e32 v7, 0
	v_mov_b32_e32 v8, 0
	s_andn2_b32 vcc_lo, exec_lo, s8
	s_cbranch_vccnz .LBB160_48
; %bb.45:
	v_mov_b32_e32 v11, s18
	v_mov_b32_e32 v12, s19
	s_mov_b32 s8, 0
	s_inst_prefetch 0x1
	.p2align	6
.LBB160_46:                             ; =>This Inner Loop Header: Depth=1
	v_sub_co_u32 v13, vcc_lo, v11, v7
	v_sub_co_ci_u32_e64 v14, null, v12, v8, vcc_lo
	v_lshrrev_b64 v[15:16], 1, v[13:14]
	v_lshrrev_b64 v[13:14], 6, v[13:14]
	s_waitcnt vmcnt(0) lgkmcnt(0)
	v_add_co_u32 v1, vcc_lo, v15, v7
	v_add_co_ci_u32_e64 v15, null, v16, v8, vcc_lo
	v_add_co_u32 v13, vcc_lo, v1, v13
	v_add_co_ci_u32_e64 v14, null, v15, v14, vcc_lo
	v_lshlrev_b64 v[15:16], 1, v[13:14]
	v_add_co_u32 v15, vcc_lo, s16, v15
	v_add_co_ci_u32_e64 v16, null, s17, v16, vcc_lo
	global_load_ushort v1, v[15:16], off
	v_add_co_u32 v15, vcc_lo, v13, 1
	v_add_co_ci_u32_e64 v16, null, 0, v14, vcc_lo
	s_waitcnt vmcnt(0)
	v_cmp_lt_i16_sdwa vcc_lo, v1, v2 src0_sel:DWORD src1_sel:WORD_1
	v_cndmask_b32_e32 v12, v14, v12, vcc_lo
	v_cndmask_b32_e32 v11, v13, v11, vcc_lo
	;; [unrolled: 1-line block ×4, first 2 shown]
	v_cmp_ge_u64_e32 vcc_lo, v[7:8], v[11:12]
	s_or_b32 s8, vcc_lo, s8
	s_andn2_b32 exec_lo, exec_lo, s8
	s_cbranch_execnz .LBB160_46
; %bb.47:
	s_inst_prefetch 0x2
	s_or_b32 exec_lo, exec_lo, s8
.LBB160_48:
	s_or_b32 exec_lo, exec_lo, s9
	v_lshlrev_b32_e32 v0, 3, v0
	s_lshl_b64 s[4:5], s[4:5], 3
	s_add_u32 s3, s3, s4
	s_addc_u32 s4, s7, s5
	v_add_co_u32 v11, s3, s3, v0
	v_add_co_ci_u32_e64 v12, null, s4, 0, s3
	s_and_saveexec_b32 s3, s0
	s_xor_b32 s0, exec_lo, s3
	s_cbranch_execnz .LBB160_56
; %bb.49:
	s_or_b32 exec_lo, exec_lo, s0
	s_and_saveexec_b32 s0, s1
	s_cbranch_execnz .LBB160_57
.LBB160_50:
	s_or_b32 exec_lo, exec_lo, s0
	s_and_saveexec_b32 s0, s2
	s_cbranch_execz .LBB160_52
.LBB160_51:
	v_add_co_u32 v0, vcc_lo, 0x800, v11
	s_waitcnt vmcnt(0) lgkmcnt(0)
	v_add_co_ci_u32_e64 v1, null, 0, v12, vcc_lo
	flat_store_dwordx2 v[0:1], v[9:10]
.LBB160_52:
	s_or_b32 exec_lo, exec_lo, s0
.LBB160_53:
	s_and_saveexec_b32 s0, s6
	s_cbranch_execnz .LBB160_55
; %bb.54:
	s_endpgm
.LBB160_55:
	v_add_co_u32 v0, vcc_lo, 0x800, v11
	s_waitcnt vmcnt(0) lgkmcnt(0)
	v_add_co_ci_u32_e64 v1, null, 0, v12, vcc_lo
	flat_store_dwordx2 v[0:1], v[7:8] offset:1024
	s_endpgm
.LBB160_56:
	flat_store_dwordx2 v[11:12], v[3:4]
	s_or_b32 exec_lo, exec_lo, s0
	s_and_saveexec_b32 s0, s1
	s_cbranch_execz .LBB160_50
.LBB160_57:
	flat_store_dwordx2 v[11:12], v[5:6] offset:1024
	s_or_b32 exec_lo, exec_lo, s0
	s_and_saveexec_b32 s0, s2
	s_cbranch_execnz .LBB160_51
	s_branch .LBB160_52
	.section	.rodata,"a",@progbits
	.p2align	6, 0x0
	.amdhsa_kernel _ZN7rocprim17ROCPRIM_400000_NS6detail17trampoline_kernelINS0_14default_configENS1_27lower_bound_config_selectorIslEEZNS1_14transform_implILb0ES3_S5_N6thrust23THRUST_200600_302600_NS6detail15normal_iteratorINS8_7pointerIsNS8_11hip_rocprim5par_tENS8_11use_defaultESE_EEEENSA_INSB_IlSD_SE_SE_EEEEZNS1_13binary_searchIS3_S5_PsSG_SI_NS1_21lower_bound_search_opENS9_16wrapped_functionINS8_6system6detail7generic6detail18binary_search_lessEbEEEE10hipError_tPvRmT1_T2_T3_mmT4_T5_P12ihipStream_tbEUlRKsE_EEST_SX_SY_mSZ_S12_bEUlT_E_NS1_11comp_targetILNS1_3genE8ELNS1_11target_archE1030ELNS1_3gpuE2ELNS1_3repE0EEENS1_30default_config_static_selectorELNS0_4arch9wavefront6targetE0EEEvSW_
		.amdhsa_group_segment_fixed_size 0
		.amdhsa_private_segment_fixed_size 0
		.amdhsa_kernarg_size 312
		.amdhsa_user_sgpr_count 6
		.amdhsa_user_sgpr_private_segment_buffer 1
		.amdhsa_user_sgpr_dispatch_ptr 0
		.amdhsa_user_sgpr_queue_ptr 0
		.amdhsa_user_sgpr_kernarg_segment_ptr 1
		.amdhsa_user_sgpr_dispatch_id 0
		.amdhsa_user_sgpr_flat_scratch_init 0
		.amdhsa_user_sgpr_private_segment_size 0
		.amdhsa_wavefront_size32 1
		.amdhsa_uses_dynamic_stack 0
		.amdhsa_system_sgpr_private_segment_wavefront_offset 0
		.amdhsa_system_sgpr_workgroup_id_x 1
		.amdhsa_system_sgpr_workgroup_id_y 0
		.amdhsa_system_sgpr_workgroup_id_z 0
		.amdhsa_system_sgpr_workgroup_info 0
		.amdhsa_system_vgpr_workitem_id 0
		.amdhsa_next_free_vgpr 17
		.amdhsa_next_free_sgpr 20
		.amdhsa_reserve_vcc 1
		.amdhsa_reserve_flat_scratch 1
		.amdhsa_float_round_mode_32 0
		.amdhsa_float_round_mode_16_64 0
		.amdhsa_float_denorm_mode_32 3
		.amdhsa_float_denorm_mode_16_64 3
		.amdhsa_dx10_clamp 1
		.amdhsa_ieee_mode 1
		.amdhsa_fp16_overflow 0
		.amdhsa_workgroup_processor_mode 1
		.amdhsa_memory_ordered 1
		.amdhsa_forward_progress 1
		.amdhsa_shared_vgpr_count 0
		.amdhsa_exception_fp_ieee_invalid_op 0
		.amdhsa_exception_fp_denorm_src 0
		.amdhsa_exception_fp_ieee_div_zero 0
		.amdhsa_exception_fp_ieee_overflow 0
		.amdhsa_exception_fp_ieee_underflow 0
		.amdhsa_exception_fp_ieee_inexact 0
		.amdhsa_exception_int_div_zero 0
	.end_amdhsa_kernel
	.section	.text._ZN7rocprim17ROCPRIM_400000_NS6detail17trampoline_kernelINS0_14default_configENS1_27lower_bound_config_selectorIslEEZNS1_14transform_implILb0ES3_S5_N6thrust23THRUST_200600_302600_NS6detail15normal_iteratorINS8_7pointerIsNS8_11hip_rocprim5par_tENS8_11use_defaultESE_EEEENSA_INSB_IlSD_SE_SE_EEEEZNS1_13binary_searchIS3_S5_PsSG_SI_NS1_21lower_bound_search_opENS9_16wrapped_functionINS8_6system6detail7generic6detail18binary_search_lessEbEEEE10hipError_tPvRmT1_T2_T3_mmT4_T5_P12ihipStream_tbEUlRKsE_EEST_SX_SY_mSZ_S12_bEUlT_E_NS1_11comp_targetILNS1_3genE8ELNS1_11target_archE1030ELNS1_3gpuE2ELNS1_3repE0EEENS1_30default_config_static_selectorELNS0_4arch9wavefront6targetE0EEEvSW_,"axG",@progbits,_ZN7rocprim17ROCPRIM_400000_NS6detail17trampoline_kernelINS0_14default_configENS1_27lower_bound_config_selectorIslEEZNS1_14transform_implILb0ES3_S5_N6thrust23THRUST_200600_302600_NS6detail15normal_iteratorINS8_7pointerIsNS8_11hip_rocprim5par_tENS8_11use_defaultESE_EEEENSA_INSB_IlSD_SE_SE_EEEEZNS1_13binary_searchIS3_S5_PsSG_SI_NS1_21lower_bound_search_opENS9_16wrapped_functionINS8_6system6detail7generic6detail18binary_search_lessEbEEEE10hipError_tPvRmT1_T2_T3_mmT4_T5_P12ihipStream_tbEUlRKsE_EEST_SX_SY_mSZ_S12_bEUlT_E_NS1_11comp_targetILNS1_3genE8ELNS1_11target_archE1030ELNS1_3gpuE2ELNS1_3repE0EEENS1_30default_config_static_selectorELNS0_4arch9wavefront6targetE0EEEvSW_,comdat
.Lfunc_end160:
	.size	_ZN7rocprim17ROCPRIM_400000_NS6detail17trampoline_kernelINS0_14default_configENS1_27lower_bound_config_selectorIslEEZNS1_14transform_implILb0ES3_S5_N6thrust23THRUST_200600_302600_NS6detail15normal_iteratorINS8_7pointerIsNS8_11hip_rocprim5par_tENS8_11use_defaultESE_EEEENSA_INSB_IlSD_SE_SE_EEEEZNS1_13binary_searchIS3_S5_PsSG_SI_NS1_21lower_bound_search_opENS9_16wrapped_functionINS8_6system6detail7generic6detail18binary_search_lessEbEEEE10hipError_tPvRmT1_T2_T3_mmT4_T5_P12ihipStream_tbEUlRKsE_EEST_SX_SY_mSZ_S12_bEUlT_E_NS1_11comp_targetILNS1_3genE8ELNS1_11target_archE1030ELNS1_3gpuE2ELNS1_3repE0EEENS1_30default_config_static_selectorELNS0_4arch9wavefront6targetE0EEEvSW_, .Lfunc_end160-_ZN7rocprim17ROCPRIM_400000_NS6detail17trampoline_kernelINS0_14default_configENS1_27lower_bound_config_selectorIslEEZNS1_14transform_implILb0ES3_S5_N6thrust23THRUST_200600_302600_NS6detail15normal_iteratorINS8_7pointerIsNS8_11hip_rocprim5par_tENS8_11use_defaultESE_EEEENSA_INSB_IlSD_SE_SE_EEEEZNS1_13binary_searchIS3_S5_PsSG_SI_NS1_21lower_bound_search_opENS9_16wrapped_functionINS8_6system6detail7generic6detail18binary_search_lessEbEEEE10hipError_tPvRmT1_T2_T3_mmT4_T5_P12ihipStream_tbEUlRKsE_EEST_SX_SY_mSZ_S12_bEUlT_E_NS1_11comp_targetILNS1_3genE8ELNS1_11target_archE1030ELNS1_3gpuE2ELNS1_3repE0EEENS1_30default_config_static_selectorELNS0_4arch9wavefront6targetE0EEEvSW_
                                        ; -- End function
	.set _ZN7rocprim17ROCPRIM_400000_NS6detail17trampoline_kernelINS0_14default_configENS1_27lower_bound_config_selectorIslEEZNS1_14transform_implILb0ES3_S5_N6thrust23THRUST_200600_302600_NS6detail15normal_iteratorINS8_7pointerIsNS8_11hip_rocprim5par_tENS8_11use_defaultESE_EEEENSA_INSB_IlSD_SE_SE_EEEEZNS1_13binary_searchIS3_S5_PsSG_SI_NS1_21lower_bound_search_opENS9_16wrapped_functionINS8_6system6detail7generic6detail18binary_search_lessEbEEEE10hipError_tPvRmT1_T2_T3_mmT4_T5_P12ihipStream_tbEUlRKsE_EEST_SX_SY_mSZ_S12_bEUlT_E_NS1_11comp_targetILNS1_3genE8ELNS1_11target_archE1030ELNS1_3gpuE2ELNS1_3repE0EEENS1_30default_config_static_selectorELNS0_4arch9wavefront6targetE0EEEvSW_.num_vgpr, 17
	.set _ZN7rocprim17ROCPRIM_400000_NS6detail17trampoline_kernelINS0_14default_configENS1_27lower_bound_config_selectorIslEEZNS1_14transform_implILb0ES3_S5_N6thrust23THRUST_200600_302600_NS6detail15normal_iteratorINS8_7pointerIsNS8_11hip_rocprim5par_tENS8_11use_defaultESE_EEEENSA_INSB_IlSD_SE_SE_EEEEZNS1_13binary_searchIS3_S5_PsSG_SI_NS1_21lower_bound_search_opENS9_16wrapped_functionINS8_6system6detail7generic6detail18binary_search_lessEbEEEE10hipError_tPvRmT1_T2_T3_mmT4_T5_P12ihipStream_tbEUlRKsE_EEST_SX_SY_mSZ_S12_bEUlT_E_NS1_11comp_targetILNS1_3genE8ELNS1_11target_archE1030ELNS1_3gpuE2ELNS1_3repE0EEENS1_30default_config_static_selectorELNS0_4arch9wavefront6targetE0EEEvSW_.num_agpr, 0
	.set _ZN7rocprim17ROCPRIM_400000_NS6detail17trampoline_kernelINS0_14default_configENS1_27lower_bound_config_selectorIslEEZNS1_14transform_implILb0ES3_S5_N6thrust23THRUST_200600_302600_NS6detail15normal_iteratorINS8_7pointerIsNS8_11hip_rocprim5par_tENS8_11use_defaultESE_EEEENSA_INSB_IlSD_SE_SE_EEEEZNS1_13binary_searchIS3_S5_PsSG_SI_NS1_21lower_bound_search_opENS9_16wrapped_functionINS8_6system6detail7generic6detail18binary_search_lessEbEEEE10hipError_tPvRmT1_T2_T3_mmT4_T5_P12ihipStream_tbEUlRKsE_EEST_SX_SY_mSZ_S12_bEUlT_E_NS1_11comp_targetILNS1_3genE8ELNS1_11target_archE1030ELNS1_3gpuE2ELNS1_3repE0EEENS1_30default_config_static_selectorELNS0_4arch9wavefront6targetE0EEEvSW_.numbered_sgpr, 20
	.set _ZN7rocprim17ROCPRIM_400000_NS6detail17trampoline_kernelINS0_14default_configENS1_27lower_bound_config_selectorIslEEZNS1_14transform_implILb0ES3_S5_N6thrust23THRUST_200600_302600_NS6detail15normal_iteratorINS8_7pointerIsNS8_11hip_rocprim5par_tENS8_11use_defaultESE_EEEENSA_INSB_IlSD_SE_SE_EEEEZNS1_13binary_searchIS3_S5_PsSG_SI_NS1_21lower_bound_search_opENS9_16wrapped_functionINS8_6system6detail7generic6detail18binary_search_lessEbEEEE10hipError_tPvRmT1_T2_T3_mmT4_T5_P12ihipStream_tbEUlRKsE_EEST_SX_SY_mSZ_S12_bEUlT_E_NS1_11comp_targetILNS1_3genE8ELNS1_11target_archE1030ELNS1_3gpuE2ELNS1_3repE0EEENS1_30default_config_static_selectorELNS0_4arch9wavefront6targetE0EEEvSW_.num_named_barrier, 0
	.set _ZN7rocprim17ROCPRIM_400000_NS6detail17trampoline_kernelINS0_14default_configENS1_27lower_bound_config_selectorIslEEZNS1_14transform_implILb0ES3_S5_N6thrust23THRUST_200600_302600_NS6detail15normal_iteratorINS8_7pointerIsNS8_11hip_rocprim5par_tENS8_11use_defaultESE_EEEENSA_INSB_IlSD_SE_SE_EEEEZNS1_13binary_searchIS3_S5_PsSG_SI_NS1_21lower_bound_search_opENS9_16wrapped_functionINS8_6system6detail7generic6detail18binary_search_lessEbEEEE10hipError_tPvRmT1_T2_T3_mmT4_T5_P12ihipStream_tbEUlRKsE_EEST_SX_SY_mSZ_S12_bEUlT_E_NS1_11comp_targetILNS1_3genE8ELNS1_11target_archE1030ELNS1_3gpuE2ELNS1_3repE0EEENS1_30default_config_static_selectorELNS0_4arch9wavefront6targetE0EEEvSW_.private_seg_size, 0
	.set _ZN7rocprim17ROCPRIM_400000_NS6detail17trampoline_kernelINS0_14default_configENS1_27lower_bound_config_selectorIslEEZNS1_14transform_implILb0ES3_S5_N6thrust23THRUST_200600_302600_NS6detail15normal_iteratorINS8_7pointerIsNS8_11hip_rocprim5par_tENS8_11use_defaultESE_EEEENSA_INSB_IlSD_SE_SE_EEEEZNS1_13binary_searchIS3_S5_PsSG_SI_NS1_21lower_bound_search_opENS9_16wrapped_functionINS8_6system6detail7generic6detail18binary_search_lessEbEEEE10hipError_tPvRmT1_T2_T3_mmT4_T5_P12ihipStream_tbEUlRKsE_EEST_SX_SY_mSZ_S12_bEUlT_E_NS1_11comp_targetILNS1_3genE8ELNS1_11target_archE1030ELNS1_3gpuE2ELNS1_3repE0EEENS1_30default_config_static_selectorELNS0_4arch9wavefront6targetE0EEEvSW_.uses_vcc, 1
	.set _ZN7rocprim17ROCPRIM_400000_NS6detail17trampoline_kernelINS0_14default_configENS1_27lower_bound_config_selectorIslEEZNS1_14transform_implILb0ES3_S5_N6thrust23THRUST_200600_302600_NS6detail15normal_iteratorINS8_7pointerIsNS8_11hip_rocprim5par_tENS8_11use_defaultESE_EEEENSA_INSB_IlSD_SE_SE_EEEEZNS1_13binary_searchIS3_S5_PsSG_SI_NS1_21lower_bound_search_opENS9_16wrapped_functionINS8_6system6detail7generic6detail18binary_search_lessEbEEEE10hipError_tPvRmT1_T2_T3_mmT4_T5_P12ihipStream_tbEUlRKsE_EEST_SX_SY_mSZ_S12_bEUlT_E_NS1_11comp_targetILNS1_3genE8ELNS1_11target_archE1030ELNS1_3gpuE2ELNS1_3repE0EEENS1_30default_config_static_selectorELNS0_4arch9wavefront6targetE0EEEvSW_.uses_flat_scratch, 1
	.set _ZN7rocprim17ROCPRIM_400000_NS6detail17trampoline_kernelINS0_14default_configENS1_27lower_bound_config_selectorIslEEZNS1_14transform_implILb0ES3_S5_N6thrust23THRUST_200600_302600_NS6detail15normal_iteratorINS8_7pointerIsNS8_11hip_rocprim5par_tENS8_11use_defaultESE_EEEENSA_INSB_IlSD_SE_SE_EEEEZNS1_13binary_searchIS3_S5_PsSG_SI_NS1_21lower_bound_search_opENS9_16wrapped_functionINS8_6system6detail7generic6detail18binary_search_lessEbEEEE10hipError_tPvRmT1_T2_T3_mmT4_T5_P12ihipStream_tbEUlRKsE_EEST_SX_SY_mSZ_S12_bEUlT_E_NS1_11comp_targetILNS1_3genE8ELNS1_11target_archE1030ELNS1_3gpuE2ELNS1_3repE0EEENS1_30default_config_static_selectorELNS0_4arch9wavefront6targetE0EEEvSW_.has_dyn_sized_stack, 0
	.set _ZN7rocprim17ROCPRIM_400000_NS6detail17trampoline_kernelINS0_14default_configENS1_27lower_bound_config_selectorIslEEZNS1_14transform_implILb0ES3_S5_N6thrust23THRUST_200600_302600_NS6detail15normal_iteratorINS8_7pointerIsNS8_11hip_rocprim5par_tENS8_11use_defaultESE_EEEENSA_INSB_IlSD_SE_SE_EEEEZNS1_13binary_searchIS3_S5_PsSG_SI_NS1_21lower_bound_search_opENS9_16wrapped_functionINS8_6system6detail7generic6detail18binary_search_lessEbEEEE10hipError_tPvRmT1_T2_T3_mmT4_T5_P12ihipStream_tbEUlRKsE_EEST_SX_SY_mSZ_S12_bEUlT_E_NS1_11comp_targetILNS1_3genE8ELNS1_11target_archE1030ELNS1_3gpuE2ELNS1_3repE0EEENS1_30default_config_static_selectorELNS0_4arch9wavefront6targetE0EEEvSW_.has_recursion, 0
	.set _ZN7rocprim17ROCPRIM_400000_NS6detail17trampoline_kernelINS0_14default_configENS1_27lower_bound_config_selectorIslEEZNS1_14transform_implILb0ES3_S5_N6thrust23THRUST_200600_302600_NS6detail15normal_iteratorINS8_7pointerIsNS8_11hip_rocprim5par_tENS8_11use_defaultESE_EEEENSA_INSB_IlSD_SE_SE_EEEEZNS1_13binary_searchIS3_S5_PsSG_SI_NS1_21lower_bound_search_opENS9_16wrapped_functionINS8_6system6detail7generic6detail18binary_search_lessEbEEEE10hipError_tPvRmT1_T2_T3_mmT4_T5_P12ihipStream_tbEUlRKsE_EEST_SX_SY_mSZ_S12_bEUlT_E_NS1_11comp_targetILNS1_3genE8ELNS1_11target_archE1030ELNS1_3gpuE2ELNS1_3repE0EEENS1_30default_config_static_selectorELNS0_4arch9wavefront6targetE0EEEvSW_.has_indirect_call, 0
	.section	.AMDGPU.csdata,"",@progbits
; Kernel info:
; codeLenInByte = 2672
; TotalNumSgprs: 22
; NumVgprs: 17
; ScratchSize: 0
; MemoryBound: 0
; FloatMode: 240
; IeeeMode: 1
; LDSByteSize: 0 bytes/workgroup (compile time only)
; SGPRBlocks: 0
; VGPRBlocks: 2
; NumSGPRsForWavesPerEU: 22
; NumVGPRsForWavesPerEU: 17
; Occupancy: 16
; WaveLimiterHint : 1
; COMPUTE_PGM_RSRC2:SCRATCH_EN: 0
; COMPUTE_PGM_RSRC2:USER_SGPR: 6
; COMPUTE_PGM_RSRC2:TRAP_HANDLER: 0
; COMPUTE_PGM_RSRC2:TGID_X_EN: 1
; COMPUTE_PGM_RSRC2:TGID_Y_EN: 0
; COMPUTE_PGM_RSRC2:TGID_Z_EN: 0
; COMPUTE_PGM_RSRC2:TIDIG_COMP_CNT: 0
	.section	.text._Z18upper_bound_kernelIdEvmPT_Pl,"axG",@progbits,_Z18upper_bound_kernelIdEvmPT_Pl,comdat
	.protected	_Z18upper_bound_kernelIdEvmPT_Pl ; -- Begin function _Z18upper_bound_kernelIdEvmPT_Pl
	.globl	_Z18upper_bound_kernelIdEvmPT_Pl
	.p2align	8
	.type	_Z18upper_bound_kernelIdEvmPT_Pl,@function
_Z18upper_bound_kernelIdEvmPT_Pl:       ; @_Z18upper_bound_kernelIdEvmPT_Pl
; %bb.0:
	s_clause 0x1
	s_load_dwordx4 s[0:3], s[4:5], 0x0
	s_load_dwordx2 s[4:5], s[4:5], 0x10
	s_waitcnt lgkmcnt(0)
	s_lshl_b64 s[0:1], s[0:1], 3
	s_add_u32 s0, s2, s0
	s_addc_u32 s1, s3, s1
	s_sub_u32 s0, s0, s2
	s_subb_u32 s1, s1, s3
	s_ashr_i64 s[6:7], s[0:1], 3
	s_mov_b32 s1, -1
	v_cmp_lt_i64_e64 s0, s[6:7], 1
	s_and_b32 s0, exec_lo, s0
	s_mov_b32 vcc_lo, s0
	s_cbranch_vccz .LBB161_2
; %bb.1:
	v_mov_b32_e32 v0, 0
	s_mov_b32 s1, 0
	v_mov_b32_e32 v1, v0
	global_store_dwordx2 v0, v[0:1], s[4:5]
.LBB161_2:
	s_andn2_b32 vcc_lo, exec_lo, s1
	s_mov_b64 s[8:9], 0
	s_cbranch_vccnz .LBB161_7
; %bb.3:
	s_mov_b64 s[10:11], s[6:7]
	.p2align	6
.LBB161_4:                              ; =>This Inner Loop Header: Depth=1
	s_sub_u32 s12, s10, s8
	s_subb_u32 s13, s11, s9
	s_lshr_b64 s[12:13], s[12:13], 1
	s_add_u32 s12, s12, s8
	s_addc_u32 s13, s13, s9
	s_lshl_b64 s[14:15], s[12:13], 3
	s_add_u32 s14, s2, s14
	s_addc_u32 s15, s3, s15
	s_load_dwordx2 s[14:15], s[14:15], 0x0
	s_waitcnt lgkmcnt(0)
	v_cmp_gt_f64_e64 s1, s[14:15], 0
	s_add_u32 s14, s12, 1
	s_addc_u32 s15, s13, 0
	s_and_b32 s1, s1, exec_lo
	s_cselect_b32 s9, s9, s15
	s_cselect_b32 s8, s8, s14
	;; [unrolled: 1-line block ×4, first 2 shown]
	v_cmp_lt_i64_e64 s1, s[8:9], s[10:11]
	s_and_b32 vcc_lo, exec_lo, s1
	s_cbranch_vccnz .LBB161_4
; %bb.5:
	s_lshl_b64 s[8:9], s[8:9], 3
	v_mov_b32_e32 v2, 0
	s_add_u32 s1, s2, s8
	s_addc_u32 s9, s3, s9
	s_sub_u32 s8, s1, s2
	s_subb_u32 s9, s9, s3
	s_mov_b64 s[10:11], s[6:7]
	s_ashr_i64 s[8:9], s[8:9], 3
	v_mov_b32_e32 v0, s8
	v_mov_b32_e32 v1, s9
	s_mov_b64 s[8:9], 0
	global_store_dwordx2 v2, v[0:1], s[4:5]
	.p2align	6
.LBB161_6:                              ; =>This Inner Loop Header: Depth=1
	s_sub_u32 s12, s10, s8
	s_subb_u32 s13, s11, s9
	s_lshr_b64 s[12:13], s[12:13], 1
	s_add_u32 s12, s12, s8
	s_addc_u32 s13, s13, s9
	s_lshl_b64 s[14:15], s[12:13], 3
	s_add_u32 s14, s2, s14
	s_addc_u32 s15, s3, s15
	s_load_dwordx2 s[14:15], s[14:15], 0x0
	s_waitcnt lgkmcnt(0)
	v_cmp_gt_f64_e64 s1, s[14:15], 1.0
	s_add_u32 s14, s12, 1
	s_addc_u32 s15, s13, 0
	s_and_b32 s1, s1, exec_lo
	s_cselect_b32 s9, s9, s15
	s_cselect_b32 s8, s8, s14
	;; [unrolled: 1-line block ×4, first 2 shown]
	v_cmp_ge_i64_e64 s1, s[8:9], s[10:11]
	s_and_b32 vcc_lo, exec_lo, s1
	s_cbranch_vccz .LBB161_6
.LBB161_7:
	s_lshl_b64 s[8:9], s[8:9], 3
	v_mov_b32_e32 v0, 0
	s_add_u32 s1, s2, s8
	s_addc_u32 s9, s3, s9
	s_sub_u32 s8, s1, s2
	s_subb_u32 s9, s9, s3
	s_mov_b32 s1, -1
	s_ashr_i64 s[8:9], s[8:9], 3
	s_mov_b32 vcc_lo, s0
	v_mov_b32_e32 v1, s8
	v_mov_b32_e32 v2, s9
	global_store_dwordx2 v0, v[1:2], s[4:5] offset:8
	s_cbranch_vccz .LBB161_9
; %bb.8:
	v_mov_b32_e32 v1, v0
	s_mov_b32 s1, 0
	global_store_dwordx2 v0, v[0:1], s[4:5] offset:16
.LBB161_9:
	s_andn2_b32 vcc_lo, exec_lo, s1
	s_mov_b64 s[8:9], 0
	s_cbranch_vccnz .LBB161_14
; %bb.10:
	s_mov_b64 s[10:11], s[6:7]
	.p2align	6
.LBB161_11:                             ; =>This Inner Loop Header: Depth=1
	s_sub_u32 s12, s10, s8
	s_subb_u32 s13, s11, s9
	s_lshr_b64 s[12:13], s[12:13], 1
	s_add_u32 s12, s12, s8
	s_addc_u32 s13, s13, s9
	s_lshl_b64 s[14:15], s[12:13], 3
	s_add_u32 s14, s2, s14
	s_addc_u32 s15, s3, s15
	s_load_dwordx2 s[14:15], s[14:15], 0x0
	s_waitcnt lgkmcnt(0)
	v_cmp_gt_f64_e64 s1, s[14:15], 2.0
	s_add_u32 s14, s12, 1
	s_addc_u32 s15, s13, 0
	s_and_b32 s1, s1, exec_lo
	s_cselect_b32 s9, s9, s15
	s_cselect_b32 s8, s8, s14
	;; [unrolled: 1-line block ×4, first 2 shown]
	v_cmp_lt_i64_e64 s1, s[8:9], s[10:11]
	s_and_b32 vcc_lo, exec_lo, s1
	s_cbranch_vccnz .LBB161_11
; %bb.12:
	s_lshl_b64 s[8:9], s[8:9], 3
	v_mov_b32_e32 v2, 0
	s_add_u32 s1, s2, s8
	s_addc_u32 s9, s3, s9
	s_sub_u32 s8, s1, s2
	s_subb_u32 s9, s9, s3
	s_mov_b64 s[10:11], s[6:7]
	s_ashr_i64 s[8:9], s[8:9], 3
	v_mov_b32_e32 v0, s8
	v_mov_b32_e32 v1, s9
	s_mov_b64 s[8:9], 0
	global_store_dwordx2 v2, v[0:1], s[4:5] offset:16
	.p2align	6
.LBB161_13:                             ; =>This Inner Loop Header: Depth=1
	s_sub_u32 s12, s10, s8
	s_subb_u32 s13, s11, s9
	s_lshr_b64 s[12:13], s[12:13], 1
	s_add_u32 s12, s12, s8
	s_addc_u32 s13, s13, s9
	s_lshl_b64 s[14:15], s[12:13], 3
	s_add_u32 s14, s2, s14
	s_addc_u32 s15, s3, s15
	s_load_dwordx2 s[14:15], s[14:15], 0x0
	s_waitcnt lgkmcnt(0)
	v_cmp_lt_f64_e64 s1, 0x40080000, s[14:15]
	s_add_u32 s14, s12, 1
	s_addc_u32 s15, s13, 0
	s_and_b32 s1, s1, exec_lo
	s_cselect_b32 s9, s9, s15
	s_cselect_b32 s8, s8, s14
	;; [unrolled: 1-line block ×4, first 2 shown]
	v_cmp_ge_i64_e64 s1, s[8:9], s[10:11]
	s_and_b32 vcc_lo, exec_lo, s1
	s_cbranch_vccz .LBB161_13
.LBB161_14:
	s_lshl_b64 s[8:9], s[8:9], 3
	v_mov_b32_e32 v0, 0
	s_add_u32 s1, s2, s8
	s_addc_u32 s9, s3, s9
	s_sub_u32 s8, s1, s2
	s_subb_u32 s9, s9, s3
	s_mov_b32 s1, -1
	s_ashr_i64 s[8:9], s[8:9], 3
	s_mov_b32 vcc_lo, s0
	v_mov_b32_e32 v1, s8
	v_mov_b32_e32 v2, s9
	global_store_dwordx2 v0, v[1:2], s[4:5] offset:24
	s_cbranch_vccz .LBB161_16
; %bb.15:
	v_mov_b32_e32 v1, v0
	s_mov_b32 s1, 0
	global_store_dwordx2 v0, v[0:1], s[4:5] offset:32
.LBB161_16:
	s_andn2_b32 vcc_lo, exec_lo, s1
	s_mov_b64 s[8:9], 0
	s_cbranch_vccnz .LBB161_21
; %bb.17:
	s_mov_b64 s[10:11], s[6:7]
	.p2align	6
.LBB161_18:                             ; =>This Inner Loop Header: Depth=1
	s_sub_u32 s12, s10, s8
	s_subb_u32 s13, s11, s9
	s_lshr_b64 s[12:13], s[12:13], 1
	s_add_u32 s12, s12, s8
	s_addc_u32 s13, s13, s9
	s_lshl_b64 s[14:15], s[12:13], 3
	s_add_u32 s14, s2, s14
	s_addc_u32 s15, s3, s15
	s_load_dwordx2 s[14:15], s[14:15], 0x0
	s_waitcnt lgkmcnt(0)
	v_cmp_gt_f64_e64 s1, s[14:15], 4.0
	s_add_u32 s14, s12, 1
	s_addc_u32 s15, s13, 0
	s_and_b32 s1, s1, exec_lo
	s_cselect_b32 s9, s9, s15
	s_cselect_b32 s8, s8, s14
	;; [unrolled: 1-line block ×4, first 2 shown]
	v_cmp_lt_i64_e64 s1, s[8:9], s[10:11]
	s_and_b32 vcc_lo, exec_lo, s1
	s_cbranch_vccnz .LBB161_18
; %bb.19:
	s_lshl_b64 s[8:9], s[8:9], 3
	v_mov_b32_e32 v2, 0
	s_add_u32 s1, s2, s8
	s_addc_u32 s9, s3, s9
	s_sub_u32 s8, s1, s2
	s_subb_u32 s9, s9, s3
	s_mov_b64 s[10:11], s[6:7]
	s_ashr_i64 s[8:9], s[8:9], 3
	v_mov_b32_e32 v0, s8
	v_mov_b32_e32 v1, s9
	s_mov_b64 s[8:9], 0
	global_store_dwordx2 v2, v[0:1], s[4:5] offset:32
	.p2align	6
.LBB161_20:                             ; =>This Inner Loop Header: Depth=1
	s_sub_u32 s12, s10, s8
	s_subb_u32 s13, s11, s9
	s_lshr_b64 s[12:13], s[12:13], 1
	s_add_u32 s12, s12, s8
	s_addc_u32 s13, s13, s9
	s_lshl_b64 s[14:15], s[12:13], 3
	s_add_u32 s14, s2, s14
	s_addc_u32 s15, s3, s15
	s_load_dwordx2 s[14:15], s[14:15], 0x0
	s_waitcnt lgkmcnt(0)
	v_cmp_lt_f64_e64 s1, 0x40140000, s[14:15]
	s_add_u32 s14, s12, 1
	s_addc_u32 s15, s13, 0
	s_and_b32 s1, s1, exec_lo
	s_cselect_b32 s9, s9, s15
	s_cselect_b32 s8, s8, s14
	s_cselect_b32 s11, s13, s11
	s_cselect_b32 s10, s12, s10
	v_cmp_ge_i64_e64 s1, s[8:9], s[10:11]
	s_and_b32 vcc_lo, exec_lo, s1
	s_cbranch_vccz .LBB161_20
.LBB161_21:
	s_lshl_b64 s[8:9], s[8:9], 3
	v_mov_b32_e32 v0, 0
	s_add_u32 s1, s2, s8
	s_addc_u32 s9, s3, s9
	s_sub_u32 s8, s1, s2
	s_subb_u32 s9, s9, s3
	s_mov_b32 s1, -1
	s_ashr_i64 s[8:9], s[8:9], 3
	s_mov_b32 vcc_lo, s0
	v_mov_b32_e32 v1, s8
	v_mov_b32_e32 v2, s9
	global_store_dwordx2 v0, v[1:2], s[4:5] offset:40
	s_cbranch_vccz .LBB161_23
; %bb.22:
	v_mov_b32_e32 v1, v0
	s_mov_b32 s1, 0
	global_store_dwordx2 v0, v[0:1], s[4:5] offset:48
.LBB161_23:
	s_andn2_b32 vcc_lo, exec_lo, s1
	s_mov_b64 s[8:9], 0
	s_cbranch_vccnz .LBB161_28
; %bb.24:
	s_mov_b64 s[10:11], s[6:7]
	.p2align	6
.LBB161_25:                             ; =>This Inner Loop Header: Depth=1
	s_sub_u32 s12, s10, s8
	s_subb_u32 s13, s11, s9
	s_lshr_b64 s[12:13], s[12:13], 1
	s_add_u32 s12, s12, s8
	s_addc_u32 s13, s13, s9
	s_lshl_b64 s[14:15], s[12:13], 3
	s_add_u32 s14, s2, s14
	s_addc_u32 s15, s3, s15
	s_load_dwordx2 s[14:15], s[14:15], 0x0
	s_waitcnt lgkmcnt(0)
	v_cmp_lt_f64_e64 s1, 0x40180000, s[14:15]
	s_add_u32 s14, s12, 1
	s_addc_u32 s15, s13, 0
	s_and_b32 s1, s1, exec_lo
	s_cselect_b32 s9, s9, s15
	s_cselect_b32 s8, s8, s14
	;; [unrolled: 1-line block ×4, first 2 shown]
	v_cmp_lt_i64_e64 s1, s[8:9], s[10:11]
	s_and_b32 vcc_lo, exec_lo, s1
	s_cbranch_vccnz .LBB161_25
; %bb.26:
	s_lshl_b64 s[8:9], s[8:9], 3
	v_mov_b32_e32 v2, 0
	s_add_u32 s1, s2, s8
	s_addc_u32 s9, s3, s9
	s_sub_u32 s8, s1, s2
	s_subb_u32 s9, s9, s3
	s_mov_b64 s[10:11], s[6:7]
	s_ashr_i64 s[8:9], s[8:9], 3
	v_mov_b32_e32 v0, s8
	v_mov_b32_e32 v1, s9
	s_mov_b64 s[8:9], 0
	global_store_dwordx2 v2, v[0:1], s[4:5] offset:48
	.p2align	6
.LBB161_27:                             ; =>This Inner Loop Header: Depth=1
	s_sub_u32 s12, s10, s8
	s_subb_u32 s13, s11, s9
	s_lshr_b64 s[12:13], s[12:13], 1
	s_add_u32 s12, s12, s8
	s_addc_u32 s13, s13, s9
	s_lshl_b64 s[14:15], s[12:13], 3
	s_add_u32 s14, s2, s14
	s_addc_u32 s15, s3, s15
	s_load_dwordx2 s[14:15], s[14:15], 0x0
	s_waitcnt lgkmcnt(0)
	v_cmp_lt_f64_e64 s1, 0x401c0000, s[14:15]
	s_add_u32 s14, s12, 1
	s_addc_u32 s15, s13, 0
	s_and_b32 s1, s1, exec_lo
	s_cselect_b32 s9, s9, s15
	s_cselect_b32 s8, s8, s14
	s_cselect_b32 s11, s13, s11
	s_cselect_b32 s10, s12, s10
	v_cmp_ge_i64_e64 s1, s[8:9], s[10:11]
	s_and_b32 vcc_lo, exec_lo, s1
	s_cbranch_vccz .LBB161_27
.LBB161_28:
	s_lshl_b64 s[8:9], s[8:9], 3
	v_mov_b32_e32 v0, 0
	s_add_u32 s1, s2, s8
	s_addc_u32 s9, s3, s9
	s_sub_u32 s8, s1, s2
	s_subb_u32 s9, s9, s3
	s_mov_b32 s1, -1
	s_ashr_i64 s[8:9], s[8:9], 3
	s_mov_b32 vcc_lo, s0
	v_mov_b32_e32 v1, s8
	v_mov_b32_e32 v2, s9
	global_store_dwordx2 v0, v[1:2], s[4:5] offset:56
	s_cbranch_vccz .LBB161_30
; %bb.29:
	v_mov_b32_e32 v1, v0
	s_mov_b32 s1, 0
	global_store_dwordx2 v0, v[0:1], s[4:5] offset:64
.LBB161_30:
	s_andn2_b32 vcc_lo, exec_lo, s1
	s_mov_b64 s[0:1], 0
	s_cbranch_vccnz .LBB161_35
; %bb.31:
	s_mov_b64 s[8:9], s[6:7]
	.p2align	6
.LBB161_32:                             ; =>This Inner Loop Header: Depth=1
	s_sub_u32 s10, s8, s0
	s_subb_u32 s11, s9, s1
	s_lshr_b64 s[10:11], s[10:11], 1
	s_add_u32 s10, s10, s0
	s_addc_u32 s11, s11, s1
	s_lshl_b64 s[12:13], s[10:11], 3
	s_add_u32 s12, s2, s12
	s_addc_u32 s13, s3, s13
	s_load_dwordx2 s[12:13], s[12:13], 0x0
	s_waitcnt lgkmcnt(0)
	v_cmp_lt_f64_e64 s12, 0x40200000, s[12:13]
	s_add_u32 s13, s10, 1
	s_addc_u32 s14, s11, 0
	s_and_b32 s12, s12, exec_lo
	s_cselect_b32 s1, s1, s14
	s_cselect_b32 s0, s0, s13
	;; [unrolled: 1-line block ×4, first 2 shown]
	v_cmp_lt_i64_e64 s10, s[0:1], s[8:9]
	s_and_b32 vcc_lo, exec_lo, s10
	s_cbranch_vccnz .LBB161_32
; %bb.33:
	s_lshl_b64 s[0:1], s[0:1], 3
	v_mov_b32_e32 v2, 0
	s_add_u32 s0, s2, s0
	s_addc_u32 s1, s3, s1
	s_sub_u32 s0, s0, s2
	s_subb_u32 s1, s1, s3
	s_ashr_i64 s[0:1], s[0:1], 3
	v_mov_b32_e32 v0, s0
	v_mov_b32_e32 v1, s1
	s_mov_b64 s[0:1], 0
	global_store_dwordx2 v2, v[0:1], s[4:5] offset:64
	.p2align	6
.LBB161_34:                             ; =>This Inner Loop Header: Depth=1
	s_sub_u32 s8, s6, s0
	s_subb_u32 s9, s7, s1
	s_lshr_b64 s[8:9], s[8:9], 1
	s_add_u32 s8, s8, s0
	s_addc_u32 s9, s9, s1
	s_lshl_b64 s[10:11], s[8:9], 3
	s_add_u32 s10, s2, s10
	s_addc_u32 s11, s3, s11
	s_load_dwordx2 s[10:11], s[10:11], 0x0
	s_waitcnt lgkmcnt(0)
	v_cmp_lt_f64_e64 s10, 0x40220000, s[10:11]
	s_add_u32 s11, s8, 1
	s_addc_u32 s12, s9, 0
	s_and_b32 s10, s10, exec_lo
	s_cselect_b32 s1, s1, s12
	s_cselect_b32 s0, s0, s11
	;; [unrolled: 1-line block ×4, first 2 shown]
	v_cmp_ge_i64_e64 s8, s[0:1], s[6:7]
	s_and_b32 vcc_lo, exec_lo, s8
	s_cbranch_vccz .LBB161_34
.LBB161_35:
	s_lshl_b64 s[0:1], s[0:1], 3
	v_mov_b32_e32 v2, 0
	s_add_u32 s0, s2, s0
	s_addc_u32 s1, s3, s1
	s_sub_u32 s0, s0, s2
	s_subb_u32 s1, s1, s3
	s_ashr_i64 s[0:1], s[0:1], 3
	v_mov_b32_e32 v0, s0
	v_mov_b32_e32 v1, s1
	global_store_dwordx2 v2, v[0:1], s[4:5] offset:72
	s_endpgm
	.section	.rodata,"a",@progbits
	.p2align	6, 0x0
	.amdhsa_kernel _Z18upper_bound_kernelIdEvmPT_Pl
		.amdhsa_group_segment_fixed_size 0
		.amdhsa_private_segment_fixed_size 0
		.amdhsa_kernarg_size 24
		.amdhsa_user_sgpr_count 6
		.amdhsa_user_sgpr_private_segment_buffer 1
		.amdhsa_user_sgpr_dispatch_ptr 0
		.amdhsa_user_sgpr_queue_ptr 0
		.amdhsa_user_sgpr_kernarg_segment_ptr 1
		.amdhsa_user_sgpr_dispatch_id 0
		.amdhsa_user_sgpr_flat_scratch_init 0
		.amdhsa_user_sgpr_private_segment_size 0
		.amdhsa_wavefront_size32 1
		.amdhsa_uses_dynamic_stack 0
		.amdhsa_system_sgpr_private_segment_wavefront_offset 0
		.amdhsa_system_sgpr_workgroup_id_x 1
		.amdhsa_system_sgpr_workgroup_id_y 0
		.amdhsa_system_sgpr_workgroup_id_z 0
		.amdhsa_system_sgpr_workgroup_info 0
		.amdhsa_system_vgpr_workitem_id 0
		.amdhsa_next_free_vgpr 3
		.amdhsa_next_free_sgpr 16
		.amdhsa_reserve_vcc 1
		.amdhsa_reserve_flat_scratch 0
		.amdhsa_float_round_mode_32 0
		.amdhsa_float_round_mode_16_64 0
		.amdhsa_float_denorm_mode_32 3
		.amdhsa_float_denorm_mode_16_64 3
		.amdhsa_dx10_clamp 1
		.amdhsa_ieee_mode 1
		.amdhsa_fp16_overflow 0
		.amdhsa_workgroup_processor_mode 1
		.amdhsa_memory_ordered 1
		.amdhsa_forward_progress 1
		.amdhsa_shared_vgpr_count 0
		.amdhsa_exception_fp_ieee_invalid_op 0
		.amdhsa_exception_fp_denorm_src 0
		.amdhsa_exception_fp_ieee_div_zero 0
		.amdhsa_exception_fp_ieee_overflow 0
		.amdhsa_exception_fp_ieee_underflow 0
		.amdhsa_exception_fp_ieee_inexact 0
		.amdhsa_exception_int_div_zero 0
	.end_amdhsa_kernel
	.section	.text._Z18upper_bound_kernelIdEvmPT_Pl,"axG",@progbits,_Z18upper_bound_kernelIdEvmPT_Pl,comdat
.Lfunc_end161:
	.size	_Z18upper_bound_kernelIdEvmPT_Pl, .Lfunc_end161-_Z18upper_bound_kernelIdEvmPT_Pl
                                        ; -- End function
	.set _Z18upper_bound_kernelIdEvmPT_Pl.num_vgpr, 3
	.set _Z18upper_bound_kernelIdEvmPT_Pl.num_agpr, 0
	.set _Z18upper_bound_kernelIdEvmPT_Pl.numbered_sgpr, 16
	.set _Z18upper_bound_kernelIdEvmPT_Pl.num_named_barrier, 0
	.set _Z18upper_bound_kernelIdEvmPT_Pl.private_seg_size, 0
	.set _Z18upper_bound_kernelIdEvmPT_Pl.uses_vcc, 1
	.set _Z18upper_bound_kernelIdEvmPT_Pl.uses_flat_scratch, 0
	.set _Z18upper_bound_kernelIdEvmPT_Pl.has_dyn_sized_stack, 0
	.set _Z18upper_bound_kernelIdEvmPT_Pl.has_recursion, 0
	.set _Z18upper_bound_kernelIdEvmPT_Pl.has_indirect_call, 0
	.section	.AMDGPU.csdata,"",@progbits
; Kernel info:
; codeLenInByte = 2004
; TotalNumSgprs: 18
; NumVgprs: 3
; ScratchSize: 0
; MemoryBound: 0
; FloatMode: 240
; IeeeMode: 1
; LDSByteSize: 0 bytes/workgroup (compile time only)
; SGPRBlocks: 0
; VGPRBlocks: 0
; NumSGPRsForWavesPerEU: 18
; NumVGPRsForWavesPerEU: 3
; Occupancy: 16
; WaveLimiterHint : 0
; COMPUTE_PGM_RSRC2:SCRATCH_EN: 0
; COMPUTE_PGM_RSRC2:USER_SGPR: 6
; COMPUTE_PGM_RSRC2:TRAP_HANDLER: 0
; COMPUTE_PGM_RSRC2:TGID_X_EN: 1
; COMPUTE_PGM_RSRC2:TGID_Y_EN: 0
; COMPUTE_PGM_RSRC2:TGID_Z_EN: 0
; COMPUTE_PGM_RSRC2:TIDIG_COMP_CNT: 0
	.section	.text._ZN7rocprim17ROCPRIM_400000_NS6detail17trampoline_kernelINS0_14default_configENS1_27upper_bound_config_selectorIdlEEZNS1_14transform_implILb0ES3_S5_N6thrust23THRUST_200600_302600_NS6detail15normal_iteratorINS8_7pointerIdNS8_11hip_rocprim5par_tENS8_11use_defaultESE_EEEENSA_INSB_IlSD_SE_SE_EEEEZNS1_13binary_searchIS3_S5_PdSG_SI_NS1_21upper_bound_search_opENS9_16wrapped_functionINS8_6system6detail7generic6detail18binary_search_lessEbEEEE10hipError_tPvRmT1_T2_T3_mmT4_T5_P12ihipStream_tbEUlRKdE_EEST_SX_SY_mSZ_S12_bEUlT_E_NS1_11comp_targetILNS1_3genE0ELNS1_11target_archE4294967295ELNS1_3gpuE0ELNS1_3repE0EEENS1_30default_config_static_selectorELNS0_4arch9wavefront6targetE0EEEvSW_,"axG",@progbits,_ZN7rocprim17ROCPRIM_400000_NS6detail17trampoline_kernelINS0_14default_configENS1_27upper_bound_config_selectorIdlEEZNS1_14transform_implILb0ES3_S5_N6thrust23THRUST_200600_302600_NS6detail15normal_iteratorINS8_7pointerIdNS8_11hip_rocprim5par_tENS8_11use_defaultESE_EEEENSA_INSB_IlSD_SE_SE_EEEEZNS1_13binary_searchIS3_S5_PdSG_SI_NS1_21upper_bound_search_opENS9_16wrapped_functionINS8_6system6detail7generic6detail18binary_search_lessEbEEEE10hipError_tPvRmT1_T2_T3_mmT4_T5_P12ihipStream_tbEUlRKdE_EEST_SX_SY_mSZ_S12_bEUlT_E_NS1_11comp_targetILNS1_3genE0ELNS1_11target_archE4294967295ELNS1_3gpuE0ELNS1_3repE0EEENS1_30default_config_static_selectorELNS0_4arch9wavefront6targetE0EEEvSW_,comdat
	.protected	_ZN7rocprim17ROCPRIM_400000_NS6detail17trampoline_kernelINS0_14default_configENS1_27upper_bound_config_selectorIdlEEZNS1_14transform_implILb0ES3_S5_N6thrust23THRUST_200600_302600_NS6detail15normal_iteratorINS8_7pointerIdNS8_11hip_rocprim5par_tENS8_11use_defaultESE_EEEENSA_INSB_IlSD_SE_SE_EEEEZNS1_13binary_searchIS3_S5_PdSG_SI_NS1_21upper_bound_search_opENS9_16wrapped_functionINS8_6system6detail7generic6detail18binary_search_lessEbEEEE10hipError_tPvRmT1_T2_T3_mmT4_T5_P12ihipStream_tbEUlRKdE_EEST_SX_SY_mSZ_S12_bEUlT_E_NS1_11comp_targetILNS1_3genE0ELNS1_11target_archE4294967295ELNS1_3gpuE0ELNS1_3repE0EEENS1_30default_config_static_selectorELNS0_4arch9wavefront6targetE0EEEvSW_ ; -- Begin function _ZN7rocprim17ROCPRIM_400000_NS6detail17trampoline_kernelINS0_14default_configENS1_27upper_bound_config_selectorIdlEEZNS1_14transform_implILb0ES3_S5_N6thrust23THRUST_200600_302600_NS6detail15normal_iteratorINS8_7pointerIdNS8_11hip_rocprim5par_tENS8_11use_defaultESE_EEEENSA_INSB_IlSD_SE_SE_EEEEZNS1_13binary_searchIS3_S5_PdSG_SI_NS1_21upper_bound_search_opENS9_16wrapped_functionINS8_6system6detail7generic6detail18binary_search_lessEbEEEE10hipError_tPvRmT1_T2_T3_mmT4_T5_P12ihipStream_tbEUlRKdE_EEST_SX_SY_mSZ_S12_bEUlT_E_NS1_11comp_targetILNS1_3genE0ELNS1_11target_archE4294967295ELNS1_3gpuE0ELNS1_3repE0EEENS1_30default_config_static_selectorELNS0_4arch9wavefront6targetE0EEEvSW_
	.globl	_ZN7rocprim17ROCPRIM_400000_NS6detail17trampoline_kernelINS0_14default_configENS1_27upper_bound_config_selectorIdlEEZNS1_14transform_implILb0ES3_S5_N6thrust23THRUST_200600_302600_NS6detail15normal_iteratorINS8_7pointerIdNS8_11hip_rocprim5par_tENS8_11use_defaultESE_EEEENSA_INSB_IlSD_SE_SE_EEEEZNS1_13binary_searchIS3_S5_PdSG_SI_NS1_21upper_bound_search_opENS9_16wrapped_functionINS8_6system6detail7generic6detail18binary_search_lessEbEEEE10hipError_tPvRmT1_T2_T3_mmT4_T5_P12ihipStream_tbEUlRKdE_EEST_SX_SY_mSZ_S12_bEUlT_E_NS1_11comp_targetILNS1_3genE0ELNS1_11target_archE4294967295ELNS1_3gpuE0ELNS1_3repE0EEENS1_30default_config_static_selectorELNS0_4arch9wavefront6targetE0EEEvSW_
	.p2align	8
	.type	_ZN7rocprim17ROCPRIM_400000_NS6detail17trampoline_kernelINS0_14default_configENS1_27upper_bound_config_selectorIdlEEZNS1_14transform_implILb0ES3_S5_N6thrust23THRUST_200600_302600_NS6detail15normal_iteratorINS8_7pointerIdNS8_11hip_rocprim5par_tENS8_11use_defaultESE_EEEENSA_INSB_IlSD_SE_SE_EEEEZNS1_13binary_searchIS3_S5_PdSG_SI_NS1_21upper_bound_search_opENS9_16wrapped_functionINS8_6system6detail7generic6detail18binary_search_lessEbEEEE10hipError_tPvRmT1_T2_T3_mmT4_T5_P12ihipStream_tbEUlRKdE_EEST_SX_SY_mSZ_S12_bEUlT_E_NS1_11comp_targetILNS1_3genE0ELNS1_11target_archE4294967295ELNS1_3gpuE0ELNS1_3repE0EEENS1_30default_config_static_selectorELNS0_4arch9wavefront6targetE0EEEvSW_,@function
_ZN7rocprim17ROCPRIM_400000_NS6detail17trampoline_kernelINS0_14default_configENS1_27upper_bound_config_selectorIdlEEZNS1_14transform_implILb0ES3_S5_N6thrust23THRUST_200600_302600_NS6detail15normal_iteratorINS8_7pointerIdNS8_11hip_rocprim5par_tENS8_11use_defaultESE_EEEENSA_INSB_IlSD_SE_SE_EEEEZNS1_13binary_searchIS3_S5_PdSG_SI_NS1_21upper_bound_search_opENS9_16wrapped_functionINS8_6system6detail7generic6detail18binary_search_lessEbEEEE10hipError_tPvRmT1_T2_T3_mmT4_T5_P12ihipStream_tbEUlRKdE_EEST_SX_SY_mSZ_S12_bEUlT_E_NS1_11comp_targetILNS1_3genE0ELNS1_11target_archE4294967295ELNS1_3gpuE0ELNS1_3repE0EEENS1_30default_config_static_selectorELNS0_4arch9wavefront6targetE0EEEvSW_: ; @_ZN7rocprim17ROCPRIM_400000_NS6detail17trampoline_kernelINS0_14default_configENS1_27upper_bound_config_selectorIdlEEZNS1_14transform_implILb0ES3_S5_N6thrust23THRUST_200600_302600_NS6detail15normal_iteratorINS8_7pointerIdNS8_11hip_rocprim5par_tENS8_11use_defaultESE_EEEENSA_INSB_IlSD_SE_SE_EEEEZNS1_13binary_searchIS3_S5_PdSG_SI_NS1_21upper_bound_search_opENS9_16wrapped_functionINS8_6system6detail7generic6detail18binary_search_lessEbEEEE10hipError_tPvRmT1_T2_T3_mmT4_T5_P12ihipStream_tbEUlRKdE_EEST_SX_SY_mSZ_S12_bEUlT_E_NS1_11comp_targetILNS1_3genE0ELNS1_11target_archE4294967295ELNS1_3gpuE0ELNS1_3repE0EEENS1_30default_config_static_selectorELNS0_4arch9wavefront6targetE0EEEvSW_
; %bb.0:
	.section	.rodata,"a",@progbits
	.p2align	6, 0x0
	.amdhsa_kernel _ZN7rocprim17ROCPRIM_400000_NS6detail17trampoline_kernelINS0_14default_configENS1_27upper_bound_config_selectorIdlEEZNS1_14transform_implILb0ES3_S5_N6thrust23THRUST_200600_302600_NS6detail15normal_iteratorINS8_7pointerIdNS8_11hip_rocprim5par_tENS8_11use_defaultESE_EEEENSA_INSB_IlSD_SE_SE_EEEEZNS1_13binary_searchIS3_S5_PdSG_SI_NS1_21upper_bound_search_opENS9_16wrapped_functionINS8_6system6detail7generic6detail18binary_search_lessEbEEEE10hipError_tPvRmT1_T2_T3_mmT4_T5_P12ihipStream_tbEUlRKdE_EEST_SX_SY_mSZ_S12_bEUlT_E_NS1_11comp_targetILNS1_3genE0ELNS1_11target_archE4294967295ELNS1_3gpuE0ELNS1_3repE0EEENS1_30default_config_static_selectorELNS0_4arch9wavefront6targetE0EEEvSW_
		.amdhsa_group_segment_fixed_size 0
		.amdhsa_private_segment_fixed_size 0
		.amdhsa_kernarg_size 56
		.amdhsa_user_sgpr_count 6
		.amdhsa_user_sgpr_private_segment_buffer 1
		.amdhsa_user_sgpr_dispatch_ptr 0
		.amdhsa_user_sgpr_queue_ptr 0
		.amdhsa_user_sgpr_kernarg_segment_ptr 1
		.amdhsa_user_sgpr_dispatch_id 0
		.amdhsa_user_sgpr_flat_scratch_init 0
		.amdhsa_user_sgpr_private_segment_size 0
		.amdhsa_wavefront_size32 1
		.amdhsa_uses_dynamic_stack 0
		.amdhsa_system_sgpr_private_segment_wavefront_offset 0
		.amdhsa_system_sgpr_workgroup_id_x 1
		.amdhsa_system_sgpr_workgroup_id_y 0
		.amdhsa_system_sgpr_workgroup_id_z 0
		.amdhsa_system_sgpr_workgroup_info 0
		.amdhsa_system_vgpr_workitem_id 0
		.amdhsa_next_free_vgpr 1
		.amdhsa_next_free_sgpr 1
		.amdhsa_reserve_vcc 0
		.amdhsa_reserve_flat_scratch 0
		.amdhsa_float_round_mode_32 0
		.amdhsa_float_round_mode_16_64 0
		.amdhsa_float_denorm_mode_32 3
		.amdhsa_float_denorm_mode_16_64 3
		.amdhsa_dx10_clamp 1
		.amdhsa_ieee_mode 1
		.amdhsa_fp16_overflow 0
		.amdhsa_workgroup_processor_mode 1
		.amdhsa_memory_ordered 1
		.amdhsa_forward_progress 1
		.amdhsa_shared_vgpr_count 0
		.amdhsa_exception_fp_ieee_invalid_op 0
		.amdhsa_exception_fp_denorm_src 0
		.amdhsa_exception_fp_ieee_div_zero 0
		.amdhsa_exception_fp_ieee_overflow 0
		.amdhsa_exception_fp_ieee_underflow 0
		.amdhsa_exception_fp_ieee_inexact 0
		.amdhsa_exception_int_div_zero 0
	.end_amdhsa_kernel
	.section	.text._ZN7rocprim17ROCPRIM_400000_NS6detail17trampoline_kernelINS0_14default_configENS1_27upper_bound_config_selectorIdlEEZNS1_14transform_implILb0ES3_S5_N6thrust23THRUST_200600_302600_NS6detail15normal_iteratorINS8_7pointerIdNS8_11hip_rocprim5par_tENS8_11use_defaultESE_EEEENSA_INSB_IlSD_SE_SE_EEEEZNS1_13binary_searchIS3_S5_PdSG_SI_NS1_21upper_bound_search_opENS9_16wrapped_functionINS8_6system6detail7generic6detail18binary_search_lessEbEEEE10hipError_tPvRmT1_T2_T3_mmT4_T5_P12ihipStream_tbEUlRKdE_EEST_SX_SY_mSZ_S12_bEUlT_E_NS1_11comp_targetILNS1_3genE0ELNS1_11target_archE4294967295ELNS1_3gpuE0ELNS1_3repE0EEENS1_30default_config_static_selectorELNS0_4arch9wavefront6targetE0EEEvSW_,"axG",@progbits,_ZN7rocprim17ROCPRIM_400000_NS6detail17trampoline_kernelINS0_14default_configENS1_27upper_bound_config_selectorIdlEEZNS1_14transform_implILb0ES3_S5_N6thrust23THRUST_200600_302600_NS6detail15normal_iteratorINS8_7pointerIdNS8_11hip_rocprim5par_tENS8_11use_defaultESE_EEEENSA_INSB_IlSD_SE_SE_EEEEZNS1_13binary_searchIS3_S5_PdSG_SI_NS1_21upper_bound_search_opENS9_16wrapped_functionINS8_6system6detail7generic6detail18binary_search_lessEbEEEE10hipError_tPvRmT1_T2_T3_mmT4_T5_P12ihipStream_tbEUlRKdE_EEST_SX_SY_mSZ_S12_bEUlT_E_NS1_11comp_targetILNS1_3genE0ELNS1_11target_archE4294967295ELNS1_3gpuE0ELNS1_3repE0EEENS1_30default_config_static_selectorELNS0_4arch9wavefront6targetE0EEEvSW_,comdat
.Lfunc_end162:
	.size	_ZN7rocprim17ROCPRIM_400000_NS6detail17trampoline_kernelINS0_14default_configENS1_27upper_bound_config_selectorIdlEEZNS1_14transform_implILb0ES3_S5_N6thrust23THRUST_200600_302600_NS6detail15normal_iteratorINS8_7pointerIdNS8_11hip_rocprim5par_tENS8_11use_defaultESE_EEEENSA_INSB_IlSD_SE_SE_EEEEZNS1_13binary_searchIS3_S5_PdSG_SI_NS1_21upper_bound_search_opENS9_16wrapped_functionINS8_6system6detail7generic6detail18binary_search_lessEbEEEE10hipError_tPvRmT1_T2_T3_mmT4_T5_P12ihipStream_tbEUlRKdE_EEST_SX_SY_mSZ_S12_bEUlT_E_NS1_11comp_targetILNS1_3genE0ELNS1_11target_archE4294967295ELNS1_3gpuE0ELNS1_3repE0EEENS1_30default_config_static_selectorELNS0_4arch9wavefront6targetE0EEEvSW_, .Lfunc_end162-_ZN7rocprim17ROCPRIM_400000_NS6detail17trampoline_kernelINS0_14default_configENS1_27upper_bound_config_selectorIdlEEZNS1_14transform_implILb0ES3_S5_N6thrust23THRUST_200600_302600_NS6detail15normal_iteratorINS8_7pointerIdNS8_11hip_rocprim5par_tENS8_11use_defaultESE_EEEENSA_INSB_IlSD_SE_SE_EEEEZNS1_13binary_searchIS3_S5_PdSG_SI_NS1_21upper_bound_search_opENS9_16wrapped_functionINS8_6system6detail7generic6detail18binary_search_lessEbEEEE10hipError_tPvRmT1_T2_T3_mmT4_T5_P12ihipStream_tbEUlRKdE_EEST_SX_SY_mSZ_S12_bEUlT_E_NS1_11comp_targetILNS1_3genE0ELNS1_11target_archE4294967295ELNS1_3gpuE0ELNS1_3repE0EEENS1_30default_config_static_selectorELNS0_4arch9wavefront6targetE0EEEvSW_
                                        ; -- End function
	.set _ZN7rocprim17ROCPRIM_400000_NS6detail17trampoline_kernelINS0_14default_configENS1_27upper_bound_config_selectorIdlEEZNS1_14transform_implILb0ES3_S5_N6thrust23THRUST_200600_302600_NS6detail15normal_iteratorINS8_7pointerIdNS8_11hip_rocprim5par_tENS8_11use_defaultESE_EEEENSA_INSB_IlSD_SE_SE_EEEEZNS1_13binary_searchIS3_S5_PdSG_SI_NS1_21upper_bound_search_opENS9_16wrapped_functionINS8_6system6detail7generic6detail18binary_search_lessEbEEEE10hipError_tPvRmT1_T2_T3_mmT4_T5_P12ihipStream_tbEUlRKdE_EEST_SX_SY_mSZ_S12_bEUlT_E_NS1_11comp_targetILNS1_3genE0ELNS1_11target_archE4294967295ELNS1_3gpuE0ELNS1_3repE0EEENS1_30default_config_static_selectorELNS0_4arch9wavefront6targetE0EEEvSW_.num_vgpr, 0
	.set _ZN7rocprim17ROCPRIM_400000_NS6detail17trampoline_kernelINS0_14default_configENS1_27upper_bound_config_selectorIdlEEZNS1_14transform_implILb0ES3_S5_N6thrust23THRUST_200600_302600_NS6detail15normal_iteratorINS8_7pointerIdNS8_11hip_rocprim5par_tENS8_11use_defaultESE_EEEENSA_INSB_IlSD_SE_SE_EEEEZNS1_13binary_searchIS3_S5_PdSG_SI_NS1_21upper_bound_search_opENS9_16wrapped_functionINS8_6system6detail7generic6detail18binary_search_lessEbEEEE10hipError_tPvRmT1_T2_T3_mmT4_T5_P12ihipStream_tbEUlRKdE_EEST_SX_SY_mSZ_S12_bEUlT_E_NS1_11comp_targetILNS1_3genE0ELNS1_11target_archE4294967295ELNS1_3gpuE0ELNS1_3repE0EEENS1_30default_config_static_selectorELNS0_4arch9wavefront6targetE0EEEvSW_.num_agpr, 0
	.set _ZN7rocprim17ROCPRIM_400000_NS6detail17trampoline_kernelINS0_14default_configENS1_27upper_bound_config_selectorIdlEEZNS1_14transform_implILb0ES3_S5_N6thrust23THRUST_200600_302600_NS6detail15normal_iteratorINS8_7pointerIdNS8_11hip_rocprim5par_tENS8_11use_defaultESE_EEEENSA_INSB_IlSD_SE_SE_EEEEZNS1_13binary_searchIS3_S5_PdSG_SI_NS1_21upper_bound_search_opENS9_16wrapped_functionINS8_6system6detail7generic6detail18binary_search_lessEbEEEE10hipError_tPvRmT1_T2_T3_mmT4_T5_P12ihipStream_tbEUlRKdE_EEST_SX_SY_mSZ_S12_bEUlT_E_NS1_11comp_targetILNS1_3genE0ELNS1_11target_archE4294967295ELNS1_3gpuE0ELNS1_3repE0EEENS1_30default_config_static_selectorELNS0_4arch9wavefront6targetE0EEEvSW_.numbered_sgpr, 0
	.set _ZN7rocprim17ROCPRIM_400000_NS6detail17trampoline_kernelINS0_14default_configENS1_27upper_bound_config_selectorIdlEEZNS1_14transform_implILb0ES3_S5_N6thrust23THRUST_200600_302600_NS6detail15normal_iteratorINS8_7pointerIdNS8_11hip_rocprim5par_tENS8_11use_defaultESE_EEEENSA_INSB_IlSD_SE_SE_EEEEZNS1_13binary_searchIS3_S5_PdSG_SI_NS1_21upper_bound_search_opENS9_16wrapped_functionINS8_6system6detail7generic6detail18binary_search_lessEbEEEE10hipError_tPvRmT1_T2_T3_mmT4_T5_P12ihipStream_tbEUlRKdE_EEST_SX_SY_mSZ_S12_bEUlT_E_NS1_11comp_targetILNS1_3genE0ELNS1_11target_archE4294967295ELNS1_3gpuE0ELNS1_3repE0EEENS1_30default_config_static_selectorELNS0_4arch9wavefront6targetE0EEEvSW_.num_named_barrier, 0
	.set _ZN7rocprim17ROCPRIM_400000_NS6detail17trampoline_kernelINS0_14default_configENS1_27upper_bound_config_selectorIdlEEZNS1_14transform_implILb0ES3_S5_N6thrust23THRUST_200600_302600_NS6detail15normal_iteratorINS8_7pointerIdNS8_11hip_rocprim5par_tENS8_11use_defaultESE_EEEENSA_INSB_IlSD_SE_SE_EEEEZNS1_13binary_searchIS3_S5_PdSG_SI_NS1_21upper_bound_search_opENS9_16wrapped_functionINS8_6system6detail7generic6detail18binary_search_lessEbEEEE10hipError_tPvRmT1_T2_T3_mmT4_T5_P12ihipStream_tbEUlRKdE_EEST_SX_SY_mSZ_S12_bEUlT_E_NS1_11comp_targetILNS1_3genE0ELNS1_11target_archE4294967295ELNS1_3gpuE0ELNS1_3repE0EEENS1_30default_config_static_selectorELNS0_4arch9wavefront6targetE0EEEvSW_.private_seg_size, 0
	.set _ZN7rocprim17ROCPRIM_400000_NS6detail17trampoline_kernelINS0_14default_configENS1_27upper_bound_config_selectorIdlEEZNS1_14transform_implILb0ES3_S5_N6thrust23THRUST_200600_302600_NS6detail15normal_iteratorINS8_7pointerIdNS8_11hip_rocprim5par_tENS8_11use_defaultESE_EEEENSA_INSB_IlSD_SE_SE_EEEEZNS1_13binary_searchIS3_S5_PdSG_SI_NS1_21upper_bound_search_opENS9_16wrapped_functionINS8_6system6detail7generic6detail18binary_search_lessEbEEEE10hipError_tPvRmT1_T2_T3_mmT4_T5_P12ihipStream_tbEUlRKdE_EEST_SX_SY_mSZ_S12_bEUlT_E_NS1_11comp_targetILNS1_3genE0ELNS1_11target_archE4294967295ELNS1_3gpuE0ELNS1_3repE0EEENS1_30default_config_static_selectorELNS0_4arch9wavefront6targetE0EEEvSW_.uses_vcc, 0
	.set _ZN7rocprim17ROCPRIM_400000_NS6detail17trampoline_kernelINS0_14default_configENS1_27upper_bound_config_selectorIdlEEZNS1_14transform_implILb0ES3_S5_N6thrust23THRUST_200600_302600_NS6detail15normal_iteratorINS8_7pointerIdNS8_11hip_rocprim5par_tENS8_11use_defaultESE_EEEENSA_INSB_IlSD_SE_SE_EEEEZNS1_13binary_searchIS3_S5_PdSG_SI_NS1_21upper_bound_search_opENS9_16wrapped_functionINS8_6system6detail7generic6detail18binary_search_lessEbEEEE10hipError_tPvRmT1_T2_T3_mmT4_T5_P12ihipStream_tbEUlRKdE_EEST_SX_SY_mSZ_S12_bEUlT_E_NS1_11comp_targetILNS1_3genE0ELNS1_11target_archE4294967295ELNS1_3gpuE0ELNS1_3repE0EEENS1_30default_config_static_selectorELNS0_4arch9wavefront6targetE0EEEvSW_.uses_flat_scratch, 0
	.set _ZN7rocprim17ROCPRIM_400000_NS6detail17trampoline_kernelINS0_14default_configENS1_27upper_bound_config_selectorIdlEEZNS1_14transform_implILb0ES3_S5_N6thrust23THRUST_200600_302600_NS6detail15normal_iteratorINS8_7pointerIdNS8_11hip_rocprim5par_tENS8_11use_defaultESE_EEEENSA_INSB_IlSD_SE_SE_EEEEZNS1_13binary_searchIS3_S5_PdSG_SI_NS1_21upper_bound_search_opENS9_16wrapped_functionINS8_6system6detail7generic6detail18binary_search_lessEbEEEE10hipError_tPvRmT1_T2_T3_mmT4_T5_P12ihipStream_tbEUlRKdE_EEST_SX_SY_mSZ_S12_bEUlT_E_NS1_11comp_targetILNS1_3genE0ELNS1_11target_archE4294967295ELNS1_3gpuE0ELNS1_3repE0EEENS1_30default_config_static_selectorELNS0_4arch9wavefront6targetE0EEEvSW_.has_dyn_sized_stack, 0
	.set _ZN7rocprim17ROCPRIM_400000_NS6detail17trampoline_kernelINS0_14default_configENS1_27upper_bound_config_selectorIdlEEZNS1_14transform_implILb0ES3_S5_N6thrust23THRUST_200600_302600_NS6detail15normal_iteratorINS8_7pointerIdNS8_11hip_rocprim5par_tENS8_11use_defaultESE_EEEENSA_INSB_IlSD_SE_SE_EEEEZNS1_13binary_searchIS3_S5_PdSG_SI_NS1_21upper_bound_search_opENS9_16wrapped_functionINS8_6system6detail7generic6detail18binary_search_lessEbEEEE10hipError_tPvRmT1_T2_T3_mmT4_T5_P12ihipStream_tbEUlRKdE_EEST_SX_SY_mSZ_S12_bEUlT_E_NS1_11comp_targetILNS1_3genE0ELNS1_11target_archE4294967295ELNS1_3gpuE0ELNS1_3repE0EEENS1_30default_config_static_selectorELNS0_4arch9wavefront6targetE0EEEvSW_.has_recursion, 0
	.set _ZN7rocprim17ROCPRIM_400000_NS6detail17trampoline_kernelINS0_14default_configENS1_27upper_bound_config_selectorIdlEEZNS1_14transform_implILb0ES3_S5_N6thrust23THRUST_200600_302600_NS6detail15normal_iteratorINS8_7pointerIdNS8_11hip_rocprim5par_tENS8_11use_defaultESE_EEEENSA_INSB_IlSD_SE_SE_EEEEZNS1_13binary_searchIS3_S5_PdSG_SI_NS1_21upper_bound_search_opENS9_16wrapped_functionINS8_6system6detail7generic6detail18binary_search_lessEbEEEE10hipError_tPvRmT1_T2_T3_mmT4_T5_P12ihipStream_tbEUlRKdE_EEST_SX_SY_mSZ_S12_bEUlT_E_NS1_11comp_targetILNS1_3genE0ELNS1_11target_archE4294967295ELNS1_3gpuE0ELNS1_3repE0EEENS1_30default_config_static_selectorELNS0_4arch9wavefront6targetE0EEEvSW_.has_indirect_call, 0
	.section	.AMDGPU.csdata,"",@progbits
; Kernel info:
; codeLenInByte = 0
; TotalNumSgprs: 0
; NumVgprs: 0
; ScratchSize: 0
; MemoryBound: 0
; FloatMode: 240
; IeeeMode: 1
; LDSByteSize: 0 bytes/workgroup (compile time only)
; SGPRBlocks: 0
; VGPRBlocks: 0
; NumSGPRsForWavesPerEU: 1
; NumVGPRsForWavesPerEU: 1
; Occupancy: 16
; WaveLimiterHint : 0
; COMPUTE_PGM_RSRC2:SCRATCH_EN: 0
; COMPUTE_PGM_RSRC2:USER_SGPR: 6
; COMPUTE_PGM_RSRC2:TRAP_HANDLER: 0
; COMPUTE_PGM_RSRC2:TGID_X_EN: 1
; COMPUTE_PGM_RSRC2:TGID_Y_EN: 0
; COMPUTE_PGM_RSRC2:TGID_Z_EN: 0
; COMPUTE_PGM_RSRC2:TIDIG_COMP_CNT: 0
	.section	.text._ZN7rocprim17ROCPRIM_400000_NS6detail17trampoline_kernelINS0_14default_configENS1_27upper_bound_config_selectorIdlEEZNS1_14transform_implILb0ES3_S5_N6thrust23THRUST_200600_302600_NS6detail15normal_iteratorINS8_7pointerIdNS8_11hip_rocprim5par_tENS8_11use_defaultESE_EEEENSA_INSB_IlSD_SE_SE_EEEEZNS1_13binary_searchIS3_S5_PdSG_SI_NS1_21upper_bound_search_opENS9_16wrapped_functionINS8_6system6detail7generic6detail18binary_search_lessEbEEEE10hipError_tPvRmT1_T2_T3_mmT4_T5_P12ihipStream_tbEUlRKdE_EEST_SX_SY_mSZ_S12_bEUlT_E_NS1_11comp_targetILNS1_3genE5ELNS1_11target_archE942ELNS1_3gpuE9ELNS1_3repE0EEENS1_30default_config_static_selectorELNS0_4arch9wavefront6targetE0EEEvSW_,"axG",@progbits,_ZN7rocprim17ROCPRIM_400000_NS6detail17trampoline_kernelINS0_14default_configENS1_27upper_bound_config_selectorIdlEEZNS1_14transform_implILb0ES3_S5_N6thrust23THRUST_200600_302600_NS6detail15normal_iteratorINS8_7pointerIdNS8_11hip_rocprim5par_tENS8_11use_defaultESE_EEEENSA_INSB_IlSD_SE_SE_EEEEZNS1_13binary_searchIS3_S5_PdSG_SI_NS1_21upper_bound_search_opENS9_16wrapped_functionINS8_6system6detail7generic6detail18binary_search_lessEbEEEE10hipError_tPvRmT1_T2_T3_mmT4_T5_P12ihipStream_tbEUlRKdE_EEST_SX_SY_mSZ_S12_bEUlT_E_NS1_11comp_targetILNS1_3genE5ELNS1_11target_archE942ELNS1_3gpuE9ELNS1_3repE0EEENS1_30default_config_static_selectorELNS0_4arch9wavefront6targetE0EEEvSW_,comdat
	.protected	_ZN7rocprim17ROCPRIM_400000_NS6detail17trampoline_kernelINS0_14default_configENS1_27upper_bound_config_selectorIdlEEZNS1_14transform_implILb0ES3_S5_N6thrust23THRUST_200600_302600_NS6detail15normal_iteratorINS8_7pointerIdNS8_11hip_rocprim5par_tENS8_11use_defaultESE_EEEENSA_INSB_IlSD_SE_SE_EEEEZNS1_13binary_searchIS3_S5_PdSG_SI_NS1_21upper_bound_search_opENS9_16wrapped_functionINS8_6system6detail7generic6detail18binary_search_lessEbEEEE10hipError_tPvRmT1_T2_T3_mmT4_T5_P12ihipStream_tbEUlRKdE_EEST_SX_SY_mSZ_S12_bEUlT_E_NS1_11comp_targetILNS1_3genE5ELNS1_11target_archE942ELNS1_3gpuE9ELNS1_3repE0EEENS1_30default_config_static_selectorELNS0_4arch9wavefront6targetE0EEEvSW_ ; -- Begin function _ZN7rocprim17ROCPRIM_400000_NS6detail17trampoline_kernelINS0_14default_configENS1_27upper_bound_config_selectorIdlEEZNS1_14transform_implILb0ES3_S5_N6thrust23THRUST_200600_302600_NS6detail15normal_iteratorINS8_7pointerIdNS8_11hip_rocprim5par_tENS8_11use_defaultESE_EEEENSA_INSB_IlSD_SE_SE_EEEEZNS1_13binary_searchIS3_S5_PdSG_SI_NS1_21upper_bound_search_opENS9_16wrapped_functionINS8_6system6detail7generic6detail18binary_search_lessEbEEEE10hipError_tPvRmT1_T2_T3_mmT4_T5_P12ihipStream_tbEUlRKdE_EEST_SX_SY_mSZ_S12_bEUlT_E_NS1_11comp_targetILNS1_3genE5ELNS1_11target_archE942ELNS1_3gpuE9ELNS1_3repE0EEENS1_30default_config_static_selectorELNS0_4arch9wavefront6targetE0EEEvSW_
	.globl	_ZN7rocprim17ROCPRIM_400000_NS6detail17trampoline_kernelINS0_14default_configENS1_27upper_bound_config_selectorIdlEEZNS1_14transform_implILb0ES3_S5_N6thrust23THRUST_200600_302600_NS6detail15normal_iteratorINS8_7pointerIdNS8_11hip_rocprim5par_tENS8_11use_defaultESE_EEEENSA_INSB_IlSD_SE_SE_EEEEZNS1_13binary_searchIS3_S5_PdSG_SI_NS1_21upper_bound_search_opENS9_16wrapped_functionINS8_6system6detail7generic6detail18binary_search_lessEbEEEE10hipError_tPvRmT1_T2_T3_mmT4_T5_P12ihipStream_tbEUlRKdE_EEST_SX_SY_mSZ_S12_bEUlT_E_NS1_11comp_targetILNS1_3genE5ELNS1_11target_archE942ELNS1_3gpuE9ELNS1_3repE0EEENS1_30default_config_static_selectorELNS0_4arch9wavefront6targetE0EEEvSW_
	.p2align	8
	.type	_ZN7rocprim17ROCPRIM_400000_NS6detail17trampoline_kernelINS0_14default_configENS1_27upper_bound_config_selectorIdlEEZNS1_14transform_implILb0ES3_S5_N6thrust23THRUST_200600_302600_NS6detail15normal_iteratorINS8_7pointerIdNS8_11hip_rocprim5par_tENS8_11use_defaultESE_EEEENSA_INSB_IlSD_SE_SE_EEEEZNS1_13binary_searchIS3_S5_PdSG_SI_NS1_21upper_bound_search_opENS9_16wrapped_functionINS8_6system6detail7generic6detail18binary_search_lessEbEEEE10hipError_tPvRmT1_T2_T3_mmT4_T5_P12ihipStream_tbEUlRKdE_EEST_SX_SY_mSZ_S12_bEUlT_E_NS1_11comp_targetILNS1_3genE5ELNS1_11target_archE942ELNS1_3gpuE9ELNS1_3repE0EEENS1_30default_config_static_selectorELNS0_4arch9wavefront6targetE0EEEvSW_,@function
_ZN7rocprim17ROCPRIM_400000_NS6detail17trampoline_kernelINS0_14default_configENS1_27upper_bound_config_selectorIdlEEZNS1_14transform_implILb0ES3_S5_N6thrust23THRUST_200600_302600_NS6detail15normal_iteratorINS8_7pointerIdNS8_11hip_rocprim5par_tENS8_11use_defaultESE_EEEENSA_INSB_IlSD_SE_SE_EEEEZNS1_13binary_searchIS3_S5_PdSG_SI_NS1_21upper_bound_search_opENS9_16wrapped_functionINS8_6system6detail7generic6detail18binary_search_lessEbEEEE10hipError_tPvRmT1_T2_T3_mmT4_T5_P12ihipStream_tbEUlRKdE_EEST_SX_SY_mSZ_S12_bEUlT_E_NS1_11comp_targetILNS1_3genE5ELNS1_11target_archE942ELNS1_3gpuE9ELNS1_3repE0EEENS1_30default_config_static_selectorELNS0_4arch9wavefront6targetE0EEEvSW_: ; @_ZN7rocprim17ROCPRIM_400000_NS6detail17trampoline_kernelINS0_14default_configENS1_27upper_bound_config_selectorIdlEEZNS1_14transform_implILb0ES3_S5_N6thrust23THRUST_200600_302600_NS6detail15normal_iteratorINS8_7pointerIdNS8_11hip_rocprim5par_tENS8_11use_defaultESE_EEEENSA_INSB_IlSD_SE_SE_EEEEZNS1_13binary_searchIS3_S5_PdSG_SI_NS1_21upper_bound_search_opENS9_16wrapped_functionINS8_6system6detail7generic6detail18binary_search_lessEbEEEE10hipError_tPvRmT1_T2_T3_mmT4_T5_P12ihipStream_tbEUlRKdE_EEST_SX_SY_mSZ_S12_bEUlT_E_NS1_11comp_targetILNS1_3genE5ELNS1_11target_archE942ELNS1_3gpuE9ELNS1_3repE0EEENS1_30default_config_static_selectorELNS0_4arch9wavefront6targetE0EEEvSW_
; %bb.0:
	.section	.rodata,"a",@progbits
	.p2align	6, 0x0
	.amdhsa_kernel _ZN7rocprim17ROCPRIM_400000_NS6detail17trampoline_kernelINS0_14default_configENS1_27upper_bound_config_selectorIdlEEZNS1_14transform_implILb0ES3_S5_N6thrust23THRUST_200600_302600_NS6detail15normal_iteratorINS8_7pointerIdNS8_11hip_rocprim5par_tENS8_11use_defaultESE_EEEENSA_INSB_IlSD_SE_SE_EEEEZNS1_13binary_searchIS3_S5_PdSG_SI_NS1_21upper_bound_search_opENS9_16wrapped_functionINS8_6system6detail7generic6detail18binary_search_lessEbEEEE10hipError_tPvRmT1_T2_T3_mmT4_T5_P12ihipStream_tbEUlRKdE_EEST_SX_SY_mSZ_S12_bEUlT_E_NS1_11comp_targetILNS1_3genE5ELNS1_11target_archE942ELNS1_3gpuE9ELNS1_3repE0EEENS1_30default_config_static_selectorELNS0_4arch9wavefront6targetE0EEEvSW_
		.amdhsa_group_segment_fixed_size 0
		.amdhsa_private_segment_fixed_size 0
		.amdhsa_kernarg_size 56
		.amdhsa_user_sgpr_count 6
		.amdhsa_user_sgpr_private_segment_buffer 1
		.amdhsa_user_sgpr_dispatch_ptr 0
		.amdhsa_user_sgpr_queue_ptr 0
		.amdhsa_user_sgpr_kernarg_segment_ptr 1
		.amdhsa_user_sgpr_dispatch_id 0
		.amdhsa_user_sgpr_flat_scratch_init 0
		.amdhsa_user_sgpr_private_segment_size 0
		.amdhsa_wavefront_size32 1
		.amdhsa_uses_dynamic_stack 0
		.amdhsa_system_sgpr_private_segment_wavefront_offset 0
		.amdhsa_system_sgpr_workgroup_id_x 1
		.amdhsa_system_sgpr_workgroup_id_y 0
		.amdhsa_system_sgpr_workgroup_id_z 0
		.amdhsa_system_sgpr_workgroup_info 0
		.amdhsa_system_vgpr_workitem_id 0
		.amdhsa_next_free_vgpr 1
		.amdhsa_next_free_sgpr 1
		.amdhsa_reserve_vcc 0
		.amdhsa_reserve_flat_scratch 0
		.amdhsa_float_round_mode_32 0
		.amdhsa_float_round_mode_16_64 0
		.amdhsa_float_denorm_mode_32 3
		.amdhsa_float_denorm_mode_16_64 3
		.amdhsa_dx10_clamp 1
		.amdhsa_ieee_mode 1
		.amdhsa_fp16_overflow 0
		.amdhsa_workgroup_processor_mode 1
		.amdhsa_memory_ordered 1
		.amdhsa_forward_progress 1
		.amdhsa_shared_vgpr_count 0
		.amdhsa_exception_fp_ieee_invalid_op 0
		.amdhsa_exception_fp_denorm_src 0
		.amdhsa_exception_fp_ieee_div_zero 0
		.amdhsa_exception_fp_ieee_overflow 0
		.amdhsa_exception_fp_ieee_underflow 0
		.amdhsa_exception_fp_ieee_inexact 0
		.amdhsa_exception_int_div_zero 0
	.end_amdhsa_kernel
	.section	.text._ZN7rocprim17ROCPRIM_400000_NS6detail17trampoline_kernelINS0_14default_configENS1_27upper_bound_config_selectorIdlEEZNS1_14transform_implILb0ES3_S5_N6thrust23THRUST_200600_302600_NS6detail15normal_iteratorINS8_7pointerIdNS8_11hip_rocprim5par_tENS8_11use_defaultESE_EEEENSA_INSB_IlSD_SE_SE_EEEEZNS1_13binary_searchIS3_S5_PdSG_SI_NS1_21upper_bound_search_opENS9_16wrapped_functionINS8_6system6detail7generic6detail18binary_search_lessEbEEEE10hipError_tPvRmT1_T2_T3_mmT4_T5_P12ihipStream_tbEUlRKdE_EEST_SX_SY_mSZ_S12_bEUlT_E_NS1_11comp_targetILNS1_3genE5ELNS1_11target_archE942ELNS1_3gpuE9ELNS1_3repE0EEENS1_30default_config_static_selectorELNS0_4arch9wavefront6targetE0EEEvSW_,"axG",@progbits,_ZN7rocprim17ROCPRIM_400000_NS6detail17trampoline_kernelINS0_14default_configENS1_27upper_bound_config_selectorIdlEEZNS1_14transform_implILb0ES3_S5_N6thrust23THRUST_200600_302600_NS6detail15normal_iteratorINS8_7pointerIdNS8_11hip_rocprim5par_tENS8_11use_defaultESE_EEEENSA_INSB_IlSD_SE_SE_EEEEZNS1_13binary_searchIS3_S5_PdSG_SI_NS1_21upper_bound_search_opENS9_16wrapped_functionINS8_6system6detail7generic6detail18binary_search_lessEbEEEE10hipError_tPvRmT1_T2_T3_mmT4_T5_P12ihipStream_tbEUlRKdE_EEST_SX_SY_mSZ_S12_bEUlT_E_NS1_11comp_targetILNS1_3genE5ELNS1_11target_archE942ELNS1_3gpuE9ELNS1_3repE0EEENS1_30default_config_static_selectorELNS0_4arch9wavefront6targetE0EEEvSW_,comdat
.Lfunc_end163:
	.size	_ZN7rocprim17ROCPRIM_400000_NS6detail17trampoline_kernelINS0_14default_configENS1_27upper_bound_config_selectorIdlEEZNS1_14transform_implILb0ES3_S5_N6thrust23THRUST_200600_302600_NS6detail15normal_iteratorINS8_7pointerIdNS8_11hip_rocprim5par_tENS8_11use_defaultESE_EEEENSA_INSB_IlSD_SE_SE_EEEEZNS1_13binary_searchIS3_S5_PdSG_SI_NS1_21upper_bound_search_opENS9_16wrapped_functionINS8_6system6detail7generic6detail18binary_search_lessEbEEEE10hipError_tPvRmT1_T2_T3_mmT4_T5_P12ihipStream_tbEUlRKdE_EEST_SX_SY_mSZ_S12_bEUlT_E_NS1_11comp_targetILNS1_3genE5ELNS1_11target_archE942ELNS1_3gpuE9ELNS1_3repE0EEENS1_30default_config_static_selectorELNS0_4arch9wavefront6targetE0EEEvSW_, .Lfunc_end163-_ZN7rocprim17ROCPRIM_400000_NS6detail17trampoline_kernelINS0_14default_configENS1_27upper_bound_config_selectorIdlEEZNS1_14transform_implILb0ES3_S5_N6thrust23THRUST_200600_302600_NS6detail15normal_iteratorINS8_7pointerIdNS8_11hip_rocprim5par_tENS8_11use_defaultESE_EEEENSA_INSB_IlSD_SE_SE_EEEEZNS1_13binary_searchIS3_S5_PdSG_SI_NS1_21upper_bound_search_opENS9_16wrapped_functionINS8_6system6detail7generic6detail18binary_search_lessEbEEEE10hipError_tPvRmT1_T2_T3_mmT4_T5_P12ihipStream_tbEUlRKdE_EEST_SX_SY_mSZ_S12_bEUlT_E_NS1_11comp_targetILNS1_3genE5ELNS1_11target_archE942ELNS1_3gpuE9ELNS1_3repE0EEENS1_30default_config_static_selectorELNS0_4arch9wavefront6targetE0EEEvSW_
                                        ; -- End function
	.set _ZN7rocprim17ROCPRIM_400000_NS6detail17trampoline_kernelINS0_14default_configENS1_27upper_bound_config_selectorIdlEEZNS1_14transform_implILb0ES3_S5_N6thrust23THRUST_200600_302600_NS6detail15normal_iteratorINS8_7pointerIdNS8_11hip_rocprim5par_tENS8_11use_defaultESE_EEEENSA_INSB_IlSD_SE_SE_EEEEZNS1_13binary_searchIS3_S5_PdSG_SI_NS1_21upper_bound_search_opENS9_16wrapped_functionINS8_6system6detail7generic6detail18binary_search_lessEbEEEE10hipError_tPvRmT1_T2_T3_mmT4_T5_P12ihipStream_tbEUlRKdE_EEST_SX_SY_mSZ_S12_bEUlT_E_NS1_11comp_targetILNS1_3genE5ELNS1_11target_archE942ELNS1_3gpuE9ELNS1_3repE0EEENS1_30default_config_static_selectorELNS0_4arch9wavefront6targetE0EEEvSW_.num_vgpr, 0
	.set _ZN7rocprim17ROCPRIM_400000_NS6detail17trampoline_kernelINS0_14default_configENS1_27upper_bound_config_selectorIdlEEZNS1_14transform_implILb0ES3_S5_N6thrust23THRUST_200600_302600_NS6detail15normal_iteratorINS8_7pointerIdNS8_11hip_rocprim5par_tENS8_11use_defaultESE_EEEENSA_INSB_IlSD_SE_SE_EEEEZNS1_13binary_searchIS3_S5_PdSG_SI_NS1_21upper_bound_search_opENS9_16wrapped_functionINS8_6system6detail7generic6detail18binary_search_lessEbEEEE10hipError_tPvRmT1_T2_T3_mmT4_T5_P12ihipStream_tbEUlRKdE_EEST_SX_SY_mSZ_S12_bEUlT_E_NS1_11comp_targetILNS1_3genE5ELNS1_11target_archE942ELNS1_3gpuE9ELNS1_3repE0EEENS1_30default_config_static_selectorELNS0_4arch9wavefront6targetE0EEEvSW_.num_agpr, 0
	.set _ZN7rocprim17ROCPRIM_400000_NS6detail17trampoline_kernelINS0_14default_configENS1_27upper_bound_config_selectorIdlEEZNS1_14transform_implILb0ES3_S5_N6thrust23THRUST_200600_302600_NS6detail15normal_iteratorINS8_7pointerIdNS8_11hip_rocprim5par_tENS8_11use_defaultESE_EEEENSA_INSB_IlSD_SE_SE_EEEEZNS1_13binary_searchIS3_S5_PdSG_SI_NS1_21upper_bound_search_opENS9_16wrapped_functionINS8_6system6detail7generic6detail18binary_search_lessEbEEEE10hipError_tPvRmT1_T2_T3_mmT4_T5_P12ihipStream_tbEUlRKdE_EEST_SX_SY_mSZ_S12_bEUlT_E_NS1_11comp_targetILNS1_3genE5ELNS1_11target_archE942ELNS1_3gpuE9ELNS1_3repE0EEENS1_30default_config_static_selectorELNS0_4arch9wavefront6targetE0EEEvSW_.numbered_sgpr, 0
	.set _ZN7rocprim17ROCPRIM_400000_NS6detail17trampoline_kernelINS0_14default_configENS1_27upper_bound_config_selectorIdlEEZNS1_14transform_implILb0ES3_S5_N6thrust23THRUST_200600_302600_NS6detail15normal_iteratorINS8_7pointerIdNS8_11hip_rocprim5par_tENS8_11use_defaultESE_EEEENSA_INSB_IlSD_SE_SE_EEEEZNS1_13binary_searchIS3_S5_PdSG_SI_NS1_21upper_bound_search_opENS9_16wrapped_functionINS8_6system6detail7generic6detail18binary_search_lessEbEEEE10hipError_tPvRmT1_T2_T3_mmT4_T5_P12ihipStream_tbEUlRKdE_EEST_SX_SY_mSZ_S12_bEUlT_E_NS1_11comp_targetILNS1_3genE5ELNS1_11target_archE942ELNS1_3gpuE9ELNS1_3repE0EEENS1_30default_config_static_selectorELNS0_4arch9wavefront6targetE0EEEvSW_.num_named_barrier, 0
	.set _ZN7rocprim17ROCPRIM_400000_NS6detail17trampoline_kernelINS0_14default_configENS1_27upper_bound_config_selectorIdlEEZNS1_14transform_implILb0ES3_S5_N6thrust23THRUST_200600_302600_NS6detail15normal_iteratorINS8_7pointerIdNS8_11hip_rocprim5par_tENS8_11use_defaultESE_EEEENSA_INSB_IlSD_SE_SE_EEEEZNS1_13binary_searchIS3_S5_PdSG_SI_NS1_21upper_bound_search_opENS9_16wrapped_functionINS8_6system6detail7generic6detail18binary_search_lessEbEEEE10hipError_tPvRmT1_T2_T3_mmT4_T5_P12ihipStream_tbEUlRKdE_EEST_SX_SY_mSZ_S12_bEUlT_E_NS1_11comp_targetILNS1_3genE5ELNS1_11target_archE942ELNS1_3gpuE9ELNS1_3repE0EEENS1_30default_config_static_selectorELNS0_4arch9wavefront6targetE0EEEvSW_.private_seg_size, 0
	.set _ZN7rocprim17ROCPRIM_400000_NS6detail17trampoline_kernelINS0_14default_configENS1_27upper_bound_config_selectorIdlEEZNS1_14transform_implILb0ES3_S5_N6thrust23THRUST_200600_302600_NS6detail15normal_iteratorINS8_7pointerIdNS8_11hip_rocprim5par_tENS8_11use_defaultESE_EEEENSA_INSB_IlSD_SE_SE_EEEEZNS1_13binary_searchIS3_S5_PdSG_SI_NS1_21upper_bound_search_opENS9_16wrapped_functionINS8_6system6detail7generic6detail18binary_search_lessEbEEEE10hipError_tPvRmT1_T2_T3_mmT4_T5_P12ihipStream_tbEUlRKdE_EEST_SX_SY_mSZ_S12_bEUlT_E_NS1_11comp_targetILNS1_3genE5ELNS1_11target_archE942ELNS1_3gpuE9ELNS1_3repE0EEENS1_30default_config_static_selectorELNS0_4arch9wavefront6targetE0EEEvSW_.uses_vcc, 0
	.set _ZN7rocprim17ROCPRIM_400000_NS6detail17trampoline_kernelINS0_14default_configENS1_27upper_bound_config_selectorIdlEEZNS1_14transform_implILb0ES3_S5_N6thrust23THRUST_200600_302600_NS6detail15normal_iteratorINS8_7pointerIdNS8_11hip_rocprim5par_tENS8_11use_defaultESE_EEEENSA_INSB_IlSD_SE_SE_EEEEZNS1_13binary_searchIS3_S5_PdSG_SI_NS1_21upper_bound_search_opENS9_16wrapped_functionINS8_6system6detail7generic6detail18binary_search_lessEbEEEE10hipError_tPvRmT1_T2_T3_mmT4_T5_P12ihipStream_tbEUlRKdE_EEST_SX_SY_mSZ_S12_bEUlT_E_NS1_11comp_targetILNS1_3genE5ELNS1_11target_archE942ELNS1_3gpuE9ELNS1_3repE0EEENS1_30default_config_static_selectorELNS0_4arch9wavefront6targetE0EEEvSW_.uses_flat_scratch, 0
	.set _ZN7rocprim17ROCPRIM_400000_NS6detail17trampoline_kernelINS0_14default_configENS1_27upper_bound_config_selectorIdlEEZNS1_14transform_implILb0ES3_S5_N6thrust23THRUST_200600_302600_NS6detail15normal_iteratorINS8_7pointerIdNS8_11hip_rocprim5par_tENS8_11use_defaultESE_EEEENSA_INSB_IlSD_SE_SE_EEEEZNS1_13binary_searchIS3_S5_PdSG_SI_NS1_21upper_bound_search_opENS9_16wrapped_functionINS8_6system6detail7generic6detail18binary_search_lessEbEEEE10hipError_tPvRmT1_T2_T3_mmT4_T5_P12ihipStream_tbEUlRKdE_EEST_SX_SY_mSZ_S12_bEUlT_E_NS1_11comp_targetILNS1_3genE5ELNS1_11target_archE942ELNS1_3gpuE9ELNS1_3repE0EEENS1_30default_config_static_selectorELNS0_4arch9wavefront6targetE0EEEvSW_.has_dyn_sized_stack, 0
	.set _ZN7rocprim17ROCPRIM_400000_NS6detail17trampoline_kernelINS0_14default_configENS1_27upper_bound_config_selectorIdlEEZNS1_14transform_implILb0ES3_S5_N6thrust23THRUST_200600_302600_NS6detail15normal_iteratorINS8_7pointerIdNS8_11hip_rocprim5par_tENS8_11use_defaultESE_EEEENSA_INSB_IlSD_SE_SE_EEEEZNS1_13binary_searchIS3_S5_PdSG_SI_NS1_21upper_bound_search_opENS9_16wrapped_functionINS8_6system6detail7generic6detail18binary_search_lessEbEEEE10hipError_tPvRmT1_T2_T3_mmT4_T5_P12ihipStream_tbEUlRKdE_EEST_SX_SY_mSZ_S12_bEUlT_E_NS1_11comp_targetILNS1_3genE5ELNS1_11target_archE942ELNS1_3gpuE9ELNS1_3repE0EEENS1_30default_config_static_selectorELNS0_4arch9wavefront6targetE0EEEvSW_.has_recursion, 0
	.set _ZN7rocprim17ROCPRIM_400000_NS6detail17trampoline_kernelINS0_14default_configENS1_27upper_bound_config_selectorIdlEEZNS1_14transform_implILb0ES3_S5_N6thrust23THRUST_200600_302600_NS6detail15normal_iteratorINS8_7pointerIdNS8_11hip_rocprim5par_tENS8_11use_defaultESE_EEEENSA_INSB_IlSD_SE_SE_EEEEZNS1_13binary_searchIS3_S5_PdSG_SI_NS1_21upper_bound_search_opENS9_16wrapped_functionINS8_6system6detail7generic6detail18binary_search_lessEbEEEE10hipError_tPvRmT1_T2_T3_mmT4_T5_P12ihipStream_tbEUlRKdE_EEST_SX_SY_mSZ_S12_bEUlT_E_NS1_11comp_targetILNS1_3genE5ELNS1_11target_archE942ELNS1_3gpuE9ELNS1_3repE0EEENS1_30default_config_static_selectorELNS0_4arch9wavefront6targetE0EEEvSW_.has_indirect_call, 0
	.section	.AMDGPU.csdata,"",@progbits
; Kernel info:
; codeLenInByte = 0
; TotalNumSgprs: 0
; NumVgprs: 0
; ScratchSize: 0
; MemoryBound: 0
; FloatMode: 240
; IeeeMode: 1
; LDSByteSize: 0 bytes/workgroup (compile time only)
; SGPRBlocks: 0
; VGPRBlocks: 0
; NumSGPRsForWavesPerEU: 1
; NumVGPRsForWavesPerEU: 1
; Occupancy: 16
; WaveLimiterHint : 0
; COMPUTE_PGM_RSRC2:SCRATCH_EN: 0
; COMPUTE_PGM_RSRC2:USER_SGPR: 6
; COMPUTE_PGM_RSRC2:TRAP_HANDLER: 0
; COMPUTE_PGM_RSRC2:TGID_X_EN: 1
; COMPUTE_PGM_RSRC2:TGID_Y_EN: 0
; COMPUTE_PGM_RSRC2:TGID_Z_EN: 0
; COMPUTE_PGM_RSRC2:TIDIG_COMP_CNT: 0
	.section	.text._ZN7rocprim17ROCPRIM_400000_NS6detail17trampoline_kernelINS0_14default_configENS1_27upper_bound_config_selectorIdlEEZNS1_14transform_implILb0ES3_S5_N6thrust23THRUST_200600_302600_NS6detail15normal_iteratorINS8_7pointerIdNS8_11hip_rocprim5par_tENS8_11use_defaultESE_EEEENSA_INSB_IlSD_SE_SE_EEEEZNS1_13binary_searchIS3_S5_PdSG_SI_NS1_21upper_bound_search_opENS9_16wrapped_functionINS8_6system6detail7generic6detail18binary_search_lessEbEEEE10hipError_tPvRmT1_T2_T3_mmT4_T5_P12ihipStream_tbEUlRKdE_EEST_SX_SY_mSZ_S12_bEUlT_E_NS1_11comp_targetILNS1_3genE4ELNS1_11target_archE910ELNS1_3gpuE8ELNS1_3repE0EEENS1_30default_config_static_selectorELNS0_4arch9wavefront6targetE0EEEvSW_,"axG",@progbits,_ZN7rocprim17ROCPRIM_400000_NS6detail17trampoline_kernelINS0_14default_configENS1_27upper_bound_config_selectorIdlEEZNS1_14transform_implILb0ES3_S5_N6thrust23THRUST_200600_302600_NS6detail15normal_iteratorINS8_7pointerIdNS8_11hip_rocprim5par_tENS8_11use_defaultESE_EEEENSA_INSB_IlSD_SE_SE_EEEEZNS1_13binary_searchIS3_S5_PdSG_SI_NS1_21upper_bound_search_opENS9_16wrapped_functionINS8_6system6detail7generic6detail18binary_search_lessEbEEEE10hipError_tPvRmT1_T2_T3_mmT4_T5_P12ihipStream_tbEUlRKdE_EEST_SX_SY_mSZ_S12_bEUlT_E_NS1_11comp_targetILNS1_3genE4ELNS1_11target_archE910ELNS1_3gpuE8ELNS1_3repE0EEENS1_30default_config_static_selectorELNS0_4arch9wavefront6targetE0EEEvSW_,comdat
	.protected	_ZN7rocprim17ROCPRIM_400000_NS6detail17trampoline_kernelINS0_14default_configENS1_27upper_bound_config_selectorIdlEEZNS1_14transform_implILb0ES3_S5_N6thrust23THRUST_200600_302600_NS6detail15normal_iteratorINS8_7pointerIdNS8_11hip_rocprim5par_tENS8_11use_defaultESE_EEEENSA_INSB_IlSD_SE_SE_EEEEZNS1_13binary_searchIS3_S5_PdSG_SI_NS1_21upper_bound_search_opENS9_16wrapped_functionINS8_6system6detail7generic6detail18binary_search_lessEbEEEE10hipError_tPvRmT1_T2_T3_mmT4_T5_P12ihipStream_tbEUlRKdE_EEST_SX_SY_mSZ_S12_bEUlT_E_NS1_11comp_targetILNS1_3genE4ELNS1_11target_archE910ELNS1_3gpuE8ELNS1_3repE0EEENS1_30default_config_static_selectorELNS0_4arch9wavefront6targetE0EEEvSW_ ; -- Begin function _ZN7rocprim17ROCPRIM_400000_NS6detail17trampoline_kernelINS0_14default_configENS1_27upper_bound_config_selectorIdlEEZNS1_14transform_implILb0ES3_S5_N6thrust23THRUST_200600_302600_NS6detail15normal_iteratorINS8_7pointerIdNS8_11hip_rocprim5par_tENS8_11use_defaultESE_EEEENSA_INSB_IlSD_SE_SE_EEEEZNS1_13binary_searchIS3_S5_PdSG_SI_NS1_21upper_bound_search_opENS9_16wrapped_functionINS8_6system6detail7generic6detail18binary_search_lessEbEEEE10hipError_tPvRmT1_T2_T3_mmT4_T5_P12ihipStream_tbEUlRKdE_EEST_SX_SY_mSZ_S12_bEUlT_E_NS1_11comp_targetILNS1_3genE4ELNS1_11target_archE910ELNS1_3gpuE8ELNS1_3repE0EEENS1_30default_config_static_selectorELNS0_4arch9wavefront6targetE0EEEvSW_
	.globl	_ZN7rocprim17ROCPRIM_400000_NS6detail17trampoline_kernelINS0_14default_configENS1_27upper_bound_config_selectorIdlEEZNS1_14transform_implILb0ES3_S5_N6thrust23THRUST_200600_302600_NS6detail15normal_iteratorINS8_7pointerIdNS8_11hip_rocprim5par_tENS8_11use_defaultESE_EEEENSA_INSB_IlSD_SE_SE_EEEEZNS1_13binary_searchIS3_S5_PdSG_SI_NS1_21upper_bound_search_opENS9_16wrapped_functionINS8_6system6detail7generic6detail18binary_search_lessEbEEEE10hipError_tPvRmT1_T2_T3_mmT4_T5_P12ihipStream_tbEUlRKdE_EEST_SX_SY_mSZ_S12_bEUlT_E_NS1_11comp_targetILNS1_3genE4ELNS1_11target_archE910ELNS1_3gpuE8ELNS1_3repE0EEENS1_30default_config_static_selectorELNS0_4arch9wavefront6targetE0EEEvSW_
	.p2align	8
	.type	_ZN7rocprim17ROCPRIM_400000_NS6detail17trampoline_kernelINS0_14default_configENS1_27upper_bound_config_selectorIdlEEZNS1_14transform_implILb0ES3_S5_N6thrust23THRUST_200600_302600_NS6detail15normal_iteratorINS8_7pointerIdNS8_11hip_rocprim5par_tENS8_11use_defaultESE_EEEENSA_INSB_IlSD_SE_SE_EEEEZNS1_13binary_searchIS3_S5_PdSG_SI_NS1_21upper_bound_search_opENS9_16wrapped_functionINS8_6system6detail7generic6detail18binary_search_lessEbEEEE10hipError_tPvRmT1_T2_T3_mmT4_T5_P12ihipStream_tbEUlRKdE_EEST_SX_SY_mSZ_S12_bEUlT_E_NS1_11comp_targetILNS1_3genE4ELNS1_11target_archE910ELNS1_3gpuE8ELNS1_3repE0EEENS1_30default_config_static_selectorELNS0_4arch9wavefront6targetE0EEEvSW_,@function
_ZN7rocprim17ROCPRIM_400000_NS6detail17trampoline_kernelINS0_14default_configENS1_27upper_bound_config_selectorIdlEEZNS1_14transform_implILb0ES3_S5_N6thrust23THRUST_200600_302600_NS6detail15normal_iteratorINS8_7pointerIdNS8_11hip_rocprim5par_tENS8_11use_defaultESE_EEEENSA_INSB_IlSD_SE_SE_EEEEZNS1_13binary_searchIS3_S5_PdSG_SI_NS1_21upper_bound_search_opENS9_16wrapped_functionINS8_6system6detail7generic6detail18binary_search_lessEbEEEE10hipError_tPvRmT1_T2_T3_mmT4_T5_P12ihipStream_tbEUlRKdE_EEST_SX_SY_mSZ_S12_bEUlT_E_NS1_11comp_targetILNS1_3genE4ELNS1_11target_archE910ELNS1_3gpuE8ELNS1_3repE0EEENS1_30default_config_static_selectorELNS0_4arch9wavefront6targetE0EEEvSW_: ; @_ZN7rocprim17ROCPRIM_400000_NS6detail17trampoline_kernelINS0_14default_configENS1_27upper_bound_config_selectorIdlEEZNS1_14transform_implILb0ES3_S5_N6thrust23THRUST_200600_302600_NS6detail15normal_iteratorINS8_7pointerIdNS8_11hip_rocprim5par_tENS8_11use_defaultESE_EEEENSA_INSB_IlSD_SE_SE_EEEEZNS1_13binary_searchIS3_S5_PdSG_SI_NS1_21upper_bound_search_opENS9_16wrapped_functionINS8_6system6detail7generic6detail18binary_search_lessEbEEEE10hipError_tPvRmT1_T2_T3_mmT4_T5_P12ihipStream_tbEUlRKdE_EEST_SX_SY_mSZ_S12_bEUlT_E_NS1_11comp_targetILNS1_3genE4ELNS1_11target_archE910ELNS1_3gpuE8ELNS1_3repE0EEENS1_30default_config_static_selectorELNS0_4arch9wavefront6targetE0EEEvSW_
; %bb.0:
	.section	.rodata,"a",@progbits
	.p2align	6, 0x0
	.amdhsa_kernel _ZN7rocprim17ROCPRIM_400000_NS6detail17trampoline_kernelINS0_14default_configENS1_27upper_bound_config_selectorIdlEEZNS1_14transform_implILb0ES3_S5_N6thrust23THRUST_200600_302600_NS6detail15normal_iteratorINS8_7pointerIdNS8_11hip_rocprim5par_tENS8_11use_defaultESE_EEEENSA_INSB_IlSD_SE_SE_EEEEZNS1_13binary_searchIS3_S5_PdSG_SI_NS1_21upper_bound_search_opENS9_16wrapped_functionINS8_6system6detail7generic6detail18binary_search_lessEbEEEE10hipError_tPvRmT1_T2_T3_mmT4_T5_P12ihipStream_tbEUlRKdE_EEST_SX_SY_mSZ_S12_bEUlT_E_NS1_11comp_targetILNS1_3genE4ELNS1_11target_archE910ELNS1_3gpuE8ELNS1_3repE0EEENS1_30default_config_static_selectorELNS0_4arch9wavefront6targetE0EEEvSW_
		.amdhsa_group_segment_fixed_size 0
		.amdhsa_private_segment_fixed_size 0
		.amdhsa_kernarg_size 56
		.amdhsa_user_sgpr_count 6
		.amdhsa_user_sgpr_private_segment_buffer 1
		.amdhsa_user_sgpr_dispatch_ptr 0
		.amdhsa_user_sgpr_queue_ptr 0
		.amdhsa_user_sgpr_kernarg_segment_ptr 1
		.amdhsa_user_sgpr_dispatch_id 0
		.amdhsa_user_sgpr_flat_scratch_init 0
		.amdhsa_user_sgpr_private_segment_size 0
		.amdhsa_wavefront_size32 1
		.amdhsa_uses_dynamic_stack 0
		.amdhsa_system_sgpr_private_segment_wavefront_offset 0
		.amdhsa_system_sgpr_workgroup_id_x 1
		.amdhsa_system_sgpr_workgroup_id_y 0
		.amdhsa_system_sgpr_workgroup_id_z 0
		.amdhsa_system_sgpr_workgroup_info 0
		.amdhsa_system_vgpr_workitem_id 0
		.amdhsa_next_free_vgpr 1
		.amdhsa_next_free_sgpr 1
		.amdhsa_reserve_vcc 0
		.amdhsa_reserve_flat_scratch 0
		.amdhsa_float_round_mode_32 0
		.amdhsa_float_round_mode_16_64 0
		.amdhsa_float_denorm_mode_32 3
		.amdhsa_float_denorm_mode_16_64 3
		.amdhsa_dx10_clamp 1
		.amdhsa_ieee_mode 1
		.amdhsa_fp16_overflow 0
		.amdhsa_workgroup_processor_mode 1
		.amdhsa_memory_ordered 1
		.amdhsa_forward_progress 1
		.amdhsa_shared_vgpr_count 0
		.amdhsa_exception_fp_ieee_invalid_op 0
		.amdhsa_exception_fp_denorm_src 0
		.amdhsa_exception_fp_ieee_div_zero 0
		.amdhsa_exception_fp_ieee_overflow 0
		.amdhsa_exception_fp_ieee_underflow 0
		.amdhsa_exception_fp_ieee_inexact 0
		.amdhsa_exception_int_div_zero 0
	.end_amdhsa_kernel
	.section	.text._ZN7rocprim17ROCPRIM_400000_NS6detail17trampoline_kernelINS0_14default_configENS1_27upper_bound_config_selectorIdlEEZNS1_14transform_implILb0ES3_S5_N6thrust23THRUST_200600_302600_NS6detail15normal_iteratorINS8_7pointerIdNS8_11hip_rocprim5par_tENS8_11use_defaultESE_EEEENSA_INSB_IlSD_SE_SE_EEEEZNS1_13binary_searchIS3_S5_PdSG_SI_NS1_21upper_bound_search_opENS9_16wrapped_functionINS8_6system6detail7generic6detail18binary_search_lessEbEEEE10hipError_tPvRmT1_T2_T3_mmT4_T5_P12ihipStream_tbEUlRKdE_EEST_SX_SY_mSZ_S12_bEUlT_E_NS1_11comp_targetILNS1_3genE4ELNS1_11target_archE910ELNS1_3gpuE8ELNS1_3repE0EEENS1_30default_config_static_selectorELNS0_4arch9wavefront6targetE0EEEvSW_,"axG",@progbits,_ZN7rocprim17ROCPRIM_400000_NS6detail17trampoline_kernelINS0_14default_configENS1_27upper_bound_config_selectorIdlEEZNS1_14transform_implILb0ES3_S5_N6thrust23THRUST_200600_302600_NS6detail15normal_iteratorINS8_7pointerIdNS8_11hip_rocprim5par_tENS8_11use_defaultESE_EEEENSA_INSB_IlSD_SE_SE_EEEEZNS1_13binary_searchIS3_S5_PdSG_SI_NS1_21upper_bound_search_opENS9_16wrapped_functionINS8_6system6detail7generic6detail18binary_search_lessEbEEEE10hipError_tPvRmT1_T2_T3_mmT4_T5_P12ihipStream_tbEUlRKdE_EEST_SX_SY_mSZ_S12_bEUlT_E_NS1_11comp_targetILNS1_3genE4ELNS1_11target_archE910ELNS1_3gpuE8ELNS1_3repE0EEENS1_30default_config_static_selectorELNS0_4arch9wavefront6targetE0EEEvSW_,comdat
.Lfunc_end164:
	.size	_ZN7rocprim17ROCPRIM_400000_NS6detail17trampoline_kernelINS0_14default_configENS1_27upper_bound_config_selectorIdlEEZNS1_14transform_implILb0ES3_S5_N6thrust23THRUST_200600_302600_NS6detail15normal_iteratorINS8_7pointerIdNS8_11hip_rocprim5par_tENS8_11use_defaultESE_EEEENSA_INSB_IlSD_SE_SE_EEEEZNS1_13binary_searchIS3_S5_PdSG_SI_NS1_21upper_bound_search_opENS9_16wrapped_functionINS8_6system6detail7generic6detail18binary_search_lessEbEEEE10hipError_tPvRmT1_T2_T3_mmT4_T5_P12ihipStream_tbEUlRKdE_EEST_SX_SY_mSZ_S12_bEUlT_E_NS1_11comp_targetILNS1_3genE4ELNS1_11target_archE910ELNS1_3gpuE8ELNS1_3repE0EEENS1_30default_config_static_selectorELNS0_4arch9wavefront6targetE0EEEvSW_, .Lfunc_end164-_ZN7rocprim17ROCPRIM_400000_NS6detail17trampoline_kernelINS0_14default_configENS1_27upper_bound_config_selectorIdlEEZNS1_14transform_implILb0ES3_S5_N6thrust23THRUST_200600_302600_NS6detail15normal_iteratorINS8_7pointerIdNS8_11hip_rocprim5par_tENS8_11use_defaultESE_EEEENSA_INSB_IlSD_SE_SE_EEEEZNS1_13binary_searchIS3_S5_PdSG_SI_NS1_21upper_bound_search_opENS9_16wrapped_functionINS8_6system6detail7generic6detail18binary_search_lessEbEEEE10hipError_tPvRmT1_T2_T3_mmT4_T5_P12ihipStream_tbEUlRKdE_EEST_SX_SY_mSZ_S12_bEUlT_E_NS1_11comp_targetILNS1_3genE4ELNS1_11target_archE910ELNS1_3gpuE8ELNS1_3repE0EEENS1_30default_config_static_selectorELNS0_4arch9wavefront6targetE0EEEvSW_
                                        ; -- End function
	.set _ZN7rocprim17ROCPRIM_400000_NS6detail17trampoline_kernelINS0_14default_configENS1_27upper_bound_config_selectorIdlEEZNS1_14transform_implILb0ES3_S5_N6thrust23THRUST_200600_302600_NS6detail15normal_iteratorINS8_7pointerIdNS8_11hip_rocprim5par_tENS8_11use_defaultESE_EEEENSA_INSB_IlSD_SE_SE_EEEEZNS1_13binary_searchIS3_S5_PdSG_SI_NS1_21upper_bound_search_opENS9_16wrapped_functionINS8_6system6detail7generic6detail18binary_search_lessEbEEEE10hipError_tPvRmT1_T2_T3_mmT4_T5_P12ihipStream_tbEUlRKdE_EEST_SX_SY_mSZ_S12_bEUlT_E_NS1_11comp_targetILNS1_3genE4ELNS1_11target_archE910ELNS1_3gpuE8ELNS1_3repE0EEENS1_30default_config_static_selectorELNS0_4arch9wavefront6targetE0EEEvSW_.num_vgpr, 0
	.set _ZN7rocprim17ROCPRIM_400000_NS6detail17trampoline_kernelINS0_14default_configENS1_27upper_bound_config_selectorIdlEEZNS1_14transform_implILb0ES3_S5_N6thrust23THRUST_200600_302600_NS6detail15normal_iteratorINS8_7pointerIdNS8_11hip_rocprim5par_tENS8_11use_defaultESE_EEEENSA_INSB_IlSD_SE_SE_EEEEZNS1_13binary_searchIS3_S5_PdSG_SI_NS1_21upper_bound_search_opENS9_16wrapped_functionINS8_6system6detail7generic6detail18binary_search_lessEbEEEE10hipError_tPvRmT1_T2_T3_mmT4_T5_P12ihipStream_tbEUlRKdE_EEST_SX_SY_mSZ_S12_bEUlT_E_NS1_11comp_targetILNS1_3genE4ELNS1_11target_archE910ELNS1_3gpuE8ELNS1_3repE0EEENS1_30default_config_static_selectorELNS0_4arch9wavefront6targetE0EEEvSW_.num_agpr, 0
	.set _ZN7rocprim17ROCPRIM_400000_NS6detail17trampoline_kernelINS0_14default_configENS1_27upper_bound_config_selectorIdlEEZNS1_14transform_implILb0ES3_S5_N6thrust23THRUST_200600_302600_NS6detail15normal_iteratorINS8_7pointerIdNS8_11hip_rocprim5par_tENS8_11use_defaultESE_EEEENSA_INSB_IlSD_SE_SE_EEEEZNS1_13binary_searchIS3_S5_PdSG_SI_NS1_21upper_bound_search_opENS9_16wrapped_functionINS8_6system6detail7generic6detail18binary_search_lessEbEEEE10hipError_tPvRmT1_T2_T3_mmT4_T5_P12ihipStream_tbEUlRKdE_EEST_SX_SY_mSZ_S12_bEUlT_E_NS1_11comp_targetILNS1_3genE4ELNS1_11target_archE910ELNS1_3gpuE8ELNS1_3repE0EEENS1_30default_config_static_selectorELNS0_4arch9wavefront6targetE0EEEvSW_.numbered_sgpr, 0
	.set _ZN7rocprim17ROCPRIM_400000_NS6detail17trampoline_kernelINS0_14default_configENS1_27upper_bound_config_selectorIdlEEZNS1_14transform_implILb0ES3_S5_N6thrust23THRUST_200600_302600_NS6detail15normal_iteratorINS8_7pointerIdNS8_11hip_rocprim5par_tENS8_11use_defaultESE_EEEENSA_INSB_IlSD_SE_SE_EEEEZNS1_13binary_searchIS3_S5_PdSG_SI_NS1_21upper_bound_search_opENS9_16wrapped_functionINS8_6system6detail7generic6detail18binary_search_lessEbEEEE10hipError_tPvRmT1_T2_T3_mmT4_T5_P12ihipStream_tbEUlRKdE_EEST_SX_SY_mSZ_S12_bEUlT_E_NS1_11comp_targetILNS1_3genE4ELNS1_11target_archE910ELNS1_3gpuE8ELNS1_3repE0EEENS1_30default_config_static_selectorELNS0_4arch9wavefront6targetE0EEEvSW_.num_named_barrier, 0
	.set _ZN7rocprim17ROCPRIM_400000_NS6detail17trampoline_kernelINS0_14default_configENS1_27upper_bound_config_selectorIdlEEZNS1_14transform_implILb0ES3_S5_N6thrust23THRUST_200600_302600_NS6detail15normal_iteratorINS8_7pointerIdNS8_11hip_rocprim5par_tENS8_11use_defaultESE_EEEENSA_INSB_IlSD_SE_SE_EEEEZNS1_13binary_searchIS3_S5_PdSG_SI_NS1_21upper_bound_search_opENS9_16wrapped_functionINS8_6system6detail7generic6detail18binary_search_lessEbEEEE10hipError_tPvRmT1_T2_T3_mmT4_T5_P12ihipStream_tbEUlRKdE_EEST_SX_SY_mSZ_S12_bEUlT_E_NS1_11comp_targetILNS1_3genE4ELNS1_11target_archE910ELNS1_3gpuE8ELNS1_3repE0EEENS1_30default_config_static_selectorELNS0_4arch9wavefront6targetE0EEEvSW_.private_seg_size, 0
	.set _ZN7rocprim17ROCPRIM_400000_NS6detail17trampoline_kernelINS0_14default_configENS1_27upper_bound_config_selectorIdlEEZNS1_14transform_implILb0ES3_S5_N6thrust23THRUST_200600_302600_NS6detail15normal_iteratorINS8_7pointerIdNS8_11hip_rocprim5par_tENS8_11use_defaultESE_EEEENSA_INSB_IlSD_SE_SE_EEEEZNS1_13binary_searchIS3_S5_PdSG_SI_NS1_21upper_bound_search_opENS9_16wrapped_functionINS8_6system6detail7generic6detail18binary_search_lessEbEEEE10hipError_tPvRmT1_T2_T3_mmT4_T5_P12ihipStream_tbEUlRKdE_EEST_SX_SY_mSZ_S12_bEUlT_E_NS1_11comp_targetILNS1_3genE4ELNS1_11target_archE910ELNS1_3gpuE8ELNS1_3repE0EEENS1_30default_config_static_selectorELNS0_4arch9wavefront6targetE0EEEvSW_.uses_vcc, 0
	.set _ZN7rocprim17ROCPRIM_400000_NS6detail17trampoline_kernelINS0_14default_configENS1_27upper_bound_config_selectorIdlEEZNS1_14transform_implILb0ES3_S5_N6thrust23THRUST_200600_302600_NS6detail15normal_iteratorINS8_7pointerIdNS8_11hip_rocprim5par_tENS8_11use_defaultESE_EEEENSA_INSB_IlSD_SE_SE_EEEEZNS1_13binary_searchIS3_S5_PdSG_SI_NS1_21upper_bound_search_opENS9_16wrapped_functionINS8_6system6detail7generic6detail18binary_search_lessEbEEEE10hipError_tPvRmT1_T2_T3_mmT4_T5_P12ihipStream_tbEUlRKdE_EEST_SX_SY_mSZ_S12_bEUlT_E_NS1_11comp_targetILNS1_3genE4ELNS1_11target_archE910ELNS1_3gpuE8ELNS1_3repE0EEENS1_30default_config_static_selectorELNS0_4arch9wavefront6targetE0EEEvSW_.uses_flat_scratch, 0
	.set _ZN7rocprim17ROCPRIM_400000_NS6detail17trampoline_kernelINS0_14default_configENS1_27upper_bound_config_selectorIdlEEZNS1_14transform_implILb0ES3_S5_N6thrust23THRUST_200600_302600_NS6detail15normal_iteratorINS8_7pointerIdNS8_11hip_rocprim5par_tENS8_11use_defaultESE_EEEENSA_INSB_IlSD_SE_SE_EEEEZNS1_13binary_searchIS3_S5_PdSG_SI_NS1_21upper_bound_search_opENS9_16wrapped_functionINS8_6system6detail7generic6detail18binary_search_lessEbEEEE10hipError_tPvRmT1_T2_T3_mmT4_T5_P12ihipStream_tbEUlRKdE_EEST_SX_SY_mSZ_S12_bEUlT_E_NS1_11comp_targetILNS1_3genE4ELNS1_11target_archE910ELNS1_3gpuE8ELNS1_3repE0EEENS1_30default_config_static_selectorELNS0_4arch9wavefront6targetE0EEEvSW_.has_dyn_sized_stack, 0
	.set _ZN7rocprim17ROCPRIM_400000_NS6detail17trampoline_kernelINS0_14default_configENS1_27upper_bound_config_selectorIdlEEZNS1_14transform_implILb0ES3_S5_N6thrust23THRUST_200600_302600_NS6detail15normal_iteratorINS8_7pointerIdNS8_11hip_rocprim5par_tENS8_11use_defaultESE_EEEENSA_INSB_IlSD_SE_SE_EEEEZNS1_13binary_searchIS3_S5_PdSG_SI_NS1_21upper_bound_search_opENS9_16wrapped_functionINS8_6system6detail7generic6detail18binary_search_lessEbEEEE10hipError_tPvRmT1_T2_T3_mmT4_T5_P12ihipStream_tbEUlRKdE_EEST_SX_SY_mSZ_S12_bEUlT_E_NS1_11comp_targetILNS1_3genE4ELNS1_11target_archE910ELNS1_3gpuE8ELNS1_3repE0EEENS1_30default_config_static_selectorELNS0_4arch9wavefront6targetE0EEEvSW_.has_recursion, 0
	.set _ZN7rocprim17ROCPRIM_400000_NS6detail17trampoline_kernelINS0_14default_configENS1_27upper_bound_config_selectorIdlEEZNS1_14transform_implILb0ES3_S5_N6thrust23THRUST_200600_302600_NS6detail15normal_iteratorINS8_7pointerIdNS8_11hip_rocprim5par_tENS8_11use_defaultESE_EEEENSA_INSB_IlSD_SE_SE_EEEEZNS1_13binary_searchIS3_S5_PdSG_SI_NS1_21upper_bound_search_opENS9_16wrapped_functionINS8_6system6detail7generic6detail18binary_search_lessEbEEEE10hipError_tPvRmT1_T2_T3_mmT4_T5_P12ihipStream_tbEUlRKdE_EEST_SX_SY_mSZ_S12_bEUlT_E_NS1_11comp_targetILNS1_3genE4ELNS1_11target_archE910ELNS1_3gpuE8ELNS1_3repE0EEENS1_30default_config_static_selectorELNS0_4arch9wavefront6targetE0EEEvSW_.has_indirect_call, 0
	.section	.AMDGPU.csdata,"",@progbits
; Kernel info:
; codeLenInByte = 0
; TotalNumSgprs: 0
; NumVgprs: 0
; ScratchSize: 0
; MemoryBound: 0
; FloatMode: 240
; IeeeMode: 1
; LDSByteSize: 0 bytes/workgroup (compile time only)
; SGPRBlocks: 0
; VGPRBlocks: 0
; NumSGPRsForWavesPerEU: 1
; NumVGPRsForWavesPerEU: 1
; Occupancy: 16
; WaveLimiterHint : 0
; COMPUTE_PGM_RSRC2:SCRATCH_EN: 0
; COMPUTE_PGM_RSRC2:USER_SGPR: 6
; COMPUTE_PGM_RSRC2:TRAP_HANDLER: 0
; COMPUTE_PGM_RSRC2:TGID_X_EN: 1
; COMPUTE_PGM_RSRC2:TGID_Y_EN: 0
; COMPUTE_PGM_RSRC2:TGID_Z_EN: 0
; COMPUTE_PGM_RSRC2:TIDIG_COMP_CNT: 0
	.section	.text._ZN7rocprim17ROCPRIM_400000_NS6detail17trampoline_kernelINS0_14default_configENS1_27upper_bound_config_selectorIdlEEZNS1_14transform_implILb0ES3_S5_N6thrust23THRUST_200600_302600_NS6detail15normal_iteratorINS8_7pointerIdNS8_11hip_rocprim5par_tENS8_11use_defaultESE_EEEENSA_INSB_IlSD_SE_SE_EEEEZNS1_13binary_searchIS3_S5_PdSG_SI_NS1_21upper_bound_search_opENS9_16wrapped_functionINS8_6system6detail7generic6detail18binary_search_lessEbEEEE10hipError_tPvRmT1_T2_T3_mmT4_T5_P12ihipStream_tbEUlRKdE_EEST_SX_SY_mSZ_S12_bEUlT_E_NS1_11comp_targetILNS1_3genE3ELNS1_11target_archE908ELNS1_3gpuE7ELNS1_3repE0EEENS1_30default_config_static_selectorELNS0_4arch9wavefront6targetE0EEEvSW_,"axG",@progbits,_ZN7rocprim17ROCPRIM_400000_NS6detail17trampoline_kernelINS0_14default_configENS1_27upper_bound_config_selectorIdlEEZNS1_14transform_implILb0ES3_S5_N6thrust23THRUST_200600_302600_NS6detail15normal_iteratorINS8_7pointerIdNS8_11hip_rocprim5par_tENS8_11use_defaultESE_EEEENSA_INSB_IlSD_SE_SE_EEEEZNS1_13binary_searchIS3_S5_PdSG_SI_NS1_21upper_bound_search_opENS9_16wrapped_functionINS8_6system6detail7generic6detail18binary_search_lessEbEEEE10hipError_tPvRmT1_T2_T3_mmT4_T5_P12ihipStream_tbEUlRKdE_EEST_SX_SY_mSZ_S12_bEUlT_E_NS1_11comp_targetILNS1_3genE3ELNS1_11target_archE908ELNS1_3gpuE7ELNS1_3repE0EEENS1_30default_config_static_selectorELNS0_4arch9wavefront6targetE0EEEvSW_,comdat
	.protected	_ZN7rocprim17ROCPRIM_400000_NS6detail17trampoline_kernelINS0_14default_configENS1_27upper_bound_config_selectorIdlEEZNS1_14transform_implILb0ES3_S5_N6thrust23THRUST_200600_302600_NS6detail15normal_iteratorINS8_7pointerIdNS8_11hip_rocprim5par_tENS8_11use_defaultESE_EEEENSA_INSB_IlSD_SE_SE_EEEEZNS1_13binary_searchIS3_S5_PdSG_SI_NS1_21upper_bound_search_opENS9_16wrapped_functionINS8_6system6detail7generic6detail18binary_search_lessEbEEEE10hipError_tPvRmT1_T2_T3_mmT4_T5_P12ihipStream_tbEUlRKdE_EEST_SX_SY_mSZ_S12_bEUlT_E_NS1_11comp_targetILNS1_3genE3ELNS1_11target_archE908ELNS1_3gpuE7ELNS1_3repE0EEENS1_30default_config_static_selectorELNS0_4arch9wavefront6targetE0EEEvSW_ ; -- Begin function _ZN7rocprim17ROCPRIM_400000_NS6detail17trampoline_kernelINS0_14default_configENS1_27upper_bound_config_selectorIdlEEZNS1_14transform_implILb0ES3_S5_N6thrust23THRUST_200600_302600_NS6detail15normal_iteratorINS8_7pointerIdNS8_11hip_rocprim5par_tENS8_11use_defaultESE_EEEENSA_INSB_IlSD_SE_SE_EEEEZNS1_13binary_searchIS3_S5_PdSG_SI_NS1_21upper_bound_search_opENS9_16wrapped_functionINS8_6system6detail7generic6detail18binary_search_lessEbEEEE10hipError_tPvRmT1_T2_T3_mmT4_T5_P12ihipStream_tbEUlRKdE_EEST_SX_SY_mSZ_S12_bEUlT_E_NS1_11comp_targetILNS1_3genE3ELNS1_11target_archE908ELNS1_3gpuE7ELNS1_3repE0EEENS1_30default_config_static_selectorELNS0_4arch9wavefront6targetE0EEEvSW_
	.globl	_ZN7rocprim17ROCPRIM_400000_NS6detail17trampoline_kernelINS0_14default_configENS1_27upper_bound_config_selectorIdlEEZNS1_14transform_implILb0ES3_S5_N6thrust23THRUST_200600_302600_NS6detail15normal_iteratorINS8_7pointerIdNS8_11hip_rocprim5par_tENS8_11use_defaultESE_EEEENSA_INSB_IlSD_SE_SE_EEEEZNS1_13binary_searchIS3_S5_PdSG_SI_NS1_21upper_bound_search_opENS9_16wrapped_functionINS8_6system6detail7generic6detail18binary_search_lessEbEEEE10hipError_tPvRmT1_T2_T3_mmT4_T5_P12ihipStream_tbEUlRKdE_EEST_SX_SY_mSZ_S12_bEUlT_E_NS1_11comp_targetILNS1_3genE3ELNS1_11target_archE908ELNS1_3gpuE7ELNS1_3repE0EEENS1_30default_config_static_selectorELNS0_4arch9wavefront6targetE0EEEvSW_
	.p2align	8
	.type	_ZN7rocprim17ROCPRIM_400000_NS6detail17trampoline_kernelINS0_14default_configENS1_27upper_bound_config_selectorIdlEEZNS1_14transform_implILb0ES3_S5_N6thrust23THRUST_200600_302600_NS6detail15normal_iteratorINS8_7pointerIdNS8_11hip_rocprim5par_tENS8_11use_defaultESE_EEEENSA_INSB_IlSD_SE_SE_EEEEZNS1_13binary_searchIS3_S5_PdSG_SI_NS1_21upper_bound_search_opENS9_16wrapped_functionINS8_6system6detail7generic6detail18binary_search_lessEbEEEE10hipError_tPvRmT1_T2_T3_mmT4_T5_P12ihipStream_tbEUlRKdE_EEST_SX_SY_mSZ_S12_bEUlT_E_NS1_11comp_targetILNS1_3genE3ELNS1_11target_archE908ELNS1_3gpuE7ELNS1_3repE0EEENS1_30default_config_static_selectorELNS0_4arch9wavefront6targetE0EEEvSW_,@function
_ZN7rocprim17ROCPRIM_400000_NS6detail17trampoline_kernelINS0_14default_configENS1_27upper_bound_config_selectorIdlEEZNS1_14transform_implILb0ES3_S5_N6thrust23THRUST_200600_302600_NS6detail15normal_iteratorINS8_7pointerIdNS8_11hip_rocprim5par_tENS8_11use_defaultESE_EEEENSA_INSB_IlSD_SE_SE_EEEEZNS1_13binary_searchIS3_S5_PdSG_SI_NS1_21upper_bound_search_opENS9_16wrapped_functionINS8_6system6detail7generic6detail18binary_search_lessEbEEEE10hipError_tPvRmT1_T2_T3_mmT4_T5_P12ihipStream_tbEUlRKdE_EEST_SX_SY_mSZ_S12_bEUlT_E_NS1_11comp_targetILNS1_3genE3ELNS1_11target_archE908ELNS1_3gpuE7ELNS1_3repE0EEENS1_30default_config_static_selectorELNS0_4arch9wavefront6targetE0EEEvSW_: ; @_ZN7rocprim17ROCPRIM_400000_NS6detail17trampoline_kernelINS0_14default_configENS1_27upper_bound_config_selectorIdlEEZNS1_14transform_implILb0ES3_S5_N6thrust23THRUST_200600_302600_NS6detail15normal_iteratorINS8_7pointerIdNS8_11hip_rocprim5par_tENS8_11use_defaultESE_EEEENSA_INSB_IlSD_SE_SE_EEEEZNS1_13binary_searchIS3_S5_PdSG_SI_NS1_21upper_bound_search_opENS9_16wrapped_functionINS8_6system6detail7generic6detail18binary_search_lessEbEEEE10hipError_tPvRmT1_T2_T3_mmT4_T5_P12ihipStream_tbEUlRKdE_EEST_SX_SY_mSZ_S12_bEUlT_E_NS1_11comp_targetILNS1_3genE3ELNS1_11target_archE908ELNS1_3gpuE7ELNS1_3repE0EEENS1_30default_config_static_selectorELNS0_4arch9wavefront6targetE0EEEvSW_
; %bb.0:
	.section	.rodata,"a",@progbits
	.p2align	6, 0x0
	.amdhsa_kernel _ZN7rocprim17ROCPRIM_400000_NS6detail17trampoline_kernelINS0_14default_configENS1_27upper_bound_config_selectorIdlEEZNS1_14transform_implILb0ES3_S5_N6thrust23THRUST_200600_302600_NS6detail15normal_iteratorINS8_7pointerIdNS8_11hip_rocprim5par_tENS8_11use_defaultESE_EEEENSA_INSB_IlSD_SE_SE_EEEEZNS1_13binary_searchIS3_S5_PdSG_SI_NS1_21upper_bound_search_opENS9_16wrapped_functionINS8_6system6detail7generic6detail18binary_search_lessEbEEEE10hipError_tPvRmT1_T2_T3_mmT4_T5_P12ihipStream_tbEUlRKdE_EEST_SX_SY_mSZ_S12_bEUlT_E_NS1_11comp_targetILNS1_3genE3ELNS1_11target_archE908ELNS1_3gpuE7ELNS1_3repE0EEENS1_30default_config_static_selectorELNS0_4arch9wavefront6targetE0EEEvSW_
		.amdhsa_group_segment_fixed_size 0
		.amdhsa_private_segment_fixed_size 0
		.amdhsa_kernarg_size 56
		.amdhsa_user_sgpr_count 6
		.amdhsa_user_sgpr_private_segment_buffer 1
		.amdhsa_user_sgpr_dispatch_ptr 0
		.amdhsa_user_sgpr_queue_ptr 0
		.amdhsa_user_sgpr_kernarg_segment_ptr 1
		.amdhsa_user_sgpr_dispatch_id 0
		.amdhsa_user_sgpr_flat_scratch_init 0
		.amdhsa_user_sgpr_private_segment_size 0
		.amdhsa_wavefront_size32 1
		.amdhsa_uses_dynamic_stack 0
		.amdhsa_system_sgpr_private_segment_wavefront_offset 0
		.amdhsa_system_sgpr_workgroup_id_x 1
		.amdhsa_system_sgpr_workgroup_id_y 0
		.amdhsa_system_sgpr_workgroup_id_z 0
		.amdhsa_system_sgpr_workgroup_info 0
		.amdhsa_system_vgpr_workitem_id 0
		.amdhsa_next_free_vgpr 1
		.amdhsa_next_free_sgpr 1
		.amdhsa_reserve_vcc 0
		.amdhsa_reserve_flat_scratch 0
		.amdhsa_float_round_mode_32 0
		.amdhsa_float_round_mode_16_64 0
		.amdhsa_float_denorm_mode_32 3
		.amdhsa_float_denorm_mode_16_64 3
		.amdhsa_dx10_clamp 1
		.amdhsa_ieee_mode 1
		.amdhsa_fp16_overflow 0
		.amdhsa_workgroup_processor_mode 1
		.amdhsa_memory_ordered 1
		.amdhsa_forward_progress 1
		.amdhsa_shared_vgpr_count 0
		.amdhsa_exception_fp_ieee_invalid_op 0
		.amdhsa_exception_fp_denorm_src 0
		.amdhsa_exception_fp_ieee_div_zero 0
		.amdhsa_exception_fp_ieee_overflow 0
		.amdhsa_exception_fp_ieee_underflow 0
		.amdhsa_exception_fp_ieee_inexact 0
		.amdhsa_exception_int_div_zero 0
	.end_amdhsa_kernel
	.section	.text._ZN7rocprim17ROCPRIM_400000_NS6detail17trampoline_kernelINS0_14default_configENS1_27upper_bound_config_selectorIdlEEZNS1_14transform_implILb0ES3_S5_N6thrust23THRUST_200600_302600_NS6detail15normal_iteratorINS8_7pointerIdNS8_11hip_rocprim5par_tENS8_11use_defaultESE_EEEENSA_INSB_IlSD_SE_SE_EEEEZNS1_13binary_searchIS3_S5_PdSG_SI_NS1_21upper_bound_search_opENS9_16wrapped_functionINS8_6system6detail7generic6detail18binary_search_lessEbEEEE10hipError_tPvRmT1_T2_T3_mmT4_T5_P12ihipStream_tbEUlRKdE_EEST_SX_SY_mSZ_S12_bEUlT_E_NS1_11comp_targetILNS1_3genE3ELNS1_11target_archE908ELNS1_3gpuE7ELNS1_3repE0EEENS1_30default_config_static_selectorELNS0_4arch9wavefront6targetE0EEEvSW_,"axG",@progbits,_ZN7rocprim17ROCPRIM_400000_NS6detail17trampoline_kernelINS0_14default_configENS1_27upper_bound_config_selectorIdlEEZNS1_14transform_implILb0ES3_S5_N6thrust23THRUST_200600_302600_NS6detail15normal_iteratorINS8_7pointerIdNS8_11hip_rocprim5par_tENS8_11use_defaultESE_EEEENSA_INSB_IlSD_SE_SE_EEEEZNS1_13binary_searchIS3_S5_PdSG_SI_NS1_21upper_bound_search_opENS9_16wrapped_functionINS8_6system6detail7generic6detail18binary_search_lessEbEEEE10hipError_tPvRmT1_T2_T3_mmT4_T5_P12ihipStream_tbEUlRKdE_EEST_SX_SY_mSZ_S12_bEUlT_E_NS1_11comp_targetILNS1_3genE3ELNS1_11target_archE908ELNS1_3gpuE7ELNS1_3repE0EEENS1_30default_config_static_selectorELNS0_4arch9wavefront6targetE0EEEvSW_,comdat
.Lfunc_end165:
	.size	_ZN7rocprim17ROCPRIM_400000_NS6detail17trampoline_kernelINS0_14default_configENS1_27upper_bound_config_selectorIdlEEZNS1_14transform_implILb0ES3_S5_N6thrust23THRUST_200600_302600_NS6detail15normal_iteratorINS8_7pointerIdNS8_11hip_rocprim5par_tENS8_11use_defaultESE_EEEENSA_INSB_IlSD_SE_SE_EEEEZNS1_13binary_searchIS3_S5_PdSG_SI_NS1_21upper_bound_search_opENS9_16wrapped_functionINS8_6system6detail7generic6detail18binary_search_lessEbEEEE10hipError_tPvRmT1_T2_T3_mmT4_T5_P12ihipStream_tbEUlRKdE_EEST_SX_SY_mSZ_S12_bEUlT_E_NS1_11comp_targetILNS1_3genE3ELNS1_11target_archE908ELNS1_3gpuE7ELNS1_3repE0EEENS1_30default_config_static_selectorELNS0_4arch9wavefront6targetE0EEEvSW_, .Lfunc_end165-_ZN7rocprim17ROCPRIM_400000_NS6detail17trampoline_kernelINS0_14default_configENS1_27upper_bound_config_selectorIdlEEZNS1_14transform_implILb0ES3_S5_N6thrust23THRUST_200600_302600_NS6detail15normal_iteratorINS8_7pointerIdNS8_11hip_rocprim5par_tENS8_11use_defaultESE_EEEENSA_INSB_IlSD_SE_SE_EEEEZNS1_13binary_searchIS3_S5_PdSG_SI_NS1_21upper_bound_search_opENS9_16wrapped_functionINS8_6system6detail7generic6detail18binary_search_lessEbEEEE10hipError_tPvRmT1_T2_T3_mmT4_T5_P12ihipStream_tbEUlRKdE_EEST_SX_SY_mSZ_S12_bEUlT_E_NS1_11comp_targetILNS1_3genE3ELNS1_11target_archE908ELNS1_3gpuE7ELNS1_3repE0EEENS1_30default_config_static_selectorELNS0_4arch9wavefront6targetE0EEEvSW_
                                        ; -- End function
	.set _ZN7rocprim17ROCPRIM_400000_NS6detail17trampoline_kernelINS0_14default_configENS1_27upper_bound_config_selectorIdlEEZNS1_14transform_implILb0ES3_S5_N6thrust23THRUST_200600_302600_NS6detail15normal_iteratorINS8_7pointerIdNS8_11hip_rocprim5par_tENS8_11use_defaultESE_EEEENSA_INSB_IlSD_SE_SE_EEEEZNS1_13binary_searchIS3_S5_PdSG_SI_NS1_21upper_bound_search_opENS9_16wrapped_functionINS8_6system6detail7generic6detail18binary_search_lessEbEEEE10hipError_tPvRmT1_T2_T3_mmT4_T5_P12ihipStream_tbEUlRKdE_EEST_SX_SY_mSZ_S12_bEUlT_E_NS1_11comp_targetILNS1_3genE3ELNS1_11target_archE908ELNS1_3gpuE7ELNS1_3repE0EEENS1_30default_config_static_selectorELNS0_4arch9wavefront6targetE0EEEvSW_.num_vgpr, 0
	.set _ZN7rocprim17ROCPRIM_400000_NS6detail17trampoline_kernelINS0_14default_configENS1_27upper_bound_config_selectorIdlEEZNS1_14transform_implILb0ES3_S5_N6thrust23THRUST_200600_302600_NS6detail15normal_iteratorINS8_7pointerIdNS8_11hip_rocprim5par_tENS8_11use_defaultESE_EEEENSA_INSB_IlSD_SE_SE_EEEEZNS1_13binary_searchIS3_S5_PdSG_SI_NS1_21upper_bound_search_opENS9_16wrapped_functionINS8_6system6detail7generic6detail18binary_search_lessEbEEEE10hipError_tPvRmT1_T2_T3_mmT4_T5_P12ihipStream_tbEUlRKdE_EEST_SX_SY_mSZ_S12_bEUlT_E_NS1_11comp_targetILNS1_3genE3ELNS1_11target_archE908ELNS1_3gpuE7ELNS1_3repE0EEENS1_30default_config_static_selectorELNS0_4arch9wavefront6targetE0EEEvSW_.num_agpr, 0
	.set _ZN7rocprim17ROCPRIM_400000_NS6detail17trampoline_kernelINS0_14default_configENS1_27upper_bound_config_selectorIdlEEZNS1_14transform_implILb0ES3_S5_N6thrust23THRUST_200600_302600_NS6detail15normal_iteratorINS8_7pointerIdNS8_11hip_rocprim5par_tENS8_11use_defaultESE_EEEENSA_INSB_IlSD_SE_SE_EEEEZNS1_13binary_searchIS3_S5_PdSG_SI_NS1_21upper_bound_search_opENS9_16wrapped_functionINS8_6system6detail7generic6detail18binary_search_lessEbEEEE10hipError_tPvRmT1_T2_T3_mmT4_T5_P12ihipStream_tbEUlRKdE_EEST_SX_SY_mSZ_S12_bEUlT_E_NS1_11comp_targetILNS1_3genE3ELNS1_11target_archE908ELNS1_3gpuE7ELNS1_3repE0EEENS1_30default_config_static_selectorELNS0_4arch9wavefront6targetE0EEEvSW_.numbered_sgpr, 0
	.set _ZN7rocprim17ROCPRIM_400000_NS6detail17trampoline_kernelINS0_14default_configENS1_27upper_bound_config_selectorIdlEEZNS1_14transform_implILb0ES3_S5_N6thrust23THRUST_200600_302600_NS6detail15normal_iteratorINS8_7pointerIdNS8_11hip_rocprim5par_tENS8_11use_defaultESE_EEEENSA_INSB_IlSD_SE_SE_EEEEZNS1_13binary_searchIS3_S5_PdSG_SI_NS1_21upper_bound_search_opENS9_16wrapped_functionINS8_6system6detail7generic6detail18binary_search_lessEbEEEE10hipError_tPvRmT1_T2_T3_mmT4_T5_P12ihipStream_tbEUlRKdE_EEST_SX_SY_mSZ_S12_bEUlT_E_NS1_11comp_targetILNS1_3genE3ELNS1_11target_archE908ELNS1_3gpuE7ELNS1_3repE0EEENS1_30default_config_static_selectorELNS0_4arch9wavefront6targetE0EEEvSW_.num_named_barrier, 0
	.set _ZN7rocprim17ROCPRIM_400000_NS6detail17trampoline_kernelINS0_14default_configENS1_27upper_bound_config_selectorIdlEEZNS1_14transform_implILb0ES3_S5_N6thrust23THRUST_200600_302600_NS6detail15normal_iteratorINS8_7pointerIdNS8_11hip_rocprim5par_tENS8_11use_defaultESE_EEEENSA_INSB_IlSD_SE_SE_EEEEZNS1_13binary_searchIS3_S5_PdSG_SI_NS1_21upper_bound_search_opENS9_16wrapped_functionINS8_6system6detail7generic6detail18binary_search_lessEbEEEE10hipError_tPvRmT1_T2_T3_mmT4_T5_P12ihipStream_tbEUlRKdE_EEST_SX_SY_mSZ_S12_bEUlT_E_NS1_11comp_targetILNS1_3genE3ELNS1_11target_archE908ELNS1_3gpuE7ELNS1_3repE0EEENS1_30default_config_static_selectorELNS0_4arch9wavefront6targetE0EEEvSW_.private_seg_size, 0
	.set _ZN7rocprim17ROCPRIM_400000_NS6detail17trampoline_kernelINS0_14default_configENS1_27upper_bound_config_selectorIdlEEZNS1_14transform_implILb0ES3_S5_N6thrust23THRUST_200600_302600_NS6detail15normal_iteratorINS8_7pointerIdNS8_11hip_rocprim5par_tENS8_11use_defaultESE_EEEENSA_INSB_IlSD_SE_SE_EEEEZNS1_13binary_searchIS3_S5_PdSG_SI_NS1_21upper_bound_search_opENS9_16wrapped_functionINS8_6system6detail7generic6detail18binary_search_lessEbEEEE10hipError_tPvRmT1_T2_T3_mmT4_T5_P12ihipStream_tbEUlRKdE_EEST_SX_SY_mSZ_S12_bEUlT_E_NS1_11comp_targetILNS1_3genE3ELNS1_11target_archE908ELNS1_3gpuE7ELNS1_3repE0EEENS1_30default_config_static_selectorELNS0_4arch9wavefront6targetE0EEEvSW_.uses_vcc, 0
	.set _ZN7rocprim17ROCPRIM_400000_NS6detail17trampoline_kernelINS0_14default_configENS1_27upper_bound_config_selectorIdlEEZNS1_14transform_implILb0ES3_S5_N6thrust23THRUST_200600_302600_NS6detail15normal_iteratorINS8_7pointerIdNS8_11hip_rocprim5par_tENS8_11use_defaultESE_EEEENSA_INSB_IlSD_SE_SE_EEEEZNS1_13binary_searchIS3_S5_PdSG_SI_NS1_21upper_bound_search_opENS9_16wrapped_functionINS8_6system6detail7generic6detail18binary_search_lessEbEEEE10hipError_tPvRmT1_T2_T3_mmT4_T5_P12ihipStream_tbEUlRKdE_EEST_SX_SY_mSZ_S12_bEUlT_E_NS1_11comp_targetILNS1_3genE3ELNS1_11target_archE908ELNS1_3gpuE7ELNS1_3repE0EEENS1_30default_config_static_selectorELNS0_4arch9wavefront6targetE0EEEvSW_.uses_flat_scratch, 0
	.set _ZN7rocprim17ROCPRIM_400000_NS6detail17trampoline_kernelINS0_14default_configENS1_27upper_bound_config_selectorIdlEEZNS1_14transform_implILb0ES3_S5_N6thrust23THRUST_200600_302600_NS6detail15normal_iteratorINS8_7pointerIdNS8_11hip_rocprim5par_tENS8_11use_defaultESE_EEEENSA_INSB_IlSD_SE_SE_EEEEZNS1_13binary_searchIS3_S5_PdSG_SI_NS1_21upper_bound_search_opENS9_16wrapped_functionINS8_6system6detail7generic6detail18binary_search_lessEbEEEE10hipError_tPvRmT1_T2_T3_mmT4_T5_P12ihipStream_tbEUlRKdE_EEST_SX_SY_mSZ_S12_bEUlT_E_NS1_11comp_targetILNS1_3genE3ELNS1_11target_archE908ELNS1_3gpuE7ELNS1_3repE0EEENS1_30default_config_static_selectorELNS0_4arch9wavefront6targetE0EEEvSW_.has_dyn_sized_stack, 0
	.set _ZN7rocprim17ROCPRIM_400000_NS6detail17trampoline_kernelINS0_14default_configENS1_27upper_bound_config_selectorIdlEEZNS1_14transform_implILb0ES3_S5_N6thrust23THRUST_200600_302600_NS6detail15normal_iteratorINS8_7pointerIdNS8_11hip_rocprim5par_tENS8_11use_defaultESE_EEEENSA_INSB_IlSD_SE_SE_EEEEZNS1_13binary_searchIS3_S5_PdSG_SI_NS1_21upper_bound_search_opENS9_16wrapped_functionINS8_6system6detail7generic6detail18binary_search_lessEbEEEE10hipError_tPvRmT1_T2_T3_mmT4_T5_P12ihipStream_tbEUlRKdE_EEST_SX_SY_mSZ_S12_bEUlT_E_NS1_11comp_targetILNS1_3genE3ELNS1_11target_archE908ELNS1_3gpuE7ELNS1_3repE0EEENS1_30default_config_static_selectorELNS0_4arch9wavefront6targetE0EEEvSW_.has_recursion, 0
	.set _ZN7rocprim17ROCPRIM_400000_NS6detail17trampoline_kernelINS0_14default_configENS1_27upper_bound_config_selectorIdlEEZNS1_14transform_implILb0ES3_S5_N6thrust23THRUST_200600_302600_NS6detail15normal_iteratorINS8_7pointerIdNS8_11hip_rocprim5par_tENS8_11use_defaultESE_EEEENSA_INSB_IlSD_SE_SE_EEEEZNS1_13binary_searchIS3_S5_PdSG_SI_NS1_21upper_bound_search_opENS9_16wrapped_functionINS8_6system6detail7generic6detail18binary_search_lessEbEEEE10hipError_tPvRmT1_T2_T3_mmT4_T5_P12ihipStream_tbEUlRKdE_EEST_SX_SY_mSZ_S12_bEUlT_E_NS1_11comp_targetILNS1_3genE3ELNS1_11target_archE908ELNS1_3gpuE7ELNS1_3repE0EEENS1_30default_config_static_selectorELNS0_4arch9wavefront6targetE0EEEvSW_.has_indirect_call, 0
	.section	.AMDGPU.csdata,"",@progbits
; Kernel info:
; codeLenInByte = 0
; TotalNumSgprs: 0
; NumVgprs: 0
; ScratchSize: 0
; MemoryBound: 0
; FloatMode: 240
; IeeeMode: 1
; LDSByteSize: 0 bytes/workgroup (compile time only)
; SGPRBlocks: 0
; VGPRBlocks: 0
; NumSGPRsForWavesPerEU: 1
; NumVGPRsForWavesPerEU: 1
; Occupancy: 16
; WaveLimiterHint : 0
; COMPUTE_PGM_RSRC2:SCRATCH_EN: 0
; COMPUTE_PGM_RSRC2:USER_SGPR: 6
; COMPUTE_PGM_RSRC2:TRAP_HANDLER: 0
; COMPUTE_PGM_RSRC2:TGID_X_EN: 1
; COMPUTE_PGM_RSRC2:TGID_Y_EN: 0
; COMPUTE_PGM_RSRC2:TGID_Z_EN: 0
; COMPUTE_PGM_RSRC2:TIDIG_COMP_CNT: 0
	.section	.text._ZN7rocprim17ROCPRIM_400000_NS6detail17trampoline_kernelINS0_14default_configENS1_27upper_bound_config_selectorIdlEEZNS1_14transform_implILb0ES3_S5_N6thrust23THRUST_200600_302600_NS6detail15normal_iteratorINS8_7pointerIdNS8_11hip_rocprim5par_tENS8_11use_defaultESE_EEEENSA_INSB_IlSD_SE_SE_EEEEZNS1_13binary_searchIS3_S5_PdSG_SI_NS1_21upper_bound_search_opENS9_16wrapped_functionINS8_6system6detail7generic6detail18binary_search_lessEbEEEE10hipError_tPvRmT1_T2_T3_mmT4_T5_P12ihipStream_tbEUlRKdE_EEST_SX_SY_mSZ_S12_bEUlT_E_NS1_11comp_targetILNS1_3genE2ELNS1_11target_archE906ELNS1_3gpuE6ELNS1_3repE0EEENS1_30default_config_static_selectorELNS0_4arch9wavefront6targetE0EEEvSW_,"axG",@progbits,_ZN7rocprim17ROCPRIM_400000_NS6detail17trampoline_kernelINS0_14default_configENS1_27upper_bound_config_selectorIdlEEZNS1_14transform_implILb0ES3_S5_N6thrust23THRUST_200600_302600_NS6detail15normal_iteratorINS8_7pointerIdNS8_11hip_rocprim5par_tENS8_11use_defaultESE_EEEENSA_INSB_IlSD_SE_SE_EEEEZNS1_13binary_searchIS3_S5_PdSG_SI_NS1_21upper_bound_search_opENS9_16wrapped_functionINS8_6system6detail7generic6detail18binary_search_lessEbEEEE10hipError_tPvRmT1_T2_T3_mmT4_T5_P12ihipStream_tbEUlRKdE_EEST_SX_SY_mSZ_S12_bEUlT_E_NS1_11comp_targetILNS1_3genE2ELNS1_11target_archE906ELNS1_3gpuE6ELNS1_3repE0EEENS1_30default_config_static_selectorELNS0_4arch9wavefront6targetE0EEEvSW_,comdat
	.protected	_ZN7rocprim17ROCPRIM_400000_NS6detail17trampoline_kernelINS0_14default_configENS1_27upper_bound_config_selectorIdlEEZNS1_14transform_implILb0ES3_S5_N6thrust23THRUST_200600_302600_NS6detail15normal_iteratorINS8_7pointerIdNS8_11hip_rocprim5par_tENS8_11use_defaultESE_EEEENSA_INSB_IlSD_SE_SE_EEEEZNS1_13binary_searchIS3_S5_PdSG_SI_NS1_21upper_bound_search_opENS9_16wrapped_functionINS8_6system6detail7generic6detail18binary_search_lessEbEEEE10hipError_tPvRmT1_T2_T3_mmT4_T5_P12ihipStream_tbEUlRKdE_EEST_SX_SY_mSZ_S12_bEUlT_E_NS1_11comp_targetILNS1_3genE2ELNS1_11target_archE906ELNS1_3gpuE6ELNS1_3repE0EEENS1_30default_config_static_selectorELNS0_4arch9wavefront6targetE0EEEvSW_ ; -- Begin function _ZN7rocprim17ROCPRIM_400000_NS6detail17trampoline_kernelINS0_14default_configENS1_27upper_bound_config_selectorIdlEEZNS1_14transform_implILb0ES3_S5_N6thrust23THRUST_200600_302600_NS6detail15normal_iteratorINS8_7pointerIdNS8_11hip_rocprim5par_tENS8_11use_defaultESE_EEEENSA_INSB_IlSD_SE_SE_EEEEZNS1_13binary_searchIS3_S5_PdSG_SI_NS1_21upper_bound_search_opENS9_16wrapped_functionINS8_6system6detail7generic6detail18binary_search_lessEbEEEE10hipError_tPvRmT1_T2_T3_mmT4_T5_P12ihipStream_tbEUlRKdE_EEST_SX_SY_mSZ_S12_bEUlT_E_NS1_11comp_targetILNS1_3genE2ELNS1_11target_archE906ELNS1_3gpuE6ELNS1_3repE0EEENS1_30default_config_static_selectorELNS0_4arch9wavefront6targetE0EEEvSW_
	.globl	_ZN7rocprim17ROCPRIM_400000_NS6detail17trampoline_kernelINS0_14default_configENS1_27upper_bound_config_selectorIdlEEZNS1_14transform_implILb0ES3_S5_N6thrust23THRUST_200600_302600_NS6detail15normal_iteratorINS8_7pointerIdNS8_11hip_rocprim5par_tENS8_11use_defaultESE_EEEENSA_INSB_IlSD_SE_SE_EEEEZNS1_13binary_searchIS3_S5_PdSG_SI_NS1_21upper_bound_search_opENS9_16wrapped_functionINS8_6system6detail7generic6detail18binary_search_lessEbEEEE10hipError_tPvRmT1_T2_T3_mmT4_T5_P12ihipStream_tbEUlRKdE_EEST_SX_SY_mSZ_S12_bEUlT_E_NS1_11comp_targetILNS1_3genE2ELNS1_11target_archE906ELNS1_3gpuE6ELNS1_3repE0EEENS1_30default_config_static_selectorELNS0_4arch9wavefront6targetE0EEEvSW_
	.p2align	8
	.type	_ZN7rocprim17ROCPRIM_400000_NS6detail17trampoline_kernelINS0_14default_configENS1_27upper_bound_config_selectorIdlEEZNS1_14transform_implILb0ES3_S5_N6thrust23THRUST_200600_302600_NS6detail15normal_iteratorINS8_7pointerIdNS8_11hip_rocprim5par_tENS8_11use_defaultESE_EEEENSA_INSB_IlSD_SE_SE_EEEEZNS1_13binary_searchIS3_S5_PdSG_SI_NS1_21upper_bound_search_opENS9_16wrapped_functionINS8_6system6detail7generic6detail18binary_search_lessEbEEEE10hipError_tPvRmT1_T2_T3_mmT4_T5_P12ihipStream_tbEUlRKdE_EEST_SX_SY_mSZ_S12_bEUlT_E_NS1_11comp_targetILNS1_3genE2ELNS1_11target_archE906ELNS1_3gpuE6ELNS1_3repE0EEENS1_30default_config_static_selectorELNS0_4arch9wavefront6targetE0EEEvSW_,@function
_ZN7rocprim17ROCPRIM_400000_NS6detail17trampoline_kernelINS0_14default_configENS1_27upper_bound_config_selectorIdlEEZNS1_14transform_implILb0ES3_S5_N6thrust23THRUST_200600_302600_NS6detail15normal_iteratorINS8_7pointerIdNS8_11hip_rocprim5par_tENS8_11use_defaultESE_EEEENSA_INSB_IlSD_SE_SE_EEEEZNS1_13binary_searchIS3_S5_PdSG_SI_NS1_21upper_bound_search_opENS9_16wrapped_functionINS8_6system6detail7generic6detail18binary_search_lessEbEEEE10hipError_tPvRmT1_T2_T3_mmT4_T5_P12ihipStream_tbEUlRKdE_EEST_SX_SY_mSZ_S12_bEUlT_E_NS1_11comp_targetILNS1_3genE2ELNS1_11target_archE906ELNS1_3gpuE6ELNS1_3repE0EEENS1_30default_config_static_selectorELNS0_4arch9wavefront6targetE0EEEvSW_: ; @_ZN7rocprim17ROCPRIM_400000_NS6detail17trampoline_kernelINS0_14default_configENS1_27upper_bound_config_selectorIdlEEZNS1_14transform_implILb0ES3_S5_N6thrust23THRUST_200600_302600_NS6detail15normal_iteratorINS8_7pointerIdNS8_11hip_rocprim5par_tENS8_11use_defaultESE_EEEENSA_INSB_IlSD_SE_SE_EEEEZNS1_13binary_searchIS3_S5_PdSG_SI_NS1_21upper_bound_search_opENS9_16wrapped_functionINS8_6system6detail7generic6detail18binary_search_lessEbEEEE10hipError_tPvRmT1_T2_T3_mmT4_T5_P12ihipStream_tbEUlRKdE_EEST_SX_SY_mSZ_S12_bEUlT_E_NS1_11comp_targetILNS1_3genE2ELNS1_11target_archE906ELNS1_3gpuE6ELNS1_3repE0EEENS1_30default_config_static_selectorELNS0_4arch9wavefront6targetE0EEEvSW_
; %bb.0:
	.section	.rodata,"a",@progbits
	.p2align	6, 0x0
	.amdhsa_kernel _ZN7rocprim17ROCPRIM_400000_NS6detail17trampoline_kernelINS0_14default_configENS1_27upper_bound_config_selectorIdlEEZNS1_14transform_implILb0ES3_S5_N6thrust23THRUST_200600_302600_NS6detail15normal_iteratorINS8_7pointerIdNS8_11hip_rocprim5par_tENS8_11use_defaultESE_EEEENSA_INSB_IlSD_SE_SE_EEEEZNS1_13binary_searchIS3_S5_PdSG_SI_NS1_21upper_bound_search_opENS9_16wrapped_functionINS8_6system6detail7generic6detail18binary_search_lessEbEEEE10hipError_tPvRmT1_T2_T3_mmT4_T5_P12ihipStream_tbEUlRKdE_EEST_SX_SY_mSZ_S12_bEUlT_E_NS1_11comp_targetILNS1_3genE2ELNS1_11target_archE906ELNS1_3gpuE6ELNS1_3repE0EEENS1_30default_config_static_selectorELNS0_4arch9wavefront6targetE0EEEvSW_
		.amdhsa_group_segment_fixed_size 0
		.amdhsa_private_segment_fixed_size 0
		.amdhsa_kernarg_size 56
		.amdhsa_user_sgpr_count 6
		.amdhsa_user_sgpr_private_segment_buffer 1
		.amdhsa_user_sgpr_dispatch_ptr 0
		.amdhsa_user_sgpr_queue_ptr 0
		.amdhsa_user_sgpr_kernarg_segment_ptr 1
		.amdhsa_user_sgpr_dispatch_id 0
		.amdhsa_user_sgpr_flat_scratch_init 0
		.amdhsa_user_sgpr_private_segment_size 0
		.amdhsa_wavefront_size32 1
		.amdhsa_uses_dynamic_stack 0
		.amdhsa_system_sgpr_private_segment_wavefront_offset 0
		.amdhsa_system_sgpr_workgroup_id_x 1
		.amdhsa_system_sgpr_workgroup_id_y 0
		.amdhsa_system_sgpr_workgroup_id_z 0
		.amdhsa_system_sgpr_workgroup_info 0
		.amdhsa_system_vgpr_workitem_id 0
		.amdhsa_next_free_vgpr 1
		.amdhsa_next_free_sgpr 1
		.amdhsa_reserve_vcc 0
		.amdhsa_reserve_flat_scratch 0
		.amdhsa_float_round_mode_32 0
		.amdhsa_float_round_mode_16_64 0
		.amdhsa_float_denorm_mode_32 3
		.amdhsa_float_denorm_mode_16_64 3
		.amdhsa_dx10_clamp 1
		.amdhsa_ieee_mode 1
		.amdhsa_fp16_overflow 0
		.amdhsa_workgroup_processor_mode 1
		.amdhsa_memory_ordered 1
		.amdhsa_forward_progress 1
		.amdhsa_shared_vgpr_count 0
		.amdhsa_exception_fp_ieee_invalid_op 0
		.amdhsa_exception_fp_denorm_src 0
		.amdhsa_exception_fp_ieee_div_zero 0
		.amdhsa_exception_fp_ieee_overflow 0
		.amdhsa_exception_fp_ieee_underflow 0
		.amdhsa_exception_fp_ieee_inexact 0
		.amdhsa_exception_int_div_zero 0
	.end_amdhsa_kernel
	.section	.text._ZN7rocprim17ROCPRIM_400000_NS6detail17trampoline_kernelINS0_14default_configENS1_27upper_bound_config_selectorIdlEEZNS1_14transform_implILb0ES3_S5_N6thrust23THRUST_200600_302600_NS6detail15normal_iteratorINS8_7pointerIdNS8_11hip_rocprim5par_tENS8_11use_defaultESE_EEEENSA_INSB_IlSD_SE_SE_EEEEZNS1_13binary_searchIS3_S5_PdSG_SI_NS1_21upper_bound_search_opENS9_16wrapped_functionINS8_6system6detail7generic6detail18binary_search_lessEbEEEE10hipError_tPvRmT1_T2_T3_mmT4_T5_P12ihipStream_tbEUlRKdE_EEST_SX_SY_mSZ_S12_bEUlT_E_NS1_11comp_targetILNS1_3genE2ELNS1_11target_archE906ELNS1_3gpuE6ELNS1_3repE0EEENS1_30default_config_static_selectorELNS0_4arch9wavefront6targetE0EEEvSW_,"axG",@progbits,_ZN7rocprim17ROCPRIM_400000_NS6detail17trampoline_kernelINS0_14default_configENS1_27upper_bound_config_selectorIdlEEZNS1_14transform_implILb0ES3_S5_N6thrust23THRUST_200600_302600_NS6detail15normal_iteratorINS8_7pointerIdNS8_11hip_rocprim5par_tENS8_11use_defaultESE_EEEENSA_INSB_IlSD_SE_SE_EEEEZNS1_13binary_searchIS3_S5_PdSG_SI_NS1_21upper_bound_search_opENS9_16wrapped_functionINS8_6system6detail7generic6detail18binary_search_lessEbEEEE10hipError_tPvRmT1_T2_T3_mmT4_T5_P12ihipStream_tbEUlRKdE_EEST_SX_SY_mSZ_S12_bEUlT_E_NS1_11comp_targetILNS1_3genE2ELNS1_11target_archE906ELNS1_3gpuE6ELNS1_3repE0EEENS1_30default_config_static_selectorELNS0_4arch9wavefront6targetE0EEEvSW_,comdat
.Lfunc_end166:
	.size	_ZN7rocprim17ROCPRIM_400000_NS6detail17trampoline_kernelINS0_14default_configENS1_27upper_bound_config_selectorIdlEEZNS1_14transform_implILb0ES3_S5_N6thrust23THRUST_200600_302600_NS6detail15normal_iteratorINS8_7pointerIdNS8_11hip_rocprim5par_tENS8_11use_defaultESE_EEEENSA_INSB_IlSD_SE_SE_EEEEZNS1_13binary_searchIS3_S5_PdSG_SI_NS1_21upper_bound_search_opENS9_16wrapped_functionINS8_6system6detail7generic6detail18binary_search_lessEbEEEE10hipError_tPvRmT1_T2_T3_mmT4_T5_P12ihipStream_tbEUlRKdE_EEST_SX_SY_mSZ_S12_bEUlT_E_NS1_11comp_targetILNS1_3genE2ELNS1_11target_archE906ELNS1_3gpuE6ELNS1_3repE0EEENS1_30default_config_static_selectorELNS0_4arch9wavefront6targetE0EEEvSW_, .Lfunc_end166-_ZN7rocprim17ROCPRIM_400000_NS6detail17trampoline_kernelINS0_14default_configENS1_27upper_bound_config_selectorIdlEEZNS1_14transform_implILb0ES3_S5_N6thrust23THRUST_200600_302600_NS6detail15normal_iteratorINS8_7pointerIdNS8_11hip_rocprim5par_tENS8_11use_defaultESE_EEEENSA_INSB_IlSD_SE_SE_EEEEZNS1_13binary_searchIS3_S5_PdSG_SI_NS1_21upper_bound_search_opENS9_16wrapped_functionINS8_6system6detail7generic6detail18binary_search_lessEbEEEE10hipError_tPvRmT1_T2_T3_mmT4_T5_P12ihipStream_tbEUlRKdE_EEST_SX_SY_mSZ_S12_bEUlT_E_NS1_11comp_targetILNS1_3genE2ELNS1_11target_archE906ELNS1_3gpuE6ELNS1_3repE0EEENS1_30default_config_static_selectorELNS0_4arch9wavefront6targetE0EEEvSW_
                                        ; -- End function
	.set _ZN7rocprim17ROCPRIM_400000_NS6detail17trampoline_kernelINS0_14default_configENS1_27upper_bound_config_selectorIdlEEZNS1_14transform_implILb0ES3_S5_N6thrust23THRUST_200600_302600_NS6detail15normal_iteratorINS8_7pointerIdNS8_11hip_rocprim5par_tENS8_11use_defaultESE_EEEENSA_INSB_IlSD_SE_SE_EEEEZNS1_13binary_searchIS3_S5_PdSG_SI_NS1_21upper_bound_search_opENS9_16wrapped_functionINS8_6system6detail7generic6detail18binary_search_lessEbEEEE10hipError_tPvRmT1_T2_T3_mmT4_T5_P12ihipStream_tbEUlRKdE_EEST_SX_SY_mSZ_S12_bEUlT_E_NS1_11comp_targetILNS1_3genE2ELNS1_11target_archE906ELNS1_3gpuE6ELNS1_3repE0EEENS1_30default_config_static_selectorELNS0_4arch9wavefront6targetE0EEEvSW_.num_vgpr, 0
	.set _ZN7rocprim17ROCPRIM_400000_NS6detail17trampoline_kernelINS0_14default_configENS1_27upper_bound_config_selectorIdlEEZNS1_14transform_implILb0ES3_S5_N6thrust23THRUST_200600_302600_NS6detail15normal_iteratorINS8_7pointerIdNS8_11hip_rocprim5par_tENS8_11use_defaultESE_EEEENSA_INSB_IlSD_SE_SE_EEEEZNS1_13binary_searchIS3_S5_PdSG_SI_NS1_21upper_bound_search_opENS9_16wrapped_functionINS8_6system6detail7generic6detail18binary_search_lessEbEEEE10hipError_tPvRmT1_T2_T3_mmT4_T5_P12ihipStream_tbEUlRKdE_EEST_SX_SY_mSZ_S12_bEUlT_E_NS1_11comp_targetILNS1_3genE2ELNS1_11target_archE906ELNS1_3gpuE6ELNS1_3repE0EEENS1_30default_config_static_selectorELNS0_4arch9wavefront6targetE0EEEvSW_.num_agpr, 0
	.set _ZN7rocprim17ROCPRIM_400000_NS6detail17trampoline_kernelINS0_14default_configENS1_27upper_bound_config_selectorIdlEEZNS1_14transform_implILb0ES3_S5_N6thrust23THRUST_200600_302600_NS6detail15normal_iteratorINS8_7pointerIdNS8_11hip_rocprim5par_tENS8_11use_defaultESE_EEEENSA_INSB_IlSD_SE_SE_EEEEZNS1_13binary_searchIS3_S5_PdSG_SI_NS1_21upper_bound_search_opENS9_16wrapped_functionINS8_6system6detail7generic6detail18binary_search_lessEbEEEE10hipError_tPvRmT1_T2_T3_mmT4_T5_P12ihipStream_tbEUlRKdE_EEST_SX_SY_mSZ_S12_bEUlT_E_NS1_11comp_targetILNS1_3genE2ELNS1_11target_archE906ELNS1_3gpuE6ELNS1_3repE0EEENS1_30default_config_static_selectorELNS0_4arch9wavefront6targetE0EEEvSW_.numbered_sgpr, 0
	.set _ZN7rocprim17ROCPRIM_400000_NS6detail17trampoline_kernelINS0_14default_configENS1_27upper_bound_config_selectorIdlEEZNS1_14transform_implILb0ES3_S5_N6thrust23THRUST_200600_302600_NS6detail15normal_iteratorINS8_7pointerIdNS8_11hip_rocprim5par_tENS8_11use_defaultESE_EEEENSA_INSB_IlSD_SE_SE_EEEEZNS1_13binary_searchIS3_S5_PdSG_SI_NS1_21upper_bound_search_opENS9_16wrapped_functionINS8_6system6detail7generic6detail18binary_search_lessEbEEEE10hipError_tPvRmT1_T2_T3_mmT4_T5_P12ihipStream_tbEUlRKdE_EEST_SX_SY_mSZ_S12_bEUlT_E_NS1_11comp_targetILNS1_3genE2ELNS1_11target_archE906ELNS1_3gpuE6ELNS1_3repE0EEENS1_30default_config_static_selectorELNS0_4arch9wavefront6targetE0EEEvSW_.num_named_barrier, 0
	.set _ZN7rocprim17ROCPRIM_400000_NS6detail17trampoline_kernelINS0_14default_configENS1_27upper_bound_config_selectorIdlEEZNS1_14transform_implILb0ES3_S5_N6thrust23THRUST_200600_302600_NS6detail15normal_iteratorINS8_7pointerIdNS8_11hip_rocprim5par_tENS8_11use_defaultESE_EEEENSA_INSB_IlSD_SE_SE_EEEEZNS1_13binary_searchIS3_S5_PdSG_SI_NS1_21upper_bound_search_opENS9_16wrapped_functionINS8_6system6detail7generic6detail18binary_search_lessEbEEEE10hipError_tPvRmT1_T2_T3_mmT4_T5_P12ihipStream_tbEUlRKdE_EEST_SX_SY_mSZ_S12_bEUlT_E_NS1_11comp_targetILNS1_3genE2ELNS1_11target_archE906ELNS1_3gpuE6ELNS1_3repE0EEENS1_30default_config_static_selectorELNS0_4arch9wavefront6targetE0EEEvSW_.private_seg_size, 0
	.set _ZN7rocprim17ROCPRIM_400000_NS6detail17trampoline_kernelINS0_14default_configENS1_27upper_bound_config_selectorIdlEEZNS1_14transform_implILb0ES3_S5_N6thrust23THRUST_200600_302600_NS6detail15normal_iteratorINS8_7pointerIdNS8_11hip_rocprim5par_tENS8_11use_defaultESE_EEEENSA_INSB_IlSD_SE_SE_EEEEZNS1_13binary_searchIS3_S5_PdSG_SI_NS1_21upper_bound_search_opENS9_16wrapped_functionINS8_6system6detail7generic6detail18binary_search_lessEbEEEE10hipError_tPvRmT1_T2_T3_mmT4_T5_P12ihipStream_tbEUlRKdE_EEST_SX_SY_mSZ_S12_bEUlT_E_NS1_11comp_targetILNS1_3genE2ELNS1_11target_archE906ELNS1_3gpuE6ELNS1_3repE0EEENS1_30default_config_static_selectorELNS0_4arch9wavefront6targetE0EEEvSW_.uses_vcc, 0
	.set _ZN7rocprim17ROCPRIM_400000_NS6detail17trampoline_kernelINS0_14default_configENS1_27upper_bound_config_selectorIdlEEZNS1_14transform_implILb0ES3_S5_N6thrust23THRUST_200600_302600_NS6detail15normal_iteratorINS8_7pointerIdNS8_11hip_rocprim5par_tENS8_11use_defaultESE_EEEENSA_INSB_IlSD_SE_SE_EEEEZNS1_13binary_searchIS3_S5_PdSG_SI_NS1_21upper_bound_search_opENS9_16wrapped_functionINS8_6system6detail7generic6detail18binary_search_lessEbEEEE10hipError_tPvRmT1_T2_T3_mmT4_T5_P12ihipStream_tbEUlRKdE_EEST_SX_SY_mSZ_S12_bEUlT_E_NS1_11comp_targetILNS1_3genE2ELNS1_11target_archE906ELNS1_3gpuE6ELNS1_3repE0EEENS1_30default_config_static_selectorELNS0_4arch9wavefront6targetE0EEEvSW_.uses_flat_scratch, 0
	.set _ZN7rocprim17ROCPRIM_400000_NS6detail17trampoline_kernelINS0_14default_configENS1_27upper_bound_config_selectorIdlEEZNS1_14transform_implILb0ES3_S5_N6thrust23THRUST_200600_302600_NS6detail15normal_iteratorINS8_7pointerIdNS8_11hip_rocprim5par_tENS8_11use_defaultESE_EEEENSA_INSB_IlSD_SE_SE_EEEEZNS1_13binary_searchIS3_S5_PdSG_SI_NS1_21upper_bound_search_opENS9_16wrapped_functionINS8_6system6detail7generic6detail18binary_search_lessEbEEEE10hipError_tPvRmT1_T2_T3_mmT4_T5_P12ihipStream_tbEUlRKdE_EEST_SX_SY_mSZ_S12_bEUlT_E_NS1_11comp_targetILNS1_3genE2ELNS1_11target_archE906ELNS1_3gpuE6ELNS1_3repE0EEENS1_30default_config_static_selectorELNS0_4arch9wavefront6targetE0EEEvSW_.has_dyn_sized_stack, 0
	.set _ZN7rocprim17ROCPRIM_400000_NS6detail17trampoline_kernelINS0_14default_configENS1_27upper_bound_config_selectorIdlEEZNS1_14transform_implILb0ES3_S5_N6thrust23THRUST_200600_302600_NS6detail15normal_iteratorINS8_7pointerIdNS8_11hip_rocprim5par_tENS8_11use_defaultESE_EEEENSA_INSB_IlSD_SE_SE_EEEEZNS1_13binary_searchIS3_S5_PdSG_SI_NS1_21upper_bound_search_opENS9_16wrapped_functionINS8_6system6detail7generic6detail18binary_search_lessEbEEEE10hipError_tPvRmT1_T2_T3_mmT4_T5_P12ihipStream_tbEUlRKdE_EEST_SX_SY_mSZ_S12_bEUlT_E_NS1_11comp_targetILNS1_3genE2ELNS1_11target_archE906ELNS1_3gpuE6ELNS1_3repE0EEENS1_30default_config_static_selectorELNS0_4arch9wavefront6targetE0EEEvSW_.has_recursion, 0
	.set _ZN7rocprim17ROCPRIM_400000_NS6detail17trampoline_kernelINS0_14default_configENS1_27upper_bound_config_selectorIdlEEZNS1_14transform_implILb0ES3_S5_N6thrust23THRUST_200600_302600_NS6detail15normal_iteratorINS8_7pointerIdNS8_11hip_rocprim5par_tENS8_11use_defaultESE_EEEENSA_INSB_IlSD_SE_SE_EEEEZNS1_13binary_searchIS3_S5_PdSG_SI_NS1_21upper_bound_search_opENS9_16wrapped_functionINS8_6system6detail7generic6detail18binary_search_lessEbEEEE10hipError_tPvRmT1_T2_T3_mmT4_T5_P12ihipStream_tbEUlRKdE_EEST_SX_SY_mSZ_S12_bEUlT_E_NS1_11comp_targetILNS1_3genE2ELNS1_11target_archE906ELNS1_3gpuE6ELNS1_3repE0EEENS1_30default_config_static_selectorELNS0_4arch9wavefront6targetE0EEEvSW_.has_indirect_call, 0
	.section	.AMDGPU.csdata,"",@progbits
; Kernel info:
; codeLenInByte = 0
; TotalNumSgprs: 0
; NumVgprs: 0
; ScratchSize: 0
; MemoryBound: 0
; FloatMode: 240
; IeeeMode: 1
; LDSByteSize: 0 bytes/workgroup (compile time only)
; SGPRBlocks: 0
; VGPRBlocks: 0
; NumSGPRsForWavesPerEU: 1
; NumVGPRsForWavesPerEU: 1
; Occupancy: 16
; WaveLimiterHint : 0
; COMPUTE_PGM_RSRC2:SCRATCH_EN: 0
; COMPUTE_PGM_RSRC2:USER_SGPR: 6
; COMPUTE_PGM_RSRC2:TRAP_HANDLER: 0
; COMPUTE_PGM_RSRC2:TGID_X_EN: 1
; COMPUTE_PGM_RSRC2:TGID_Y_EN: 0
; COMPUTE_PGM_RSRC2:TGID_Z_EN: 0
; COMPUTE_PGM_RSRC2:TIDIG_COMP_CNT: 0
	.section	.text._ZN7rocprim17ROCPRIM_400000_NS6detail17trampoline_kernelINS0_14default_configENS1_27upper_bound_config_selectorIdlEEZNS1_14transform_implILb0ES3_S5_N6thrust23THRUST_200600_302600_NS6detail15normal_iteratorINS8_7pointerIdNS8_11hip_rocprim5par_tENS8_11use_defaultESE_EEEENSA_INSB_IlSD_SE_SE_EEEEZNS1_13binary_searchIS3_S5_PdSG_SI_NS1_21upper_bound_search_opENS9_16wrapped_functionINS8_6system6detail7generic6detail18binary_search_lessEbEEEE10hipError_tPvRmT1_T2_T3_mmT4_T5_P12ihipStream_tbEUlRKdE_EEST_SX_SY_mSZ_S12_bEUlT_E_NS1_11comp_targetILNS1_3genE10ELNS1_11target_archE1201ELNS1_3gpuE5ELNS1_3repE0EEENS1_30default_config_static_selectorELNS0_4arch9wavefront6targetE0EEEvSW_,"axG",@progbits,_ZN7rocprim17ROCPRIM_400000_NS6detail17trampoline_kernelINS0_14default_configENS1_27upper_bound_config_selectorIdlEEZNS1_14transform_implILb0ES3_S5_N6thrust23THRUST_200600_302600_NS6detail15normal_iteratorINS8_7pointerIdNS8_11hip_rocprim5par_tENS8_11use_defaultESE_EEEENSA_INSB_IlSD_SE_SE_EEEEZNS1_13binary_searchIS3_S5_PdSG_SI_NS1_21upper_bound_search_opENS9_16wrapped_functionINS8_6system6detail7generic6detail18binary_search_lessEbEEEE10hipError_tPvRmT1_T2_T3_mmT4_T5_P12ihipStream_tbEUlRKdE_EEST_SX_SY_mSZ_S12_bEUlT_E_NS1_11comp_targetILNS1_3genE10ELNS1_11target_archE1201ELNS1_3gpuE5ELNS1_3repE0EEENS1_30default_config_static_selectorELNS0_4arch9wavefront6targetE0EEEvSW_,comdat
	.protected	_ZN7rocprim17ROCPRIM_400000_NS6detail17trampoline_kernelINS0_14default_configENS1_27upper_bound_config_selectorIdlEEZNS1_14transform_implILb0ES3_S5_N6thrust23THRUST_200600_302600_NS6detail15normal_iteratorINS8_7pointerIdNS8_11hip_rocprim5par_tENS8_11use_defaultESE_EEEENSA_INSB_IlSD_SE_SE_EEEEZNS1_13binary_searchIS3_S5_PdSG_SI_NS1_21upper_bound_search_opENS9_16wrapped_functionINS8_6system6detail7generic6detail18binary_search_lessEbEEEE10hipError_tPvRmT1_T2_T3_mmT4_T5_P12ihipStream_tbEUlRKdE_EEST_SX_SY_mSZ_S12_bEUlT_E_NS1_11comp_targetILNS1_3genE10ELNS1_11target_archE1201ELNS1_3gpuE5ELNS1_3repE0EEENS1_30default_config_static_selectorELNS0_4arch9wavefront6targetE0EEEvSW_ ; -- Begin function _ZN7rocprim17ROCPRIM_400000_NS6detail17trampoline_kernelINS0_14default_configENS1_27upper_bound_config_selectorIdlEEZNS1_14transform_implILb0ES3_S5_N6thrust23THRUST_200600_302600_NS6detail15normal_iteratorINS8_7pointerIdNS8_11hip_rocprim5par_tENS8_11use_defaultESE_EEEENSA_INSB_IlSD_SE_SE_EEEEZNS1_13binary_searchIS3_S5_PdSG_SI_NS1_21upper_bound_search_opENS9_16wrapped_functionINS8_6system6detail7generic6detail18binary_search_lessEbEEEE10hipError_tPvRmT1_T2_T3_mmT4_T5_P12ihipStream_tbEUlRKdE_EEST_SX_SY_mSZ_S12_bEUlT_E_NS1_11comp_targetILNS1_3genE10ELNS1_11target_archE1201ELNS1_3gpuE5ELNS1_3repE0EEENS1_30default_config_static_selectorELNS0_4arch9wavefront6targetE0EEEvSW_
	.globl	_ZN7rocprim17ROCPRIM_400000_NS6detail17trampoline_kernelINS0_14default_configENS1_27upper_bound_config_selectorIdlEEZNS1_14transform_implILb0ES3_S5_N6thrust23THRUST_200600_302600_NS6detail15normal_iteratorINS8_7pointerIdNS8_11hip_rocprim5par_tENS8_11use_defaultESE_EEEENSA_INSB_IlSD_SE_SE_EEEEZNS1_13binary_searchIS3_S5_PdSG_SI_NS1_21upper_bound_search_opENS9_16wrapped_functionINS8_6system6detail7generic6detail18binary_search_lessEbEEEE10hipError_tPvRmT1_T2_T3_mmT4_T5_P12ihipStream_tbEUlRKdE_EEST_SX_SY_mSZ_S12_bEUlT_E_NS1_11comp_targetILNS1_3genE10ELNS1_11target_archE1201ELNS1_3gpuE5ELNS1_3repE0EEENS1_30default_config_static_selectorELNS0_4arch9wavefront6targetE0EEEvSW_
	.p2align	8
	.type	_ZN7rocprim17ROCPRIM_400000_NS6detail17trampoline_kernelINS0_14default_configENS1_27upper_bound_config_selectorIdlEEZNS1_14transform_implILb0ES3_S5_N6thrust23THRUST_200600_302600_NS6detail15normal_iteratorINS8_7pointerIdNS8_11hip_rocprim5par_tENS8_11use_defaultESE_EEEENSA_INSB_IlSD_SE_SE_EEEEZNS1_13binary_searchIS3_S5_PdSG_SI_NS1_21upper_bound_search_opENS9_16wrapped_functionINS8_6system6detail7generic6detail18binary_search_lessEbEEEE10hipError_tPvRmT1_T2_T3_mmT4_T5_P12ihipStream_tbEUlRKdE_EEST_SX_SY_mSZ_S12_bEUlT_E_NS1_11comp_targetILNS1_3genE10ELNS1_11target_archE1201ELNS1_3gpuE5ELNS1_3repE0EEENS1_30default_config_static_selectorELNS0_4arch9wavefront6targetE0EEEvSW_,@function
_ZN7rocprim17ROCPRIM_400000_NS6detail17trampoline_kernelINS0_14default_configENS1_27upper_bound_config_selectorIdlEEZNS1_14transform_implILb0ES3_S5_N6thrust23THRUST_200600_302600_NS6detail15normal_iteratorINS8_7pointerIdNS8_11hip_rocprim5par_tENS8_11use_defaultESE_EEEENSA_INSB_IlSD_SE_SE_EEEEZNS1_13binary_searchIS3_S5_PdSG_SI_NS1_21upper_bound_search_opENS9_16wrapped_functionINS8_6system6detail7generic6detail18binary_search_lessEbEEEE10hipError_tPvRmT1_T2_T3_mmT4_T5_P12ihipStream_tbEUlRKdE_EEST_SX_SY_mSZ_S12_bEUlT_E_NS1_11comp_targetILNS1_3genE10ELNS1_11target_archE1201ELNS1_3gpuE5ELNS1_3repE0EEENS1_30default_config_static_selectorELNS0_4arch9wavefront6targetE0EEEvSW_: ; @_ZN7rocprim17ROCPRIM_400000_NS6detail17trampoline_kernelINS0_14default_configENS1_27upper_bound_config_selectorIdlEEZNS1_14transform_implILb0ES3_S5_N6thrust23THRUST_200600_302600_NS6detail15normal_iteratorINS8_7pointerIdNS8_11hip_rocprim5par_tENS8_11use_defaultESE_EEEENSA_INSB_IlSD_SE_SE_EEEEZNS1_13binary_searchIS3_S5_PdSG_SI_NS1_21upper_bound_search_opENS9_16wrapped_functionINS8_6system6detail7generic6detail18binary_search_lessEbEEEE10hipError_tPvRmT1_T2_T3_mmT4_T5_P12ihipStream_tbEUlRKdE_EEST_SX_SY_mSZ_S12_bEUlT_E_NS1_11comp_targetILNS1_3genE10ELNS1_11target_archE1201ELNS1_3gpuE5ELNS1_3repE0EEENS1_30default_config_static_selectorELNS0_4arch9wavefront6targetE0EEEvSW_
; %bb.0:
	.section	.rodata,"a",@progbits
	.p2align	6, 0x0
	.amdhsa_kernel _ZN7rocprim17ROCPRIM_400000_NS6detail17trampoline_kernelINS0_14default_configENS1_27upper_bound_config_selectorIdlEEZNS1_14transform_implILb0ES3_S5_N6thrust23THRUST_200600_302600_NS6detail15normal_iteratorINS8_7pointerIdNS8_11hip_rocprim5par_tENS8_11use_defaultESE_EEEENSA_INSB_IlSD_SE_SE_EEEEZNS1_13binary_searchIS3_S5_PdSG_SI_NS1_21upper_bound_search_opENS9_16wrapped_functionINS8_6system6detail7generic6detail18binary_search_lessEbEEEE10hipError_tPvRmT1_T2_T3_mmT4_T5_P12ihipStream_tbEUlRKdE_EEST_SX_SY_mSZ_S12_bEUlT_E_NS1_11comp_targetILNS1_3genE10ELNS1_11target_archE1201ELNS1_3gpuE5ELNS1_3repE0EEENS1_30default_config_static_selectorELNS0_4arch9wavefront6targetE0EEEvSW_
		.amdhsa_group_segment_fixed_size 0
		.amdhsa_private_segment_fixed_size 0
		.amdhsa_kernarg_size 56
		.amdhsa_user_sgpr_count 6
		.amdhsa_user_sgpr_private_segment_buffer 1
		.amdhsa_user_sgpr_dispatch_ptr 0
		.amdhsa_user_sgpr_queue_ptr 0
		.amdhsa_user_sgpr_kernarg_segment_ptr 1
		.amdhsa_user_sgpr_dispatch_id 0
		.amdhsa_user_sgpr_flat_scratch_init 0
		.amdhsa_user_sgpr_private_segment_size 0
		.amdhsa_wavefront_size32 1
		.amdhsa_uses_dynamic_stack 0
		.amdhsa_system_sgpr_private_segment_wavefront_offset 0
		.amdhsa_system_sgpr_workgroup_id_x 1
		.amdhsa_system_sgpr_workgroup_id_y 0
		.amdhsa_system_sgpr_workgroup_id_z 0
		.amdhsa_system_sgpr_workgroup_info 0
		.amdhsa_system_vgpr_workitem_id 0
		.amdhsa_next_free_vgpr 1
		.amdhsa_next_free_sgpr 1
		.amdhsa_reserve_vcc 0
		.amdhsa_reserve_flat_scratch 0
		.amdhsa_float_round_mode_32 0
		.amdhsa_float_round_mode_16_64 0
		.amdhsa_float_denorm_mode_32 3
		.amdhsa_float_denorm_mode_16_64 3
		.amdhsa_dx10_clamp 1
		.amdhsa_ieee_mode 1
		.amdhsa_fp16_overflow 0
		.amdhsa_workgroup_processor_mode 1
		.amdhsa_memory_ordered 1
		.amdhsa_forward_progress 1
		.amdhsa_shared_vgpr_count 0
		.amdhsa_exception_fp_ieee_invalid_op 0
		.amdhsa_exception_fp_denorm_src 0
		.amdhsa_exception_fp_ieee_div_zero 0
		.amdhsa_exception_fp_ieee_overflow 0
		.amdhsa_exception_fp_ieee_underflow 0
		.amdhsa_exception_fp_ieee_inexact 0
		.amdhsa_exception_int_div_zero 0
	.end_amdhsa_kernel
	.section	.text._ZN7rocprim17ROCPRIM_400000_NS6detail17trampoline_kernelINS0_14default_configENS1_27upper_bound_config_selectorIdlEEZNS1_14transform_implILb0ES3_S5_N6thrust23THRUST_200600_302600_NS6detail15normal_iteratorINS8_7pointerIdNS8_11hip_rocprim5par_tENS8_11use_defaultESE_EEEENSA_INSB_IlSD_SE_SE_EEEEZNS1_13binary_searchIS3_S5_PdSG_SI_NS1_21upper_bound_search_opENS9_16wrapped_functionINS8_6system6detail7generic6detail18binary_search_lessEbEEEE10hipError_tPvRmT1_T2_T3_mmT4_T5_P12ihipStream_tbEUlRKdE_EEST_SX_SY_mSZ_S12_bEUlT_E_NS1_11comp_targetILNS1_3genE10ELNS1_11target_archE1201ELNS1_3gpuE5ELNS1_3repE0EEENS1_30default_config_static_selectorELNS0_4arch9wavefront6targetE0EEEvSW_,"axG",@progbits,_ZN7rocprim17ROCPRIM_400000_NS6detail17trampoline_kernelINS0_14default_configENS1_27upper_bound_config_selectorIdlEEZNS1_14transform_implILb0ES3_S5_N6thrust23THRUST_200600_302600_NS6detail15normal_iteratorINS8_7pointerIdNS8_11hip_rocprim5par_tENS8_11use_defaultESE_EEEENSA_INSB_IlSD_SE_SE_EEEEZNS1_13binary_searchIS3_S5_PdSG_SI_NS1_21upper_bound_search_opENS9_16wrapped_functionINS8_6system6detail7generic6detail18binary_search_lessEbEEEE10hipError_tPvRmT1_T2_T3_mmT4_T5_P12ihipStream_tbEUlRKdE_EEST_SX_SY_mSZ_S12_bEUlT_E_NS1_11comp_targetILNS1_3genE10ELNS1_11target_archE1201ELNS1_3gpuE5ELNS1_3repE0EEENS1_30default_config_static_selectorELNS0_4arch9wavefront6targetE0EEEvSW_,comdat
.Lfunc_end167:
	.size	_ZN7rocprim17ROCPRIM_400000_NS6detail17trampoline_kernelINS0_14default_configENS1_27upper_bound_config_selectorIdlEEZNS1_14transform_implILb0ES3_S5_N6thrust23THRUST_200600_302600_NS6detail15normal_iteratorINS8_7pointerIdNS8_11hip_rocprim5par_tENS8_11use_defaultESE_EEEENSA_INSB_IlSD_SE_SE_EEEEZNS1_13binary_searchIS3_S5_PdSG_SI_NS1_21upper_bound_search_opENS9_16wrapped_functionINS8_6system6detail7generic6detail18binary_search_lessEbEEEE10hipError_tPvRmT1_T2_T3_mmT4_T5_P12ihipStream_tbEUlRKdE_EEST_SX_SY_mSZ_S12_bEUlT_E_NS1_11comp_targetILNS1_3genE10ELNS1_11target_archE1201ELNS1_3gpuE5ELNS1_3repE0EEENS1_30default_config_static_selectorELNS0_4arch9wavefront6targetE0EEEvSW_, .Lfunc_end167-_ZN7rocprim17ROCPRIM_400000_NS6detail17trampoline_kernelINS0_14default_configENS1_27upper_bound_config_selectorIdlEEZNS1_14transform_implILb0ES3_S5_N6thrust23THRUST_200600_302600_NS6detail15normal_iteratorINS8_7pointerIdNS8_11hip_rocprim5par_tENS8_11use_defaultESE_EEEENSA_INSB_IlSD_SE_SE_EEEEZNS1_13binary_searchIS3_S5_PdSG_SI_NS1_21upper_bound_search_opENS9_16wrapped_functionINS8_6system6detail7generic6detail18binary_search_lessEbEEEE10hipError_tPvRmT1_T2_T3_mmT4_T5_P12ihipStream_tbEUlRKdE_EEST_SX_SY_mSZ_S12_bEUlT_E_NS1_11comp_targetILNS1_3genE10ELNS1_11target_archE1201ELNS1_3gpuE5ELNS1_3repE0EEENS1_30default_config_static_selectorELNS0_4arch9wavefront6targetE0EEEvSW_
                                        ; -- End function
	.set _ZN7rocprim17ROCPRIM_400000_NS6detail17trampoline_kernelINS0_14default_configENS1_27upper_bound_config_selectorIdlEEZNS1_14transform_implILb0ES3_S5_N6thrust23THRUST_200600_302600_NS6detail15normal_iteratorINS8_7pointerIdNS8_11hip_rocprim5par_tENS8_11use_defaultESE_EEEENSA_INSB_IlSD_SE_SE_EEEEZNS1_13binary_searchIS3_S5_PdSG_SI_NS1_21upper_bound_search_opENS9_16wrapped_functionINS8_6system6detail7generic6detail18binary_search_lessEbEEEE10hipError_tPvRmT1_T2_T3_mmT4_T5_P12ihipStream_tbEUlRKdE_EEST_SX_SY_mSZ_S12_bEUlT_E_NS1_11comp_targetILNS1_3genE10ELNS1_11target_archE1201ELNS1_3gpuE5ELNS1_3repE0EEENS1_30default_config_static_selectorELNS0_4arch9wavefront6targetE0EEEvSW_.num_vgpr, 0
	.set _ZN7rocprim17ROCPRIM_400000_NS6detail17trampoline_kernelINS0_14default_configENS1_27upper_bound_config_selectorIdlEEZNS1_14transform_implILb0ES3_S5_N6thrust23THRUST_200600_302600_NS6detail15normal_iteratorINS8_7pointerIdNS8_11hip_rocprim5par_tENS8_11use_defaultESE_EEEENSA_INSB_IlSD_SE_SE_EEEEZNS1_13binary_searchIS3_S5_PdSG_SI_NS1_21upper_bound_search_opENS9_16wrapped_functionINS8_6system6detail7generic6detail18binary_search_lessEbEEEE10hipError_tPvRmT1_T2_T3_mmT4_T5_P12ihipStream_tbEUlRKdE_EEST_SX_SY_mSZ_S12_bEUlT_E_NS1_11comp_targetILNS1_3genE10ELNS1_11target_archE1201ELNS1_3gpuE5ELNS1_3repE0EEENS1_30default_config_static_selectorELNS0_4arch9wavefront6targetE0EEEvSW_.num_agpr, 0
	.set _ZN7rocprim17ROCPRIM_400000_NS6detail17trampoline_kernelINS0_14default_configENS1_27upper_bound_config_selectorIdlEEZNS1_14transform_implILb0ES3_S5_N6thrust23THRUST_200600_302600_NS6detail15normal_iteratorINS8_7pointerIdNS8_11hip_rocprim5par_tENS8_11use_defaultESE_EEEENSA_INSB_IlSD_SE_SE_EEEEZNS1_13binary_searchIS3_S5_PdSG_SI_NS1_21upper_bound_search_opENS9_16wrapped_functionINS8_6system6detail7generic6detail18binary_search_lessEbEEEE10hipError_tPvRmT1_T2_T3_mmT4_T5_P12ihipStream_tbEUlRKdE_EEST_SX_SY_mSZ_S12_bEUlT_E_NS1_11comp_targetILNS1_3genE10ELNS1_11target_archE1201ELNS1_3gpuE5ELNS1_3repE0EEENS1_30default_config_static_selectorELNS0_4arch9wavefront6targetE0EEEvSW_.numbered_sgpr, 0
	.set _ZN7rocprim17ROCPRIM_400000_NS6detail17trampoline_kernelINS0_14default_configENS1_27upper_bound_config_selectorIdlEEZNS1_14transform_implILb0ES3_S5_N6thrust23THRUST_200600_302600_NS6detail15normal_iteratorINS8_7pointerIdNS8_11hip_rocprim5par_tENS8_11use_defaultESE_EEEENSA_INSB_IlSD_SE_SE_EEEEZNS1_13binary_searchIS3_S5_PdSG_SI_NS1_21upper_bound_search_opENS9_16wrapped_functionINS8_6system6detail7generic6detail18binary_search_lessEbEEEE10hipError_tPvRmT1_T2_T3_mmT4_T5_P12ihipStream_tbEUlRKdE_EEST_SX_SY_mSZ_S12_bEUlT_E_NS1_11comp_targetILNS1_3genE10ELNS1_11target_archE1201ELNS1_3gpuE5ELNS1_3repE0EEENS1_30default_config_static_selectorELNS0_4arch9wavefront6targetE0EEEvSW_.num_named_barrier, 0
	.set _ZN7rocprim17ROCPRIM_400000_NS6detail17trampoline_kernelINS0_14default_configENS1_27upper_bound_config_selectorIdlEEZNS1_14transform_implILb0ES3_S5_N6thrust23THRUST_200600_302600_NS6detail15normal_iteratorINS8_7pointerIdNS8_11hip_rocprim5par_tENS8_11use_defaultESE_EEEENSA_INSB_IlSD_SE_SE_EEEEZNS1_13binary_searchIS3_S5_PdSG_SI_NS1_21upper_bound_search_opENS9_16wrapped_functionINS8_6system6detail7generic6detail18binary_search_lessEbEEEE10hipError_tPvRmT1_T2_T3_mmT4_T5_P12ihipStream_tbEUlRKdE_EEST_SX_SY_mSZ_S12_bEUlT_E_NS1_11comp_targetILNS1_3genE10ELNS1_11target_archE1201ELNS1_3gpuE5ELNS1_3repE0EEENS1_30default_config_static_selectorELNS0_4arch9wavefront6targetE0EEEvSW_.private_seg_size, 0
	.set _ZN7rocprim17ROCPRIM_400000_NS6detail17trampoline_kernelINS0_14default_configENS1_27upper_bound_config_selectorIdlEEZNS1_14transform_implILb0ES3_S5_N6thrust23THRUST_200600_302600_NS6detail15normal_iteratorINS8_7pointerIdNS8_11hip_rocprim5par_tENS8_11use_defaultESE_EEEENSA_INSB_IlSD_SE_SE_EEEEZNS1_13binary_searchIS3_S5_PdSG_SI_NS1_21upper_bound_search_opENS9_16wrapped_functionINS8_6system6detail7generic6detail18binary_search_lessEbEEEE10hipError_tPvRmT1_T2_T3_mmT4_T5_P12ihipStream_tbEUlRKdE_EEST_SX_SY_mSZ_S12_bEUlT_E_NS1_11comp_targetILNS1_3genE10ELNS1_11target_archE1201ELNS1_3gpuE5ELNS1_3repE0EEENS1_30default_config_static_selectorELNS0_4arch9wavefront6targetE0EEEvSW_.uses_vcc, 0
	.set _ZN7rocprim17ROCPRIM_400000_NS6detail17trampoline_kernelINS0_14default_configENS1_27upper_bound_config_selectorIdlEEZNS1_14transform_implILb0ES3_S5_N6thrust23THRUST_200600_302600_NS6detail15normal_iteratorINS8_7pointerIdNS8_11hip_rocprim5par_tENS8_11use_defaultESE_EEEENSA_INSB_IlSD_SE_SE_EEEEZNS1_13binary_searchIS3_S5_PdSG_SI_NS1_21upper_bound_search_opENS9_16wrapped_functionINS8_6system6detail7generic6detail18binary_search_lessEbEEEE10hipError_tPvRmT1_T2_T3_mmT4_T5_P12ihipStream_tbEUlRKdE_EEST_SX_SY_mSZ_S12_bEUlT_E_NS1_11comp_targetILNS1_3genE10ELNS1_11target_archE1201ELNS1_3gpuE5ELNS1_3repE0EEENS1_30default_config_static_selectorELNS0_4arch9wavefront6targetE0EEEvSW_.uses_flat_scratch, 0
	.set _ZN7rocprim17ROCPRIM_400000_NS6detail17trampoline_kernelINS0_14default_configENS1_27upper_bound_config_selectorIdlEEZNS1_14transform_implILb0ES3_S5_N6thrust23THRUST_200600_302600_NS6detail15normal_iteratorINS8_7pointerIdNS8_11hip_rocprim5par_tENS8_11use_defaultESE_EEEENSA_INSB_IlSD_SE_SE_EEEEZNS1_13binary_searchIS3_S5_PdSG_SI_NS1_21upper_bound_search_opENS9_16wrapped_functionINS8_6system6detail7generic6detail18binary_search_lessEbEEEE10hipError_tPvRmT1_T2_T3_mmT4_T5_P12ihipStream_tbEUlRKdE_EEST_SX_SY_mSZ_S12_bEUlT_E_NS1_11comp_targetILNS1_3genE10ELNS1_11target_archE1201ELNS1_3gpuE5ELNS1_3repE0EEENS1_30default_config_static_selectorELNS0_4arch9wavefront6targetE0EEEvSW_.has_dyn_sized_stack, 0
	.set _ZN7rocprim17ROCPRIM_400000_NS6detail17trampoline_kernelINS0_14default_configENS1_27upper_bound_config_selectorIdlEEZNS1_14transform_implILb0ES3_S5_N6thrust23THRUST_200600_302600_NS6detail15normal_iteratorINS8_7pointerIdNS8_11hip_rocprim5par_tENS8_11use_defaultESE_EEEENSA_INSB_IlSD_SE_SE_EEEEZNS1_13binary_searchIS3_S5_PdSG_SI_NS1_21upper_bound_search_opENS9_16wrapped_functionINS8_6system6detail7generic6detail18binary_search_lessEbEEEE10hipError_tPvRmT1_T2_T3_mmT4_T5_P12ihipStream_tbEUlRKdE_EEST_SX_SY_mSZ_S12_bEUlT_E_NS1_11comp_targetILNS1_3genE10ELNS1_11target_archE1201ELNS1_3gpuE5ELNS1_3repE0EEENS1_30default_config_static_selectorELNS0_4arch9wavefront6targetE0EEEvSW_.has_recursion, 0
	.set _ZN7rocprim17ROCPRIM_400000_NS6detail17trampoline_kernelINS0_14default_configENS1_27upper_bound_config_selectorIdlEEZNS1_14transform_implILb0ES3_S5_N6thrust23THRUST_200600_302600_NS6detail15normal_iteratorINS8_7pointerIdNS8_11hip_rocprim5par_tENS8_11use_defaultESE_EEEENSA_INSB_IlSD_SE_SE_EEEEZNS1_13binary_searchIS3_S5_PdSG_SI_NS1_21upper_bound_search_opENS9_16wrapped_functionINS8_6system6detail7generic6detail18binary_search_lessEbEEEE10hipError_tPvRmT1_T2_T3_mmT4_T5_P12ihipStream_tbEUlRKdE_EEST_SX_SY_mSZ_S12_bEUlT_E_NS1_11comp_targetILNS1_3genE10ELNS1_11target_archE1201ELNS1_3gpuE5ELNS1_3repE0EEENS1_30default_config_static_selectorELNS0_4arch9wavefront6targetE0EEEvSW_.has_indirect_call, 0
	.section	.AMDGPU.csdata,"",@progbits
; Kernel info:
; codeLenInByte = 0
; TotalNumSgprs: 0
; NumVgprs: 0
; ScratchSize: 0
; MemoryBound: 0
; FloatMode: 240
; IeeeMode: 1
; LDSByteSize: 0 bytes/workgroup (compile time only)
; SGPRBlocks: 0
; VGPRBlocks: 0
; NumSGPRsForWavesPerEU: 1
; NumVGPRsForWavesPerEU: 1
; Occupancy: 16
; WaveLimiterHint : 0
; COMPUTE_PGM_RSRC2:SCRATCH_EN: 0
; COMPUTE_PGM_RSRC2:USER_SGPR: 6
; COMPUTE_PGM_RSRC2:TRAP_HANDLER: 0
; COMPUTE_PGM_RSRC2:TGID_X_EN: 1
; COMPUTE_PGM_RSRC2:TGID_Y_EN: 0
; COMPUTE_PGM_RSRC2:TGID_Z_EN: 0
; COMPUTE_PGM_RSRC2:TIDIG_COMP_CNT: 0
	.section	.text._ZN7rocprim17ROCPRIM_400000_NS6detail17trampoline_kernelINS0_14default_configENS1_27upper_bound_config_selectorIdlEEZNS1_14transform_implILb0ES3_S5_N6thrust23THRUST_200600_302600_NS6detail15normal_iteratorINS8_7pointerIdNS8_11hip_rocprim5par_tENS8_11use_defaultESE_EEEENSA_INSB_IlSD_SE_SE_EEEEZNS1_13binary_searchIS3_S5_PdSG_SI_NS1_21upper_bound_search_opENS9_16wrapped_functionINS8_6system6detail7generic6detail18binary_search_lessEbEEEE10hipError_tPvRmT1_T2_T3_mmT4_T5_P12ihipStream_tbEUlRKdE_EEST_SX_SY_mSZ_S12_bEUlT_E_NS1_11comp_targetILNS1_3genE10ELNS1_11target_archE1200ELNS1_3gpuE4ELNS1_3repE0EEENS1_30default_config_static_selectorELNS0_4arch9wavefront6targetE0EEEvSW_,"axG",@progbits,_ZN7rocprim17ROCPRIM_400000_NS6detail17trampoline_kernelINS0_14default_configENS1_27upper_bound_config_selectorIdlEEZNS1_14transform_implILb0ES3_S5_N6thrust23THRUST_200600_302600_NS6detail15normal_iteratorINS8_7pointerIdNS8_11hip_rocprim5par_tENS8_11use_defaultESE_EEEENSA_INSB_IlSD_SE_SE_EEEEZNS1_13binary_searchIS3_S5_PdSG_SI_NS1_21upper_bound_search_opENS9_16wrapped_functionINS8_6system6detail7generic6detail18binary_search_lessEbEEEE10hipError_tPvRmT1_T2_T3_mmT4_T5_P12ihipStream_tbEUlRKdE_EEST_SX_SY_mSZ_S12_bEUlT_E_NS1_11comp_targetILNS1_3genE10ELNS1_11target_archE1200ELNS1_3gpuE4ELNS1_3repE0EEENS1_30default_config_static_selectorELNS0_4arch9wavefront6targetE0EEEvSW_,comdat
	.protected	_ZN7rocprim17ROCPRIM_400000_NS6detail17trampoline_kernelINS0_14default_configENS1_27upper_bound_config_selectorIdlEEZNS1_14transform_implILb0ES3_S5_N6thrust23THRUST_200600_302600_NS6detail15normal_iteratorINS8_7pointerIdNS8_11hip_rocprim5par_tENS8_11use_defaultESE_EEEENSA_INSB_IlSD_SE_SE_EEEEZNS1_13binary_searchIS3_S5_PdSG_SI_NS1_21upper_bound_search_opENS9_16wrapped_functionINS8_6system6detail7generic6detail18binary_search_lessEbEEEE10hipError_tPvRmT1_T2_T3_mmT4_T5_P12ihipStream_tbEUlRKdE_EEST_SX_SY_mSZ_S12_bEUlT_E_NS1_11comp_targetILNS1_3genE10ELNS1_11target_archE1200ELNS1_3gpuE4ELNS1_3repE0EEENS1_30default_config_static_selectorELNS0_4arch9wavefront6targetE0EEEvSW_ ; -- Begin function _ZN7rocprim17ROCPRIM_400000_NS6detail17trampoline_kernelINS0_14default_configENS1_27upper_bound_config_selectorIdlEEZNS1_14transform_implILb0ES3_S5_N6thrust23THRUST_200600_302600_NS6detail15normal_iteratorINS8_7pointerIdNS8_11hip_rocprim5par_tENS8_11use_defaultESE_EEEENSA_INSB_IlSD_SE_SE_EEEEZNS1_13binary_searchIS3_S5_PdSG_SI_NS1_21upper_bound_search_opENS9_16wrapped_functionINS8_6system6detail7generic6detail18binary_search_lessEbEEEE10hipError_tPvRmT1_T2_T3_mmT4_T5_P12ihipStream_tbEUlRKdE_EEST_SX_SY_mSZ_S12_bEUlT_E_NS1_11comp_targetILNS1_3genE10ELNS1_11target_archE1200ELNS1_3gpuE4ELNS1_3repE0EEENS1_30default_config_static_selectorELNS0_4arch9wavefront6targetE0EEEvSW_
	.globl	_ZN7rocprim17ROCPRIM_400000_NS6detail17trampoline_kernelINS0_14default_configENS1_27upper_bound_config_selectorIdlEEZNS1_14transform_implILb0ES3_S5_N6thrust23THRUST_200600_302600_NS6detail15normal_iteratorINS8_7pointerIdNS8_11hip_rocprim5par_tENS8_11use_defaultESE_EEEENSA_INSB_IlSD_SE_SE_EEEEZNS1_13binary_searchIS3_S5_PdSG_SI_NS1_21upper_bound_search_opENS9_16wrapped_functionINS8_6system6detail7generic6detail18binary_search_lessEbEEEE10hipError_tPvRmT1_T2_T3_mmT4_T5_P12ihipStream_tbEUlRKdE_EEST_SX_SY_mSZ_S12_bEUlT_E_NS1_11comp_targetILNS1_3genE10ELNS1_11target_archE1200ELNS1_3gpuE4ELNS1_3repE0EEENS1_30default_config_static_selectorELNS0_4arch9wavefront6targetE0EEEvSW_
	.p2align	8
	.type	_ZN7rocprim17ROCPRIM_400000_NS6detail17trampoline_kernelINS0_14default_configENS1_27upper_bound_config_selectorIdlEEZNS1_14transform_implILb0ES3_S5_N6thrust23THRUST_200600_302600_NS6detail15normal_iteratorINS8_7pointerIdNS8_11hip_rocprim5par_tENS8_11use_defaultESE_EEEENSA_INSB_IlSD_SE_SE_EEEEZNS1_13binary_searchIS3_S5_PdSG_SI_NS1_21upper_bound_search_opENS9_16wrapped_functionINS8_6system6detail7generic6detail18binary_search_lessEbEEEE10hipError_tPvRmT1_T2_T3_mmT4_T5_P12ihipStream_tbEUlRKdE_EEST_SX_SY_mSZ_S12_bEUlT_E_NS1_11comp_targetILNS1_3genE10ELNS1_11target_archE1200ELNS1_3gpuE4ELNS1_3repE0EEENS1_30default_config_static_selectorELNS0_4arch9wavefront6targetE0EEEvSW_,@function
_ZN7rocprim17ROCPRIM_400000_NS6detail17trampoline_kernelINS0_14default_configENS1_27upper_bound_config_selectorIdlEEZNS1_14transform_implILb0ES3_S5_N6thrust23THRUST_200600_302600_NS6detail15normal_iteratorINS8_7pointerIdNS8_11hip_rocprim5par_tENS8_11use_defaultESE_EEEENSA_INSB_IlSD_SE_SE_EEEEZNS1_13binary_searchIS3_S5_PdSG_SI_NS1_21upper_bound_search_opENS9_16wrapped_functionINS8_6system6detail7generic6detail18binary_search_lessEbEEEE10hipError_tPvRmT1_T2_T3_mmT4_T5_P12ihipStream_tbEUlRKdE_EEST_SX_SY_mSZ_S12_bEUlT_E_NS1_11comp_targetILNS1_3genE10ELNS1_11target_archE1200ELNS1_3gpuE4ELNS1_3repE0EEENS1_30default_config_static_selectorELNS0_4arch9wavefront6targetE0EEEvSW_: ; @_ZN7rocprim17ROCPRIM_400000_NS6detail17trampoline_kernelINS0_14default_configENS1_27upper_bound_config_selectorIdlEEZNS1_14transform_implILb0ES3_S5_N6thrust23THRUST_200600_302600_NS6detail15normal_iteratorINS8_7pointerIdNS8_11hip_rocprim5par_tENS8_11use_defaultESE_EEEENSA_INSB_IlSD_SE_SE_EEEEZNS1_13binary_searchIS3_S5_PdSG_SI_NS1_21upper_bound_search_opENS9_16wrapped_functionINS8_6system6detail7generic6detail18binary_search_lessEbEEEE10hipError_tPvRmT1_T2_T3_mmT4_T5_P12ihipStream_tbEUlRKdE_EEST_SX_SY_mSZ_S12_bEUlT_E_NS1_11comp_targetILNS1_3genE10ELNS1_11target_archE1200ELNS1_3gpuE4ELNS1_3repE0EEENS1_30default_config_static_selectorELNS0_4arch9wavefront6targetE0EEEvSW_
; %bb.0:
	.section	.rodata,"a",@progbits
	.p2align	6, 0x0
	.amdhsa_kernel _ZN7rocprim17ROCPRIM_400000_NS6detail17trampoline_kernelINS0_14default_configENS1_27upper_bound_config_selectorIdlEEZNS1_14transform_implILb0ES3_S5_N6thrust23THRUST_200600_302600_NS6detail15normal_iteratorINS8_7pointerIdNS8_11hip_rocprim5par_tENS8_11use_defaultESE_EEEENSA_INSB_IlSD_SE_SE_EEEEZNS1_13binary_searchIS3_S5_PdSG_SI_NS1_21upper_bound_search_opENS9_16wrapped_functionINS8_6system6detail7generic6detail18binary_search_lessEbEEEE10hipError_tPvRmT1_T2_T3_mmT4_T5_P12ihipStream_tbEUlRKdE_EEST_SX_SY_mSZ_S12_bEUlT_E_NS1_11comp_targetILNS1_3genE10ELNS1_11target_archE1200ELNS1_3gpuE4ELNS1_3repE0EEENS1_30default_config_static_selectorELNS0_4arch9wavefront6targetE0EEEvSW_
		.amdhsa_group_segment_fixed_size 0
		.amdhsa_private_segment_fixed_size 0
		.amdhsa_kernarg_size 56
		.amdhsa_user_sgpr_count 6
		.amdhsa_user_sgpr_private_segment_buffer 1
		.amdhsa_user_sgpr_dispatch_ptr 0
		.amdhsa_user_sgpr_queue_ptr 0
		.amdhsa_user_sgpr_kernarg_segment_ptr 1
		.amdhsa_user_sgpr_dispatch_id 0
		.amdhsa_user_sgpr_flat_scratch_init 0
		.amdhsa_user_sgpr_private_segment_size 0
		.amdhsa_wavefront_size32 1
		.amdhsa_uses_dynamic_stack 0
		.amdhsa_system_sgpr_private_segment_wavefront_offset 0
		.amdhsa_system_sgpr_workgroup_id_x 1
		.amdhsa_system_sgpr_workgroup_id_y 0
		.amdhsa_system_sgpr_workgroup_id_z 0
		.amdhsa_system_sgpr_workgroup_info 0
		.amdhsa_system_vgpr_workitem_id 0
		.amdhsa_next_free_vgpr 1
		.amdhsa_next_free_sgpr 1
		.amdhsa_reserve_vcc 0
		.amdhsa_reserve_flat_scratch 0
		.amdhsa_float_round_mode_32 0
		.amdhsa_float_round_mode_16_64 0
		.amdhsa_float_denorm_mode_32 3
		.amdhsa_float_denorm_mode_16_64 3
		.amdhsa_dx10_clamp 1
		.amdhsa_ieee_mode 1
		.amdhsa_fp16_overflow 0
		.amdhsa_workgroup_processor_mode 1
		.amdhsa_memory_ordered 1
		.amdhsa_forward_progress 1
		.amdhsa_shared_vgpr_count 0
		.amdhsa_exception_fp_ieee_invalid_op 0
		.amdhsa_exception_fp_denorm_src 0
		.amdhsa_exception_fp_ieee_div_zero 0
		.amdhsa_exception_fp_ieee_overflow 0
		.amdhsa_exception_fp_ieee_underflow 0
		.amdhsa_exception_fp_ieee_inexact 0
		.amdhsa_exception_int_div_zero 0
	.end_amdhsa_kernel
	.section	.text._ZN7rocprim17ROCPRIM_400000_NS6detail17trampoline_kernelINS0_14default_configENS1_27upper_bound_config_selectorIdlEEZNS1_14transform_implILb0ES3_S5_N6thrust23THRUST_200600_302600_NS6detail15normal_iteratorINS8_7pointerIdNS8_11hip_rocprim5par_tENS8_11use_defaultESE_EEEENSA_INSB_IlSD_SE_SE_EEEEZNS1_13binary_searchIS3_S5_PdSG_SI_NS1_21upper_bound_search_opENS9_16wrapped_functionINS8_6system6detail7generic6detail18binary_search_lessEbEEEE10hipError_tPvRmT1_T2_T3_mmT4_T5_P12ihipStream_tbEUlRKdE_EEST_SX_SY_mSZ_S12_bEUlT_E_NS1_11comp_targetILNS1_3genE10ELNS1_11target_archE1200ELNS1_3gpuE4ELNS1_3repE0EEENS1_30default_config_static_selectorELNS0_4arch9wavefront6targetE0EEEvSW_,"axG",@progbits,_ZN7rocprim17ROCPRIM_400000_NS6detail17trampoline_kernelINS0_14default_configENS1_27upper_bound_config_selectorIdlEEZNS1_14transform_implILb0ES3_S5_N6thrust23THRUST_200600_302600_NS6detail15normal_iteratorINS8_7pointerIdNS8_11hip_rocprim5par_tENS8_11use_defaultESE_EEEENSA_INSB_IlSD_SE_SE_EEEEZNS1_13binary_searchIS3_S5_PdSG_SI_NS1_21upper_bound_search_opENS9_16wrapped_functionINS8_6system6detail7generic6detail18binary_search_lessEbEEEE10hipError_tPvRmT1_T2_T3_mmT4_T5_P12ihipStream_tbEUlRKdE_EEST_SX_SY_mSZ_S12_bEUlT_E_NS1_11comp_targetILNS1_3genE10ELNS1_11target_archE1200ELNS1_3gpuE4ELNS1_3repE0EEENS1_30default_config_static_selectorELNS0_4arch9wavefront6targetE0EEEvSW_,comdat
.Lfunc_end168:
	.size	_ZN7rocprim17ROCPRIM_400000_NS6detail17trampoline_kernelINS0_14default_configENS1_27upper_bound_config_selectorIdlEEZNS1_14transform_implILb0ES3_S5_N6thrust23THRUST_200600_302600_NS6detail15normal_iteratorINS8_7pointerIdNS8_11hip_rocprim5par_tENS8_11use_defaultESE_EEEENSA_INSB_IlSD_SE_SE_EEEEZNS1_13binary_searchIS3_S5_PdSG_SI_NS1_21upper_bound_search_opENS9_16wrapped_functionINS8_6system6detail7generic6detail18binary_search_lessEbEEEE10hipError_tPvRmT1_T2_T3_mmT4_T5_P12ihipStream_tbEUlRKdE_EEST_SX_SY_mSZ_S12_bEUlT_E_NS1_11comp_targetILNS1_3genE10ELNS1_11target_archE1200ELNS1_3gpuE4ELNS1_3repE0EEENS1_30default_config_static_selectorELNS0_4arch9wavefront6targetE0EEEvSW_, .Lfunc_end168-_ZN7rocprim17ROCPRIM_400000_NS6detail17trampoline_kernelINS0_14default_configENS1_27upper_bound_config_selectorIdlEEZNS1_14transform_implILb0ES3_S5_N6thrust23THRUST_200600_302600_NS6detail15normal_iteratorINS8_7pointerIdNS8_11hip_rocprim5par_tENS8_11use_defaultESE_EEEENSA_INSB_IlSD_SE_SE_EEEEZNS1_13binary_searchIS3_S5_PdSG_SI_NS1_21upper_bound_search_opENS9_16wrapped_functionINS8_6system6detail7generic6detail18binary_search_lessEbEEEE10hipError_tPvRmT1_T2_T3_mmT4_T5_P12ihipStream_tbEUlRKdE_EEST_SX_SY_mSZ_S12_bEUlT_E_NS1_11comp_targetILNS1_3genE10ELNS1_11target_archE1200ELNS1_3gpuE4ELNS1_3repE0EEENS1_30default_config_static_selectorELNS0_4arch9wavefront6targetE0EEEvSW_
                                        ; -- End function
	.set _ZN7rocprim17ROCPRIM_400000_NS6detail17trampoline_kernelINS0_14default_configENS1_27upper_bound_config_selectorIdlEEZNS1_14transform_implILb0ES3_S5_N6thrust23THRUST_200600_302600_NS6detail15normal_iteratorINS8_7pointerIdNS8_11hip_rocprim5par_tENS8_11use_defaultESE_EEEENSA_INSB_IlSD_SE_SE_EEEEZNS1_13binary_searchIS3_S5_PdSG_SI_NS1_21upper_bound_search_opENS9_16wrapped_functionINS8_6system6detail7generic6detail18binary_search_lessEbEEEE10hipError_tPvRmT1_T2_T3_mmT4_T5_P12ihipStream_tbEUlRKdE_EEST_SX_SY_mSZ_S12_bEUlT_E_NS1_11comp_targetILNS1_3genE10ELNS1_11target_archE1200ELNS1_3gpuE4ELNS1_3repE0EEENS1_30default_config_static_selectorELNS0_4arch9wavefront6targetE0EEEvSW_.num_vgpr, 0
	.set _ZN7rocprim17ROCPRIM_400000_NS6detail17trampoline_kernelINS0_14default_configENS1_27upper_bound_config_selectorIdlEEZNS1_14transform_implILb0ES3_S5_N6thrust23THRUST_200600_302600_NS6detail15normal_iteratorINS8_7pointerIdNS8_11hip_rocprim5par_tENS8_11use_defaultESE_EEEENSA_INSB_IlSD_SE_SE_EEEEZNS1_13binary_searchIS3_S5_PdSG_SI_NS1_21upper_bound_search_opENS9_16wrapped_functionINS8_6system6detail7generic6detail18binary_search_lessEbEEEE10hipError_tPvRmT1_T2_T3_mmT4_T5_P12ihipStream_tbEUlRKdE_EEST_SX_SY_mSZ_S12_bEUlT_E_NS1_11comp_targetILNS1_3genE10ELNS1_11target_archE1200ELNS1_3gpuE4ELNS1_3repE0EEENS1_30default_config_static_selectorELNS0_4arch9wavefront6targetE0EEEvSW_.num_agpr, 0
	.set _ZN7rocprim17ROCPRIM_400000_NS6detail17trampoline_kernelINS0_14default_configENS1_27upper_bound_config_selectorIdlEEZNS1_14transform_implILb0ES3_S5_N6thrust23THRUST_200600_302600_NS6detail15normal_iteratorINS8_7pointerIdNS8_11hip_rocprim5par_tENS8_11use_defaultESE_EEEENSA_INSB_IlSD_SE_SE_EEEEZNS1_13binary_searchIS3_S5_PdSG_SI_NS1_21upper_bound_search_opENS9_16wrapped_functionINS8_6system6detail7generic6detail18binary_search_lessEbEEEE10hipError_tPvRmT1_T2_T3_mmT4_T5_P12ihipStream_tbEUlRKdE_EEST_SX_SY_mSZ_S12_bEUlT_E_NS1_11comp_targetILNS1_3genE10ELNS1_11target_archE1200ELNS1_3gpuE4ELNS1_3repE0EEENS1_30default_config_static_selectorELNS0_4arch9wavefront6targetE0EEEvSW_.numbered_sgpr, 0
	.set _ZN7rocprim17ROCPRIM_400000_NS6detail17trampoline_kernelINS0_14default_configENS1_27upper_bound_config_selectorIdlEEZNS1_14transform_implILb0ES3_S5_N6thrust23THRUST_200600_302600_NS6detail15normal_iteratorINS8_7pointerIdNS8_11hip_rocprim5par_tENS8_11use_defaultESE_EEEENSA_INSB_IlSD_SE_SE_EEEEZNS1_13binary_searchIS3_S5_PdSG_SI_NS1_21upper_bound_search_opENS9_16wrapped_functionINS8_6system6detail7generic6detail18binary_search_lessEbEEEE10hipError_tPvRmT1_T2_T3_mmT4_T5_P12ihipStream_tbEUlRKdE_EEST_SX_SY_mSZ_S12_bEUlT_E_NS1_11comp_targetILNS1_3genE10ELNS1_11target_archE1200ELNS1_3gpuE4ELNS1_3repE0EEENS1_30default_config_static_selectorELNS0_4arch9wavefront6targetE0EEEvSW_.num_named_barrier, 0
	.set _ZN7rocprim17ROCPRIM_400000_NS6detail17trampoline_kernelINS0_14default_configENS1_27upper_bound_config_selectorIdlEEZNS1_14transform_implILb0ES3_S5_N6thrust23THRUST_200600_302600_NS6detail15normal_iteratorINS8_7pointerIdNS8_11hip_rocprim5par_tENS8_11use_defaultESE_EEEENSA_INSB_IlSD_SE_SE_EEEEZNS1_13binary_searchIS3_S5_PdSG_SI_NS1_21upper_bound_search_opENS9_16wrapped_functionINS8_6system6detail7generic6detail18binary_search_lessEbEEEE10hipError_tPvRmT1_T2_T3_mmT4_T5_P12ihipStream_tbEUlRKdE_EEST_SX_SY_mSZ_S12_bEUlT_E_NS1_11comp_targetILNS1_3genE10ELNS1_11target_archE1200ELNS1_3gpuE4ELNS1_3repE0EEENS1_30default_config_static_selectorELNS0_4arch9wavefront6targetE0EEEvSW_.private_seg_size, 0
	.set _ZN7rocprim17ROCPRIM_400000_NS6detail17trampoline_kernelINS0_14default_configENS1_27upper_bound_config_selectorIdlEEZNS1_14transform_implILb0ES3_S5_N6thrust23THRUST_200600_302600_NS6detail15normal_iteratorINS8_7pointerIdNS8_11hip_rocprim5par_tENS8_11use_defaultESE_EEEENSA_INSB_IlSD_SE_SE_EEEEZNS1_13binary_searchIS3_S5_PdSG_SI_NS1_21upper_bound_search_opENS9_16wrapped_functionINS8_6system6detail7generic6detail18binary_search_lessEbEEEE10hipError_tPvRmT1_T2_T3_mmT4_T5_P12ihipStream_tbEUlRKdE_EEST_SX_SY_mSZ_S12_bEUlT_E_NS1_11comp_targetILNS1_3genE10ELNS1_11target_archE1200ELNS1_3gpuE4ELNS1_3repE0EEENS1_30default_config_static_selectorELNS0_4arch9wavefront6targetE0EEEvSW_.uses_vcc, 0
	.set _ZN7rocprim17ROCPRIM_400000_NS6detail17trampoline_kernelINS0_14default_configENS1_27upper_bound_config_selectorIdlEEZNS1_14transform_implILb0ES3_S5_N6thrust23THRUST_200600_302600_NS6detail15normal_iteratorINS8_7pointerIdNS8_11hip_rocprim5par_tENS8_11use_defaultESE_EEEENSA_INSB_IlSD_SE_SE_EEEEZNS1_13binary_searchIS3_S5_PdSG_SI_NS1_21upper_bound_search_opENS9_16wrapped_functionINS8_6system6detail7generic6detail18binary_search_lessEbEEEE10hipError_tPvRmT1_T2_T3_mmT4_T5_P12ihipStream_tbEUlRKdE_EEST_SX_SY_mSZ_S12_bEUlT_E_NS1_11comp_targetILNS1_3genE10ELNS1_11target_archE1200ELNS1_3gpuE4ELNS1_3repE0EEENS1_30default_config_static_selectorELNS0_4arch9wavefront6targetE0EEEvSW_.uses_flat_scratch, 0
	.set _ZN7rocprim17ROCPRIM_400000_NS6detail17trampoline_kernelINS0_14default_configENS1_27upper_bound_config_selectorIdlEEZNS1_14transform_implILb0ES3_S5_N6thrust23THRUST_200600_302600_NS6detail15normal_iteratorINS8_7pointerIdNS8_11hip_rocprim5par_tENS8_11use_defaultESE_EEEENSA_INSB_IlSD_SE_SE_EEEEZNS1_13binary_searchIS3_S5_PdSG_SI_NS1_21upper_bound_search_opENS9_16wrapped_functionINS8_6system6detail7generic6detail18binary_search_lessEbEEEE10hipError_tPvRmT1_T2_T3_mmT4_T5_P12ihipStream_tbEUlRKdE_EEST_SX_SY_mSZ_S12_bEUlT_E_NS1_11comp_targetILNS1_3genE10ELNS1_11target_archE1200ELNS1_3gpuE4ELNS1_3repE0EEENS1_30default_config_static_selectorELNS0_4arch9wavefront6targetE0EEEvSW_.has_dyn_sized_stack, 0
	.set _ZN7rocprim17ROCPRIM_400000_NS6detail17trampoline_kernelINS0_14default_configENS1_27upper_bound_config_selectorIdlEEZNS1_14transform_implILb0ES3_S5_N6thrust23THRUST_200600_302600_NS6detail15normal_iteratorINS8_7pointerIdNS8_11hip_rocprim5par_tENS8_11use_defaultESE_EEEENSA_INSB_IlSD_SE_SE_EEEEZNS1_13binary_searchIS3_S5_PdSG_SI_NS1_21upper_bound_search_opENS9_16wrapped_functionINS8_6system6detail7generic6detail18binary_search_lessEbEEEE10hipError_tPvRmT1_T2_T3_mmT4_T5_P12ihipStream_tbEUlRKdE_EEST_SX_SY_mSZ_S12_bEUlT_E_NS1_11comp_targetILNS1_3genE10ELNS1_11target_archE1200ELNS1_3gpuE4ELNS1_3repE0EEENS1_30default_config_static_selectorELNS0_4arch9wavefront6targetE0EEEvSW_.has_recursion, 0
	.set _ZN7rocprim17ROCPRIM_400000_NS6detail17trampoline_kernelINS0_14default_configENS1_27upper_bound_config_selectorIdlEEZNS1_14transform_implILb0ES3_S5_N6thrust23THRUST_200600_302600_NS6detail15normal_iteratorINS8_7pointerIdNS8_11hip_rocprim5par_tENS8_11use_defaultESE_EEEENSA_INSB_IlSD_SE_SE_EEEEZNS1_13binary_searchIS3_S5_PdSG_SI_NS1_21upper_bound_search_opENS9_16wrapped_functionINS8_6system6detail7generic6detail18binary_search_lessEbEEEE10hipError_tPvRmT1_T2_T3_mmT4_T5_P12ihipStream_tbEUlRKdE_EEST_SX_SY_mSZ_S12_bEUlT_E_NS1_11comp_targetILNS1_3genE10ELNS1_11target_archE1200ELNS1_3gpuE4ELNS1_3repE0EEENS1_30default_config_static_selectorELNS0_4arch9wavefront6targetE0EEEvSW_.has_indirect_call, 0
	.section	.AMDGPU.csdata,"",@progbits
; Kernel info:
; codeLenInByte = 0
; TotalNumSgprs: 0
; NumVgprs: 0
; ScratchSize: 0
; MemoryBound: 0
; FloatMode: 240
; IeeeMode: 1
; LDSByteSize: 0 bytes/workgroup (compile time only)
; SGPRBlocks: 0
; VGPRBlocks: 0
; NumSGPRsForWavesPerEU: 1
; NumVGPRsForWavesPerEU: 1
; Occupancy: 16
; WaveLimiterHint : 0
; COMPUTE_PGM_RSRC2:SCRATCH_EN: 0
; COMPUTE_PGM_RSRC2:USER_SGPR: 6
; COMPUTE_PGM_RSRC2:TRAP_HANDLER: 0
; COMPUTE_PGM_RSRC2:TGID_X_EN: 1
; COMPUTE_PGM_RSRC2:TGID_Y_EN: 0
; COMPUTE_PGM_RSRC2:TGID_Z_EN: 0
; COMPUTE_PGM_RSRC2:TIDIG_COMP_CNT: 0
	.section	.text._ZN7rocprim17ROCPRIM_400000_NS6detail17trampoline_kernelINS0_14default_configENS1_27upper_bound_config_selectorIdlEEZNS1_14transform_implILb0ES3_S5_N6thrust23THRUST_200600_302600_NS6detail15normal_iteratorINS8_7pointerIdNS8_11hip_rocprim5par_tENS8_11use_defaultESE_EEEENSA_INSB_IlSD_SE_SE_EEEEZNS1_13binary_searchIS3_S5_PdSG_SI_NS1_21upper_bound_search_opENS9_16wrapped_functionINS8_6system6detail7generic6detail18binary_search_lessEbEEEE10hipError_tPvRmT1_T2_T3_mmT4_T5_P12ihipStream_tbEUlRKdE_EEST_SX_SY_mSZ_S12_bEUlT_E_NS1_11comp_targetILNS1_3genE9ELNS1_11target_archE1100ELNS1_3gpuE3ELNS1_3repE0EEENS1_30default_config_static_selectorELNS0_4arch9wavefront6targetE0EEEvSW_,"axG",@progbits,_ZN7rocprim17ROCPRIM_400000_NS6detail17trampoline_kernelINS0_14default_configENS1_27upper_bound_config_selectorIdlEEZNS1_14transform_implILb0ES3_S5_N6thrust23THRUST_200600_302600_NS6detail15normal_iteratorINS8_7pointerIdNS8_11hip_rocprim5par_tENS8_11use_defaultESE_EEEENSA_INSB_IlSD_SE_SE_EEEEZNS1_13binary_searchIS3_S5_PdSG_SI_NS1_21upper_bound_search_opENS9_16wrapped_functionINS8_6system6detail7generic6detail18binary_search_lessEbEEEE10hipError_tPvRmT1_T2_T3_mmT4_T5_P12ihipStream_tbEUlRKdE_EEST_SX_SY_mSZ_S12_bEUlT_E_NS1_11comp_targetILNS1_3genE9ELNS1_11target_archE1100ELNS1_3gpuE3ELNS1_3repE0EEENS1_30default_config_static_selectorELNS0_4arch9wavefront6targetE0EEEvSW_,comdat
	.protected	_ZN7rocprim17ROCPRIM_400000_NS6detail17trampoline_kernelINS0_14default_configENS1_27upper_bound_config_selectorIdlEEZNS1_14transform_implILb0ES3_S5_N6thrust23THRUST_200600_302600_NS6detail15normal_iteratorINS8_7pointerIdNS8_11hip_rocprim5par_tENS8_11use_defaultESE_EEEENSA_INSB_IlSD_SE_SE_EEEEZNS1_13binary_searchIS3_S5_PdSG_SI_NS1_21upper_bound_search_opENS9_16wrapped_functionINS8_6system6detail7generic6detail18binary_search_lessEbEEEE10hipError_tPvRmT1_T2_T3_mmT4_T5_P12ihipStream_tbEUlRKdE_EEST_SX_SY_mSZ_S12_bEUlT_E_NS1_11comp_targetILNS1_3genE9ELNS1_11target_archE1100ELNS1_3gpuE3ELNS1_3repE0EEENS1_30default_config_static_selectorELNS0_4arch9wavefront6targetE0EEEvSW_ ; -- Begin function _ZN7rocprim17ROCPRIM_400000_NS6detail17trampoline_kernelINS0_14default_configENS1_27upper_bound_config_selectorIdlEEZNS1_14transform_implILb0ES3_S5_N6thrust23THRUST_200600_302600_NS6detail15normal_iteratorINS8_7pointerIdNS8_11hip_rocprim5par_tENS8_11use_defaultESE_EEEENSA_INSB_IlSD_SE_SE_EEEEZNS1_13binary_searchIS3_S5_PdSG_SI_NS1_21upper_bound_search_opENS9_16wrapped_functionINS8_6system6detail7generic6detail18binary_search_lessEbEEEE10hipError_tPvRmT1_T2_T3_mmT4_T5_P12ihipStream_tbEUlRKdE_EEST_SX_SY_mSZ_S12_bEUlT_E_NS1_11comp_targetILNS1_3genE9ELNS1_11target_archE1100ELNS1_3gpuE3ELNS1_3repE0EEENS1_30default_config_static_selectorELNS0_4arch9wavefront6targetE0EEEvSW_
	.globl	_ZN7rocprim17ROCPRIM_400000_NS6detail17trampoline_kernelINS0_14default_configENS1_27upper_bound_config_selectorIdlEEZNS1_14transform_implILb0ES3_S5_N6thrust23THRUST_200600_302600_NS6detail15normal_iteratorINS8_7pointerIdNS8_11hip_rocprim5par_tENS8_11use_defaultESE_EEEENSA_INSB_IlSD_SE_SE_EEEEZNS1_13binary_searchIS3_S5_PdSG_SI_NS1_21upper_bound_search_opENS9_16wrapped_functionINS8_6system6detail7generic6detail18binary_search_lessEbEEEE10hipError_tPvRmT1_T2_T3_mmT4_T5_P12ihipStream_tbEUlRKdE_EEST_SX_SY_mSZ_S12_bEUlT_E_NS1_11comp_targetILNS1_3genE9ELNS1_11target_archE1100ELNS1_3gpuE3ELNS1_3repE0EEENS1_30default_config_static_selectorELNS0_4arch9wavefront6targetE0EEEvSW_
	.p2align	8
	.type	_ZN7rocprim17ROCPRIM_400000_NS6detail17trampoline_kernelINS0_14default_configENS1_27upper_bound_config_selectorIdlEEZNS1_14transform_implILb0ES3_S5_N6thrust23THRUST_200600_302600_NS6detail15normal_iteratorINS8_7pointerIdNS8_11hip_rocprim5par_tENS8_11use_defaultESE_EEEENSA_INSB_IlSD_SE_SE_EEEEZNS1_13binary_searchIS3_S5_PdSG_SI_NS1_21upper_bound_search_opENS9_16wrapped_functionINS8_6system6detail7generic6detail18binary_search_lessEbEEEE10hipError_tPvRmT1_T2_T3_mmT4_T5_P12ihipStream_tbEUlRKdE_EEST_SX_SY_mSZ_S12_bEUlT_E_NS1_11comp_targetILNS1_3genE9ELNS1_11target_archE1100ELNS1_3gpuE3ELNS1_3repE0EEENS1_30default_config_static_selectorELNS0_4arch9wavefront6targetE0EEEvSW_,@function
_ZN7rocprim17ROCPRIM_400000_NS6detail17trampoline_kernelINS0_14default_configENS1_27upper_bound_config_selectorIdlEEZNS1_14transform_implILb0ES3_S5_N6thrust23THRUST_200600_302600_NS6detail15normal_iteratorINS8_7pointerIdNS8_11hip_rocprim5par_tENS8_11use_defaultESE_EEEENSA_INSB_IlSD_SE_SE_EEEEZNS1_13binary_searchIS3_S5_PdSG_SI_NS1_21upper_bound_search_opENS9_16wrapped_functionINS8_6system6detail7generic6detail18binary_search_lessEbEEEE10hipError_tPvRmT1_T2_T3_mmT4_T5_P12ihipStream_tbEUlRKdE_EEST_SX_SY_mSZ_S12_bEUlT_E_NS1_11comp_targetILNS1_3genE9ELNS1_11target_archE1100ELNS1_3gpuE3ELNS1_3repE0EEENS1_30default_config_static_selectorELNS0_4arch9wavefront6targetE0EEEvSW_: ; @_ZN7rocprim17ROCPRIM_400000_NS6detail17trampoline_kernelINS0_14default_configENS1_27upper_bound_config_selectorIdlEEZNS1_14transform_implILb0ES3_S5_N6thrust23THRUST_200600_302600_NS6detail15normal_iteratorINS8_7pointerIdNS8_11hip_rocprim5par_tENS8_11use_defaultESE_EEEENSA_INSB_IlSD_SE_SE_EEEEZNS1_13binary_searchIS3_S5_PdSG_SI_NS1_21upper_bound_search_opENS9_16wrapped_functionINS8_6system6detail7generic6detail18binary_search_lessEbEEEE10hipError_tPvRmT1_T2_T3_mmT4_T5_P12ihipStream_tbEUlRKdE_EEST_SX_SY_mSZ_S12_bEUlT_E_NS1_11comp_targetILNS1_3genE9ELNS1_11target_archE1100ELNS1_3gpuE3ELNS1_3repE0EEENS1_30default_config_static_selectorELNS0_4arch9wavefront6targetE0EEEvSW_
; %bb.0:
	.section	.rodata,"a",@progbits
	.p2align	6, 0x0
	.amdhsa_kernel _ZN7rocprim17ROCPRIM_400000_NS6detail17trampoline_kernelINS0_14default_configENS1_27upper_bound_config_selectorIdlEEZNS1_14transform_implILb0ES3_S5_N6thrust23THRUST_200600_302600_NS6detail15normal_iteratorINS8_7pointerIdNS8_11hip_rocprim5par_tENS8_11use_defaultESE_EEEENSA_INSB_IlSD_SE_SE_EEEEZNS1_13binary_searchIS3_S5_PdSG_SI_NS1_21upper_bound_search_opENS9_16wrapped_functionINS8_6system6detail7generic6detail18binary_search_lessEbEEEE10hipError_tPvRmT1_T2_T3_mmT4_T5_P12ihipStream_tbEUlRKdE_EEST_SX_SY_mSZ_S12_bEUlT_E_NS1_11comp_targetILNS1_3genE9ELNS1_11target_archE1100ELNS1_3gpuE3ELNS1_3repE0EEENS1_30default_config_static_selectorELNS0_4arch9wavefront6targetE0EEEvSW_
		.amdhsa_group_segment_fixed_size 0
		.amdhsa_private_segment_fixed_size 0
		.amdhsa_kernarg_size 56
		.amdhsa_user_sgpr_count 6
		.amdhsa_user_sgpr_private_segment_buffer 1
		.amdhsa_user_sgpr_dispatch_ptr 0
		.amdhsa_user_sgpr_queue_ptr 0
		.amdhsa_user_sgpr_kernarg_segment_ptr 1
		.amdhsa_user_sgpr_dispatch_id 0
		.amdhsa_user_sgpr_flat_scratch_init 0
		.amdhsa_user_sgpr_private_segment_size 0
		.amdhsa_wavefront_size32 1
		.amdhsa_uses_dynamic_stack 0
		.amdhsa_system_sgpr_private_segment_wavefront_offset 0
		.amdhsa_system_sgpr_workgroup_id_x 1
		.amdhsa_system_sgpr_workgroup_id_y 0
		.amdhsa_system_sgpr_workgroup_id_z 0
		.amdhsa_system_sgpr_workgroup_info 0
		.amdhsa_system_vgpr_workitem_id 0
		.amdhsa_next_free_vgpr 1
		.amdhsa_next_free_sgpr 1
		.amdhsa_reserve_vcc 0
		.amdhsa_reserve_flat_scratch 0
		.amdhsa_float_round_mode_32 0
		.amdhsa_float_round_mode_16_64 0
		.amdhsa_float_denorm_mode_32 3
		.amdhsa_float_denorm_mode_16_64 3
		.amdhsa_dx10_clamp 1
		.amdhsa_ieee_mode 1
		.amdhsa_fp16_overflow 0
		.amdhsa_workgroup_processor_mode 1
		.amdhsa_memory_ordered 1
		.amdhsa_forward_progress 1
		.amdhsa_shared_vgpr_count 0
		.amdhsa_exception_fp_ieee_invalid_op 0
		.amdhsa_exception_fp_denorm_src 0
		.amdhsa_exception_fp_ieee_div_zero 0
		.amdhsa_exception_fp_ieee_overflow 0
		.amdhsa_exception_fp_ieee_underflow 0
		.amdhsa_exception_fp_ieee_inexact 0
		.amdhsa_exception_int_div_zero 0
	.end_amdhsa_kernel
	.section	.text._ZN7rocprim17ROCPRIM_400000_NS6detail17trampoline_kernelINS0_14default_configENS1_27upper_bound_config_selectorIdlEEZNS1_14transform_implILb0ES3_S5_N6thrust23THRUST_200600_302600_NS6detail15normal_iteratorINS8_7pointerIdNS8_11hip_rocprim5par_tENS8_11use_defaultESE_EEEENSA_INSB_IlSD_SE_SE_EEEEZNS1_13binary_searchIS3_S5_PdSG_SI_NS1_21upper_bound_search_opENS9_16wrapped_functionINS8_6system6detail7generic6detail18binary_search_lessEbEEEE10hipError_tPvRmT1_T2_T3_mmT4_T5_P12ihipStream_tbEUlRKdE_EEST_SX_SY_mSZ_S12_bEUlT_E_NS1_11comp_targetILNS1_3genE9ELNS1_11target_archE1100ELNS1_3gpuE3ELNS1_3repE0EEENS1_30default_config_static_selectorELNS0_4arch9wavefront6targetE0EEEvSW_,"axG",@progbits,_ZN7rocprim17ROCPRIM_400000_NS6detail17trampoline_kernelINS0_14default_configENS1_27upper_bound_config_selectorIdlEEZNS1_14transform_implILb0ES3_S5_N6thrust23THRUST_200600_302600_NS6detail15normal_iteratorINS8_7pointerIdNS8_11hip_rocprim5par_tENS8_11use_defaultESE_EEEENSA_INSB_IlSD_SE_SE_EEEEZNS1_13binary_searchIS3_S5_PdSG_SI_NS1_21upper_bound_search_opENS9_16wrapped_functionINS8_6system6detail7generic6detail18binary_search_lessEbEEEE10hipError_tPvRmT1_T2_T3_mmT4_T5_P12ihipStream_tbEUlRKdE_EEST_SX_SY_mSZ_S12_bEUlT_E_NS1_11comp_targetILNS1_3genE9ELNS1_11target_archE1100ELNS1_3gpuE3ELNS1_3repE0EEENS1_30default_config_static_selectorELNS0_4arch9wavefront6targetE0EEEvSW_,comdat
.Lfunc_end169:
	.size	_ZN7rocprim17ROCPRIM_400000_NS6detail17trampoline_kernelINS0_14default_configENS1_27upper_bound_config_selectorIdlEEZNS1_14transform_implILb0ES3_S5_N6thrust23THRUST_200600_302600_NS6detail15normal_iteratorINS8_7pointerIdNS8_11hip_rocprim5par_tENS8_11use_defaultESE_EEEENSA_INSB_IlSD_SE_SE_EEEEZNS1_13binary_searchIS3_S5_PdSG_SI_NS1_21upper_bound_search_opENS9_16wrapped_functionINS8_6system6detail7generic6detail18binary_search_lessEbEEEE10hipError_tPvRmT1_T2_T3_mmT4_T5_P12ihipStream_tbEUlRKdE_EEST_SX_SY_mSZ_S12_bEUlT_E_NS1_11comp_targetILNS1_3genE9ELNS1_11target_archE1100ELNS1_3gpuE3ELNS1_3repE0EEENS1_30default_config_static_selectorELNS0_4arch9wavefront6targetE0EEEvSW_, .Lfunc_end169-_ZN7rocprim17ROCPRIM_400000_NS6detail17trampoline_kernelINS0_14default_configENS1_27upper_bound_config_selectorIdlEEZNS1_14transform_implILb0ES3_S5_N6thrust23THRUST_200600_302600_NS6detail15normal_iteratorINS8_7pointerIdNS8_11hip_rocprim5par_tENS8_11use_defaultESE_EEEENSA_INSB_IlSD_SE_SE_EEEEZNS1_13binary_searchIS3_S5_PdSG_SI_NS1_21upper_bound_search_opENS9_16wrapped_functionINS8_6system6detail7generic6detail18binary_search_lessEbEEEE10hipError_tPvRmT1_T2_T3_mmT4_T5_P12ihipStream_tbEUlRKdE_EEST_SX_SY_mSZ_S12_bEUlT_E_NS1_11comp_targetILNS1_3genE9ELNS1_11target_archE1100ELNS1_3gpuE3ELNS1_3repE0EEENS1_30default_config_static_selectorELNS0_4arch9wavefront6targetE0EEEvSW_
                                        ; -- End function
	.set _ZN7rocprim17ROCPRIM_400000_NS6detail17trampoline_kernelINS0_14default_configENS1_27upper_bound_config_selectorIdlEEZNS1_14transform_implILb0ES3_S5_N6thrust23THRUST_200600_302600_NS6detail15normal_iteratorINS8_7pointerIdNS8_11hip_rocprim5par_tENS8_11use_defaultESE_EEEENSA_INSB_IlSD_SE_SE_EEEEZNS1_13binary_searchIS3_S5_PdSG_SI_NS1_21upper_bound_search_opENS9_16wrapped_functionINS8_6system6detail7generic6detail18binary_search_lessEbEEEE10hipError_tPvRmT1_T2_T3_mmT4_T5_P12ihipStream_tbEUlRKdE_EEST_SX_SY_mSZ_S12_bEUlT_E_NS1_11comp_targetILNS1_3genE9ELNS1_11target_archE1100ELNS1_3gpuE3ELNS1_3repE0EEENS1_30default_config_static_selectorELNS0_4arch9wavefront6targetE0EEEvSW_.num_vgpr, 0
	.set _ZN7rocprim17ROCPRIM_400000_NS6detail17trampoline_kernelINS0_14default_configENS1_27upper_bound_config_selectorIdlEEZNS1_14transform_implILb0ES3_S5_N6thrust23THRUST_200600_302600_NS6detail15normal_iteratorINS8_7pointerIdNS8_11hip_rocprim5par_tENS8_11use_defaultESE_EEEENSA_INSB_IlSD_SE_SE_EEEEZNS1_13binary_searchIS3_S5_PdSG_SI_NS1_21upper_bound_search_opENS9_16wrapped_functionINS8_6system6detail7generic6detail18binary_search_lessEbEEEE10hipError_tPvRmT1_T2_T3_mmT4_T5_P12ihipStream_tbEUlRKdE_EEST_SX_SY_mSZ_S12_bEUlT_E_NS1_11comp_targetILNS1_3genE9ELNS1_11target_archE1100ELNS1_3gpuE3ELNS1_3repE0EEENS1_30default_config_static_selectorELNS0_4arch9wavefront6targetE0EEEvSW_.num_agpr, 0
	.set _ZN7rocprim17ROCPRIM_400000_NS6detail17trampoline_kernelINS0_14default_configENS1_27upper_bound_config_selectorIdlEEZNS1_14transform_implILb0ES3_S5_N6thrust23THRUST_200600_302600_NS6detail15normal_iteratorINS8_7pointerIdNS8_11hip_rocprim5par_tENS8_11use_defaultESE_EEEENSA_INSB_IlSD_SE_SE_EEEEZNS1_13binary_searchIS3_S5_PdSG_SI_NS1_21upper_bound_search_opENS9_16wrapped_functionINS8_6system6detail7generic6detail18binary_search_lessEbEEEE10hipError_tPvRmT1_T2_T3_mmT4_T5_P12ihipStream_tbEUlRKdE_EEST_SX_SY_mSZ_S12_bEUlT_E_NS1_11comp_targetILNS1_3genE9ELNS1_11target_archE1100ELNS1_3gpuE3ELNS1_3repE0EEENS1_30default_config_static_selectorELNS0_4arch9wavefront6targetE0EEEvSW_.numbered_sgpr, 0
	.set _ZN7rocprim17ROCPRIM_400000_NS6detail17trampoline_kernelINS0_14default_configENS1_27upper_bound_config_selectorIdlEEZNS1_14transform_implILb0ES3_S5_N6thrust23THRUST_200600_302600_NS6detail15normal_iteratorINS8_7pointerIdNS8_11hip_rocprim5par_tENS8_11use_defaultESE_EEEENSA_INSB_IlSD_SE_SE_EEEEZNS1_13binary_searchIS3_S5_PdSG_SI_NS1_21upper_bound_search_opENS9_16wrapped_functionINS8_6system6detail7generic6detail18binary_search_lessEbEEEE10hipError_tPvRmT1_T2_T3_mmT4_T5_P12ihipStream_tbEUlRKdE_EEST_SX_SY_mSZ_S12_bEUlT_E_NS1_11comp_targetILNS1_3genE9ELNS1_11target_archE1100ELNS1_3gpuE3ELNS1_3repE0EEENS1_30default_config_static_selectorELNS0_4arch9wavefront6targetE0EEEvSW_.num_named_barrier, 0
	.set _ZN7rocprim17ROCPRIM_400000_NS6detail17trampoline_kernelINS0_14default_configENS1_27upper_bound_config_selectorIdlEEZNS1_14transform_implILb0ES3_S5_N6thrust23THRUST_200600_302600_NS6detail15normal_iteratorINS8_7pointerIdNS8_11hip_rocprim5par_tENS8_11use_defaultESE_EEEENSA_INSB_IlSD_SE_SE_EEEEZNS1_13binary_searchIS3_S5_PdSG_SI_NS1_21upper_bound_search_opENS9_16wrapped_functionINS8_6system6detail7generic6detail18binary_search_lessEbEEEE10hipError_tPvRmT1_T2_T3_mmT4_T5_P12ihipStream_tbEUlRKdE_EEST_SX_SY_mSZ_S12_bEUlT_E_NS1_11comp_targetILNS1_3genE9ELNS1_11target_archE1100ELNS1_3gpuE3ELNS1_3repE0EEENS1_30default_config_static_selectorELNS0_4arch9wavefront6targetE0EEEvSW_.private_seg_size, 0
	.set _ZN7rocprim17ROCPRIM_400000_NS6detail17trampoline_kernelINS0_14default_configENS1_27upper_bound_config_selectorIdlEEZNS1_14transform_implILb0ES3_S5_N6thrust23THRUST_200600_302600_NS6detail15normal_iteratorINS8_7pointerIdNS8_11hip_rocprim5par_tENS8_11use_defaultESE_EEEENSA_INSB_IlSD_SE_SE_EEEEZNS1_13binary_searchIS3_S5_PdSG_SI_NS1_21upper_bound_search_opENS9_16wrapped_functionINS8_6system6detail7generic6detail18binary_search_lessEbEEEE10hipError_tPvRmT1_T2_T3_mmT4_T5_P12ihipStream_tbEUlRKdE_EEST_SX_SY_mSZ_S12_bEUlT_E_NS1_11comp_targetILNS1_3genE9ELNS1_11target_archE1100ELNS1_3gpuE3ELNS1_3repE0EEENS1_30default_config_static_selectorELNS0_4arch9wavefront6targetE0EEEvSW_.uses_vcc, 0
	.set _ZN7rocprim17ROCPRIM_400000_NS6detail17trampoline_kernelINS0_14default_configENS1_27upper_bound_config_selectorIdlEEZNS1_14transform_implILb0ES3_S5_N6thrust23THRUST_200600_302600_NS6detail15normal_iteratorINS8_7pointerIdNS8_11hip_rocprim5par_tENS8_11use_defaultESE_EEEENSA_INSB_IlSD_SE_SE_EEEEZNS1_13binary_searchIS3_S5_PdSG_SI_NS1_21upper_bound_search_opENS9_16wrapped_functionINS8_6system6detail7generic6detail18binary_search_lessEbEEEE10hipError_tPvRmT1_T2_T3_mmT4_T5_P12ihipStream_tbEUlRKdE_EEST_SX_SY_mSZ_S12_bEUlT_E_NS1_11comp_targetILNS1_3genE9ELNS1_11target_archE1100ELNS1_3gpuE3ELNS1_3repE0EEENS1_30default_config_static_selectorELNS0_4arch9wavefront6targetE0EEEvSW_.uses_flat_scratch, 0
	.set _ZN7rocprim17ROCPRIM_400000_NS6detail17trampoline_kernelINS0_14default_configENS1_27upper_bound_config_selectorIdlEEZNS1_14transform_implILb0ES3_S5_N6thrust23THRUST_200600_302600_NS6detail15normal_iteratorINS8_7pointerIdNS8_11hip_rocprim5par_tENS8_11use_defaultESE_EEEENSA_INSB_IlSD_SE_SE_EEEEZNS1_13binary_searchIS3_S5_PdSG_SI_NS1_21upper_bound_search_opENS9_16wrapped_functionINS8_6system6detail7generic6detail18binary_search_lessEbEEEE10hipError_tPvRmT1_T2_T3_mmT4_T5_P12ihipStream_tbEUlRKdE_EEST_SX_SY_mSZ_S12_bEUlT_E_NS1_11comp_targetILNS1_3genE9ELNS1_11target_archE1100ELNS1_3gpuE3ELNS1_3repE0EEENS1_30default_config_static_selectorELNS0_4arch9wavefront6targetE0EEEvSW_.has_dyn_sized_stack, 0
	.set _ZN7rocprim17ROCPRIM_400000_NS6detail17trampoline_kernelINS0_14default_configENS1_27upper_bound_config_selectorIdlEEZNS1_14transform_implILb0ES3_S5_N6thrust23THRUST_200600_302600_NS6detail15normal_iteratorINS8_7pointerIdNS8_11hip_rocprim5par_tENS8_11use_defaultESE_EEEENSA_INSB_IlSD_SE_SE_EEEEZNS1_13binary_searchIS3_S5_PdSG_SI_NS1_21upper_bound_search_opENS9_16wrapped_functionINS8_6system6detail7generic6detail18binary_search_lessEbEEEE10hipError_tPvRmT1_T2_T3_mmT4_T5_P12ihipStream_tbEUlRKdE_EEST_SX_SY_mSZ_S12_bEUlT_E_NS1_11comp_targetILNS1_3genE9ELNS1_11target_archE1100ELNS1_3gpuE3ELNS1_3repE0EEENS1_30default_config_static_selectorELNS0_4arch9wavefront6targetE0EEEvSW_.has_recursion, 0
	.set _ZN7rocprim17ROCPRIM_400000_NS6detail17trampoline_kernelINS0_14default_configENS1_27upper_bound_config_selectorIdlEEZNS1_14transform_implILb0ES3_S5_N6thrust23THRUST_200600_302600_NS6detail15normal_iteratorINS8_7pointerIdNS8_11hip_rocprim5par_tENS8_11use_defaultESE_EEEENSA_INSB_IlSD_SE_SE_EEEEZNS1_13binary_searchIS3_S5_PdSG_SI_NS1_21upper_bound_search_opENS9_16wrapped_functionINS8_6system6detail7generic6detail18binary_search_lessEbEEEE10hipError_tPvRmT1_T2_T3_mmT4_T5_P12ihipStream_tbEUlRKdE_EEST_SX_SY_mSZ_S12_bEUlT_E_NS1_11comp_targetILNS1_3genE9ELNS1_11target_archE1100ELNS1_3gpuE3ELNS1_3repE0EEENS1_30default_config_static_selectorELNS0_4arch9wavefront6targetE0EEEvSW_.has_indirect_call, 0
	.section	.AMDGPU.csdata,"",@progbits
; Kernel info:
; codeLenInByte = 0
; TotalNumSgprs: 0
; NumVgprs: 0
; ScratchSize: 0
; MemoryBound: 0
; FloatMode: 240
; IeeeMode: 1
; LDSByteSize: 0 bytes/workgroup (compile time only)
; SGPRBlocks: 0
; VGPRBlocks: 0
; NumSGPRsForWavesPerEU: 1
; NumVGPRsForWavesPerEU: 1
; Occupancy: 16
; WaveLimiterHint : 0
; COMPUTE_PGM_RSRC2:SCRATCH_EN: 0
; COMPUTE_PGM_RSRC2:USER_SGPR: 6
; COMPUTE_PGM_RSRC2:TRAP_HANDLER: 0
; COMPUTE_PGM_RSRC2:TGID_X_EN: 1
; COMPUTE_PGM_RSRC2:TGID_Y_EN: 0
; COMPUTE_PGM_RSRC2:TGID_Z_EN: 0
; COMPUTE_PGM_RSRC2:TIDIG_COMP_CNT: 0
	.section	.text._ZN7rocprim17ROCPRIM_400000_NS6detail17trampoline_kernelINS0_14default_configENS1_27upper_bound_config_selectorIdlEEZNS1_14transform_implILb0ES3_S5_N6thrust23THRUST_200600_302600_NS6detail15normal_iteratorINS8_7pointerIdNS8_11hip_rocprim5par_tENS8_11use_defaultESE_EEEENSA_INSB_IlSD_SE_SE_EEEEZNS1_13binary_searchIS3_S5_PdSG_SI_NS1_21upper_bound_search_opENS9_16wrapped_functionINS8_6system6detail7generic6detail18binary_search_lessEbEEEE10hipError_tPvRmT1_T2_T3_mmT4_T5_P12ihipStream_tbEUlRKdE_EEST_SX_SY_mSZ_S12_bEUlT_E_NS1_11comp_targetILNS1_3genE8ELNS1_11target_archE1030ELNS1_3gpuE2ELNS1_3repE0EEENS1_30default_config_static_selectorELNS0_4arch9wavefront6targetE0EEEvSW_,"axG",@progbits,_ZN7rocprim17ROCPRIM_400000_NS6detail17trampoline_kernelINS0_14default_configENS1_27upper_bound_config_selectorIdlEEZNS1_14transform_implILb0ES3_S5_N6thrust23THRUST_200600_302600_NS6detail15normal_iteratorINS8_7pointerIdNS8_11hip_rocprim5par_tENS8_11use_defaultESE_EEEENSA_INSB_IlSD_SE_SE_EEEEZNS1_13binary_searchIS3_S5_PdSG_SI_NS1_21upper_bound_search_opENS9_16wrapped_functionINS8_6system6detail7generic6detail18binary_search_lessEbEEEE10hipError_tPvRmT1_T2_T3_mmT4_T5_P12ihipStream_tbEUlRKdE_EEST_SX_SY_mSZ_S12_bEUlT_E_NS1_11comp_targetILNS1_3genE8ELNS1_11target_archE1030ELNS1_3gpuE2ELNS1_3repE0EEENS1_30default_config_static_selectorELNS0_4arch9wavefront6targetE0EEEvSW_,comdat
	.protected	_ZN7rocprim17ROCPRIM_400000_NS6detail17trampoline_kernelINS0_14default_configENS1_27upper_bound_config_selectorIdlEEZNS1_14transform_implILb0ES3_S5_N6thrust23THRUST_200600_302600_NS6detail15normal_iteratorINS8_7pointerIdNS8_11hip_rocprim5par_tENS8_11use_defaultESE_EEEENSA_INSB_IlSD_SE_SE_EEEEZNS1_13binary_searchIS3_S5_PdSG_SI_NS1_21upper_bound_search_opENS9_16wrapped_functionINS8_6system6detail7generic6detail18binary_search_lessEbEEEE10hipError_tPvRmT1_T2_T3_mmT4_T5_P12ihipStream_tbEUlRKdE_EEST_SX_SY_mSZ_S12_bEUlT_E_NS1_11comp_targetILNS1_3genE8ELNS1_11target_archE1030ELNS1_3gpuE2ELNS1_3repE0EEENS1_30default_config_static_selectorELNS0_4arch9wavefront6targetE0EEEvSW_ ; -- Begin function _ZN7rocprim17ROCPRIM_400000_NS6detail17trampoline_kernelINS0_14default_configENS1_27upper_bound_config_selectorIdlEEZNS1_14transform_implILb0ES3_S5_N6thrust23THRUST_200600_302600_NS6detail15normal_iteratorINS8_7pointerIdNS8_11hip_rocprim5par_tENS8_11use_defaultESE_EEEENSA_INSB_IlSD_SE_SE_EEEEZNS1_13binary_searchIS3_S5_PdSG_SI_NS1_21upper_bound_search_opENS9_16wrapped_functionINS8_6system6detail7generic6detail18binary_search_lessEbEEEE10hipError_tPvRmT1_T2_T3_mmT4_T5_P12ihipStream_tbEUlRKdE_EEST_SX_SY_mSZ_S12_bEUlT_E_NS1_11comp_targetILNS1_3genE8ELNS1_11target_archE1030ELNS1_3gpuE2ELNS1_3repE0EEENS1_30default_config_static_selectorELNS0_4arch9wavefront6targetE0EEEvSW_
	.globl	_ZN7rocprim17ROCPRIM_400000_NS6detail17trampoline_kernelINS0_14default_configENS1_27upper_bound_config_selectorIdlEEZNS1_14transform_implILb0ES3_S5_N6thrust23THRUST_200600_302600_NS6detail15normal_iteratorINS8_7pointerIdNS8_11hip_rocprim5par_tENS8_11use_defaultESE_EEEENSA_INSB_IlSD_SE_SE_EEEEZNS1_13binary_searchIS3_S5_PdSG_SI_NS1_21upper_bound_search_opENS9_16wrapped_functionINS8_6system6detail7generic6detail18binary_search_lessEbEEEE10hipError_tPvRmT1_T2_T3_mmT4_T5_P12ihipStream_tbEUlRKdE_EEST_SX_SY_mSZ_S12_bEUlT_E_NS1_11comp_targetILNS1_3genE8ELNS1_11target_archE1030ELNS1_3gpuE2ELNS1_3repE0EEENS1_30default_config_static_selectorELNS0_4arch9wavefront6targetE0EEEvSW_
	.p2align	8
	.type	_ZN7rocprim17ROCPRIM_400000_NS6detail17trampoline_kernelINS0_14default_configENS1_27upper_bound_config_selectorIdlEEZNS1_14transform_implILb0ES3_S5_N6thrust23THRUST_200600_302600_NS6detail15normal_iteratorINS8_7pointerIdNS8_11hip_rocprim5par_tENS8_11use_defaultESE_EEEENSA_INSB_IlSD_SE_SE_EEEEZNS1_13binary_searchIS3_S5_PdSG_SI_NS1_21upper_bound_search_opENS9_16wrapped_functionINS8_6system6detail7generic6detail18binary_search_lessEbEEEE10hipError_tPvRmT1_T2_T3_mmT4_T5_P12ihipStream_tbEUlRKdE_EEST_SX_SY_mSZ_S12_bEUlT_E_NS1_11comp_targetILNS1_3genE8ELNS1_11target_archE1030ELNS1_3gpuE2ELNS1_3repE0EEENS1_30default_config_static_selectorELNS0_4arch9wavefront6targetE0EEEvSW_,@function
_ZN7rocprim17ROCPRIM_400000_NS6detail17trampoline_kernelINS0_14default_configENS1_27upper_bound_config_selectorIdlEEZNS1_14transform_implILb0ES3_S5_N6thrust23THRUST_200600_302600_NS6detail15normal_iteratorINS8_7pointerIdNS8_11hip_rocprim5par_tENS8_11use_defaultESE_EEEENSA_INSB_IlSD_SE_SE_EEEEZNS1_13binary_searchIS3_S5_PdSG_SI_NS1_21upper_bound_search_opENS9_16wrapped_functionINS8_6system6detail7generic6detail18binary_search_lessEbEEEE10hipError_tPvRmT1_T2_T3_mmT4_T5_P12ihipStream_tbEUlRKdE_EEST_SX_SY_mSZ_S12_bEUlT_E_NS1_11comp_targetILNS1_3genE8ELNS1_11target_archE1030ELNS1_3gpuE2ELNS1_3repE0EEENS1_30default_config_static_selectorELNS0_4arch9wavefront6targetE0EEEvSW_: ; @_ZN7rocprim17ROCPRIM_400000_NS6detail17trampoline_kernelINS0_14default_configENS1_27upper_bound_config_selectorIdlEEZNS1_14transform_implILb0ES3_S5_N6thrust23THRUST_200600_302600_NS6detail15normal_iteratorINS8_7pointerIdNS8_11hip_rocprim5par_tENS8_11use_defaultESE_EEEENSA_INSB_IlSD_SE_SE_EEEEZNS1_13binary_searchIS3_S5_PdSG_SI_NS1_21upper_bound_search_opENS9_16wrapped_functionINS8_6system6detail7generic6detail18binary_search_lessEbEEEE10hipError_tPvRmT1_T2_T3_mmT4_T5_P12ihipStream_tbEUlRKdE_EEST_SX_SY_mSZ_S12_bEUlT_E_NS1_11comp_targetILNS1_3genE8ELNS1_11target_archE1030ELNS1_3gpuE2ELNS1_3repE0EEENS1_30default_config_static_selectorELNS0_4arch9wavefront6targetE0EEEvSW_
; %bb.0:
	s_clause 0x3
	s_load_dwordx4 s[16:19], s[4:5], 0x0
	s_load_dwordx4 s[0:3], s[4:5], 0x18
	s_load_dword s15, s[4:5], 0x38
	s_load_dwordx2 s[10:11], s[4:5], 0x28
	s_waitcnt lgkmcnt(0)
	s_lshl_b64 s[8:9], s[18:19], 3
	s_add_u32 s13, s16, s8
	s_addc_u32 s14, s17, s9
	s_add_u32 s7, s0, s8
	s_addc_u32 s12, s1, s9
	s_add_i32 s15, s15, -1
	s_lshl_b32 s8, s6, 8
	s_mov_b32 s9, 0
	s_cmp_lg_u32 s6, s15
	s_mov_b32 s0, -1
	s_cbranch_scc0 .LBB170_7
; %bb.1:
	s_cmp_eq_u64 s[10:11], 0
	s_cbranch_scc1 .LBB170_5
; %bb.2:
	v_lshlrev_b32_e32 v1, 3, v0
	s_lshl_b64 s[0:1], s[8:9], 3
	v_mov_b32_e32 v5, s10
	s_add_u32 s0, s13, s0
	s_addc_u32 s1, s14, s1
	v_add_co_u32 v1, s0, s0, v1
	v_add_co_ci_u32_e64 v2, null, s1, 0, s0
	v_mov_b32_e32 v6, s11
	s_mov_b32 s1, 0
	flat_load_dwordx2 v[3:4], v[1:2]
	v_mov_b32_e32 v1, 0
	v_mov_b32_e32 v2, 0
	s_inst_prefetch 0x1
	.p2align	6
.LBB170_3:                              ; =>This Inner Loop Header: Depth=1
	v_sub_co_u32 v7, vcc_lo, v5, v1
	v_sub_co_ci_u32_e64 v8, null, v6, v2, vcc_lo
	v_lshrrev_b64 v[9:10], 1, v[7:8]
	v_lshrrev_b64 v[7:8], 6, v[7:8]
	v_add_co_u32 v9, vcc_lo, v9, v1
	v_add_co_ci_u32_e64 v10, null, v10, v2, vcc_lo
	v_add_co_u32 v7, vcc_lo, v9, v7
	v_add_co_ci_u32_e64 v8, null, v10, v8, vcc_lo
	v_lshlrev_b64 v[9:10], 3, v[7:8]
	v_add_co_u32 v9, vcc_lo, s2, v9
	v_add_co_ci_u32_e64 v10, null, s3, v10, vcc_lo
	global_load_dwordx2 v[9:10], v[9:10], off
	s_waitcnt vmcnt(0) lgkmcnt(0)
	v_cmp_lt_f64_e32 vcc_lo, v[3:4], v[9:10]
	v_add_co_u32 v9, s0, v7, 1
	v_add_co_ci_u32_e64 v10, null, 0, v8, s0
	v_cndmask_b32_e32 v6, v6, v8, vcc_lo
	v_cndmask_b32_e32 v5, v5, v7, vcc_lo
	v_cndmask_b32_e32 v2, v10, v2, vcc_lo
	v_cndmask_b32_e32 v1, v9, v1, vcc_lo
	v_cmp_ge_u64_e32 vcc_lo, v[1:2], v[5:6]
	s_or_b32 s1, vcc_lo, s1
	s_andn2_b32 exec_lo, exec_lo, s1
	s_cbranch_execnz .LBB170_3
; %bb.4:
	s_inst_prefetch 0x2
	s_or_b32 exec_lo, exec_lo, s1
	s_branch .LBB170_6
.LBB170_5:
	v_mov_b32_e32 v1, 0
	v_mov_b32_e32 v2, 0
.LBB170_6:
	v_lshlrev_b32_e32 v3, 3, v0
	s_lshl_b64 s[0:1], s[8:9], 3
	s_add_u32 s0, s7, s0
	s_addc_u32 s1, s12, s1
	v_add_co_u32 v3, s0, s0, v3
	v_add_co_ci_u32_e64 v4, null, s1, 0, s0
	s_mov_b32 s0, 0
	flat_store_dwordx2 v[3:4], v[1:2]
.LBB170_7:
	s_and_b32 vcc_lo, exec_lo, s0
	s_cbranch_vccz .LBB170_16
; %bb.8:
	s_load_dword s0, s[4:5], 0x10
                                        ; implicit-def: $vgpr3_vgpr4
	s_waitcnt lgkmcnt(0)
	s_sub_i32 s1, s0, s8
	v_cmp_le_u32_e64 s0, s1, v0
	v_cmp_gt_u32_e32 vcc_lo, s1, v0
	s_and_saveexec_b32 s1, vcc_lo
	s_cbranch_execz .LBB170_10
; %bb.9:
	v_lshlrev_b32_e32 v1, 3, v0
	s_lshl_b64 s[4:5], s[8:9], 3
	s_add_u32 s4, s13, s4
	s_addc_u32 s5, s14, s5
	v_add_co_u32 v1, s4, s4, v1
	v_add_co_ci_u32_e64 v2, null, s5, 0, s4
	flat_load_dwordx2 v[3:4], v[1:2]
.LBB170_10:
	s_or_b32 exec_lo, exec_lo, s1
	s_cmp_lg_u64 s[10:11], 0
	v_mov_b32_e32 v1, 0
	v_mov_b32_e32 v2, 0
	s_cselect_b32 s1, -1, 0
	s_xor_b32 s0, s0, -1
	s_and_b32 s0, s0, s1
	s_and_saveexec_b32 s4, s0
	s_cbranch_execz .LBB170_14
; %bb.11:
	v_mov_b32_e32 v1, 0
	v_mov_b32_e32 v5, s10
	;; [unrolled: 1-line block ×4, first 2 shown]
	s_mov_b32 s5, 0
	s_inst_prefetch 0x1
	.p2align	6
.LBB170_12:                             ; =>This Inner Loop Header: Depth=1
	v_sub_co_u32 v7, s0, v5, v1
	v_sub_co_ci_u32_e64 v8, null, v6, v2, s0
	v_lshrrev_b64 v[9:10], 1, v[7:8]
	v_lshrrev_b64 v[7:8], 6, v[7:8]
	v_add_co_u32 v9, s0, v9, v1
	v_add_co_ci_u32_e64 v10, null, v10, v2, s0
	v_add_co_u32 v7, s0, v9, v7
	v_add_co_ci_u32_e64 v8, null, v10, v8, s0
	v_lshlrev_b64 v[9:10], 3, v[7:8]
	v_add_co_u32 v9, s0, s2, v9
	v_add_co_ci_u32_e64 v10, null, s3, v10, s0
	global_load_dwordx2 v[9:10], v[9:10], off
	s_waitcnt vmcnt(0) lgkmcnt(0)
	v_cmp_lt_f64_e64 s0, v[3:4], v[9:10]
	v_add_co_u32 v9, s1, v7, 1
	v_add_co_ci_u32_e64 v10, null, 0, v8, s1
	v_cndmask_b32_e64 v6, v6, v8, s0
	v_cndmask_b32_e64 v5, v5, v7, s0
	;; [unrolled: 1-line block ×4, first 2 shown]
	v_cmp_ge_u64_e64 s0, v[1:2], v[5:6]
	s_or_b32 s5, s0, s5
	s_andn2_b32 exec_lo, exec_lo, s5
	s_cbranch_execnz .LBB170_12
; %bb.13:
	s_inst_prefetch 0x2
	s_or_b32 exec_lo, exec_lo, s5
.LBB170_14:
	s_or_b32 exec_lo, exec_lo, s4
	s_and_saveexec_b32 s0, vcc_lo
	s_cbranch_execz .LBB170_16
; %bb.15:
	v_lshlrev_b32_e32 v0, 3, v0
	s_lshl_b64 s[0:1], s[8:9], 3
	s_add_u32 s0, s7, s0
	s_addc_u32 s1, s12, s1
	s_waitcnt vmcnt(0) lgkmcnt(0)
	v_add_co_u32 v3, s0, s0, v0
	v_add_co_ci_u32_e64 v4, null, s1, 0, s0
	flat_store_dwordx2 v[3:4], v[1:2]
.LBB170_16:
	s_endpgm
	.section	.rodata,"a",@progbits
	.p2align	6, 0x0
	.amdhsa_kernel _ZN7rocprim17ROCPRIM_400000_NS6detail17trampoline_kernelINS0_14default_configENS1_27upper_bound_config_selectorIdlEEZNS1_14transform_implILb0ES3_S5_N6thrust23THRUST_200600_302600_NS6detail15normal_iteratorINS8_7pointerIdNS8_11hip_rocprim5par_tENS8_11use_defaultESE_EEEENSA_INSB_IlSD_SE_SE_EEEEZNS1_13binary_searchIS3_S5_PdSG_SI_NS1_21upper_bound_search_opENS9_16wrapped_functionINS8_6system6detail7generic6detail18binary_search_lessEbEEEE10hipError_tPvRmT1_T2_T3_mmT4_T5_P12ihipStream_tbEUlRKdE_EEST_SX_SY_mSZ_S12_bEUlT_E_NS1_11comp_targetILNS1_3genE8ELNS1_11target_archE1030ELNS1_3gpuE2ELNS1_3repE0EEENS1_30default_config_static_selectorELNS0_4arch9wavefront6targetE0EEEvSW_
		.amdhsa_group_segment_fixed_size 0
		.amdhsa_private_segment_fixed_size 0
		.amdhsa_kernarg_size 312
		.amdhsa_user_sgpr_count 6
		.amdhsa_user_sgpr_private_segment_buffer 1
		.amdhsa_user_sgpr_dispatch_ptr 0
		.amdhsa_user_sgpr_queue_ptr 0
		.amdhsa_user_sgpr_kernarg_segment_ptr 1
		.amdhsa_user_sgpr_dispatch_id 0
		.amdhsa_user_sgpr_flat_scratch_init 0
		.amdhsa_user_sgpr_private_segment_size 0
		.amdhsa_wavefront_size32 1
		.amdhsa_uses_dynamic_stack 0
		.amdhsa_system_sgpr_private_segment_wavefront_offset 0
		.amdhsa_system_sgpr_workgroup_id_x 1
		.amdhsa_system_sgpr_workgroup_id_y 0
		.amdhsa_system_sgpr_workgroup_id_z 0
		.amdhsa_system_sgpr_workgroup_info 0
		.amdhsa_system_vgpr_workitem_id 0
		.amdhsa_next_free_vgpr 11
		.amdhsa_next_free_sgpr 20
		.amdhsa_reserve_vcc 1
		.amdhsa_reserve_flat_scratch 0
		.amdhsa_float_round_mode_32 0
		.amdhsa_float_round_mode_16_64 0
		.amdhsa_float_denorm_mode_32 3
		.amdhsa_float_denorm_mode_16_64 3
		.amdhsa_dx10_clamp 1
		.amdhsa_ieee_mode 1
		.amdhsa_fp16_overflow 0
		.amdhsa_workgroup_processor_mode 1
		.amdhsa_memory_ordered 1
		.amdhsa_forward_progress 1
		.amdhsa_shared_vgpr_count 0
		.amdhsa_exception_fp_ieee_invalid_op 0
		.amdhsa_exception_fp_denorm_src 0
		.amdhsa_exception_fp_ieee_div_zero 0
		.amdhsa_exception_fp_ieee_overflow 0
		.amdhsa_exception_fp_ieee_underflow 0
		.amdhsa_exception_fp_ieee_inexact 0
		.amdhsa_exception_int_div_zero 0
	.end_amdhsa_kernel
	.section	.text._ZN7rocprim17ROCPRIM_400000_NS6detail17trampoline_kernelINS0_14default_configENS1_27upper_bound_config_selectorIdlEEZNS1_14transform_implILb0ES3_S5_N6thrust23THRUST_200600_302600_NS6detail15normal_iteratorINS8_7pointerIdNS8_11hip_rocprim5par_tENS8_11use_defaultESE_EEEENSA_INSB_IlSD_SE_SE_EEEEZNS1_13binary_searchIS3_S5_PdSG_SI_NS1_21upper_bound_search_opENS9_16wrapped_functionINS8_6system6detail7generic6detail18binary_search_lessEbEEEE10hipError_tPvRmT1_T2_T3_mmT4_T5_P12ihipStream_tbEUlRKdE_EEST_SX_SY_mSZ_S12_bEUlT_E_NS1_11comp_targetILNS1_3genE8ELNS1_11target_archE1030ELNS1_3gpuE2ELNS1_3repE0EEENS1_30default_config_static_selectorELNS0_4arch9wavefront6targetE0EEEvSW_,"axG",@progbits,_ZN7rocprim17ROCPRIM_400000_NS6detail17trampoline_kernelINS0_14default_configENS1_27upper_bound_config_selectorIdlEEZNS1_14transform_implILb0ES3_S5_N6thrust23THRUST_200600_302600_NS6detail15normal_iteratorINS8_7pointerIdNS8_11hip_rocprim5par_tENS8_11use_defaultESE_EEEENSA_INSB_IlSD_SE_SE_EEEEZNS1_13binary_searchIS3_S5_PdSG_SI_NS1_21upper_bound_search_opENS9_16wrapped_functionINS8_6system6detail7generic6detail18binary_search_lessEbEEEE10hipError_tPvRmT1_T2_T3_mmT4_T5_P12ihipStream_tbEUlRKdE_EEST_SX_SY_mSZ_S12_bEUlT_E_NS1_11comp_targetILNS1_3genE8ELNS1_11target_archE1030ELNS1_3gpuE2ELNS1_3repE0EEENS1_30default_config_static_selectorELNS0_4arch9wavefront6targetE0EEEvSW_,comdat
.Lfunc_end170:
	.size	_ZN7rocprim17ROCPRIM_400000_NS6detail17trampoline_kernelINS0_14default_configENS1_27upper_bound_config_selectorIdlEEZNS1_14transform_implILb0ES3_S5_N6thrust23THRUST_200600_302600_NS6detail15normal_iteratorINS8_7pointerIdNS8_11hip_rocprim5par_tENS8_11use_defaultESE_EEEENSA_INSB_IlSD_SE_SE_EEEEZNS1_13binary_searchIS3_S5_PdSG_SI_NS1_21upper_bound_search_opENS9_16wrapped_functionINS8_6system6detail7generic6detail18binary_search_lessEbEEEE10hipError_tPvRmT1_T2_T3_mmT4_T5_P12ihipStream_tbEUlRKdE_EEST_SX_SY_mSZ_S12_bEUlT_E_NS1_11comp_targetILNS1_3genE8ELNS1_11target_archE1030ELNS1_3gpuE2ELNS1_3repE0EEENS1_30default_config_static_selectorELNS0_4arch9wavefront6targetE0EEEvSW_, .Lfunc_end170-_ZN7rocprim17ROCPRIM_400000_NS6detail17trampoline_kernelINS0_14default_configENS1_27upper_bound_config_selectorIdlEEZNS1_14transform_implILb0ES3_S5_N6thrust23THRUST_200600_302600_NS6detail15normal_iteratorINS8_7pointerIdNS8_11hip_rocprim5par_tENS8_11use_defaultESE_EEEENSA_INSB_IlSD_SE_SE_EEEEZNS1_13binary_searchIS3_S5_PdSG_SI_NS1_21upper_bound_search_opENS9_16wrapped_functionINS8_6system6detail7generic6detail18binary_search_lessEbEEEE10hipError_tPvRmT1_T2_T3_mmT4_T5_P12ihipStream_tbEUlRKdE_EEST_SX_SY_mSZ_S12_bEUlT_E_NS1_11comp_targetILNS1_3genE8ELNS1_11target_archE1030ELNS1_3gpuE2ELNS1_3repE0EEENS1_30default_config_static_selectorELNS0_4arch9wavefront6targetE0EEEvSW_
                                        ; -- End function
	.set _ZN7rocprim17ROCPRIM_400000_NS6detail17trampoline_kernelINS0_14default_configENS1_27upper_bound_config_selectorIdlEEZNS1_14transform_implILb0ES3_S5_N6thrust23THRUST_200600_302600_NS6detail15normal_iteratorINS8_7pointerIdNS8_11hip_rocprim5par_tENS8_11use_defaultESE_EEEENSA_INSB_IlSD_SE_SE_EEEEZNS1_13binary_searchIS3_S5_PdSG_SI_NS1_21upper_bound_search_opENS9_16wrapped_functionINS8_6system6detail7generic6detail18binary_search_lessEbEEEE10hipError_tPvRmT1_T2_T3_mmT4_T5_P12ihipStream_tbEUlRKdE_EEST_SX_SY_mSZ_S12_bEUlT_E_NS1_11comp_targetILNS1_3genE8ELNS1_11target_archE1030ELNS1_3gpuE2ELNS1_3repE0EEENS1_30default_config_static_selectorELNS0_4arch9wavefront6targetE0EEEvSW_.num_vgpr, 11
	.set _ZN7rocprim17ROCPRIM_400000_NS6detail17trampoline_kernelINS0_14default_configENS1_27upper_bound_config_selectorIdlEEZNS1_14transform_implILb0ES3_S5_N6thrust23THRUST_200600_302600_NS6detail15normal_iteratorINS8_7pointerIdNS8_11hip_rocprim5par_tENS8_11use_defaultESE_EEEENSA_INSB_IlSD_SE_SE_EEEEZNS1_13binary_searchIS3_S5_PdSG_SI_NS1_21upper_bound_search_opENS9_16wrapped_functionINS8_6system6detail7generic6detail18binary_search_lessEbEEEE10hipError_tPvRmT1_T2_T3_mmT4_T5_P12ihipStream_tbEUlRKdE_EEST_SX_SY_mSZ_S12_bEUlT_E_NS1_11comp_targetILNS1_3genE8ELNS1_11target_archE1030ELNS1_3gpuE2ELNS1_3repE0EEENS1_30default_config_static_selectorELNS0_4arch9wavefront6targetE0EEEvSW_.num_agpr, 0
	.set _ZN7rocprim17ROCPRIM_400000_NS6detail17trampoline_kernelINS0_14default_configENS1_27upper_bound_config_selectorIdlEEZNS1_14transform_implILb0ES3_S5_N6thrust23THRUST_200600_302600_NS6detail15normal_iteratorINS8_7pointerIdNS8_11hip_rocprim5par_tENS8_11use_defaultESE_EEEENSA_INSB_IlSD_SE_SE_EEEEZNS1_13binary_searchIS3_S5_PdSG_SI_NS1_21upper_bound_search_opENS9_16wrapped_functionINS8_6system6detail7generic6detail18binary_search_lessEbEEEE10hipError_tPvRmT1_T2_T3_mmT4_T5_P12ihipStream_tbEUlRKdE_EEST_SX_SY_mSZ_S12_bEUlT_E_NS1_11comp_targetILNS1_3genE8ELNS1_11target_archE1030ELNS1_3gpuE2ELNS1_3repE0EEENS1_30default_config_static_selectorELNS0_4arch9wavefront6targetE0EEEvSW_.numbered_sgpr, 20
	.set _ZN7rocprim17ROCPRIM_400000_NS6detail17trampoline_kernelINS0_14default_configENS1_27upper_bound_config_selectorIdlEEZNS1_14transform_implILb0ES3_S5_N6thrust23THRUST_200600_302600_NS6detail15normal_iteratorINS8_7pointerIdNS8_11hip_rocprim5par_tENS8_11use_defaultESE_EEEENSA_INSB_IlSD_SE_SE_EEEEZNS1_13binary_searchIS3_S5_PdSG_SI_NS1_21upper_bound_search_opENS9_16wrapped_functionINS8_6system6detail7generic6detail18binary_search_lessEbEEEE10hipError_tPvRmT1_T2_T3_mmT4_T5_P12ihipStream_tbEUlRKdE_EEST_SX_SY_mSZ_S12_bEUlT_E_NS1_11comp_targetILNS1_3genE8ELNS1_11target_archE1030ELNS1_3gpuE2ELNS1_3repE0EEENS1_30default_config_static_selectorELNS0_4arch9wavefront6targetE0EEEvSW_.num_named_barrier, 0
	.set _ZN7rocprim17ROCPRIM_400000_NS6detail17trampoline_kernelINS0_14default_configENS1_27upper_bound_config_selectorIdlEEZNS1_14transform_implILb0ES3_S5_N6thrust23THRUST_200600_302600_NS6detail15normal_iteratorINS8_7pointerIdNS8_11hip_rocprim5par_tENS8_11use_defaultESE_EEEENSA_INSB_IlSD_SE_SE_EEEEZNS1_13binary_searchIS3_S5_PdSG_SI_NS1_21upper_bound_search_opENS9_16wrapped_functionINS8_6system6detail7generic6detail18binary_search_lessEbEEEE10hipError_tPvRmT1_T2_T3_mmT4_T5_P12ihipStream_tbEUlRKdE_EEST_SX_SY_mSZ_S12_bEUlT_E_NS1_11comp_targetILNS1_3genE8ELNS1_11target_archE1030ELNS1_3gpuE2ELNS1_3repE0EEENS1_30default_config_static_selectorELNS0_4arch9wavefront6targetE0EEEvSW_.private_seg_size, 0
	.set _ZN7rocprim17ROCPRIM_400000_NS6detail17trampoline_kernelINS0_14default_configENS1_27upper_bound_config_selectorIdlEEZNS1_14transform_implILb0ES3_S5_N6thrust23THRUST_200600_302600_NS6detail15normal_iteratorINS8_7pointerIdNS8_11hip_rocprim5par_tENS8_11use_defaultESE_EEEENSA_INSB_IlSD_SE_SE_EEEEZNS1_13binary_searchIS3_S5_PdSG_SI_NS1_21upper_bound_search_opENS9_16wrapped_functionINS8_6system6detail7generic6detail18binary_search_lessEbEEEE10hipError_tPvRmT1_T2_T3_mmT4_T5_P12ihipStream_tbEUlRKdE_EEST_SX_SY_mSZ_S12_bEUlT_E_NS1_11comp_targetILNS1_3genE8ELNS1_11target_archE1030ELNS1_3gpuE2ELNS1_3repE0EEENS1_30default_config_static_selectorELNS0_4arch9wavefront6targetE0EEEvSW_.uses_vcc, 1
	.set _ZN7rocprim17ROCPRIM_400000_NS6detail17trampoline_kernelINS0_14default_configENS1_27upper_bound_config_selectorIdlEEZNS1_14transform_implILb0ES3_S5_N6thrust23THRUST_200600_302600_NS6detail15normal_iteratorINS8_7pointerIdNS8_11hip_rocprim5par_tENS8_11use_defaultESE_EEEENSA_INSB_IlSD_SE_SE_EEEEZNS1_13binary_searchIS3_S5_PdSG_SI_NS1_21upper_bound_search_opENS9_16wrapped_functionINS8_6system6detail7generic6detail18binary_search_lessEbEEEE10hipError_tPvRmT1_T2_T3_mmT4_T5_P12ihipStream_tbEUlRKdE_EEST_SX_SY_mSZ_S12_bEUlT_E_NS1_11comp_targetILNS1_3genE8ELNS1_11target_archE1030ELNS1_3gpuE2ELNS1_3repE0EEENS1_30default_config_static_selectorELNS0_4arch9wavefront6targetE0EEEvSW_.uses_flat_scratch, 0
	.set _ZN7rocprim17ROCPRIM_400000_NS6detail17trampoline_kernelINS0_14default_configENS1_27upper_bound_config_selectorIdlEEZNS1_14transform_implILb0ES3_S5_N6thrust23THRUST_200600_302600_NS6detail15normal_iteratorINS8_7pointerIdNS8_11hip_rocprim5par_tENS8_11use_defaultESE_EEEENSA_INSB_IlSD_SE_SE_EEEEZNS1_13binary_searchIS3_S5_PdSG_SI_NS1_21upper_bound_search_opENS9_16wrapped_functionINS8_6system6detail7generic6detail18binary_search_lessEbEEEE10hipError_tPvRmT1_T2_T3_mmT4_T5_P12ihipStream_tbEUlRKdE_EEST_SX_SY_mSZ_S12_bEUlT_E_NS1_11comp_targetILNS1_3genE8ELNS1_11target_archE1030ELNS1_3gpuE2ELNS1_3repE0EEENS1_30default_config_static_selectorELNS0_4arch9wavefront6targetE0EEEvSW_.has_dyn_sized_stack, 0
	.set _ZN7rocprim17ROCPRIM_400000_NS6detail17trampoline_kernelINS0_14default_configENS1_27upper_bound_config_selectorIdlEEZNS1_14transform_implILb0ES3_S5_N6thrust23THRUST_200600_302600_NS6detail15normal_iteratorINS8_7pointerIdNS8_11hip_rocprim5par_tENS8_11use_defaultESE_EEEENSA_INSB_IlSD_SE_SE_EEEEZNS1_13binary_searchIS3_S5_PdSG_SI_NS1_21upper_bound_search_opENS9_16wrapped_functionINS8_6system6detail7generic6detail18binary_search_lessEbEEEE10hipError_tPvRmT1_T2_T3_mmT4_T5_P12ihipStream_tbEUlRKdE_EEST_SX_SY_mSZ_S12_bEUlT_E_NS1_11comp_targetILNS1_3genE8ELNS1_11target_archE1030ELNS1_3gpuE2ELNS1_3repE0EEENS1_30default_config_static_selectorELNS0_4arch9wavefront6targetE0EEEvSW_.has_recursion, 0
	.set _ZN7rocprim17ROCPRIM_400000_NS6detail17trampoline_kernelINS0_14default_configENS1_27upper_bound_config_selectorIdlEEZNS1_14transform_implILb0ES3_S5_N6thrust23THRUST_200600_302600_NS6detail15normal_iteratorINS8_7pointerIdNS8_11hip_rocprim5par_tENS8_11use_defaultESE_EEEENSA_INSB_IlSD_SE_SE_EEEEZNS1_13binary_searchIS3_S5_PdSG_SI_NS1_21upper_bound_search_opENS9_16wrapped_functionINS8_6system6detail7generic6detail18binary_search_lessEbEEEE10hipError_tPvRmT1_T2_T3_mmT4_T5_P12ihipStream_tbEUlRKdE_EEST_SX_SY_mSZ_S12_bEUlT_E_NS1_11comp_targetILNS1_3genE8ELNS1_11target_archE1030ELNS1_3gpuE2ELNS1_3repE0EEENS1_30default_config_static_selectorELNS0_4arch9wavefront6targetE0EEEvSW_.has_indirect_call, 0
	.section	.AMDGPU.csdata,"",@progbits
; Kernel info:
; codeLenInByte = 820
; TotalNumSgprs: 22
; NumVgprs: 11
; ScratchSize: 0
; MemoryBound: 0
; FloatMode: 240
; IeeeMode: 1
; LDSByteSize: 0 bytes/workgroup (compile time only)
; SGPRBlocks: 0
; VGPRBlocks: 1
; NumSGPRsForWavesPerEU: 22
; NumVGPRsForWavesPerEU: 11
; Occupancy: 16
; WaveLimiterHint : 0
; COMPUTE_PGM_RSRC2:SCRATCH_EN: 0
; COMPUTE_PGM_RSRC2:USER_SGPR: 6
; COMPUTE_PGM_RSRC2:TRAP_HANDLER: 0
; COMPUTE_PGM_RSRC2:TGID_X_EN: 1
; COMPUTE_PGM_RSRC2:TGID_Y_EN: 0
; COMPUTE_PGM_RSRC2:TGID_Z_EN: 0
; COMPUTE_PGM_RSRC2:TIDIG_COMP_CNT: 0
	.section	.text._Z18upper_bound_kernelIfEvmPT_Pl,"axG",@progbits,_Z18upper_bound_kernelIfEvmPT_Pl,comdat
	.protected	_Z18upper_bound_kernelIfEvmPT_Pl ; -- Begin function _Z18upper_bound_kernelIfEvmPT_Pl
	.globl	_Z18upper_bound_kernelIfEvmPT_Pl
	.p2align	8
	.type	_Z18upper_bound_kernelIfEvmPT_Pl,@function
_Z18upper_bound_kernelIfEvmPT_Pl:       ; @_Z18upper_bound_kernelIfEvmPT_Pl
; %bb.0:
	s_clause 0x1
	s_load_dwordx4 s[0:3], s[4:5], 0x0
	s_load_dwordx2 s[4:5], s[4:5], 0x10
	s_waitcnt lgkmcnt(0)
	s_lshl_b64 s[0:1], s[0:1], 2
	s_add_u32 s0, s2, s0
	s_addc_u32 s1, s3, s1
	s_sub_u32 s0, s0, s2
	s_subb_u32 s1, s1, s3
	s_ashr_i64 s[6:7], s[0:1], 2
	s_mov_b32 s1, -1
	v_cmp_lt_i64_e64 s0, s[6:7], 1
	s_and_b32 s0, exec_lo, s0
	s_mov_b32 vcc_lo, s0
	s_cbranch_vccz .LBB171_2
; %bb.1:
	v_mov_b32_e32 v0, 0
	s_mov_b32 s1, 0
	v_mov_b32_e32 v1, v0
	global_store_dwordx2 v0, v[0:1], s[4:5]
.LBB171_2:
	s_andn2_b32 vcc_lo, exec_lo, s1
	s_mov_b64 s[8:9], 0
	s_cbranch_vccnz .LBB171_7
; %bb.3:
	s_mov_b64 s[10:11], s[6:7]
	.p2align	6
.LBB171_4:                              ; =>This Inner Loop Header: Depth=1
	s_sub_u32 s12, s10, s8
	s_subb_u32 s13, s11, s9
	s_lshr_b64 s[12:13], s[12:13], 1
	s_add_u32 s12, s12, s8
	s_addc_u32 s13, s13, s9
	s_lshl_b64 s[14:15], s[12:13], 2
	s_add_u32 s14, s2, s14
	s_addc_u32 s15, s3, s15
	s_load_dword s1, s[14:15], 0x0
	s_add_u32 s14, s12, 1
	s_addc_u32 s15, s13, 0
	s_waitcnt lgkmcnt(0)
	v_cmp_gt_f32_e64 s1, s1, 0
	s_and_b32 s1, s1, exec_lo
	s_cselect_b32 s9, s9, s15
	s_cselect_b32 s8, s8, s14
	;; [unrolled: 1-line block ×4, first 2 shown]
	v_cmp_lt_i64_e64 s1, s[8:9], s[10:11]
	s_and_b32 vcc_lo, exec_lo, s1
	s_cbranch_vccnz .LBB171_4
; %bb.5:
	s_lshl_b64 s[8:9], s[8:9], 2
	v_mov_b32_e32 v2, 0
	s_add_u32 s1, s2, s8
	s_addc_u32 s9, s3, s9
	s_sub_u32 s8, s1, s2
	s_subb_u32 s9, s9, s3
	s_mov_b64 s[10:11], s[6:7]
	s_ashr_i64 s[8:9], s[8:9], 2
	v_mov_b32_e32 v0, s8
	v_mov_b32_e32 v1, s9
	s_mov_b64 s[8:9], 0
	global_store_dwordx2 v2, v[0:1], s[4:5]
	.p2align	6
.LBB171_6:                              ; =>This Inner Loop Header: Depth=1
	s_sub_u32 s12, s10, s8
	s_subb_u32 s13, s11, s9
	s_lshr_b64 s[12:13], s[12:13], 1
	s_add_u32 s12, s12, s8
	s_addc_u32 s13, s13, s9
	s_lshl_b64 s[14:15], s[12:13], 2
	s_add_u32 s14, s2, s14
	s_addc_u32 s15, s3, s15
	s_load_dword s1, s[14:15], 0x0
	s_add_u32 s14, s12, 1
	s_addc_u32 s15, s13, 0
	s_waitcnt lgkmcnt(0)
	v_cmp_gt_f32_e64 s1, s1, 1.0
	s_and_b32 s1, s1, exec_lo
	s_cselect_b32 s9, s9, s15
	s_cselect_b32 s8, s8, s14
	;; [unrolled: 1-line block ×4, first 2 shown]
	v_cmp_ge_i64_e64 s1, s[8:9], s[10:11]
	s_and_b32 vcc_lo, exec_lo, s1
	s_cbranch_vccz .LBB171_6
.LBB171_7:
	s_lshl_b64 s[8:9], s[8:9], 2
	v_mov_b32_e32 v0, 0
	s_add_u32 s1, s2, s8
	s_addc_u32 s9, s3, s9
	s_sub_u32 s8, s1, s2
	s_subb_u32 s9, s9, s3
	s_mov_b32 s1, -1
	s_ashr_i64 s[8:9], s[8:9], 2
	s_mov_b32 vcc_lo, s0
	v_mov_b32_e32 v1, s8
	v_mov_b32_e32 v2, s9
	global_store_dwordx2 v0, v[1:2], s[4:5] offset:8
	s_cbranch_vccz .LBB171_9
; %bb.8:
	v_mov_b32_e32 v1, v0
	s_mov_b32 s1, 0
	global_store_dwordx2 v0, v[0:1], s[4:5] offset:16
.LBB171_9:
	s_andn2_b32 vcc_lo, exec_lo, s1
	s_mov_b64 s[8:9], 0
	s_cbranch_vccnz .LBB171_14
; %bb.10:
	s_mov_b64 s[10:11], s[6:7]
	.p2align	6
.LBB171_11:                             ; =>This Inner Loop Header: Depth=1
	s_sub_u32 s12, s10, s8
	s_subb_u32 s13, s11, s9
	s_lshr_b64 s[12:13], s[12:13], 1
	s_add_u32 s12, s12, s8
	s_addc_u32 s13, s13, s9
	s_lshl_b64 s[14:15], s[12:13], 2
	s_add_u32 s14, s2, s14
	s_addc_u32 s15, s3, s15
	s_load_dword s1, s[14:15], 0x0
	s_add_u32 s14, s12, 1
	s_addc_u32 s15, s13, 0
	s_waitcnt lgkmcnt(0)
	v_cmp_gt_f32_e64 s1, s1, 2.0
	s_and_b32 s1, s1, exec_lo
	s_cselect_b32 s9, s9, s15
	s_cselect_b32 s8, s8, s14
	;; [unrolled: 1-line block ×4, first 2 shown]
	v_cmp_lt_i64_e64 s1, s[8:9], s[10:11]
	s_and_b32 vcc_lo, exec_lo, s1
	s_cbranch_vccnz .LBB171_11
; %bb.12:
	s_lshl_b64 s[8:9], s[8:9], 2
	v_mov_b32_e32 v2, 0
	s_add_u32 s1, s2, s8
	s_addc_u32 s9, s3, s9
	s_sub_u32 s8, s1, s2
	s_subb_u32 s9, s9, s3
	s_mov_b64 s[10:11], s[6:7]
	s_ashr_i64 s[8:9], s[8:9], 2
	v_mov_b32_e32 v0, s8
	v_mov_b32_e32 v1, s9
	s_mov_b64 s[8:9], 0
	global_store_dwordx2 v2, v[0:1], s[4:5] offset:16
	.p2align	6
.LBB171_13:                             ; =>This Inner Loop Header: Depth=1
	s_sub_u32 s12, s10, s8
	s_subb_u32 s13, s11, s9
	s_lshr_b64 s[12:13], s[12:13], 1
	s_add_u32 s12, s12, s8
	s_addc_u32 s13, s13, s9
	s_lshl_b64 s[14:15], s[12:13], 2
	s_add_u32 s14, s2, s14
	s_addc_u32 s15, s3, s15
	s_load_dword s1, s[14:15], 0x0
	s_add_u32 s14, s12, 1
	s_addc_u32 s15, s13, 0
	s_waitcnt lgkmcnt(0)
	v_cmp_lt_f32_e64 s1, 0x40400000, s1
	s_and_b32 s1, s1, exec_lo
	s_cselect_b32 s9, s9, s15
	s_cselect_b32 s8, s8, s14
	s_cselect_b32 s11, s13, s11
	s_cselect_b32 s10, s12, s10
	v_cmp_ge_i64_e64 s1, s[8:9], s[10:11]
	s_and_b32 vcc_lo, exec_lo, s1
	s_cbranch_vccz .LBB171_13
.LBB171_14:
	s_lshl_b64 s[8:9], s[8:9], 2
	v_mov_b32_e32 v0, 0
	s_add_u32 s1, s2, s8
	s_addc_u32 s9, s3, s9
	s_sub_u32 s8, s1, s2
	s_subb_u32 s9, s9, s3
	s_mov_b32 s1, -1
	s_ashr_i64 s[8:9], s[8:9], 2
	s_mov_b32 vcc_lo, s0
	v_mov_b32_e32 v1, s8
	v_mov_b32_e32 v2, s9
	global_store_dwordx2 v0, v[1:2], s[4:5] offset:24
	s_cbranch_vccz .LBB171_16
; %bb.15:
	v_mov_b32_e32 v1, v0
	s_mov_b32 s1, 0
	global_store_dwordx2 v0, v[0:1], s[4:5] offset:32
.LBB171_16:
	s_andn2_b32 vcc_lo, exec_lo, s1
	s_mov_b64 s[8:9], 0
	s_cbranch_vccnz .LBB171_21
; %bb.17:
	s_mov_b64 s[10:11], s[6:7]
	.p2align	6
.LBB171_18:                             ; =>This Inner Loop Header: Depth=1
	s_sub_u32 s12, s10, s8
	s_subb_u32 s13, s11, s9
	s_lshr_b64 s[12:13], s[12:13], 1
	s_add_u32 s12, s12, s8
	s_addc_u32 s13, s13, s9
	s_lshl_b64 s[14:15], s[12:13], 2
	s_add_u32 s14, s2, s14
	s_addc_u32 s15, s3, s15
	s_load_dword s1, s[14:15], 0x0
	s_add_u32 s14, s12, 1
	s_addc_u32 s15, s13, 0
	s_waitcnt lgkmcnt(0)
	v_cmp_gt_f32_e64 s1, s1, 4.0
	s_and_b32 s1, s1, exec_lo
	s_cselect_b32 s9, s9, s15
	s_cselect_b32 s8, s8, s14
	;; [unrolled: 1-line block ×4, first 2 shown]
	v_cmp_lt_i64_e64 s1, s[8:9], s[10:11]
	s_and_b32 vcc_lo, exec_lo, s1
	s_cbranch_vccnz .LBB171_18
; %bb.19:
	s_lshl_b64 s[8:9], s[8:9], 2
	v_mov_b32_e32 v2, 0
	s_add_u32 s1, s2, s8
	s_addc_u32 s9, s3, s9
	s_sub_u32 s8, s1, s2
	s_subb_u32 s9, s9, s3
	s_mov_b64 s[10:11], s[6:7]
	s_ashr_i64 s[8:9], s[8:9], 2
	v_mov_b32_e32 v0, s8
	v_mov_b32_e32 v1, s9
	s_mov_b64 s[8:9], 0
	global_store_dwordx2 v2, v[0:1], s[4:5] offset:32
	.p2align	6
.LBB171_20:                             ; =>This Inner Loop Header: Depth=1
	s_sub_u32 s12, s10, s8
	s_subb_u32 s13, s11, s9
	s_lshr_b64 s[12:13], s[12:13], 1
	s_add_u32 s12, s12, s8
	s_addc_u32 s13, s13, s9
	s_lshl_b64 s[14:15], s[12:13], 2
	s_add_u32 s14, s2, s14
	s_addc_u32 s15, s3, s15
	s_load_dword s1, s[14:15], 0x0
	s_add_u32 s14, s12, 1
	s_addc_u32 s15, s13, 0
	s_waitcnt lgkmcnt(0)
	v_cmp_lt_f32_e64 s1, 0x40a00000, s1
	s_and_b32 s1, s1, exec_lo
	s_cselect_b32 s9, s9, s15
	s_cselect_b32 s8, s8, s14
	;; [unrolled: 1-line block ×4, first 2 shown]
	v_cmp_ge_i64_e64 s1, s[8:9], s[10:11]
	s_and_b32 vcc_lo, exec_lo, s1
	s_cbranch_vccz .LBB171_20
.LBB171_21:
	s_lshl_b64 s[8:9], s[8:9], 2
	v_mov_b32_e32 v0, 0
	s_add_u32 s1, s2, s8
	s_addc_u32 s9, s3, s9
	s_sub_u32 s8, s1, s2
	s_subb_u32 s9, s9, s3
	s_mov_b32 s1, -1
	s_ashr_i64 s[8:9], s[8:9], 2
	s_mov_b32 vcc_lo, s0
	v_mov_b32_e32 v1, s8
	v_mov_b32_e32 v2, s9
	global_store_dwordx2 v0, v[1:2], s[4:5] offset:40
	s_cbranch_vccz .LBB171_23
; %bb.22:
	v_mov_b32_e32 v1, v0
	s_mov_b32 s1, 0
	global_store_dwordx2 v0, v[0:1], s[4:5] offset:48
.LBB171_23:
	s_andn2_b32 vcc_lo, exec_lo, s1
	s_mov_b64 s[8:9], 0
	s_cbranch_vccnz .LBB171_28
; %bb.24:
	s_mov_b64 s[10:11], s[6:7]
	.p2align	6
.LBB171_25:                             ; =>This Inner Loop Header: Depth=1
	s_sub_u32 s12, s10, s8
	s_subb_u32 s13, s11, s9
	s_lshr_b64 s[12:13], s[12:13], 1
	s_add_u32 s12, s12, s8
	s_addc_u32 s13, s13, s9
	s_lshl_b64 s[14:15], s[12:13], 2
	s_add_u32 s14, s2, s14
	s_addc_u32 s15, s3, s15
	s_load_dword s1, s[14:15], 0x0
	s_add_u32 s14, s12, 1
	s_addc_u32 s15, s13, 0
	s_waitcnt lgkmcnt(0)
	v_cmp_lt_f32_e64 s1, 0x40c00000, s1
	s_and_b32 s1, s1, exec_lo
	s_cselect_b32 s9, s9, s15
	s_cselect_b32 s8, s8, s14
	s_cselect_b32 s11, s13, s11
	s_cselect_b32 s10, s12, s10
	v_cmp_lt_i64_e64 s1, s[8:9], s[10:11]
	s_and_b32 vcc_lo, exec_lo, s1
	s_cbranch_vccnz .LBB171_25
; %bb.26:
	s_lshl_b64 s[8:9], s[8:9], 2
	v_mov_b32_e32 v2, 0
	s_add_u32 s1, s2, s8
	s_addc_u32 s9, s3, s9
	s_sub_u32 s8, s1, s2
	s_subb_u32 s9, s9, s3
	s_mov_b64 s[10:11], s[6:7]
	s_ashr_i64 s[8:9], s[8:9], 2
	v_mov_b32_e32 v0, s8
	v_mov_b32_e32 v1, s9
	s_mov_b64 s[8:9], 0
	global_store_dwordx2 v2, v[0:1], s[4:5] offset:48
	.p2align	6
.LBB171_27:                             ; =>This Inner Loop Header: Depth=1
	s_sub_u32 s12, s10, s8
	s_subb_u32 s13, s11, s9
	s_lshr_b64 s[12:13], s[12:13], 1
	s_add_u32 s12, s12, s8
	s_addc_u32 s13, s13, s9
	s_lshl_b64 s[14:15], s[12:13], 2
	s_add_u32 s14, s2, s14
	s_addc_u32 s15, s3, s15
	s_load_dword s1, s[14:15], 0x0
	s_add_u32 s14, s12, 1
	s_addc_u32 s15, s13, 0
	s_waitcnt lgkmcnt(0)
	v_cmp_lt_f32_e64 s1, 0x40e00000, s1
	s_and_b32 s1, s1, exec_lo
	s_cselect_b32 s9, s9, s15
	s_cselect_b32 s8, s8, s14
	;; [unrolled: 1-line block ×4, first 2 shown]
	v_cmp_ge_i64_e64 s1, s[8:9], s[10:11]
	s_and_b32 vcc_lo, exec_lo, s1
	s_cbranch_vccz .LBB171_27
.LBB171_28:
	s_lshl_b64 s[8:9], s[8:9], 2
	v_mov_b32_e32 v0, 0
	s_add_u32 s1, s2, s8
	s_addc_u32 s9, s3, s9
	s_sub_u32 s8, s1, s2
	s_subb_u32 s9, s9, s3
	s_mov_b32 s1, -1
	s_ashr_i64 s[8:9], s[8:9], 2
	s_mov_b32 vcc_lo, s0
	v_mov_b32_e32 v1, s8
	v_mov_b32_e32 v2, s9
	global_store_dwordx2 v0, v[1:2], s[4:5] offset:56
	s_cbranch_vccz .LBB171_30
; %bb.29:
	v_mov_b32_e32 v1, v0
	s_mov_b32 s1, 0
	global_store_dwordx2 v0, v[0:1], s[4:5] offset:64
.LBB171_30:
	s_andn2_b32 vcc_lo, exec_lo, s1
	s_mov_b64 s[0:1], 0
	s_cbranch_vccnz .LBB171_35
; %bb.31:
	s_mov_b64 s[8:9], s[6:7]
	.p2align	6
.LBB171_32:                             ; =>This Inner Loop Header: Depth=1
	s_sub_u32 s10, s8, s0
	s_subb_u32 s11, s9, s1
	s_lshr_b64 s[10:11], s[10:11], 1
	s_add_u32 s10, s10, s0
	s_addc_u32 s11, s11, s1
	s_lshl_b64 s[12:13], s[10:11], 2
	s_add_u32 s12, s2, s12
	s_addc_u32 s13, s3, s13
	s_load_dword s12, s[12:13], 0x0
	s_add_u32 s13, s10, 1
	s_addc_u32 s14, s11, 0
	s_waitcnt lgkmcnt(0)
	v_cmp_lt_f32_e64 s12, 0x41000000, s12
	s_and_b32 s12, s12, exec_lo
	s_cselect_b32 s1, s1, s14
	s_cselect_b32 s0, s0, s13
	;; [unrolled: 1-line block ×4, first 2 shown]
	v_cmp_lt_i64_e64 s10, s[0:1], s[8:9]
	s_and_b32 vcc_lo, exec_lo, s10
	s_cbranch_vccnz .LBB171_32
; %bb.33:
	s_lshl_b64 s[0:1], s[0:1], 2
	v_mov_b32_e32 v2, 0
	s_add_u32 s0, s2, s0
	s_addc_u32 s1, s3, s1
	s_sub_u32 s0, s0, s2
	s_subb_u32 s1, s1, s3
	s_ashr_i64 s[0:1], s[0:1], 2
	v_mov_b32_e32 v0, s0
	v_mov_b32_e32 v1, s1
	s_mov_b64 s[0:1], 0
	global_store_dwordx2 v2, v[0:1], s[4:5] offset:64
	.p2align	6
.LBB171_34:                             ; =>This Inner Loop Header: Depth=1
	s_sub_u32 s8, s6, s0
	s_subb_u32 s9, s7, s1
	s_lshr_b64 s[8:9], s[8:9], 1
	s_add_u32 s8, s8, s0
	s_addc_u32 s9, s9, s1
	s_lshl_b64 s[10:11], s[8:9], 2
	s_add_u32 s10, s2, s10
	s_addc_u32 s11, s3, s11
	s_load_dword s10, s[10:11], 0x0
	s_add_u32 s11, s8, 1
	s_addc_u32 s12, s9, 0
	s_waitcnt lgkmcnt(0)
	v_cmp_lt_f32_e64 s10, 0x41100000, s10
	s_and_b32 s10, s10, exec_lo
	s_cselect_b32 s1, s1, s12
	s_cselect_b32 s0, s0, s11
	;; [unrolled: 1-line block ×4, first 2 shown]
	v_cmp_ge_i64_e64 s8, s[0:1], s[6:7]
	s_and_b32 vcc_lo, exec_lo, s8
	s_cbranch_vccz .LBB171_34
.LBB171_35:
	s_lshl_b64 s[0:1], s[0:1], 2
	v_mov_b32_e32 v2, 0
	s_add_u32 s0, s2, s0
	s_addc_u32 s1, s3, s1
	s_sub_u32 s0, s0, s2
	s_subb_u32 s1, s1, s3
	s_ashr_i64 s[0:1], s[0:1], 2
	v_mov_b32_e32 v0, s0
	v_mov_b32_e32 v1, s1
	global_store_dwordx2 v2, v[0:1], s[4:5] offset:72
	s_endpgm
	.section	.rodata,"a",@progbits
	.p2align	6, 0x0
	.amdhsa_kernel _Z18upper_bound_kernelIfEvmPT_Pl
		.amdhsa_group_segment_fixed_size 0
		.amdhsa_private_segment_fixed_size 0
		.amdhsa_kernarg_size 24
		.amdhsa_user_sgpr_count 6
		.amdhsa_user_sgpr_private_segment_buffer 1
		.amdhsa_user_sgpr_dispatch_ptr 0
		.amdhsa_user_sgpr_queue_ptr 0
		.amdhsa_user_sgpr_kernarg_segment_ptr 1
		.amdhsa_user_sgpr_dispatch_id 0
		.amdhsa_user_sgpr_flat_scratch_init 0
		.amdhsa_user_sgpr_private_segment_size 0
		.amdhsa_wavefront_size32 1
		.amdhsa_uses_dynamic_stack 0
		.amdhsa_system_sgpr_private_segment_wavefront_offset 0
		.amdhsa_system_sgpr_workgroup_id_x 1
		.amdhsa_system_sgpr_workgroup_id_y 0
		.amdhsa_system_sgpr_workgroup_id_z 0
		.amdhsa_system_sgpr_workgroup_info 0
		.amdhsa_system_vgpr_workitem_id 0
		.amdhsa_next_free_vgpr 3
		.amdhsa_next_free_sgpr 16
		.amdhsa_reserve_vcc 1
		.amdhsa_reserve_flat_scratch 0
		.amdhsa_float_round_mode_32 0
		.amdhsa_float_round_mode_16_64 0
		.amdhsa_float_denorm_mode_32 3
		.amdhsa_float_denorm_mode_16_64 3
		.amdhsa_dx10_clamp 1
		.amdhsa_ieee_mode 1
		.amdhsa_fp16_overflow 0
		.amdhsa_workgroup_processor_mode 1
		.amdhsa_memory_ordered 1
		.amdhsa_forward_progress 1
		.amdhsa_shared_vgpr_count 0
		.amdhsa_exception_fp_ieee_invalid_op 0
		.amdhsa_exception_fp_denorm_src 0
		.amdhsa_exception_fp_ieee_div_zero 0
		.amdhsa_exception_fp_ieee_overflow 0
		.amdhsa_exception_fp_ieee_underflow 0
		.amdhsa_exception_fp_ieee_inexact 0
		.amdhsa_exception_int_div_zero 0
	.end_amdhsa_kernel
	.section	.text._Z18upper_bound_kernelIfEvmPT_Pl,"axG",@progbits,_Z18upper_bound_kernelIfEvmPT_Pl,comdat
.Lfunc_end171:
	.size	_Z18upper_bound_kernelIfEvmPT_Pl, .Lfunc_end171-_Z18upper_bound_kernelIfEvmPT_Pl
                                        ; -- End function
	.set _Z18upper_bound_kernelIfEvmPT_Pl.num_vgpr, 3
	.set _Z18upper_bound_kernelIfEvmPT_Pl.num_agpr, 0
	.set _Z18upper_bound_kernelIfEvmPT_Pl.numbered_sgpr, 16
	.set _Z18upper_bound_kernelIfEvmPT_Pl.num_named_barrier, 0
	.set _Z18upper_bound_kernelIfEvmPT_Pl.private_seg_size, 0
	.set _Z18upper_bound_kernelIfEvmPT_Pl.uses_vcc, 1
	.set _Z18upper_bound_kernelIfEvmPT_Pl.uses_flat_scratch, 0
	.set _Z18upper_bound_kernelIfEvmPT_Pl.has_dyn_sized_stack, 0
	.set _Z18upper_bound_kernelIfEvmPT_Pl.has_recursion, 0
	.set _Z18upper_bound_kernelIfEvmPT_Pl.has_indirect_call, 0
	.section	.AMDGPU.csdata,"",@progbits
; Kernel info:
; codeLenInByte = 2004
; TotalNumSgprs: 18
; NumVgprs: 3
; ScratchSize: 0
; MemoryBound: 0
; FloatMode: 240
; IeeeMode: 1
; LDSByteSize: 0 bytes/workgroup (compile time only)
; SGPRBlocks: 0
; VGPRBlocks: 0
; NumSGPRsForWavesPerEU: 18
; NumVGPRsForWavesPerEU: 3
; Occupancy: 16
; WaveLimiterHint : 0
; COMPUTE_PGM_RSRC2:SCRATCH_EN: 0
; COMPUTE_PGM_RSRC2:USER_SGPR: 6
; COMPUTE_PGM_RSRC2:TRAP_HANDLER: 0
; COMPUTE_PGM_RSRC2:TGID_X_EN: 1
; COMPUTE_PGM_RSRC2:TGID_Y_EN: 0
; COMPUTE_PGM_RSRC2:TGID_Z_EN: 0
; COMPUTE_PGM_RSRC2:TIDIG_COMP_CNT: 0
	.section	.text._ZN7rocprim17ROCPRIM_400000_NS6detail17trampoline_kernelINS0_14default_configENS1_27upper_bound_config_selectorIflEEZNS1_14transform_implILb0ES3_S5_N6thrust23THRUST_200600_302600_NS6detail15normal_iteratorINS8_7pointerIfNS8_11hip_rocprim5par_tENS8_11use_defaultESE_EEEENSA_INSB_IlSD_SE_SE_EEEEZNS1_13binary_searchIS3_S5_PfSG_SI_NS1_21upper_bound_search_opENS9_16wrapped_functionINS8_6system6detail7generic6detail18binary_search_lessEbEEEE10hipError_tPvRmT1_T2_T3_mmT4_T5_P12ihipStream_tbEUlRKfE_EEST_SX_SY_mSZ_S12_bEUlT_E_NS1_11comp_targetILNS1_3genE0ELNS1_11target_archE4294967295ELNS1_3gpuE0ELNS1_3repE0EEENS1_30default_config_static_selectorELNS0_4arch9wavefront6targetE0EEEvSW_,"axG",@progbits,_ZN7rocprim17ROCPRIM_400000_NS6detail17trampoline_kernelINS0_14default_configENS1_27upper_bound_config_selectorIflEEZNS1_14transform_implILb0ES3_S5_N6thrust23THRUST_200600_302600_NS6detail15normal_iteratorINS8_7pointerIfNS8_11hip_rocprim5par_tENS8_11use_defaultESE_EEEENSA_INSB_IlSD_SE_SE_EEEEZNS1_13binary_searchIS3_S5_PfSG_SI_NS1_21upper_bound_search_opENS9_16wrapped_functionINS8_6system6detail7generic6detail18binary_search_lessEbEEEE10hipError_tPvRmT1_T2_T3_mmT4_T5_P12ihipStream_tbEUlRKfE_EEST_SX_SY_mSZ_S12_bEUlT_E_NS1_11comp_targetILNS1_3genE0ELNS1_11target_archE4294967295ELNS1_3gpuE0ELNS1_3repE0EEENS1_30default_config_static_selectorELNS0_4arch9wavefront6targetE0EEEvSW_,comdat
	.protected	_ZN7rocprim17ROCPRIM_400000_NS6detail17trampoline_kernelINS0_14default_configENS1_27upper_bound_config_selectorIflEEZNS1_14transform_implILb0ES3_S5_N6thrust23THRUST_200600_302600_NS6detail15normal_iteratorINS8_7pointerIfNS8_11hip_rocprim5par_tENS8_11use_defaultESE_EEEENSA_INSB_IlSD_SE_SE_EEEEZNS1_13binary_searchIS3_S5_PfSG_SI_NS1_21upper_bound_search_opENS9_16wrapped_functionINS8_6system6detail7generic6detail18binary_search_lessEbEEEE10hipError_tPvRmT1_T2_T3_mmT4_T5_P12ihipStream_tbEUlRKfE_EEST_SX_SY_mSZ_S12_bEUlT_E_NS1_11comp_targetILNS1_3genE0ELNS1_11target_archE4294967295ELNS1_3gpuE0ELNS1_3repE0EEENS1_30default_config_static_selectorELNS0_4arch9wavefront6targetE0EEEvSW_ ; -- Begin function _ZN7rocprim17ROCPRIM_400000_NS6detail17trampoline_kernelINS0_14default_configENS1_27upper_bound_config_selectorIflEEZNS1_14transform_implILb0ES3_S5_N6thrust23THRUST_200600_302600_NS6detail15normal_iteratorINS8_7pointerIfNS8_11hip_rocprim5par_tENS8_11use_defaultESE_EEEENSA_INSB_IlSD_SE_SE_EEEEZNS1_13binary_searchIS3_S5_PfSG_SI_NS1_21upper_bound_search_opENS9_16wrapped_functionINS8_6system6detail7generic6detail18binary_search_lessEbEEEE10hipError_tPvRmT1_T2_T3_mmT4_T5_P12ihipStream_tbEUlRKfE_EEST_SX_SY_mSZ_S12_bEUlT_E_NS1_11comp_targetILNS1_3genE0ELNS1_11target_archE4294967295ELNS1_3gpuE0ELNS1_3repE0EEENS1_30default_config_static_selectorELNS0_4arch9wavefront6targetE0EEEvSW_
	.globl	_ZN7rocprim17ROCPRIM_400000_NS6detail17trampoline_kernelINS0_14default_configENS1_27upper_bound_config_selectorIflEEZNS1_14transform_implILb0ES3_S5_N6thrust23THRUST_200600_302600_NS6detail15normal_iteratorINS8_7pointerIfNS8_11hip_rocprim5par_tENS8_11use_defaultESE_EEEENSA_INSB_IlSD_SE_SE_EEEEZNS1_13binary_searchIS3_S5_PfSG_SI_NS1_21upper_bound_search_opENS9_16wrapped_functionINS8_6system6detail7generic6detail18binary_search_lessEbEEEE10hipError_tPvRmT1_T2_T3_mmT4_T5_P12ihipStream_tbEUlRKfE_EEST_SX_SY_mSZ_S12_bEUlT_E_NS1_11comp_targetILNS1_3genE0ELNS1_11target_archE4294967295ELNS1_3gpuE0ELNS1_3repE0EEENS1_30default_config_static_selectorELNS0_4arch9wavefront6targetE0EEEvSW_
	.p2align	8
	.type	_ZN7rocprim17ROCPRIM_400000_NS6detail17trampoline_kernelINS0_14default_configENS1_27upper_bound_config_selectorIflEEZNS1_14transform_implILb0ES3_S5_N6thrust23THRUST_200600_302600_NS6detail15normal_iteratorINS8_7pointerIfNS8_11hip_rocprim5par_tENS8_11use_defaultESE_EEEENSA_INSB_IlSD_SE_SE_EEEEZNS1_13binary_searchIS3_S5_PfSG_SI_NS1_21upper_bound_search_opENS9_16wrapped_functionINS8_6system6detail7generic6detail18binary_search_lessEbEEEE10hipError_tPvRmT1_T2_T3_mmT4_T5_P12ihipStream_tbEUlRKfE_EEST_SX_SY_mSZ_S12_bEUlT_E_NS1_11comp_targetILNS1_3genE0ELNS1_11target_archE4294967295ELNS1_3gpuE0ELNS1_3repE0EEENS1_30default_config_static_selectorELNS0_4arch9wavefront6targetE0EEEvSW_,@function
_ZN7rocprim17ROCPRIM_400000_NS6detail17trampoline_kernelINS0_14default_configENS1_27upper_bound_config_selectorIflEEZNS1_14transform_implILb0ES3_S5_N6thrust23THRUST_200600_302600_NS6detail15normal_iteratorINS8_7pointerIfNS8_11hip_rocprim5par_tENS8_11use_defaultESE_EEEENSA_INSB_IlSD_SE_SE_EEEEZNS1_13binary_searchIS3_S5_PfSG_SI_NS1_21upper_bound_search_opENS9_16wrapped_functionINS8_6system6detail7generic6detail18binary_search_lessEbEEEE10hipError_tPvRmT1_T2_T3_mmT4_T5_P12ihipStream_tbEUlRKfE_EEST_SX_SY_mSZ_S12_bEUlT_E_NS1_11comp_targetILNS1_3genE0ELNS1_11target_archE4294967295ELNS1_3gpuE0ELNS1_3repE0EEENS1_30default_config_static_selectorELNS0_4arch9wavefront6targetE0EEEvSW_: ; @_ZN7rocprim17ROCPRIM_400000_NS6detail17trampoline_kernelINS0_14default_configENS1_27upper_bound_config_selectorIflEEZNS1_14transform_implILb0ES3_S5_N6thrust23THRUST_200600_302600_NS6detail15normal_iteratorINS8_7pointerIfNS8_11hip_rocprim5par_tENS8_11use_defaultESE_EEEENSA_INSB_IlSD_SE_SE_EEEEZNS1_13binary_searchIS3_S5_PfSG_SI_NS1_21upper_bound_search_opENS9_16wrapped_functionINS8_6system6detail7generic6detail18binary_search_lessEbEEEE10hipError_tPvRmT1_T2_T3_mmT4_T5_P12ihipStream_tbEUlRKfE_EEST_SX_SY_mSZ_S12_bEUlT_E_NS1_11comp_targetILNS1_3genE0ELNS1_11target_archE4294967295ELNS1_3gpuE0ELNS1_3repE0EEENS1_30default_config_static_selectorELNS0_4arch9wavefront6targetE0EEEvSW_
; %bb.0:
	.section	.rodata,"a",@progbits
	.p2align	6, 0x0
	.amdhsa_kernel _ZN7rocprim17ROCPRIM_400000_NS6detail17trampoline_kernelINS0_14default_configENS1_27upper_bound_config_selectorIflEEZNS1_14transform_implILb0ES3_S5_N6thrust23THRUST_200600_302600_NS6detail15normal_iteratorINS8_7pointerIfNS8_11hip_rocprim5par_tENS8_11use_defaultESE_EEEENSA_INSB_IlSD_SE_SE_EEEEZNS1_13binary_searchIS3_S5_PfSG_SI_NS1_21upper_bound_search_opENS9_16wrapped_functionINS8_6system6detail7generic6detail18binary_search_lessEbEEEE10hipError_tPvRmT1_T2_T3_mmT4_T5_P12ihipStream_tbEUlRKfE_EEST_SX_SY_mSZ_S12_bEUlT_E_NS1_11comp_targetILNS1_3genE0ELNS1_11target_archE4294967295ELNS1_3gpuE0ELNS1_3repE0EEENS1_30default_config_static_selectorELNS0_4arch9wavefront6targetE0EEEvSW_
		.amdhsa_group_segment_fixed_size 0
		.amdhsa_private_segment_fixed_size 0
		.amdhsa_kernarg_size 56
		.amdhsa_user_sgpr_count 6
		.amdhsa_user_sgpr_private_segment_buffer 1
		.amdhsa_user_sgpr_dispatch_ptr 0
		.amdhsa_user_sgpr_queue_ptr 0
		.amdhsa_user_sgpr_kernarg_segment_ptr 1
		.amdhsa_user_sgpr_dispatch_id 0
		.amdhsa_user_sgpr_flat_scratch_init 0
		.amdhsa_user_sgpr_private_segment_size 0
		.amdhsa_wavefront_size32 1
		.amdhsa_uses_dynamic_stack 0
		.amdhsa_system_sgpr_private_segment_wavefront_offset 0
		.amdhsa_system_sgpr_workgroup_id_x 1
		.amdhsa_system_sgpr_workgroup_id_y 0
		.amdhsa_system_sgpr_workgroup_id_z 0
		.amdhsa_system_sgpr_workgroup_info 0
		.amdhsa_system_vgpr_workitem_id 0
		.amdhsa_next_free_vgpr 1
		.amdhsa_next_free_sgpr 1
		.amdhsa_reserve_vcc 0
		.amdhsa_reserve_flat_scratch 0
		.amdhsa_float_round_mode_32 0
		.amdhsa_float_round_mode_16_64 0
		.amdhsa_float_denorm_mode_32 3
		.amdhsa_float_denorm_mode_16_64 3
		.amdhsa_dx10_clamp 1
		.amdhsa_ieee_mode 1
		.amdhsa_fp16_overflow 0
		.amdhsa_workgroup_processor_mode 1
		.amdhsa_memory_ordered 1
		.amdhsa_forward_progress 1
		.amdhsa_shared_vgpr_count 0
		.amdhsa_exception_fp_ieee_invalid_op 0
		.amdhsa_exception_fp_denorm_src 0
		.amdhsa_exception_fp_ieee_div_zero 0
		.amdhsa_exception_fp_ieee_overflow 0
		.amdhsa_exception_fp_ieee_underflow 0
		.amdhsa_exception_fp_ieee_inexact 0
		.amdhsa_exception_int_div_zero 0
	.end_amdhsa_kernel
	.section	.text._ZN7rocprim17ROCPRIM_400000_NS6detail17trampoline_kernelINS0_14default_configENS1_27upper_bound_config_selectorIflEEZNS1_14transform_implILb0ES3_S5_N6thrust23THRUST_200600_302600_NS6detail15normal_iteratorINS8_7pointerIfNS8_11hip_rocprim5par_tENS8_11use_defaultESE_EEEENSA_INSB_IlSD_SE_SE_EEEEZNS1_13binary_searchIS3_S5_PfSG_SI_NS1_21upper_bound_search_opENS9_16wrapped_functionINS8_6system6detail7generic6detail18binary_search_lessEbEEEE10hipError_tPvRmT1_T2_T3_mmT4_T5_P12ihipStream_tbEUlRKfE_EEST_SX_SY_mSZ_S12_bEUlT_E_NS1_11comp_targetILNS1_3genE0ELNS1_11target_archE4294967295ELNS1_3gpuE0ELNS1_3repE0EEENS1_30default_config_static_selectorELNS0_4arch9wavefront6targetE0EEEvSW_,"axG",@progbits,_ZN7rocprim17ROCPRIM_400000_NS6detail17trampoline_kernelINS0_14default_configENS1_27upper_bound_config_selectorIflEEZNS1_14transform_implILb0ES3_S5_N6thrust23THRUST_200600_302600_NS6detail15normal_iteratorINS8_7pointerIfNS8_11hip_rocprim5par_tENS8_11use_defaultESE_EEEENSA_INSB_IlSD_SE_SE_EEEEZNS1_13binary_searchIS3_S5_PfSG_SI_NS1_21upper_bound_search_opENS9_16wrapped_functionINS8_6system6detail7generic6detail18binary_search_lessEbEEEE10hipError_tPvRmT1_T2_T3_mmT4_T5_P12ihipStream_tbEUlRKfE_EEST_SX_SY_mSZ_S12_bEUlT_E_NS1_11comp_targetILNS1_3genE0ELNS1_11target_archE4294967295ELNS1_3gpuE0ELNS1_3repE0EEENS1_30default_config_static_selectorELNS0_4arch9wavefront6targetE0EEEvSW_,comdat
.Lfunc_end172:
	.size	_ZN7rocprim17ROCPRIM_400000_NS6detail17trampoline_kernelINS0_14default_configENS1_27upper_bound_config_selectorIflEEZNS1_14transform_implILb0ES3_S5_N6thrust23THRUST_200600_302600_NS6detail15normal_iteratorINS8_7pointerIfNS8_11hip_rocprim5par_tENS8_11use_defaultESE_EEEENSA_INSB_IlSD_SE_SE_EEEEZNS1_13binary_searchIS3_S5_PfSG_SI_NS1_21upper_bound_search_opENS9_16wrapped_functionINS8_6system6detail7generic6detail18binary_search_lessEbEEEE10hipError_tPvRmT1_T2_T3_mmT4_T5_P12ihipStream_tbEUlRKfE_EEST_SX_SY_mSZ_S12_bEUlT_E_NS1_11comp_targetILNS1_3genE0ELNS1_11target_archE4294967295ELNS1_3gpuE0ELNS1_3repE0EEENS1_30default_config_static_selectorELNS0_4arch9wavefront6targetE0EEEvSW_, .Lfunc_end172-_ZN7rocprim17ROCPRIM_400000_NS6detail17trampoline_kernelINS0_14default_configENS1_27upper_bound_config_selectorIflEEZNS1_14transform_implILb0ES3_S5_N6thrust23THRUST_200600_302600_NS6detail15normal_iteratorINS8_7pointerIfNS8_11hip_rocprim5par_tENS8_11use_defaultESE_EEEENSA_INSB_IlSD_SE_SE_EEEEZNS1_13binary_searchIS3_S5_PfSG_SI_NS1_21upper_bound_search_opENS9_16wrapped_functionINS8_6system6detail7generic6detail18binary_search_lessEbEEEE10hipError_tPvRmT1_T2_T3_mmT4_T5_P12ihipStream_tbEUlRKfE_EEST_SX_SY_mSZ_S12_bEUlT_E_NS1_11comp_targetILNS1_3genE0ELNS1_11target_archE4294967295ELNS1_3gpuE0ELNS1_3repE0EEENS1_30default_config_static_selectorELNS0_4arch9wavefront6targetE0EEEvSW_
                                        ; -- End function
	.set _ZN7rocprim17ROCPRIM_400000_NS6detail17trampoline_kernelINS0_14default_configENS1_27upper_bound_config_selectorIflEEZNS1_14transform_implILb0ES3_S5_N6thrust23THRUST_200600_302600_NS6detail15normal_iteratorINS8_7pointerIfNS8_11hip_rocprim5par_tENS8_11use_defaultESE_EEEENSA_INSB_IlSD_SE_SE_EEEEZNS1_13binary_searchIS3_S5_PfSG_SI_NS1_21upper_bound_search_opENS9_16wrapped_functionINS8_6system6detail7generic6detail18binary_search_lessEbEEEE10hipError_tPvRmT1_T2_T3_mmT4_T5_P12ihipStream_tbEUlRKfE_EEST_SX_SY_mSZ_S12_bEUlT_E_NS1_11comp_targetILNS1_3genE0ELNS1_11target_archE4294967295ELNS1_3gpuE0ELNS1_3repE0EEENS1_30default_config_static_selectorELNS0_4arch9wavefront6targetE0EEEvSW_.num_vgpr, 0
	.set _ZN7rocprim17ROCPRIM_400000_NS6detail17trampoline_kernelINS0_14default_configENS1_27upper_bound_config_selectorIflEEZNS1_14transform_implILb0ES3_S5_N6thrust23THRUST_200600_302600_NS6detail15normal_iteratorINS8_7pointerIfNS8_11hip_rocprim5par_tENS8_11use_defaultESE_EEEENSA_INSB_IlSD_SE_SE_EEEEZNS1_13binary_searchIS3_S5_PfSG_SI_NS1_21upper_bound_search_opENS9_16wrapped_functionINS8_6system6detail7generic6detail18binary_search_lessEbEEEE10hipError_tPvRmT1_T2_T3_mmT4_T5_P12ihipStream_tbEUlRKfE_EEST_SX_SY_mSZ_S12_bEUlT_E_NS1_11comp_targetILNS1_3genE0ELNS1_11target_archE4294967295ELNS1_3gpuE0ELNS1_3repE0EEENS1_30default_config_static_selectorELNS0_4arch9wavefront6targetE0EEEvSW_.num_agpr, 0
	.set _ZN7rocprim17ROCPRIM_400000_NS6detail17trampoline_kernelINS0_14default_configENS1_27upper_bound_config_selectorIflEEZNS1_14transform_implILb0ES3_S5_N6thrust23THRUST_200600_302600_NS6detail15normal_iteratorINS8_7pointerIfNS8_11hip_rocprim5par_tENS8_11use_defaultESE_EEEENSA_INSB_IlSD_SE_SE_EEEEZNS1_13binary_searchIS3_S5_PfSG_SI_NS1_21upper_bound_search_opENS9_16wrapped_functionINS8_6system6detail7generic6detail18binary_search_lessEbEEEE10hipError_tPvRmT1_T2_T3_mmT4_T5_P12ihipStream_tbEUlRKfE_EEST_SX_SY_mSZ_S12_bEUlT_E_NS1_11comp_targetILNS1_3genE0ELNS1_11target_archE4294967295ELNS1_3gpuE0ELNS1_3repE0EEENS1_30default_config_static_selectorELNS0_4arch9wavefront6targetE0EEEvSW_.numbered_sgpr, 0
	.set _ZN7rocprim17ROCPRIM_400000_NS6detail17trampoline_kernelINS0_14default_configENS1_27upper_bound_config_selectorIflEEZNS1_14transform_implILb0ES3_S5_N6thrust23THRUST_200600_302600_NS6detail15normal_iteratorINS8_7pointerIfNS8_11hip_rocprim5par_tENS8_11use_defaultESE_EEEENSA_INSB_IlSD_SE_SE_EEEEZNS1_13binary_searchIS3_S5_PfSG_SI_NS1_21upper_bound_search_opENS9_16wrapped_functionINS8_6system6detail7generic6detail18binary_search_lessEbEEEE10hipError_tPvRmT1_T2_T3_mmT4_T5_P12ihipStream_tbEUlRKfE_EEST_SX_SY_mSZ_S12_bEUlT_E_NS1_11comp_targetILNS1_3genE0ELNS1_11target_archE4294967295ELNS1_3gpuE0ELNS1_3repE0EEENS1_30default_config_static_selectorELNS0_4arch9wavefront6targetE0EEEvSW_.num_named_barrier, 0
	.set _ZN7rocprim17ROCPRIM_400000_NS6detail17trampoline_kernelINS0_14default_configENS1_27upper_bound_config_selectorIflEEZNS1_14transform_implILb0ES3_S5_N6thrust23THRUST_200600_302600_NS6detail15normal_iteratorINS8_7pointerIfNS8_11hip_rocprim5par_tENS8_11use_defaultESE_EEEENSA_INSB_IlSD_SE_SE_EEEEZNS1_13binary_searchIS3_S5_PfSG_SI_NS1_21upper_bound_search_opENS9_16wrapped_functionINS8_6system6detail7generic6detail18binary_search_lessEbEEEE10hipError_tPvRmT1_T2_T3_mmT4_T5_P12ihipStream_tbEUlRKfE_EEST_SX_SY_mSZ_S12_bEUlT_E_NS1_11comp_targetILNS1_3genE0ELNS1_11target_archE4294967295ELNS1_3gpuE0ELNS1_3repE0EEENS1_30default_config_static_selectorELNS0_4arch9wavefront6targetE0EEEvSW_.private_seg_size, 0
	.set _ZN7rocprim17ROCPRIM_400000_NS6detail17trampoline_kernelINS0_14default_configENS1_27upper_bound_config_selectorIflEEZNS1_14transform_implILb0ES3_S5_N6thrust23THRUST_200600_302600_NS6detail15normal_iteratorINS8_7pointerIfNS8_11hip_rocprim5par_tENS8_11use_defaultESE_EEEENSA_INSB_IlSD_SE_SE_EEEEZNS1_13binary_searchIS3_S5_PfSG_SI_NS1_21upper_bound_search_opENS9_16wrapped_functionINS8_6system6detail7generic6detail18binary_search_lessEbEEEE10hipError_tPvRmT1_T2_T3_mmT4_T5_P12ihipStream_tbEUlRKfE_EEST_SX_SY_mSZ_S12_bEUlT_E_NS1_11comp_targetILNS1_3genE0ELNS1_11target_archE4294967295ELNS1_3gpuE0ELNS1_3repE0EEENS1_30default_config_static_selectorELNS0_4arch9wavefront6targetE0EEEvSW_.uses_vcc, 0
	.set _ZN7rocprim17ROCPRIM_400000_NS6detail17trampoline_kernelINS0_14default_configENS1_27upper_bound_config_selectorIflEEZNS1_14transform_implILb0ES3_S5_N6thrust23THRUST_200600_302600_NS6detail15normal_iteratorINS8_7pointerIfNS8_11hip_rocprim5par_tENS8_11use_defaultESE_EEEENSA_INSB_IlSD_SE_SE_EEEEZNS1_13binary_searchIS3_S5_PfSG_SI_NS1_21upper_bound_search_opENS9_16wrapped_functionINS8_6system6detail7generic6detail18binary_search_lessEbEEEE10hipError_tPvRmT1_T2_T3_mmT4_T5_P12ihipStream_tbEUlRKfE_EEST_SX_SY_mSZ_S12_bEUlT_E_NS1_11comp_targetILNS1_3genE0ELNS1_11target_archE4294967295ELNS1_3gpuE0ELNS1_3repE0EEENS1_30default_config_static_selectorELNS0_4arch9wavefront6targetE0EEEvSW_.uses_flat_scratch, 0
	.set _ZN7rocprim17ROCPRIM_400000_NS6detail17trampoline_kernelINS0_14default_configENS1_27upper_bound_config_selectorIflEEZNS1_14transform_implILb0ES3_S5_N6thrust23THRUST_200600_302600_NS6detail15normal_iteratorINS8_7pointerIfNS8_11hip_rocprim5par_tENS8_11use_defaultESE_EEEENSA_INSB_IlSD_SE_SE_EEEEZNS1_13binary_searchIS3_S5_PfSG_SI_NS1_21upper_bound_search_opENS9_16wrapped_functionINS8_6system6detail7generic6detail18binary_search_lessEbEEEE10hipError_tPvRmT1_T2_T3_mmT4_T5_P12ihipStream_tbEUlRKfE_EEST_SX_SY_mSZ_S12_bEUlT_E_NS1_11comp_targetILNS1_3genE0ELNS1_11target_archE4294967295ELNS1_3gpuE0ELNS1_3repE0EEENS1_30default_config_static_selectorELNS0_4arch9wavefront6targetE0EEEvSW_.has_dyn_sized_stack, 0
	.set _ZN7rocprim17ROCPRIM_400000_NS6detail17trampoline_kernelINS0_14default_configENS1_27upper_bound_config_selectorIflEEZNS1_14transform_implILb0ES3_S5_N6thrust23THRUST_200600_302600_NS6detail15normal_iteratorINS8_7pointerIfNS8_11hip_rocprim5par_tENS8_11use_defaultESE_EEEENSA_INSB_IlSD_SE_SE_EEEEZNS1_13binary_searchIS3_S5_PfSG_SI_NS1_21upper_bound_search_opENS9_16wrapped_functionINS8_6system6detail7generic6detail18binary_search_lessEbEEEE10hipError_tPvRmT1_T2_T3_mmT4_T5_P12ihipStream_tbEUlRKfE_EEST_SX_SY_mSZ_S12_bEUlT_E_NS1_11comp_targetILNS1_3genE0ELNS1_11target_archE4294967295ELNS1_3gpuE0ELNS1_3repE0EEENS1_30default_config_static_selectorELNS0_4arch9wavefront6targetE0EEEvSW_.has_recursion, 0
	.set _ZN7rocprim17ROCPRIM_400000_NS6detail17trampoline_kernelINS0_14default_configENS1_27upper_bound_config_selectorIflEEZNS1_14transform_implILb0ES3_S5_N6thrust23THRUST_200600_302600_NS6detail15normal_iteratorINS8_7pointerIfNS8_11hip_rocprim5par_tENS8_11use_defaultESE_EEEENSA_INSB_IlSD_SE_SE_EEEEZNS1_13binary_searchIS3_S5_PfSG_SI_NS1_21upper_bound_search_opENS9_16wrapped_functionINS8_6system6detail7generic6detail18binary_search_lessEbEEEE10hipError_tPvRmT1_T2_T3_mmT4_T5_P12ihipStream_tbEUlRKfE_EEST_SX_SY_mSZ_S12_bEUlT_E_NS1_11comp_targetILNS1_3genE0ELNS1_11target_archE4294967295ELNS1_3gpuE0ELNS1_3repE0EEENS1_30default_config_static_selectorELNS0_4arch9wavefront6targetE0EEEvSW_.has_indirect_call, 0
	.section	.AMDGPU.csdata,"",@progbits
; Kernel info:
; codeLenInByte = 0
; TotalNumSgprs: 0
; NumVgprs: 0
; ScratchSize: 0
; MemoryBound: 0
; FloatMode: 240
; IeeeMode: 1
; LDSByteSize: 0 bytes/workgroup (compile time only)
; SGPRBlocks: 0
; VGPRBlocks: 0
; NumSGPRsForWavesPerEU: 1
; NumVGPRsForWavesPerEU: 1
; Occupancy: 16
; WaveLimiterHint : 0
; COMPUTE_PGM_RSRC2:SCRATCH_EN: 0
; COMPUTE_PGM_RSRC2:USER_SGPR: 6
; COMPUTE_PGM_RSRC2:TRAP_HANDLER: 0
; COMPUTE_PGM_RSRC2:TGID_X_EN: 1
; COMPUTE_PGM_RSRC2:TGID_Y_EN: 0
; COMPUTE_PGM_RSRC2:TGID_Z_EN: 0
; COMPUTE_PGM_RSRC2:TIDIG_COMP_CNT: 0
	.section	.text._ZN7rocprim17ROCPRIM_400000_NS6detail17trampoline_kernelINS0_14default_configENS1_27upper_bound_config_selectorIflEEZNS1_14transform_implILb0ES3_S5_N6thrust23THRUST_200600_302600_NS6detail15normal_iteratorINS8_7pointerIfNS8_11hip_rocprim5par_tENS8_11use_defaultESE_EEEENSA_INSB_IlSD_SE_SE_EEEEZNS1_13binary_searchIS3_S5_PfSG_SI_NS1_21upper_bound_search_opENS9_16wrapped_functionINS8_6system6detail7generic6detail18binary_search_lessEbEEEE10hipError_tPvRmT1_T2_T3_mmT4_T5_P12ihipStream_tbEUlRKfE_EEST_SX_SY_mSZ_S12_bEUlT_E_NS1_11comp_targetILNS1_3genE5ELNS1_11target_archE942ELNS1_3gpuE9ELNS1_3repE0EEENS1_30default_config_static_selectorELNS0_4arch9wavefront6targetE0EEEvSW_,"axG",@progbits,_ZN7rocprim17ROCPRIM_400000_NS6detail17trampoline_kernelINS0_14default_configENS1_27upper_bound_config_selectorIflEEZNS1_14transform_implILb0ES3_S5_N6thrust23THRUST_200600_302600_NS6detail15normal_iteratorINS8_7pointerIfNS8_11hip_rocprim5par_tENS8_11use_defaultESE_EEEENSA_INSB_IlSD_SE_SE_EEEEZNS1_13binary_searchIS3_S5_PfSG_SI_NS1_21upper_bound_search_opENS9_16wrapped_functionINS8_6system6detail7generic6detail18binary_search_lessEbEEEE10hipError_tPvRmT1_T2_T3_mmT4_T5_P12ihipStream_tbEUlRKfE_EEST_SX_SY_mSZ_S12_bEUlT_E_NS1_11comp_targetILNS1_3genE5ELNS1_11target_archE942ELNS1_3gpuE9ELNS1_3repE0EEENS1_30default_config_static_selectorELNS0_4arch9wavefront6targetE0EEEvSW_,comdat
	.protected	_ZN7rocprim17ROCPRIM_400000_NS6detail17trampoline_kernelINS0_14default_configENS1_27upper_bound_config_selectorIflEEZNS1_14transform_implILb0ES3_S5_N6thrust23THRUST_200600_302600_NS6detail15normal_iteratorINS8_7pointerIfNS8_11hip_rocprim5par_tENS8_11use_defaultESE_EEEENSA_INSB_IlSD_SE_SE_EEEEZNS1_13binary_searchIS3_S5_PfSG_SI_NS1_21upper_bound_search_opENS9_16wrapped_functionINS8_6system6detail7generic6detail18binary_search_lessEbEEEE10hipError_tPvRmT1_T2_T3_mmT4_T5_P12ihipStream_tbEUlRKfE_EEST_SX_SY_mSZ_S12_bEUlT_E_NS1_11comp_targetILNS1_3genE5ELNS1_11target_archE942ELNS1_3gpuE9ELNS1_3repE0EEENS1_30default_config_static_selectorELNS0_4arch9wavefront6targetE0EEEvSW_ ; -- Begin function _ZN7rocprim17ROCPRIM_400000_NS6detail17trampoline_kernelINS0_14default_configENS1_27upper_bound_config_selectorIflEEZNS1_14transform_implILb0ES3_S5_N6thrust23THRUST_200600_302600_NS6detail15normal_iteratorINS8_7pointerIfNS8_11hip_rocprim5par_tENS8_11use_defaultESE_EEEENSA_INSB_IlSD_SE_SE_EEEEZNS1_13binary_searchIS3_S5_PfSG_SI_NS1_21upper_bound_search_opENS9_16wrapped_functionINS8_6system6detail7generic6detail18binary_search_lessEbEEEE10hipError_tPvRmT1_T2_T3_mmT4_T5_P12ihipStream_tbEUlRKfE_EEST_SX_SY_mSZ_S12_bEUlT_E_NS1_11comp_targetILNS1_3genE5ELNS1_11target_archE942ELNS1_3gpuE9ELNS1_3repE0EEENS1_30default_config_static_selectorELNS0_4arch9wavefront6targetE0EEEvSW_
	.globl	_ZN7rocprim17ROCPRIM_400000_NS6detail17trampoline_kernelINS0_14default_configENS1_27upper_bound_config_selectorIflEEZNS1_14transform_implILb0ES3_S5_N6thrust23THRUST_200600_302600_NS6detail15normal_iteratorINS8_7pointerIfNS8_11hip_rocprim5par_tENS8_11use_defaultESE_EEEENSA_INSB_IlSD_SE_SE_EEEEZNS1_13binary_searchIS3_S5_PfSG_SI_NS1_21upper_bound_search_opENS9_16wrapped_functionINS8_6system6detail7generic6detail18binary_search_lessEbEEEE10hipError_tPvRmT1_T2_T3_mmT4_T5_P12ihipStream_tbEUlRKfE_EEST_SX_SY_mSZ_S12_bEUlT_E_NS1_11comp_targetILNS1_3genE5ELNS1_11target_archE942ELNS1_3gpuE9ELNS1_3repE0EEENS1_30default_config_static_selectorELNS0_4arch9wavefront6targetE0EEEvSW_
	.p2align	8
	.type	_ZN7rocprim17ROCPRIM_400000_NS6detail17trampoline_kernelINS0_14default_configENS1_27upper_bound_config_selectorIflEEZNS1_14transform_implILb0ES3_S5_N6thrust23THRUST_200600_302600_NS6detail15normal_iteratorINS8_7pointerIfNS8_11hip_rocprim5par_tENS8_11use_defaultESE_EEEENSA_INSB_IlSD_SE_SE_EEEEZNS1_13binary_searchIS3_S5_PfSG_SI_NS1_21upper_bound_search_opENS9_16wrapped_functionINS8_6system6detail7generic6detail18binary_search_lessEbEEEE10hipError_tPvRmT1_T2_T3_mmT4_T5_P12ihipStream_tbEUlRKfE_EEST_SX_SY_mSZ_S12_bEUlT_E_NS1_11comp_targetILNS1_3genE5ELNS1_11target_archE942ELNS1_3gpuE9ELNS1_3repE0EEENS1_30default_config_static_selectorELNS0_4arch9wavefront6targetE0EEEvSW_,@function
_ZN7rocprim17ROCPRIM_400000_NS6detail17trampoline_kernelINS0_14default_configENS1_27upper_bound_config_selectorIflEEZNS1_14transform_implILb0ES3_S5_N6thrust23THRUST_200600_302600_NS6detail15normal_iteratorINS8_7pointerIfNS8_11hip_rocprim5par_tENS8_11use_defaultESE_EEEENSA_INSB_IlSD_SE_SE_EEEEZNS1_13binary_searchIS3_S5_PfSG_SI_NS1_21upper_bound_search_opENS9_16wrapped_functionINS8_6system6detail7generic6detail18binary_search_lessEbEEEE10hipError_tPvRmT1_T2_T3_mmT4_T5_P12ihipStream_tbEUlRKfE_EEST_SX_SY_mSZ_S12_bEUlT_E_NS1_11comp_targetILNS1_3genE5ELNS1_11target_archE942ELNS1_3gpuE9ELNS1_3repE0EEENS1_30default_config_static_selectorELNS0_4arch9wavefront6targetE0EEEvSW_: ; @_ZN7rocprim17ROCPRIM_400000_NS6detail17trampoline_kernelINS0_14default_configENS1_27upper_bound_config_selectorIflEEZNS1_14transform_implILb0ES3_S5_N6thrust23THRUST_200600_302600_NS6detail15normal_iteratorINS8_7pointerIfNS8_11hip_rocprim5par_tENS8_11use_defaultESE_EEEENSA_INSB_IlSD_SE_SE_EEEEZNS1_13binary_searchIS3_S5_PfSG_SI_NS1_21upper_bound_search_opENS9_16wrapped_functionINS8_6system6detail7generic6detail18binary_search_lessEbEEEE10hipError_tPvRmT1_T2_T3_mmT4_T5_P12ihipStream_tbEUlRKfE_EEST_SX_SY_mSZ_S12_bEUlT_E_NS1_11comp_targetILNS1_3genE5ELNS1_11target_archE942ELNS1_3gpuE9ELNS1_3repE0EEENS1_30default_config_static_selectorELNS0_4arch9wavefront6targetE0EEEvSW_
; %bb.0:
	.section	.rodata,"a",@progbits
	.p2align	6, 0x0
	.amdhsa_kernel _ZN7rocprim17ROCPRIM_400000_NS6detail17trampoline_kernelINS0_14default_configENS1_27upper_bound_config_selectorIflEEZNS1_14transform_implILb0ES3_S5_N6thrust23THRUST_200600_302600_NS6detail15normal_iteratorINS8_7pointerIfNS8_11hip_rocprim5par_tENS8_11use_defaultESE_EEEENSA_INSB_IlSD_SE_SE_EEEEZNS1_13binary_searchIS3_S5_PfSG_SI_NS1_21upper_bound_search_opENS9_16wrapped_functionINS8_6system6detail7generic6detail18binary_search_lessEbEEEE10hipError_tPvRmT1_T2_T3_mmT4_T5_P12ihipStream_tbEUlRKfE_EEST_SX_SY_mSZ_S12_bEUlT_E_NS1_11comp_targetILNS1_3genE5ELNS1_11target_archE942ELNS1_3gpuE9ELNS1_3repE0EEENS1_30default_config_static_selectorELNS0_4arch9wavefront6targetE0EEEvSW_
		.amdhsa_group_segment_fixed_size 0
		.amdhsa_private_segment_fixed_size 0
		.amdhsa_kernarg_size 56
		.amdhsa_user_sgpr_count 6
		.amdhsa_user_sgpr_private_segment_buffer 1
		.amdhsa_user_sgpr_dispatch_ptr 0
		.amdhsa_user_sgpr_queue_ptr 0
		.amdhsa_user_sgpr_kernarg_segment_ptr 1
		.amdhsa_user_sgpr_dispatch_id 0
		.amdhsa_user_sgpr_flat_scratch_init 0
		.amdhsa_user_sgpr_private_segment_size 0
		.amdhsa_wavefront_size32 1
		.amdhsa_uses_dynamic_stack 0
		.amdhsa_system_sgpr_private_segment_wavefront_offset 0
		.amdhsa_system_sgpr_workgroup_id_x 1
		.amdhsa_system_sgpr_workgroup_id_y 0
		.amdhsa_system_sgpr_workgroup_id_z 0
		.amdhsa_system_sgpr_workgroup_info 0
		.amdhsa_system_vgpr_workitem_id 0
		.amdhsa_next_free_vgpr 1
		.amdhsa_next_free_sgpr 1
		.amdhsa_reserve_vcc 0
		.amdhsa_reserve_flat_scratch 0
		.amdhsa_float_round_mode_32 0
		.amdhsa_float_round_mode_16_64 0
		.amdhsa_float_denorm_mode_32 3
		.amdhsa_float_denorm_mode_16_64 3
		.amdhsa_dx10_clamp 1
		.amdhsa_ieee_mode 1
		.amdhsa_fp16_overflow 0
		.amdhsa_workgroup_processor_mode 1
		.amdhsa_memory_ordered 1
		.amdhsa_forward_progress 1
		.amdhsa_shared_vgpr_count 0
		.amdhsa_exception_fp_ieee_invalid_op 0
		.amdhsa_exception_fp_denorm_src 0
		.amdhsa_exception_fp_ieee_div_zero 0
		.amdhsa_exception_fp_ieee_overflow 0
		.amdhsa_exception_fp_ieee_underflow 0
		.amdhsa_exception_fp_ieee_inexact 0
		.amdhsa_exception_int_div_zero 0
	.end_amdhsa_kernel
	.section	.text._ZN7rocprim17ROCPRIM_400000_NS6detail17trampoline_kernelINS0_14default_configENS1_27upper_bound_config_selectorIflEEZNS1_14transform_implILb0ES3_S5_N6thrust23THRUST_200600_302600_NS6detail15normal_iteratorINS8_7pointerIfNS8_11hip_rocprim5par_tENS8_11use_defaultESE_EEEENSA_INSB_IlSD_SE_SE_EEEEZNS1_13binary_searchIS3_S5_PfSG_SI_NS1_21upper_bound_search_opENS9_16wrapped_functionINS8_6system6detail7generic6detail18binary_search_lessEbEEEE10hipError_tPvRmT1_T2_T3_mmT4_T5_P12ihipStream_tbEUlRKfE_EEST_SX_SY_mSZ_S12_bEUlT_E_NS1_11comp_targetILNS1_3genE5ELNS1_11target_archE942ELNS1_3gpuE9ELNS1_3repE0EEENS1_30default_config_static_selectorELNS0_4arch9wavefront6targetE0EEEvSW_,"axG",@progbits,_ZN7rocprim17ROCPRIM_400000_NS6detail17trampoline_kernelINS0_14default_configENS1_27upper_bound_config_selectorIflEEZNS1_14transform_implILb0ES3_S5_N6thrust23THRUST_200600_302600_NS6detail15normal_iteratorINS8_7pointerIfNS8_11hip_rocprim5par_tENS8_11use_defaultESE_EEEENSA_INSB_IlSD_SE_SE_EEEEZNS1_13binary_searchIS3_S5_PfSG_SI_NS1_21upper_bound_search_opENS9_16wrapped_functionINS8_6system6detail7generic6detail18binary_search_lessEbEEEE10hipError_tPvRmT1_T2_T3_mmT4_T5_P12ihipStream_tbEUlRKfE_EEST_SX_SY_mSZ_S12_bEUlT_E_NS1_11comp_targetILNS1_3genE5ELNS1_11target_archE942ELNS1_3gpuE9ELNS1_3repE0EEENS1_30default_config_static_selectorELNS0_4arch9wavefront6targetE0EEEvSW_,comdat
.Lfunc_end173:
	.size	_ZN7rocprim17ROCPRIM_400000_NS6detail17trampoline_kernelINS0_14default_configENS1_27upper_bound_config_selectorIflEEZNS1_14transform_implILb0ES3_S5_N6thrust23THRUST_200600_302600_NS6detail15normal_iteratorINS8_7pointerIfNS8_11hip_rocprim5par_tENS8_11use_defaultESE_EEEENSA_INSB_IlSD_SE_SE_EEEEZNS1_13binary_searchIS3_S5_PfSG_SI_NS1_21upper_bound_search_opENS9_16wrapped_functionINS8_6system6detail7generic6detail18binary_search_lessEbEEEE10hipError_tPvRmT1_T2_T3_mmT4_T5_P12ihipStream_tbEUlRKfE_EEST_SX_SY_mSZ_S12_bEUlT_E_NS1_11comp_targetILNS1_3genE5ELNS1_11target_archE942ELNS1_3gpuE9ELNS1_3repE0EEENS1_30default_config_static_selectorELNS0_4arch9wavefront6targetE0EEEvSW_, .Lfunc_end173-_ZN7rocprim17ROCPRIM_400000_NS6detail17trampoline_kernelINS0_14default_configENS1_27upper_bound_config_selectorIflEEZNS1_14transform_implILb0ES3_S5_N6thrust23THRUST_200600_302600_NS6detail15normal_iteratorINS8_7pointerIfNS8_11hip_rocprim5par_tENS8_11use_defaultESE_EEEENSA_INSB_IlSD_SE_SE_EEEEZNS1_13binary_searchIS3_S5_PfSG_SI_NS1_21upper_bound_search_opENS9_16wrapped_functionINS8_6system6detail7generic6detail18binary_search_lessEbEEEE10hipError_tPvRmT1_T2_T3_mmT4_T5_P12ihipStream_tbEUlRKfE_EEST_SX_SY_mSZ_S12_bEUlT_E_NS1_11comp_targetILNS1_3genE5ELNS1_11target_archE942ELNS1_3gpuE9ELNS1_3repE0EEENS1_30default_config_static_selectorELNS0_4arch9wavefront6targetE0EEEvSW_
                                        ; -- End function
	.set _ZN7rocprim17ROCPRIM_400000_NS6detail17trampoline_kernelINS0_14default_configENS1_27upper_bound_config_selectorIflEEZNS1_14transform_implILb0ES3_S5_N6thrust23THRUST_200600_302600_NS6detail15normal_iteratorINS8_7pointerIfNS8_11hip_rocprim5par_tENS8_11use_defaultESE_EEEENSA_INSB_IlSD_SE_SE_EEEEZNS1_13binary_searchIS3_S5_PfSG_SI_NS1_21upper_bound_search_opENS9_16wrapped_functionINS8_6system6detail7generic6detail18binary_search_lessEbEEEE10hipError_tPvRmT1_T2_T3_mmT4_T5_P12ihipStream_tbEUlRKfE_EEST_SX_SY_mSZ_S12_bEUlT_E_NS1_11comp_targetILNS1_3genE5ELNS1_11target_archE942ELNS1_3gpuE9ELNS1_3repE0EEENS1_30default_config_static_selectorELNS0_4arch9wavefront6targetE0EEEvSW_.num_vgpr, 0
	.set _ZN7rocprim17ROCPRIM_400000_NS6detail17trampoline_kernelINS0_14default_configENS1_27upper_bound_config_selectorIflEEZNS1_14transform_implILb0ES3_S5_N6thrust23THRUST_200600_302600_NS6detail15normal_iteratorINS8_7pointerIfNS8_11hip_rocprim5par_tENS8_11use_defaultESE_EEEENSA_INSB_IlSD_SE_SE_EEEEZNS1_13binary_searchIS3_S5_PfSG_SI_NS1_21upper_bound_search_opENS9_16wrapped_functionINS8_6system6detail7generic6detail18binary_search_lessEbEEEE10hipError_tPvRmT1_T2_T3_mmT4_T5_P12ihipStream_tbEUlRKfE_EEST_SX_SY_mSZ_S12_bEUlT_E_NS1_11comp_targetILNS1_3genE5ELNS1_11target_archE942ELNS1_3gpuE9ELNS1_3repE0EEENS1_30default_config_static_selectorELNS0_4arch9wavefront6targetE0EEEvSW_.num_agpr, 0
	.set _ZN7rocprim17ROCPRIM_400000_NS6detail17trampoline_kernelINS0_14default_configENS1_27upper_bound_config_selectorIflEEZNS1_14transform_implILb0ES3_S5_N6thrust23THRUST_200600_302600_NS6detail15normal_iteratorINS8_7pointerIfNS8_11hip_rocprim5par_tENS8_11use_defaultESE_EEEENSA_INSB_IlSD_SE_SE_EEEEZNS1_13binary_searchIS3_S5_PfSG_SI_NS1_21upper_bound_search_opENS9_16wrapped_functionINS8_6system6detail7generic6detail18binary_search_lessEbEEEE10hipError_tPvRmT1_T2_T3_mmT4_T5_P12ihipStream_tbEUlRKfE_EEST_SX_SY_mSZ_S12_bEUlT_E_NS1_11comp_targetILNS1_3genE5ELNS1_11target_archE942ELNS1_3gpuE9ELNS1_3repE0EEENS1_30default_config_static_selectorELNS0_4arch9wavefront6targetE0EEEvSW_.numbered_sgpr, 0
	.set _ZN7rocprim17ROCPRIM_400000_NS6detail17trampoline_kernelINS0_14default_configENS1_27upper_bound_config_selectorIflEEZNS1_14transform_implILb0ES3_S5_N6thrust23THRUST_200600_302600_NS6detail15normal_iteratorINS8_7pointerIfNS8_11hip_rocprim5par_tENS8_11use_defaultESE_EEEENSA_INSB_IlSD_SE_SE_EEEEZNS1_13binary_searchIS3_S5_PfSG_SI_NS1_21upper_bound_search_opENS9_16wrapped_functionINS8_6system6detail7generic6detail18binary_search_lessEbEEEE10hipError_tPvRmT1_T2_T3_mmT4_T5_P12ihipStream_tbEUlRKfE_EEST_SX_SY_mSZ_S12_bEUlT_E_NS1_11comp_targetILNS1_3genE5ELNS1_11target_archE942ELNS1_3gpuE9ELNS1_3repE0EEENS1_30default_config_static_selectorELNS0_4arch9wavefront6targetE0EEEvSW_.num_named_barrier, 0
	.set _ZN7rocprim17ROCPRIM_400000_NS6detail17trampoline_kernelINS0_14default_configENS1_27upper_bound_config_selectorIflEEZNS1_14transform_implILb0ES3_S5_N6thrust23THRUST_200600_302600_NS6detail15normal_iteratorINS8_7pointerIfNS8_11hip_rocprim5par_tENS8_11use_defaultESE_EEEENSA_INSB_IlSD_SE_SE_EEEEZNS1_13binary_searchIS3_S5_PfSG_SI_NS1_21upper_bound_search_opENS9_16wrapped_functionINS8_6system6detail7generic6detail18binary_search_lessEbEEEE10hipError_tPvRmT1_T2_T3_mmT4_T5_P12ihipStream_tbEUlRKfE_EEST_SX_SY_mSZ_S12_bEUlT_E_NS1_11comp_targetILNS1_3genE5ELNS1_11target_archE942ELNS1_3gpuE9ELNS1_3repE0EEENS1_30default_config_static_selectorELNS0_4arch9wavefront6targetE0EEEvSW_.private_seg_size, 0
	.set _ZN7rocprim17ROCPRIM_400000_NS6detail17trampoline_kernelINS0_14default_configENS1_27upper_bound_config_selectorIflEEZNS1_14transform_implILb0ES3_S5_N6thrust23THRUST_200600_302600_NS6detail15normal_iteratorINS8_7pointerIfNS8_11hip_rocprim5par_tENS8_11use_defaultESE_EEEENSA_INSB_IlSD_SE_SE_EEEEZNS1_13binary_searchIS3_S5_PfSG_SI_NS1_21upper_bound_search_opENS9_16wrapped_functionINS8_6system6detail7generic6detail18binary_search_lessEbEEEE10hipError_tPvRmT1_T2_T3_mmT4_T5_P12ihipStream_tbEUlRKfE_EEST_SX_SY_mSZ_S12_bEUlT_E_NS1_11comp_targetILNS1_3genE5ELNS1_11target_archE942ELNS1_3gpuE9ELNS1_3repE0EEENS1_30default_config_static_selectorELNS0_4arch9wavefront6targetE0EEEvSW_.uses_vcc, 0
	.set _ZN7rocprim17ROCPRIM_400000_NS6detail17trampoline_kernelINS0_14default_configENS1_27upper_bound_config_selectorIflEEZNS1_14transform_implILb0ES3_S5_N6thrust23THRUST_200600_302600_NS6detail15normal_iteratorINS8_7pointerIfNS8_11hip_rocprim5par_tENS8_11use_defaultESE_EEEENSA_INSB_IlSD_SE_SE_EEEEZNS1_13binary_searchIS3_S5_PfSG_SI_NS1_21upper_bound_search_opENS9_16wrapped_functionINS8_6system6detail7generic6detail18binary_search_lessEbEEEE10hipError_tPvRmT1_T2_T3_mmT4_T5_P12ihipStream_tbEUlRKfE_EEST_SX_SY_mSZ_S12_bEUlT_E_NS1_11comp_targetILNS1_3genE5ELNS1_11target_archE942ELNS1_3gpuE9ELNS1_3repE0EEENS1_30default_config_static_selectorELNS0_4arch9wavefront6targetE0EEEvSW_.uses_flat_scratch, 0
	.set _ZN7rocprim17ROCPRIM_400000_NS6detail17trampoline_kernelINS0_14default_configENS1_27upper_bound_config_selectorIflEEZNS1_14transform_implILb0ES3_S5_N6thrust23THRUST_200600_302600_NS6detail15normal_iteratorINS8_7pointerIfNS8_11hip_rocprim5par_tENS8_11use_defaultESE_EEEENSA_INSB_IlSD_SE_SE_EEEEZNS1_13binary_searchIS3_S5_PfSG_SI_NS1_21upper_bound_search_opENS9_16wrapped_functionINS8_6system6detail7generic6detail18binary_search_lessEbEEEE10hipError_tPvRmT1_T2_T3_mmT4_T5_P12ihipStream_tbEUlRKfE_EEST_SX_SY_mSZ_S12_bEUlT_E_NS1_11comp_targetILNS1_3genE5ELNS1_11target_archE942ELNS1_3gpuE9ELNS1_3repE0EEENS1_30default_config_static_selectorELNS0_4arch9wavefront6targetE0EEEvSW_.has_dyn_sized_stack, 0
	.set _ZN7rocprim17ROCPRIM_400000_NS6detail17trampoline_kernelINS0_14default_configENS1_27upper_bound_config_selectorIflEEZNS1_14transform_implILb0ES3_S5_N6thrust23THRUST_200600_302600_NS6detail15normal_iteratorINS8_7pointerIfNS8_11hip_rocprim5par_tENS8_11use_defaultESE_EEEENSA_INSB_IlSD_SE_SE_EEEEZNS1_13binary_searchIS3_S5_PfSG_SI_NS1_21upper_bound_search_opENS9_16wrapped_functionINS8_6system6detail7generic6detail18binary_search_lessEbEEEE10hipError_tPvRmT1_T2_T3_mmT4_T5_P12ihipStream_tbEUlRKfE_EEST_SX_SY_mSZ_S12_bEUlT_E_NS1_11comp_targetILNS1_3genE5ELNS1_11target_archE942ELNS1_3gpuE9ELNS1_3repE0EEENS1_30default_config_static_selectorELNS0_4arch9wavefront6targetE0EEEvSW_.has_recursion, 0
	.set _ZN7rocprim17ROCPRIM_400000_NS6detail17trampoline_kernelINS0_14default_configENS1_27upper_bound_config_selectorIflEEZNS1_14transform_implILb0ES3_S5_N6thrust23THRUST_200600_302600_NS6detail15normal_iteratorINS8_7pointerIfNS8_11hip_rocprim5par_tENS8_11use_defaultESE_EEEENSA_INSB_IlSD_SE_SE_EEEEZNS1_13binary_searchIS3_S5_PfSG_SI_NS1_21upper_bound_search_opENS9_16wrapped_functionINS8_6system6detail7generic6detail18binary_search_lessEbEEEE10hipError_tPvRmT1_T2_T3_mmT4_T5_P12ihipStream_tbEUlRKfE_EEST_SX_SY_mSZ_S12_bEUlT_E_NS1_11comp_targetILNS1_3genE5ELNS1_11target_archE942ELNS1_3gpuE9ELNS1_3repE0EEENS1_30default_config_static_selectorELNS0_4arch9wavefront6targetE0EEEvSW_.has_indirect_call, 0
	.section	.AMDGPU.csdata,"",@progbits
; Kernel info:
; codeLenInByte = 0
; TotalNumSgprs: 0
; NumVgprs: 0
; ScratchSize: 0
; MemoryBound: 0
; FloatMode: 240
; IeeeMode: 1
; LDSByteSize: 0 bytes/workgroup (compile time only)
; SGPRBlocks: 0
; VGPRBlocks: 0
; NumSGPRsForWavesPerEU: 1
; NumVGPRsForWavesPerEU: 1
; Occupancy: 16
; WaveLimiterHint : 0
; COMPUTE_PGM_RSRC2:SCRATCH_EN: 0
; COMPUTE_PGM_RSRC2:USER_SGPR: 6
; COMPUTE_PGM_RSRC2:TRAP_HANDLER: 0
; COMPUTE_PGM_RSRC2:TGID_X_EN: 1
; COMPUTE_PGM_RSRC2:TGID_Y_EN: 0
; COMPUTE_PGM_RSRC2:TGID_Z_EN: 0
; COMPUTE_PGM_RSRC2:TIDIG_COMP_CNT: 0
	.section	.text._ZN7rocprim17ROCPRIM_400000_NS6detail17trampoline_kernelINS0_14default_configENS1_27upper_bound_config_selectorIflEEZNS1_14transform_implILb0ES3_S5_N6thrust23THRUST_200600_302600_NS6detail15normal_iteratorINS8_7pointerIfNS8_11hip_rocprim5par_tENS8_11use_defaultESE_EEEENSA_INSB_IlSD_SE_SE_EEEEZNS1_13binary_searchIS3_S5_PfSG_SI_NS1_21upper_bound_search_opENS9_16wrapped_functionINS8_6system6detail7generic6detail18binary_search_lessEbEEEE10hipError_tPvRmT1_T2_T3_mmT4_T5_P12ihipStream_tbEUlRKfE_EEST_SX_SY_mSZ_S12_bEUlT_E_NS1_11comp_targetILNS1_3genE4ELNS1_11target_archE910ELNS1_3gpuE8ELNS1_3repE0EEENS1_30default_config_static_selectorELNS0_4arch9wavefront6targetE0EEEvSW_,"axG",@progbits,_ZN7rocprim17ROCPRIM_400000_NS6detail17trampoline_kernelINS0_14default_configENS1_27upper_bound_config_selectorIflEEZNS1_14transform_implILb0ES3_S5_N6thrust23THRUST_200600_302600_NS6detail15normal_iteratorINS8_7pointerIfNS8_11hip_rocprim5par_tENS8_11use_defaultESE_EEEENSA_INSB_IlSD_SE_SE_EEEEZNS1_13binary_searchIS3_S5_PfSG_SI_NS1_21upper_bound_search_opENS9_16wrapped_functionINS8_6system6detail7generic6detail18binary_search_lessEbEEEE10hipError_tPvRmT1_T2_T3_mmT4_T5_P12ihipStream_tbEUlRKfE_EEST_SX_SY_mSZ_S12_bEUlT_E_NS1_11comp_targetILNS1_3genE4ELNS1_11target_archE910ELNS1_3gpuE8ELNS1_3repE0EEENS1_30default_config_static_selectorELNS0_4arch9wavefront6targetE0EEEvSW_,comdat
	.protected	_ZN7rocprim17ROCPRIM_400000_NS6detail17trampoline_kernelINS0_14default_configENS1_27upper_bound_config_selectorIflEEZNS1_14transform_implILb0ES3_S5_N6thrust23THRUST_200600_302600_NS6detail15normal_iteratorINS8_7pointerIfNS8_11hip_rocprim5par_tENS8_11use_defaultESE_EEEENSA_INSB_IlSD_SE_SE_EEEEZNS1_13binary_searchIS3_S5_PfSG_SI_NS1_21upper_bound_search_opENS9_16wrapped_functionINS8_6system6detail7generic6detail18binary_search_lessEbEEEE10hipError_tPvRmT1_T2_T3_mmT4_T5_P12ihipStream_tbEUlRKfE_EEST_SX_SY_mSZ_S12_bEUlT_E_NS1_11comp_targetILNS1_3genE4ELNS1_11target_archE910ELNS1_3gpuE8ELNS1_3repE0EEENS1_30default_config_static_selectorELNS0_4arch9wavefront6targetE0EEEvSW_ ; -- Begin function _ZN7rocprim17ROCPRIM_400000_NS6detail17trampoline_kernelINS0_14default_configENS1_27upper_bound_config_selectorIflEEZNS1_14transform_implILb0ES3_S5_N6thrust23THRUST_200600_302600_NS6detail15normal_iteratorINS8_7pointerIfNS8_11hip_rocprim5par_tENS8_11use_defaultESE_EEEENSA_INSB_IlSD_SE_SE_EEEEZNS1_13binary_searchIS3_S5_PfSG_SI_NS1_21upper_bound_search_opENS9_16wrapped_functionINS8_6system6detail7generic6detail18binary_search_lessEbEEEE10hipError_tPvRmT1_T2_T3_mmT4_T5_P12ihipStream_tbEUlRKfE_EEST_SX_SY_mSZ_S12_bEUlT_E_NS1_11comp_targetILNS1_3genE4ELNS1_11target_archE910ELNS1_3gpuE8ELNS1_3repE0EEENS1_30default_config_static_selectorELNS0_4arch9wavefront6targetE0EEEvSW_
	.globl	_ZN7rocprim17ROCPRIM_400000_NS6detail17trampoline_kernelINS0_14default_configENS1_27upper_bound_config_selectorIflEEZNS1_14transform_implILb0ES3_S5_N6thrust23THRUST_200600_302600_NS6detail15normal_iteratorINS8_7pointerIfNS8_11hip_rocprim5par_tENS8_11use_defaultESE_EEEENSA_INSB_IlSD_SE_SE_EEEEZNS1_13binary_searchIS3_S5_PfSG_SI_NS1_21upper_bound_search_opENS9_16wrapped_functionINS8_6system6detail7generic6detail18binary_search_lessEbEEEE10hipError_tPvRmT1_T2_T3_mmT4_T5_P12ihipStream_tbEUlRKfE_EEST_SX_SY_mSZ_S12_bEUlT_E_NS1_11comp_targetILNS1_3genE4ELNS1_11target_archE910ELNS1_3gpuE8ELNS1_3repE0EEENS1_30default_config_static_selectorELNS0_4arch9wavefront6targetE0EEEvSW_
	.p2align	8
	.type	_ZN7rocprim17ROCPRIM_400000_NS6detail17trampoline_kernelINS0_14default_configENS1_27upper_bound_config_selectorIflEEZNS1_14transform_implILb0ES3_S5_N6thrust23THRUST_200600_302600_NS6detail15normal_iteratorINS8_7pointerIfNS8_11hip_rocprim5par_tENS8_11use_defaultESE_EEEENSA_INSB_IlSD_SE_SE_EEEEZNS1_13binary_searchIS3_S5_PfSG_SI_NS1_21upper_bound_search_opENS9_16wrapped_functionINS8_6system6detail7generic6detail18binary_search_lessEbEEEE10hipError_tPvRmT1_T2_T3_mmT4_T5_P12ihipStream_tbEUlRKfE_EEST_SX_SY_mSZ_S12_bEUlT_E_NS1_11comp_targetILNS1_3genE4ELNS1_11target_archE910ELNS1_3gpuE8ELNS1_3repE0EEENS1_30default_config_static_selectorELNS0_4arch9wavefront6targetE0EEEvSW_,@function
_ZN7rocprim17ROCPRIM_400000_NS6detail17trampoline_kernelINS0_14default_configENS1_27upper_bound_config_selectorIflEEZNS1_14transform_implILb0ES3_S5_N6thrust23THRUST_200600_302600_NS6detail15normal_iteratorINS8_7pointerIfNS8_11hip_rocprim5par_tENS8_11use_defaultESE_EEEENSA_INSB_IlSD_SE_SE_EEEEZNS1_13binary_searchIS3_S5_PfSG_SI_NS1_21upper_bound_search_opENS9_16wrapped_functionINS8_6system6detail7generic6detail18binary_search_lessEbEEEE10hipError_tPvRmT1_T2_T3_mmT4_T5_P12ihipStream_tbEUlRKfE_EEST_SX_SY_mSZ_S12_bEUlT_E_NS1_11comp_targetILNS1_3genE4ELNS1_11target_archE910ELNS1_3gpuE8ELNS1_3repE0EEENS1_30default_config_static_selectorELNS0_4arch9wavefront6targetE0EEEvSW_: ; @_ZN7rocprim17ROCPRIM_400000_NS6detail17trampoline_kernelINS0_14default_configENS1_27upper_bound_config_selectorIflEEZNS1_14transform_implILb0ES3_S5_N6thrust23THRUST_200600_302600_NS6detail15normal_iteratorINS8_7pointerIfNS8_11hip_rocprim5par_tENS8_11use_defaultESE_EEEENSA_INSB_IlSD_SE_SE_EEEEZNS1_13binary_searchIS3_S5_PfSG_SI_NS1_21upper_bound_search_opENS9_16wrapped_functionINS8_6system6detail7generic6detail18binary_search_lessEbEEEE10hipError_tPvRmT1_T2_T3_mmT4_T5_P12ihipStream_tbEUlRKfE_EEST_SX_SY_mSZ_S12_bEUlT_E_NS1_11comp_targetILNS1_3genE4ELNS1_11target_archE910ELNS1_3gpuE8ELNS1_3repE0EEENS1_30default_config_static_selectorELNS0_4arch9wavefront6targetE0EEEvSW_
; %bb.0:
	.section	.rodata,"a",@progbits
	.p2align	6, 0x0
	.amdhsa_kernel _ZN7rocprim17ROCPRIM_400000_NS6detail17trampoline_kernelINS0_14default_configENS1_27upper_bound_config_selectorIflEEZNS1_14transform_implILb0ES3_S5_N6thrust23THRUST_200600_302600_NS6detail15normal_iteratorINS8_7pointerIfNS8_11hip_rocprim5par_tENS8_11use_defaultESE_EEEENSA_INSB_IlSD_SE_SE_EEEEZNS1_13binary_searchIS3_S5_PfSG_SI_NS1_21upper_bound_search_opENS9_16wrapped_functionINS8_6system6detail7generic6detail18binary_search_lessEbEEEE10hipError_tPvRmT1_T2_T3_mmT4_T5_P12ihipStream_tbEUlRKfE_EEST_SX_SY_mSZ_S12_bEUlT_E_NS1_11comp_targetILNS1_3genE4ELNS1_11target_archE910ELNS1_3gpuE8ELNS1_3repE0EEENS1_30default_config_static_selectorELNS0_4arch9wavefront6targetE0EEEvSW_
		.amdhsa_group_segment_fixed_size 0
		.amdhsa_private_segment_fixed_size 0
		.amdhsa_kernarg_size 56
		.amdhsa_user_sgpr_count 6
		.amdhsa_user_sgpr_private_segment_buffer 1
		.amdhsa_user_sgpr_dispatch_ptr 0
		.amdhsa_user_sgpr_queue_ptr 0
		.amdhsa_user_sgpr_kernarg_segment_ptr 1
		.amdhsa_user_sgpr_dispatch_id 0
		.amdhsa_user_sgpr_flat_scratch_init 0
		.amdhsa_user_sgpr_private_segment_size 0
		.amdhsa_wavefront_size32 1
		.amdhsa_uses_dynamic_stack 0
		.amdhsa_system_sgpr_private_segment_wavefront_offset 0
		.amdhsa_system_sgpr_workgroup_id_x 1
		.amdhsa_system_sgpr_workgroup_id_y 0
		.amdhsa_system_sgpr_workgroup_id_z 0
		.amdhsa_system_sgpr_workgroup_info 0
		.amdhsa_system_vgpr_workitem_id 0
		.amdhsa_next_free_vgpr 1
		.amdhsa_next_free_sgpr 1
		.amdhsa_reserve_vcc 0
		.amdhsa_reserve_flat_scratch 0
		.amdhsa_float_round_mode_32 0
		.amdhsa_float_round_mode_16_64 0
		.amdhsa_float_denorm_mode_32 3
		.amdhsa_float_denorm_mode_16_64 3
		.amdhsa_dx10_clamp 1
		.amdhsa_ieee_mode 1
		.amdhsa_fp16_overflow 0
		.amdhsa_workgroup_processor_mode 1
		.amdhsa_memory_ordered 1
		.amdhsa_forward_progress 1
		.amdhsa_shared_vgpr_count 0
		.amdhsa_exception_fp_ieee_invalid_op 0
		.amdhsa_exception_fp_denorm_src 0
		.amdhsa_exception_fp_ieee_div_zero 0
		.amdhsa_exception_fp_ieee_overflow 0
		.amdhsa_exception_fp_ieee_underflow 0
		.amdhsa_exception_fp_ieee_inexact 0
		.amdhsa_exception_int_div_zero 0
	.end_amdhsa_kernel
	.section	.text._ZN7rocprim17ROCPRIM_400000_NS6detail17trampoline_kernelINS0_14default_configENS1_27upper_bound_config_selectorIflEEZNS1_14transform_implILb0ES3_S5_N6thrust23THRUST_200600_302600_NS6detail15normal_iteratorINS8_7pointerIfNS8_11hip_rocprim5par_tENS8_11use_defaultESE_EEEENSA_INSB_IlSD_SE_SE_EEEEZNS1_13binary_searchIS3_S5_PfSG_SI_NS1_21upper_bound_search_opENS9_16wrapped_functionINS8_6system6detail7generic6detail18binary_search_lessEbEEEE10hipError_tPvRmT1_T2_T3_mmT4_T5_P12ihipStream_tbEUlRKfE_EEST_SX_SY_mSZ_S12_bEUlT_E_NS1_11comp_targetILNS1_3genE4ELNS1_11target_archE910ELNS1_3gpuE8ELNS1_3repE0EEENS1_30default_config_static_selectorELNS0_4arch9wavefront6targetE0EEEvSW_,"axG",@progbits,_ZN7rocprim17ROCPRIM_400000_NS6detail17trampoline_kernelINS0_14default_configENS1_27upper_bound_config_selectorIflEEZNS1_14transform_implILb0ES3_S5_N6thrust23THRUST_200600_302600_NS6detail15normal_iteratorINS8_7pointerIfNS8_11hip_rocprim5par_tENS8_11use_defaultESE_EEEENSA_INSB_IlSD_SE_SE_EEEEZNS1_13binary_searchIS3_S5_PfSG_SI_NS1_21upper_bound_search_opENS9_16wrapped_functionINS8_6system6detail7generic6detail18binary_search_lessEbEEEE10hipError_tPvRmT1_T2_T3_mmT4_T5_P12ihipStream_tbEUlRKfE_EEST_SX_SY_mSZ_S12_bEUlT_E_NS1_11comp_targetILNS1_3genE4ELNS1_11target_archE910ELNS1_3gpuE8ELNS1_3repE0EEENS1_30default_config_static_selectorELNS0_4arch9wavefront6targetE0EEEvSW_,comdat
.Lfunc_end174:
	.size	_ZN7rocprim17ROCPRIM_400000_NS6detail17trampoline_kernelINS0_14default_configENS1_27upper_bound_config_selectorIflEEZNS1_14transform_implILb0ES3_S5_N6thrust23THRUST_200600_302600_NS6detail15normal_iteratorINS8_7pointerIfNS8_11hip_rocprim5par_tENS8_11use_defaultESE_EEEENSA_INSB_IlSD_SE_SE_EEEEZNS1_13binary_searchIS3_S5_PfSG_SI_NS1_21upper_bound_search_opENS9_16wrapped_functionINS8_6system6detail7generic6detail18binary_search_lessEbEEEE10hipError_tPvRmT1_T2_T3_mmT4_T5_P12ihipStream_tbEUlRKfE_EEST_SX_SY_mSZ_S12_bEUlT_E_NS1_11comp_targetILNS1_3genE4ELNS1_11target_archE910ELNS1_3gpuE8ELNS1_3repE0EEENS1_30default_config_static_selectorELNS0_4arch9wavefront6targetE0EEEvSW_, .Lfunc_end174-_ZN7rocprim17ROCPRIM_400000_NS6detail17trampoline_kernelINS0_14default_configENS1_27upper_bound_config_selectorIflEEZNS1_14transform_implILb0ES3_S5_N6thrust23THRUST_200600_302600_NS6detail15normal_iteratorINS8_7pointerIfNS8_11hip_rocprim5par_tENS8_11use_defaultESE_EEEENSA_INSB_IlSD_SE_SE_EEEEZNS1_13binary_searchIS3_S5_PfSG_SI_NS1_21upper_bound_search_opENS9_16wrapped_functionINS8_6system6detail7generic6detail18binary_search_lessEbEEEE10hipError_tPvRmT1_T2_T3_mmT4_T5_P12ihipStream_tbEUlRKfE_EEST_SX_SY_mSZ_S12_bEUlT_E_NS1_11comp_targetILNS1_3genE4ELNS1_11target_archE910ELNS1_3gpuE8ELNS1_3repE0EEENS1_30default_config_static_selectorELNS0_4arch9wavefront6targetE0EEEvSW_
                                        ; -- End function
	.set _ZN7rocprim17ROCPRIM_400000_NS6detail17trampoline_kernelINS0_14default_configENS1_27upper_bound_config_selectorIflEEZNS1_14transform_implILb0ES3_S5_N6thrust23THRUST_200600_302600_NS6detail15normal_iteratorINS8_7pointerIfNS8_11hip_rocprim5par_tENS8_11use_defaultESE_EEEENSA_INSB_IlSD_SE_SE_EEEEZNS1_13binary_searchIS3_S5_PfSG_SI_NS1_21upper_bound_search_opENS9_16wrapped_functionINS8_6system6detail7generic6detail18binary_search_lessEbEEEE10hipError_tPvRmT1_T2_T3_mmT4_T5_P12ihipStream_tbEUlRKfE_EEST_SX_SY_mSZ_S12_bEUlT_E_NS1_11comp_targetILNS1_3genE4ELNS1_11target_archE910ELNS1_3gpuE8ELNS1_3repE0EEENS1_30default_config_static_selectorELNS0_4arch9wavefront6targetE0EEEvSW_.num_vgpr, 0
	.set _ZN7rocprim17ROCPRIM_400000_NS6detail17trampoline_kernelINS0_14default_configENS1_27upper_bound_config_selectorIflEEZNS1_14transform_implILb0ES3_S5_N6thrust23THRUST_200600_302600_NS6detail15normal_iteratorINS8_7pointerIfNS8_11hip_rocprim5par_tENS8_11use_defaultESE_EEEENSA_INSB_IlSD_SE_SE_EEEEZNS1_13binary_searchIS3_S5_PfSG_SI_NS1_21upper_bound_search_opENS9_16wrapped_functionINS8_6system6detail7generic6detail18binary_search_lessEbEEEE10hipError_tPvRmT1_T2_T3_mmT4_T5_P12ihipStream_tbEUlRKfE_EEST_SX_SY_mSZ_S12_bEUlT_E_NS1_11comp_targetILNS1_3genE4ELNS1_11target_archE910ELNS1_3gpuE8ELNS1_3repE0EEENS1_30default_config_static_selectorELNS0_4arch9wavefront6targetE0EEEvSW_.num_agpr, 0
	.set _ZN7rocprim17ROCPRIM_400000_NS6detail17trampoline_kernelINS0_14default_configENS1_27upper_bound_config_selectorIflEEZNS1_14transform_implILb0ES3_S5_N6thrust23THRUST_200600_302600_NS6detail15normal_iteratorINS8_7pointerIfNS8_11hip_rocprim5par_tENS8_11use_defaultESE_EEEENSA_INSB_IlSD_SE_SE_EEEEZNS1_13binary_searchIS3_S5_PfSG_SI_NS1_21upper_bound_search_opENS9_16wrapped_functionINS8_6system6detail7generic6detail18binary_search_lessEbEEEE10hipError_tPvRmT1_T2_T3_mmT4_T5_P12ihipStream_tbEUlRKfE_EEST_SX_SY_mSZ_S12_bEUlT_E_NS1_11comp_targetILNS1_3genE4ELNS1_11target_archE910ELNS1_3gpuE8ELNS1_3repE0EEENS1_30default_config_static_selectorELNS0_4arch9wavefront6targetE0EEEvSW_.numbered_sgpr, 0
	.set _ZN7rocprim17ROCPRIM_400000_NS6detail17trampoline_kernelINS0_14default_configENS1_27upper_bound_config_selectorIflEEZNS1_14transform_implILb0ES3_S5_N6thrust23THRUST_200600_302600_NS6detail15normal_iteratorINS8_7pointerIfNS8_11hip_rocprim5par_tENS8_11use_defaultESE_EEEENSA_INSB_IlSD_SE_SE_EEEEZNS1_13binary_searchIS3_S5_PfSG_SI_NS1_21upper_bound_search_opENS9_16wrapped_functionINS8_6system6detail7generic6detail18binary_search_lessEbEEEE10hipError_tPvRmT1_T2_T3_mmT4_T5_P12ihipStream_tbEUlRKfE_EEST_SX_SY_mSZ_S12_bEUlT_E_NS1_11comp_targetILNS1_3genE4ELNS1_11target_archE910ELNS1_3gpuE8ELNS1_3repE0EEENS1_30default_config_static_selectorELNS0_4arch9wavefront6targetE0EEEvSW_.num_named_barrier, 0
	.set _ZN7rocprim17ROCPRIM_400000_NS6detail17trampoline_kernelINS0_14default_configENS1_27upper_bound_config_selectorIflEEZNS1_14transform_implILb0ES3_S5_N6thrust23THRUST_200600_302600_NS6detail15normal_iteratorINS8_7pointerIfNS8_11hip_rocprim5par_tENS8_11use_defaultESE_EEEENSA_INSB_IlSD_SE_SE_EEEEZNS1_13binary_searchIS3_S5_PfSG_SI_NS1_21upper_bound_search_opENS9_16wrapped_functionINS8_6system6detail7generic6detail18binary_search_lessEbEEEE10hipError_tPvRmT1_T2_T3_mmT4_T5_P12ihipStream_tbEUlRKfE_EEST_SX_SY_mSZ_S12_bEUlT_E_NS1_11comp_targetILNS1_3genE4ELNS1_11target_archE910ELNS1_3gpuE8ELNS1_3repE0EEENS1_30default_config_static_selectorELNS0_4arch9wavefront6targetE0EEEvSW_.private_seg_size, 0
	.set _ZN7rocprim17ROCPRIM_400000_NS6detail17trampoline_kernelINS0_14default_configENS1_27upper_bound_config_selectorIflEEZNS1_14transform_implILb0ES3_S5_N6thrust23THRUST_200600_302600_NS6detail15normal_iteratorINS8_7pointerIfNS8_11hip_rocprim5par_tENS8_11use_defaultESE_EEEENSA_INSB_IlSD_SE_SE_EEEEZNS1_13binary_searchIS3_S5_PfSG_SI_NS1_21upper_bound_search_opENS9_16wrapped_functionINS8_6system6detail7generic6detail18binary_search_lessEbEEEE10hipError_tPvRmT1_T2_T3_mmT4_T5_P12ihipStream_tbEUlRKfE_EEST_SX_SY_mSZ_S12_bEUlT_E_NS1_11comp_targetILNS1_3genE4ELNS1_11target_archE910ELNS1_3gpuE8ELNS1_3repE0EEENS1_30default_config_static_selectorELNS0_4arch9wavefront6targetE0EEEvSW_.uses_vcc, 0
	.set _ZN7rocprim17ROCPRIM_400000_NS6detail17trampoline_kernelINS0_14default_configENS1_27upper_bound_config_selectorIflEEZNS1_14transform_implILb0ES3_S5_N6thrust23THRUST_200600_302600_NS6detail15normal_iteratorINS8_7pointerIfNS8_11hip_rocprim5par_tENS8_11use_defaultESE_EEEENSA_INSB_IlSD_SE_SE_EEEEZNS1_13binary_searchIS3_S5_PfSG_SI_NS1_21upper_bound_search_opENS9_16wrapped_functionINS8_6system6detail7generic6detail18binary_search_lessEbEEEE10hipError_tPvRmT1_T2_T3_mmT4_T5_P12ihipStream_tbEUlRKfE_EEST_SX_SY_mSZ_S12_bEUlT_E_NS1_11comp_targetILNS1_3genE4ELNS1_11target_archE910ELNS1_3gpuE8ELNS1_3repE0EEENS1_30default_config_static_selectorELNS0_4arch9wavefront6targetE0EEEvSW_.uses_flat_scratch, 0
	.set _ZN7rocprim17ROCPRIM_400000_NS6detail17trampoline_kernelINS0_14default_configENS1_27upper_bound_config_selectorIflEEZNS1_14transform_implILb0ES3_S5_N6thrust23THRUST_200600_302600_NS6detail15normal_iteratorINS8_7pointerIfNS8_11hip_rocprim5par_tENS8_11use_defaultESE_EEEENSA_INSB_IlSD_SE_SE_EEEEZNS1_13binary_searchIS3_S5_PfSG_SI_NS1_21upper_bound_search_opENS9_16wrapped_functionINS8_6system6detail7generic6detail18binary_search_lessEbEEEE10hipError_tPvRmT1_T2_T3_mmT4_T5_P12ihipStream_tbEUlRKfE_EEST_SX_SY_mSZ_S12_bEUlT_E_NS1_11comp_targetILNS1_3genE4ELNS1_11target_archE910ELNS1_3gpuE8ELNS1_3repE0EEENS1_30default_config_static_selectorELNS0_4arch9wavefront6targetE0EEEvSW_.has_dyn_sized_stack, 0
	.set _ZN7rocprim17ROCPRIM_400000_NS6detail17trampoline_kernelINS0_14default_configENS1_27upper_bound_config_selectorIflEEZNS1_14transform_implILb0ES3_S5_N6thrust23THRUST_200600_302600_NS6detail15normal_iteratorINS8_7pointerIfNS8_11hip_rocprim5par_tENS8_11use_defaultESE_EEEENSA_INSB_IlSD_SE_SE_EEEEZNS1_13binary_searchIS3_S5_PfSG_SI_NS1_21upper_bound_search_opENS9_16wrapped_functionINS8_6system6detail7generic6detail18binary_search_lessEbEEEE10hipError_tPvRmT1_T2_T3_mmT4_T5_P12ihipStream_tbEUlRKfE_EEST_SX_SY_mSZ_S12_bEUlT_E_NS1_11comp_targetILNS1_3genE4ELNS1_11target_archE910ELNS1_3gpuE8ELNS1_3repE0EEENS1_30default_config_static_selectorELNS0_4arch9wavefront6targetE0EEEvSW_.has_recursion, 0
	.set _ZN7rocprim17ROCPRIM_400000_NS6detail17trampoline_kernelINS0_14default_configENS1_27upper_bound_config_selectorIflEEZNS1_14transform_implILb0ES3_S5_N6thrust23THRUST_200600_302600_NS6detail15normal_iteratorINS8_7pointerIfNS8_11hip_rocprim5par_tENS8_11use_defaultESE_EEEENSA_INSB_IlSD_SE_SE_EEEEZNS1_13binary_searchIS3_S5_PfSG_SI_NS1_21upper_bound_search_opENS9_16wrapped_functionINS8_6system6detail7generic6detail18binary_search_lessEbEEEE10hipError_tPvRmT1_T2_T3_mmT4_T5_P12ihipStream_tbEUlRKfE_EEST_SX_SY_mSZ_S12_bEUlT_E_NS1_11comp_targetILNS1_3genE4ELNS1_11target_archE910ELNS1_3gpuE8ELNS1_3repE0EEENS1_30default_config_static_selectorELNS0_4arch9wavefront6targetE0EEEvSW_.has_indirect_call, 0
	.section	.AMDGPU.csdata,"",@progbits
; Kernel info:
; codeLenInByte = 0
; TotalNumSgprs: 0
; NumVgprs: 0
; ScratchSize: 0
; MemoryBound: 0
; FloatMode: 240
; IeeeMode: 1
; LDSByteSize: 0 bytes/workgroup (compile time only)
; SGPRBlocks: 0
; VGPRBlocks: 0
; NumSGPRsForWavesPerEU: 1
; NumVGPRsForWavesPerEU: 1
; Occupancy: 16
; WaveLimiterHint : 0
; COMPUTE_PGM_RSRC2:SCRATCH_EN: 0
; COMPUTE_PGM_RSRC2:USER_SGPR: 6
; COMPUTE_PGM_RSRC2:TRAP_HANDLER: 0
; COMPUTE_PGM_RSRC2:TGID_X_EN: 1
; COMPUTE_PGM_RSRC2:TGID_Y_EN: 0
; COMPUTE_PGM_RSRC2:TGID_Z_EN: 0
; COMPUTE_PGM_RSRC2:TIDIG_COMP_CNT: 0
	.section	.text._ZN7rocprim17ROCPRIM_400000_NS6detail17trampoline_kernelINS0_14default_configENS1_27upper_bound_config_selectorIflEEZNS1_14transform_implILb0ES3_S5_N6thrust23THRUST_200600_302600_NS6detail15normal_iteratorINS8_7pointerIfNS8_11hip_rocprim5par_tENS8_11use_defaultESE_EEEENSA_INSB_IlSD_SE_SE_EEEEZNS1_13binary_searchIS3_S5_PfSG_SI_NS1_21upper_bound_search_opENS9_16wrapped_functionINS8_6system6detail7generic6detail18binary_search_lessEbEEEE10hipError_tPvRmT1_T2_T3_mmT4_T5_P12ihipStream_tbEUlRKfE_EEST_SX_SY_mSZ_S12_bEUlT_E_NS1_11comp_targetILNS1_3genE3ELNS1_11target_archE908ELNS1_3gpuE7ELNS1_3repE0EEENS1_30default_config_static_selectorELNS0_4arch9wavefront6targetE0EEEvSW_,"axG",@progbits,_ZN7rocprim17ROCPRIM_400000_NS6detail17trampoline_kernelINS0_14default_configENS1_27upper_bound_config_selectorIflEEZNS1_14transform_implILb0ES3_S5_N6thrust23THRUST_200600_302600_NS6detail15normal_iteratorINS8_7pointerIfNS8_11hip_rocprim5par_tENS8_11use_defaultESE_EEEENSA_INSB_IlSD_SE_SE_EEEEZNS1_13binary_searchIS3_S5_PfSG_SI_NS1_21upper_bound_search_opENS9_16wrapped_functionINS8_6system6detail7generic6detail18binary_search_lessEbEEEE10hipError_tPvRmT1_T2_T3_mmT4_T5_P12ihipStream_tbEUlRKfE_EEST_SX_SY_mSZ_S12_bEUlT_E_NS1_11comp_targetILNS1_3genE3ELNS1_11target_archE908ELNS1_3gpuE7ELNS1_3repE0EEENS1_30default_config_static_selectorELNS0_4arch9wavefront6targetE0EEEvSW_,comdat
	.protected	_ZN7rocprim17ROCPRIM_400000_NS6detail17trampoline_kernelINS0_14default_configENS1_27upper_bound_config_selectorIflEEZNS1_14transform_implILb0ES3_S5_N6thrust23THRUST_200600_302600_NS6detail15normal_iteratorINS8_7pointerIfNS8_11hip_rocprim5par_tENS8_11use_defaultESE_EEEENSA_INSB_IlSD_SE_SE_EEEEZNS1_13binary_searchIS3_S5_PfSG_SI_NS1_21upper_bound_search_opENS9_16wrapped_functionINS8_6system6detail7generic6detail18binary_search_lessEbEEEE10hipError_tPvRmT1_T2_T3_mmT4_T5_P12ihipStream_tbEUlRKfE_EEST_SX_SY_mSZ_S12_bEUlT_E_NS1_11comp_targetILNS1_3genE3ELNS1_11target_archE908ELNS1_3gpuE7ELNS1_3repE0EEENS1_30default_config_static_selectorELNS0_4arch9wavefront6targetE0EEEvSW_ ; -- Begin function _ZN7rocprim17ROCPRIM_400000_NS6detail17trampoline_kernelINS0_14default_configENS1_27upper_bound_config_selectorIflEEZNS1_14transform_implILb0ES3_S5_N6thrust23THRUST_200600_302600_NS6detail15normal_iteratorINS8_7pointerIfNS8_11hip_rocprim5par_tENS8_11use_defaultESE_EEEENSA_INSB_IlSD_SE_SE_EEEEZNS1_13binary_searchIS3_S5_PfSG_SI_NS1_21upper_bound_search_opENS9_16wrapped_functionINS8_6system6detail7generic6detail18binary_search_lessEbEEEE10hipError_tPvRmT1_T2_T3_mmT4_T5_P12ihipStream_tbEUlRKfE_EEST_SX_SY_mSZ_S12_bEUlT_E_NS1_11comp_targetILNS1_3genE3ELNS1_11target_archE908ELNS1_3gpuE7ELNS1_3repE0EEENS1_30default_config_static_selectorELNS0_4arch9wavefront6targetE0EEEvSW_
	.globl	_ZN7rocprim17ROCPRIM_400000_NS6detail17trampoline_kernelINS0_14default_configENS1_27upper_bound_config_selectorIflEEZNS1_14transform_implILb0ES3_S5_N6thrust23THRUST_200600_302600_NS6detail15normal_iteratorINS8_7pointerIfNS8_11hip_rocprim5par_tENS8_11use_defaultESE_EEEENSA_INSB_IlSD_SE_SE_EEEEZNS1_13binary_searchIS3_S5_PfSG_SI_NS1_21upper_bound_search_opENS9_16wrapped_functionINS8_6system6detail7generic6detail18binary_search_lessEbEEEE10hipError_tPvRmT1_T2_T3_mmT4_T5_P12ihipStream_tbEUlRKfE_EEST_SX_SY_mSZ_S12_bEUlT_E_NS1_11comp_targetILNS1_3genE3ELNS1_11target_archE908ELNS1_3gpuE7ELNS1_3repE0EEENS1_30default_config_static_selectorELNS0_4arch9wavefront6targetE0EEEvSW_
	.p2align	8
	.type	_ZN7rocprim17ROCPRIM_400000_NS6detail17trampoline_kernelINS0_14default_configENS1_27upper_bound_config_selectorIflEEZNS1_14transform_implILb0ES3_S5_N6thrust23THRUST_200600_302600_NS6detail15normal_iteratorINS8_7pointerIfNS8_11hip_rocprim5par_tENS8_11use_defaultESE_EEEENSA_INSB_IlSD_SE_SE_EEEEZNS1_13binary_searchIS3_S5_PfSG_SI_NS1_21upper_bound_search_opENS9_16wrapped_functionINS8_6system6detail7generic6detail18binary_search_lessEbEEEE10hipError_tPvRmT1_T2_T3_mmT4_T5_P12ihipStream_tbEUlRKfE_EEST_SX_SY_mSZ_S12_bEUlT_E_NS1_11comp_targetILNS1_3genE3ELNS1_11target_archE908ELNS1_3gpuE7ELNS1_3repE0EEENS1_30default_config_static_selectorELNS0_4arch9wavefront6targetE0EEEvSW_,@function
_ZN7rocprim17ROCPRIM_400000_NS6detail17trampoline_kernelINS0_14default_configENS1_27upper_bound_config_selectorIflEEZNS1_14transform_implILb0ES3_S5_N6thrust23THRUST_200600_302600_NS6detail15normal_iteratorINS8_7pointerIfNS8_11hip_rocprim5par_tENS8_11use_defaultESE_EEEENSA_INSB_IlSD_SE_SE_EEEEZNS1_13binary_searchIS3_S5_PfSG_SI_NS1_21upper_bound_search_opENS9_16wrapped_functionINS8_6system6detail7generic6detail18binary_search_lessEbEEEE10hipError_tPvRmT1_T2_T3_mmT4_T5_P12ihipStream_tbEUlRKfE_EEST_SX_SY_mSZ_S12_bEUlT_E_NS1_11comp_targetILNS1_3genE3ELNS1_11target_archE908ELNS1_3gpuE7ELNS1_3repE0EEENS1_30default_config_static_selectorELNS0_4arch9wavefront6targetE0EEEvSW_: ; @_ZN7rocprim17ROCPRIM_400000_NS6detail17trampoline_kernelINS0_14default_configENS1_27upper_bound_config_selectorIflEEZNS1_14transform_implILb0ES3_S5_N6thrust23THRUST_200600_302600_NS6detail15normal_iteratorINS8_7pointerIfNS8_11hip_rocprim5par_tENS8_11use_defaultESE_EEEENSA_INSB_IlSD_SE_SE_EEEEZNS1_13binary_searchIS3_S5_PfSG_SI_NS1_21upper_bound_search_opENS9_16wrapped_functionINS8_6system6detail7generic6detail18binary_search_lessEbEEEE10hipError_tPvRmT1_T2_T3_mmT4_T5_P12ihipStream_tbEUlRKfE_EEST_SX_SY_mSZ_S12_bEUlT_E_NS1_11comp_targetILNS1_3genE3ELNS1_11target_archE908ELNS1_3gpuE7ELNS1_3repE0EEENS1_30default_config_static_selectorELNS0_4arch9wavefront6targetE0EEEvSW_
; %bb.0:
	.section	.rodata,"a",@progbits
	.p2align	6, 0x0
	.amdhsa_kernel _ZN7rocprim17ROCPRIM_400000_NS6detail17trampoline_kernelINS0_14default_configENS1_27upper_bound_config_selectorIflEEZNS1_14transform_implILb0ES3_S5_N6thrust23THRUST_200600_302600_NS6detail15normal_iteratorINS8_7pointerIfNS8_11hip_rocprim5par_tENS8_11use_defaultESE_EEEENSA_INSB_IlSD_SE_SE_EEEEZNS1_13binary_searchIS3_S5_PfSG_SI_NS1_21upper_bound_search_opENS9_16wrapped_functionINS8_6system6detail7generic6detail18binary_search_lessEbEEEE10hipError_tPvRmT1_T2_T3_mmT4_T5_P12ihipStream_tbEUlRKfE_EEST_SX_SY_mSZ_S12_bEUlT_E_NS1_11comp_targetILNS1_3genE3ELNS1_11target_archE908ELNS1_3gpuE7ELNS1_3repE0EEENS1_30default_config_static_selectorELNS0_4arch9wavefront6targetE0EEEvSW_
		.amdhsa_group_segment_fixed_size 0
		.amdhsa_private_segment_fixed_size 0
		.amdhsa_kernarg_size 56
		.amdhsa_user_sgpr_count 6
		.amdhsa_user_sgpr_private_segment_buffer 1
		.amdhsa_user_sgpr_dispatch_ptr 0
		.amdhsa_user_sgpr_queue_ptr 0
		.amdhsa_user_sgpr_kernarg_segment_ptr 1
		.amdhsa_user_sgpr_dispatch_id 0
		.amdhsa_user_sgpr_flat_scratch_init 0
		.amdhsa_user_sgpr_private_segment_size 0
		.amdhsa_wavefront_size32 1
		.amdhsa_uses_dynamic_stack 0
		.amdhsa_system_sgpr_private_segment_wavefront_offset 0
		.amdhsa_system_sgpr_workgroup_id_x 1
		.amdhsa_system_sgpr_workgroup_id_y 0
		.amdhsa_system_sgpr_workgroup_id_z 0
		.amdhsa_system_sgpr_workgroup_info 0
		.amdhsa_system_vgpr_workitem_id 0
		.amdhsa_next_free_vgpr 1
		.amdhsa_next_free_sgpr 1
		.amdhsa_reserve_vcc 0
		.amdhsa_reserve_flat_scratch 0
		.amdhsa_float_round_mode_32 0
		.amdhsa_float_round_mode_16_64 0
		.amdhsa_float_denorm_mode_32 3
		.amdhsa_float_denorm_mode_16_64 3
		.amdhsa_dx10_clamp 1
		.amdhsa_ieee_mode 1
		.amdhsa_fp16_overflow 0
		.amdhsa_workgroup_processor_mode 1
		.amdhsa_memory_ordered 1
		.amdhsa_forward_progress 1
		.amdhsa_shared_vgpr_count 0
		.amdhsa_exception_fp_ieee_invalid_op 0
		.amdhsa_exception_fp_denorm_src 0
		.amdhsa_exception_fp_ieee_div_zero 0
		.amdhsa_exception_fp_ieee_overflow 0
		.amdhsa_exception_fp_ieee_underflow 0
		.amdhsa_exception_fp_ieee_inexact 0
		.amdhsa_exception_int_div_zero 0
	.end_amdhsa_kernel
	.section	.text._ZN7rocprim17ROCPRIM_400000_NS6detail17trampoline_kernelINS0_14default_configENS1_27upper_bound_config_selectorIflEEZNS1_14transform_implILb0ES3_S5_N6thrust23THRUST_200600_302600_NS6detail15normal_iteratorINS8_7pointerIfNS8_11hip_rocprim5par_tENS8_11use_defaultESE_EEEENSA_INSB_IlSD_SE_SE_EEEEZNS1_13binary_searchIS3_S5_PfSG_SI_NS1_21upper_bound_search_opENS9_16wrapped_functionINS8_6system6detail7generic6detail18binary_search_lessEbEEEE10hipError_tPvRmT1_T2_T3_mmT4_T5_P12ihipStream_tbEUlRKfE_EEST_SX_SY_mSZ_S12_bEUlT_E_NS1_11comp_targetILNS1_3genE3ELNS1_11target_archE908ELNS1_3gpuE7ELNS1_3repE0EEENS1_30default_config_static_selectorELNS0_4arch9wavefront6targetE0EEEvSW_,"axG",@progbits,_ZN7rocprim17ROCPRIM_400000_NS6detail17trampoline_kernelINS0_14default_configENS1_27upper_bound_config_selectorIflEEZNS1_14transform_implILb0ES3_S5_N6thrust23THRUST_200600_302600_NS6detail15normal_iteratorINS8_7pointerIfNS8_11hip_rocprim5par_tENS8_11use_defaultESE_EEEENSA_INSB_IlSD_SE_SE_EEEEZNS1_13binary_searchIS3_S5_PfSG_SI_NS1_21upper_bound_search_opENS9_16wrapped_functionINS8_6system6detail7generic6detail18binary_search_lessEbEEEE10hipError_tPvRmT1_T2_T3_mmT4_T5_P12ihipStream_tbEUlRKfE_EEST_SX_SY_mSZ_S12_bEUlT_E_NS1_11comp_targetILNS1_3genE3ELNS1_11target_archE908ELNS1_3gpuE7ELNS1_3repE0EEENS1_30default_config_static_selectorELNS0_4arch9wavefront6targetE0EEEvSW_,comdat
.Lfunc_end175:
	.size	_ZN7rocprim17ROCPRIM_400000_NS6detail17trampoline_kernelINS0_14default_configENS1_27upper_bound_config_selectorIflEEZNS1_14transform_implILb0ES3_S5_N6thrust23THRUST_200600_302600_NS6detail15normal_iteratorINS8_7pointerIfNS8_11hip_rocprim5par_tENS8_11use_defaultESE_EEEENSA_INSB_IlSD_SE_SE_EEEEZNS1_13binary_searchIS3_S5_PfSG_SI_NS1_21upper_bound_search_opENS9_16wrapped_functionINS8_6system6detail7generic6detail18binary_search_lessEbEEEE10hipError_tPvRmT1_T2_T3_mmT4_T5_P12ihipStream_tbEUlRKfE_EEST_SX_SY_mSZ_S12_bEUlT_E_NS1_11comp_targetILNS1_3genE3ELNS1_11target_archE908ELNS1_3gpuE7ELNS1_3repE0EEENS1_30default_config_static_selectorELNS0_4arch9wavefront6targetE0EEEvSW_, .Lfunc_end175-_ZN7rocprim17ROCPRIM_400000_NS6detail17trampoline_kernelINS0_14default_configENS1_27upper_bound_config_selectorIflEEZNS1_14transform_implILb0ES3_S5_N6thrust23THRUST_200600_302600_NS6detail15normal_iteratorINS8_7pointerIfNS8_11hip_rocprim5par_tENS8_11use_defaultESE_EEEENSA_INSB_IlSD_SE_SE_EEEEZNS1_13binary_searchIS3_S5_PfSG_SI_NS1_21upper_bound_search_opENS9_16wrapped_functionINS8_6system6detail7generic6detail18binary_search_lessEbEEEE10hipError_tPvRmT1_T2_T3_mmT4_T5_P12ihipStream_tbEUlRKfE_EEST_SX_SY_mSZ_S12_bEUlT_E_NS1_11comp_targetILNS1_3genE3ELNS1_11target_archE908ELNS1_3gpuE7ELNS1_3repE0EEENS1_30default_config_static_selectorELNS0_4arch9wavefront6targetE0EEEvSW_
                                        ; -- End function
	.set _ZN7rocprim17ROCPRIM_400000_NS6detail17trampoline_kernelINS0_14default_configENS1_27upper_bound_config_selectorIflEEZNS1_14transform_implILb0ES3_S5_N6thrust23THRUST_200600_302600_NS6detail15normal_iteratorINS8_7pointerIfNS8_11hip_rocprim5par_tENS8_11use_defaultESE_EEEENSA_INSB_IlSD_SE_SE_EEEEZNS1_13binary_searchIS3_S5_PfSG_SI_NS1_21upper_bound_search_opENS9_16wrapped_functionINS8_6system6detail7generic6detail18binary_search_lessEbEEEE10hipError_tPvRmT1_T2_T3_mmT4_T5_P12ihipStream_tbEUlRKfE_EEST_SX_SY_mSZ_S12_bEUlT_E_NS1_11comp_targetILNS1_3genE3ELNS1_11target_archE908ELNS1_3gpuE7ELNS1_3repE0EEENS1_30default_config_static_selectorELNS0_4arch9wavefront6targetE0EEEvSW_.num_vgpr, 0
	.set _ZN7rocprim17ROCPRIM_400000_NS6detail17trampoline_kernelINS0_14default_configENS1_27upper_bound_config_selectorIflEEZNS1_14transform_implILb0ES3_S5_N6thrust23THRUST_200600_302600_NS6detail15normal_iteratorINS8_7pointerIfNS8_11hip_rocprim5par_tENS8_11use_defaultESE_EEEENSA_INSB_IlSD_SE_SE_EEEEZNS1_13binary_searchIS3_S5_PfSG_SI_NS1_21upper_bound_search_opENS9_16wrapped_functionINS8_6system6detail7generic6detail18binary_search_lessEbEEEE10hipError_tPvRmT1_T2_T3_mmT4_T5_P12ihipStream_tbEUlRKfE_EEST_SX_SY_mSZ_S12_bEUlT_E_NS1_11comp_targetILNS1_3genE3ELNS1_11target_archE908ELNS1_3gpuE7ELNS1_3repE0EEENS1_30default_config_static_selectorELNS0_4arch9wavefront6targetE0EEEvSW_.num_agpr, 0
	.set _ZN7rocprim17ROCPRIM_400000_NS6detail17trampoline_kernelINS0_14default_configENS1_27upper_bound_config_selectorIflEEZNS1_14transform_implILb0ES3_S5_N6thrust23THRUST_200600_302600_NS6detail15normal_iteratorINS8_7pointerIfNS8_11hip_rocprim5par_tENS8_11use_defaultESE_EEEENSA_INSB_IlSD_SE_SE_EEEEZNS1_13binary_searchIS3_S5_PfSG_SI_NS1_21upper_bound_search_opENS9_16wrapped_functionINS8_6system6detail7generic6detail18binary_search_lessEbEEEE10hipError_tPvRmT1_T2_T3_mmT4_T5_P12ihipStream_tbEUlRKfE_EEST_SX_SY_mSZ_S12_bEUlT_E_NS1_11comp_targetILNS1_3genE3ELNS1_11target_archE908ELNS1_3gpuE7ELNS1_3repE0EEENS1_30default_config_static_selectorELNS0_4arch9wavefront6targetE0EEEvSW_.numbered_sgpr, 0
	.set _ZN7rocprim17ROCPRIM_400000_NS6detail17trampoline_kernelINS0_14default_configENS1_27upper_bound_config_selectorIflEEZNS1_14transform_implILb0ES3_S5_N6thrust23THRUST_200600_302600_NS6detail15normal_iteratorINS8_7pointerIfNS8_11hip_rocprim5par_tENS8_11use_defaultESE_EEEENSA_INSB_IlSD_SE_SE_EEEEZNS1_13binary_searchIS3_S5_PfSG_SI_NS1_21upper_bound_search_opENS9_16wrapped_functionINS8_6system6detail7generic6detail18binary_search_lessEbEEEE10hipError_tPvRmT1_T2_T3_mmT4_T5_P12ihipStream_tbEUlRKfE_EEST_SX_SY_mSZ_S12_bEUlT_E_NS1_11comp_targetILNS1_3genE3ELNS1_11target_archE908ELNS1_3gpuE7ELNS1_3repE0EEENS1_30default_config_static_selectorELNS0_4arch9wavefront6targetE0EEEvSW_.num_named_barrier, 0
	.set _ZN7rocprim17ROCPRIM_400000_NS6detail17trampoline_kernelINS0_14default_configENS1_27upper_bound_config_selectorIflEEZNS1_14transform_implILb0ES3_S5_N6thrust23THRUST_200600_302600_NS6detail15normal_iteratorINS8_7pointerIfNS8_11hip_rocprim5par_tENS8_11use_defaultESE_EEEENSA_INSB_IlSD_SE_SE_EEEEZNS1_13binary_searchIS3_S5_PfSG_SI_NS1_21upper_bound_search_opENS9_16wrapped_functionINS8_6system6detail7generic6detail18binary_search_lessEbEEEE10hipError_tPvRmT1_T2_T3_mmT4_T5_P12ihipStream_tbEUlRKfE_EEST_SX_SY_mSZ_S12_bEUlT_E_NS1_11comp_targetILNS1_3genE3ELNS1_11target_archE908ELNS1_3gpuE7ELNS1_3repE0EEENS1_30default_config_static_selectorELNS0_4arch9wavefront6targetE0EEEvSW_.private_seg_size, 0
	.set _ZN7rocprim17ROCPRIM_400000_NS6detail17trampoline_kernelINS0_14default_configENS1_27upper_bound_config_selectorIflEEZNS1_14transform_implILb0ES3_S5_N6thrust23THRUST_200600_302600_NS6detail15normal_iteratorINS8_7pointerIfNS8_11hip_rocprim5par_tENS8_11use_defaultESE_EEEENSA_INSB_IlSD_SE_SE_EEEEZNS1_13binary_searchIS3_S5_PfSG_SI_NS1_21upper_bound_search_opENS9_16wrapped_functionINS8_6system6detail7generic6detail18binary_search_lessEbEEEE10hipError_tPvRmT1_T2_T3_mmT4_T5_P12ihipStream_tbEUlRKfE_EEST_SX_SY_mSZ_S12_bEUlT_E_NS1_11comp_targetILNS1_3genE3ELNS1_11target_archE908ELNS1_3gpuE7ELNS1_3repE0EEENS1_30default_config_static_selectorELNS0_4arch9wavefront6targetE0EEEvSW_.uses_vcc, 0
	.set _ZN7rocprim17ROCPRIM_400000_NS6detail17trampoline_kernelINS0_14default_configENS1_27upper_bound_config_selectorIflEEZNS1_14transform_implILb0ES3_S5_N6thrust23THRUST_200600_302600_NS6detail15normal_iteratorINS8_7pointerIfNS8_11hip_rocprim5par_tENS8_11use_defaultESE_EEEENSA_INSB_IlSD_SE_SE_EEEEZNS1_13binary_searchIS3_S5_PfSG_SI_NS1_21upper_bound_search_opENS9_16wrapped_functionINS8_6system6detail7generic6detail18binary_search_lessEbEEEE10hipError_tPvRmT1_T2_T3_mmT4_T5_P12ihipStream_tbEUlRKfE_EEST_SX_SY_mSZ_S12_bEUlT_E_NS1_11comp_targetILNS1_3genE3ELNS1_11target_archE908ELNS1_3gpuE7ELNS1_3repE0EEENS1_30default_config_static_selectorELNS0_4arch9wavefront6targetE0EEEvSW_.uses_flat_scratch, 0
	.set _ZN7rocprim17ROCPRIM_400000_NS6detail17trampoline_kernelINS0_14default_configENS1_27upper_bound_config_selectorIflEEZNS1_14transform_implILb0ES3_S5_N6thrust23THRUST_200600_302600_NS6detail15normal_iteratorINS8_7pointerIfNS8_11hip_rocprim5par_tENS8_11use_defaultESE_EEEENSA_INSB_IlSD_SE_SE_EEEEZNS1_13binary_searchIS3_S5_PfSG_SI_NS1_21upper_bound_search_opENS9_16wrapped_functionINS8_6system6detail7generic6detail18binary_search_lessEbEEEE10hipError_tPvRmT1_T2_T3_mmT4_T5_P12ihipStream_tbEUlRKfE_EEST_SX_SY_mSZ_S12_bEUlT_E_NS1_11comp_targetILNS1_3genE3ELNS1_11target_archE908ELNS1_3gpuE7ELNS1_3repE0EEENS1_30default_config_static_selectorELNS0_4arch9wavefront6targetE0EEEvSW_.has_dyn_sized_stack, 0
	.set _ZN7rocprim17ROCPRIM_400000_NS6detail17trampoline_kernelINS0_14default_configENS1_27upper_bound_config_selectorIflEEZNS1_14transform_implILb0ES3_S5_N6thrust23THRUST_200600_302600_NS6detail15normal_iteratorINS8_7pointerIfNS8_11hip_rocprim5par_tENS8_11use_defaultESE_EEEENSA_INSB_IlSD_SE_SE_EEEEZNS1_13binary_searchIS3_S5_PfSG_SI_NS1_21upper_bound_search_opENS9_16wrapped_functionINS8_6system6detail7generic6detail18binary_search_lessEbEEEE10hipError_tPvRmT1_T2_T3_mmT4_T5_P12ihipStream_tbEUlRKfE_EEST_SX_SY_mSZ_S12_bEUlT_E_NS1_11comp_targetILNS1_3genE3ELNS1_11target_archE908ELNS1_3gpuE7ELNS1_3repE0EEENS1_30default_config_static_selectorELNS0_4arch9wavefront6targetE0EEEvSW_.has_recursion, 0
	.set _ZN7rocprim17ROCPRIM_400000_NS6detail17trampoline_kernelINS0_14default_configENS1_27upper_bound_config_selectorIflEEZNS1_14transform_implILb0ES3_S5_N6thrust23THRUST_200600_302600_NS6detail15normal_iteratorINS8_7pointerIfNS8_11hip_rocprim5par_tENS8_11use_defaultESE_EEEENSA_INSB_IlSD_SE_SE_EEEEZNS1_13binary_searchIS3_S5_PfSG_SI_NS1_21upper_bound_search_opENS9_16wrapped_functionINS8_6system6detail7generic6detail18binary_search_lessEbEEEE10hipError_tPvRmT1_T2_T3_mmT4_T5_P12ihipStream_tbEUlRKfE_EEST_SX_SY_mSZ_S12_bEUlT_E_NS1_11comp_targetILNS1_3genE3ELNS1_11target_archE908ELNS1_3gpuE7ELNS1_3repE0EEENS1_30default_config_static_selectorELNS0_4arch9wavefront6targetE0EEEvSW_.has_indirect_call, 0
	.section	.AMDGPU.csdata,"",@progbits
; Kernel info:
; codeLenInByte = 0
; TotalNumSgprs: 0
; NumVgprs: 0
; ScratchSize: 0
; MemoryBound: 0
; FloatMode: 240
; IeeeMode: 1
; LDSByteSize: 0 bytes/workgroup (compile time only)
; SGPRBlocks: 0
; VGPRBlocks: 0
; NumSGPRsForWavesPerEU: 1
; NumVGPRsForWavesPerEU: 1
; Occupancy: 16
; WaveLimiterHint : 0
; COMPUTE_PGM_RSRC2:SCRATCH_EN: 0
; COMPUTE_PGM_RSRC2:USER_SGPR: 6
; COMPUTE_PGM_RSRC2:TRAP_HANDLER: 0
; COMPUTE_PGM_RSRC2:TGID_X_EN: 1
; COMPUTE_PGM_RSRC2:TGID_Y_EN: 0
; COMPUTE_PGM_RSRC2:TGID_Z_EN: 0
; COMPUTE_PGM_RSRC2:TIDIG_COMP_CNT: 0
	.section	.text._ZN7rocprim17ROCPRIM_400000_NS6detail17trampoline_kernelINS0_14default_configENS1_27upper_bound_config_selectorIflEEZNS1_14transform_implILb0ES3_S5_N6thrust23THRUST_200600_302600_NS6detail15normal_iteratorINS8_7pointerIfNS8_11hip_rocprim5par_tENS8_11use_defaultESE_EEEENSA_INSB_IlSD_SE_SE_EEEEZNS1_13binary_searchIS3_S5_PfSG_SI_NS1_21upper_bound_search_opENS9_16wrapped_functionINS8_6system6detail7generic6detail18binary_search_lessEbEEEE10hipError_tPvRmT1_T2_T3_mmT4_T5_P12ihipStream_tbEUlRKfE_EEST_SX_SY_mSZ_S12_bEUlT_E_NS1_11comp_targetILNS1_3genE2ELNS1_11target_archE906ELNS1_3gpuE6ELNS1_3repE0EEENS1_30default_config_static_selectorELNS0_4arch9wavefront6targetE0EEEvSW_,"axG",@progbits,_ZN7rocprim17ROCPRIM_400000_NS6detail17trampoline_kernelINS0_14default_configENS1_27upper_bound_config_selectorIflEEZNS1_14transform_implILb0ES3_S5_N6thrust23THRUST_200600_302600_NS6detail15normal_iteratorINS8_7pointerIfNS8_11hip_rocprim5par_tENS8_11use_defaultESE_EEEENSA_INSB_IlSD_SE_SE_EEEEZNS1_13binary_searchIS3_S5_PfSG_SI_NS1_21upper_bound_search_opENS9_16wrapped_functionINS8_6system6detail7generic6detail18binary_search_lessEbEEEE10hipError_tPvRmT1_T2_T3_mmT4_T5_P12ihipStream_tbEUlRKfE_EEST_SX_SY_mSZ_S12_bEUlT_E_NS1_11comp_targetILNS1_3genE2ELNS1_11target_archE906ELNS1_3gpuE6ELNS1_3repE0EEENS1_30default_config_static_selectorELNS0_4arch9wavefront6targetE0EEEvSW_,comdat
	.protected	_ZN7rocprim17ROCPRIM_400000_NS6detail17trampoline_kernelINS0_14default_configENS1_27upper_bound_config_selectorIflEEZNS1_14transform_implILb0ES3_S5_N6thrust23THRUST_200600_302600_NS6detail15normal_iteratorINS8_7pointerIfNS8_11hip_rocprim5par_tENS8_11use_defaultESE_EEEENSA_INSB_IlSD_SE_SE_EEEEZNS1_13binary_searchIS3_S5_PfSG_SI_NS1_21upper_bound_search_opENS9_16wrapped_functionINS8_6system6detail7generic6detail18binary_search_lessEbEEEE10hipError_tPvRmT1_T2_T3_mmT4_T5_P12ihipStream_tbEUlRKfE_EEST_SX_SY_mSZ_S12_bEUlT_E_NS1_11comp_targetILNS1_3genE2ELNS1_11target_archE906ELNS1_3gpuE6ELNS1_3repE0EEENS1_30default_config_static_selectorELNS0_4arch9wavefront6targetE0EEEvSW_ ; -- Begin function _ZN7rocprim17ROCPRIM_400000_NS6detail17trampoline_kernelINS0_14default_configENS1_27upper_bound_config_selectorIflEEZNS1_14transform_implILb0ES3_S5_N6thrust23THRUST_200600_302600_NS6detail15normal_iteratorINS8_7pointerIfNS8_11hip_rocprim5par_tENS8_11use_defaultESE_EEEENSA_INSB_IlSD_SE_SE_EEEEZNS1_13binary_searchIS3_S5_PfSG_SI_NS1_21upper_bound_search_opENS9_16wrapped_functionINS8_6system6detail7generic6detail18binary_search_lessEbEEEE10hipError_tPvRmT1_T2_T3_mmT4_T5_P12ihipStream_tbEUlRKfE_EEST_SX_SY_mSZ_S12_bEUlT_E_NS1_11comp_targetILNS1_3genE2ELNS1_11target_archE906ELNS1_3gpuE6ELNS1_3repE0EEENS1_30default_config_static_selectorELNS0_4arch9wavefront6targetE0EEEvSW_
	.globl	_ZN7rocprim17ROCPRIM_400000_NS6detail17trampoline_kernelINS0_14default_configENS1_27upper_bound_config_selectorIflEEZNS1_14transform_implILb0ES3_S5_N6thrust23THRUST_200600_302600_NS6detail15normal_iteratorINS8_7pointerIfNS8_11hip_rocprim5par_tENS8_11use_defaultESE_EEEENSA_INSB_IlSD_SE_SE_EEEEZNS1_13binary_searchIS3_S5_PfSG_SI_NS1_21upper_bound_search_opENS9_16wrapped_functionINS8_6system6detail7generic6detail18binary_search_lessEbEEEE10hipError_tPvRmT1_T2_T3_mmT4_T5_P12ihipStream_tbEUlRKfE_EEST_SX_SY_mSZ_S12_bEUlT_E_NS1_11comp_targetILNS1_3genE2ELNS1_11target_archE906ELNS1_3gpuE6ELNS1_3repE0EEENS1_30default_config_static_selectorELNS0_4arch9wavefront6targetE0EEEvSW_
	.p2align	8
	.type	_ZN7rocprim17ROCPRIM_400000_NS6detail17trampoline_kernelINS0_14default_configENS1_27upper_bound_config_selectorIflEEZNS1_14transform_implILb0ES3_S5_N6thrust23THRUST_200600_302600_NS6detail15normal_iteratorINS8_7pointerIfNS8_11hip_rocprim5par_tENS8_11use_defaultESE_EEEENSA_INSB_IlSD_SE_SE_EEEEZNS1_13binary_searchIS3_S5_PfSG_SI_NS1_21upper_bound_search_opENS9_16wrapped_functionINS8_6system6detail7generic6detail18binary_search_lessEbEEEE10hipError_tPvRmT1_T2_T3_mmT4_T5_P12ihipStream_tbEUlRKfE_EEST_SX_SY_mSZ_S12_bEUlT_E_NS1_11comp_targetILNS1_3genE2ELNS1_11target_archE906ELNS1_3gpuE6ELNS1_3repE0EEENS1_30default_config_static_selectorELNS0_4arch9wavefront6targetE0EEEvSW_,@function
_ZN7rocprim17ROCPRIM_400000_NS6detail17trampoline_kernelINS0_14default_configENS1_27upper_bound_config_selectorIflEEZNS1_14transform_implILb0ES3_S5_N6thrust23THRUST_200600_302600_NS6detail15normal_iteratorINS8_7pointerIfNS8_11hip_rocprim5par_tENS8_11use_defaultESE_EEEENSA_INSB_IlSD_SE_SE_EEEEZNS1_13binary_searchIS3_S5_PfSG_SI_NS1_21upper_bound_search_opENS9_16wrapped_functionINS8_6system6detail7generic6detail18binary_search_lessEbEEEE10hipError_tPvRmT1_T2_T3_mmT4_T5_P12ihipStream_tbEUlRKfE_EEST_SX_SY_mSZ_S12_bEUlT_E_NS1_11comp_targetILNS1_3genE2ELNS1_11target_archE906ELNS1_3gpuE6ELNS1_3repE0EEENS1_30default_config_static_selectorELNS0_4arch9wavefront6targetE0EEEvSW_: ; @_ZN7rocprim17ROCPRIM_400000_NS6detail17trampoline_kernelINS0_14default_configENS1_27upper_bound_config_selectorIflEEZNS1_14transform_implILb0ES3_S5_N6thrust23THRUST_200600_302600_NS6detail15normal_iteratorINS8_7pointerIfNS8_11hip_rocprim5par_tENS8_11use_defaultESE_EEEENSA_INSB_IlSD_SE_SE_EEEEZNS1_13binary_searchIS3_S5_PfSG_SI_NS1_21upper_bound_search_opENS9_16wrapped_functionINS8_6system6detail7generic6detail18binary_search_lessEbEEEE10hipError_tPvRmT1_T2_T3_mmT4_T5_P12ihipStream_tbEUlRKfE_EEST_SX_SY_mSZ_S12_bEUlT_E_NS1_11comp_targetILNS1_3genE2ELNS1_11target_archE906ELNS1_3gpuE6ELNS1_3repE0EEENS1_30default_config_static_selectorELNS0_4arch9wavefront6targetE0EEEvSW_
; %bb.0:
	.section	.rodata,"a",@progbits
	.p2align	6, 0x0
	.amdhsa_kernel _ZN7rocprim17ROCPRIM_400000_NS6detail17trampoline_kernelINS0_14default_configENS1_27upper_bound_config_selectorIflEEZNS1_14transform_implILb0ES3_S5_N6thrust23THRUST_200600_302600_NS6detail15normal_iteratorINS8_7pointerIfNS8_11hip_rocprim5par_tENS8_11use_defaultESE_EEEENSA_INSB_IlSD_SE_SE_EEEEZNS1_13binary_searchIS3_S5_PfSG_SI_NS1_21upper_bound_search_opENS9_16wrapped_functionINS8_6system6detail7generic6detail18binary_search_lessEbEEEE10hipError_tPvRmT1_T2_T3_mmT4_T5_P12ihipStream_tbEUlRKfE_EEST_SX_SY_mSZ_S12_bEUlT_E_NS1_11comp_targetILNS1_3genE2ELNS1_11target_archE906ELNS1_3gpuE6ELNS1_3repE0EEENS1_30default_config_static_selectorELNS0_4arch9wavefront6targetE0EEEvSW_
		.amdhsa_group_segment_fixed_size 0
		.amdhsa_private_segment_fixed_size 0
		.amdhsa_kernarg_size 56
		.amdhsa_user_sgpr_count 6
		.amdhsa_user_sgpr_private_segment_buffer 1
		.amdhsa_user_sgpr_dispatch_ptr 0
		.amdhsa_user_sgpr_queue_ptr 0
		.amdhsa_user_sgpr_kernarg_segment_ptr 1
		.amdhsa_user_sgpr_dispatch_id 0
		.amdhsa_user_sgpr_flat_scratch_init 0
		.amdhsa_user_sgpr_private_segment_size 0
		.amdhsa_wavefront_size32 1
		.amdhsa_uses_dynamic_stack 0
		.amdhsa_system_sgpr_private_segment_wavefront_offset 0
		.amdhsa_system_sgpr_workgroup_id_x 1
		.amdhsa_system_sgpr_workgroup_id_y 0
		.amdhsa_system_sgpr_workgroup_id_z 0
		.amdhsa_system_sgpr_workgroup_info 0
		.amdhsa_system_vgpr_workitem_id 0
		.amdhsa_next_free_vgpr 1
		.amdhsa_next_free_sgpr 1
		.amdhsa_reserve_vcc 0
		.amdhsa_reserve_flat_scratch 0
		.amdhsa_float_round_mode_32 0
		.amdhsa_float_round_mode_16_64 0
		.amdhsa_float_denorm_mode_32 3
		.amdhsa_float_denorm_mode_16_64 3
		.amdhsa_dx10_clamp 1
		.amdhsa_ieee_mode 1
		.amdhsa_fp16_overflow 0
		.amdhsa_workgroup_processor_mode 1
		.amdhsa_memory_ordered 1
		.amdhsa_forward_progress 1
		.amdhsa_shared_vgpr_count 0
		.amdhsa_exception_fp_ieee_invalid_op 0
		.amdhsa_exception_fp_denorm_src 0
		.amdhsa_exception_fp_ieee_div_zero 0
		.amdhsa_exception_fp_ieee_overflow 0
		.amdhsa_exception_fp_ieee_underflow 0
		.amdhsa_exception_fp_ieee_inexact 0
		.amdhsa_exception_int_div_zero 0
	.end_amdhsa_kernel
	.section	.text._ZN7rocprim17ROCPRIM_400000_NS6detail17trampoline_kernelINS0_14default_configENS1_27upper_bound_config_selectorIflEEZNS1_14transform_implILb0ES3_S5_N6thrust23THRUST_200600_302600_NS6detail15normal_iteratorINS8_7pointerIfNS8_11hip_rocprim5par_tENS8_11use_defaultESE_EEEENSA_INSB_IlSD_SE_SE_EEEEZNS1_13binary_searchIS3_S5_PfSG_SI_NS1_21upper_bound_search_opENS9_16wrapped_functionINS8_6system6detail7generic6detail18binary_search_lessEbEEEE10hipError_tPvRmT1_T2_T3_mmT4_T5_P12ihipStream_tbEUlRKfE_EEST_SX_SY_mSZ_S12_bEUlT_E_NS1_11comp_targetILNS1_3genE2ELNS1_11target_archE906ELNS1_3gpuE6ELNS1_3repE0EEENS1_30default_config_static_selectorELNS0_4arch9wavefront6targetE0EEEvSW_,"axG",@progbits,_ZN7rocprim17ROCPRIM_400000_NS6detail17trampoline_kernelINS0_14default_configENS1_27upper_bound_config_selectorIflEEZNS1_14transform_implILb0ES3_S5_N6thrust23THRUST_200600_302600_NS6detail15normal_iteratorINS8_7pointerIfNS8_11hip_rocprim5par_tENS8_11use_defaultESE_EEEENSA_INSB_IlSD_SE_SE_EEEEZNS1_13binary_searchIS3_S5_PfSG_SI_NS1_21upper_bound_search_opENS9_16wrapped_functionINS8_6system6detail7generic6detail18binary_search_lessEbEEEE10hipError_tPvRmT1_T2_T3_mmT4_T5_P12ihipStream_tbEUlRKfE_EEST_SX_SY_mSZ_S12_bEUlT_E_NS1_11comp_targetILNS1_3genE2ELNS1_11target_archE906ELNS1_3gpuE6ELNS1_3repE0EEENS1_30default_config_static_selectorELNS0_4arch9wavefront6targetE0EEEvSW_,comdat
.Lfunc_end176:
	.size	_ZN7rocprim17ROCPRIM_400000_NS6detail17trampoline_kernelINS0_14default_configENS1_27upper_bound_config_selectorIflEEZNS1_14transform_implILb0ES3_S5_N6thrust23THRUST_200600_302600_NS6detail15normal_iteratorINS8_7pointerIfNS8_11hip_rocprim5par_tENS8_11use_defaultESE_EEEENSA_INSB_IlSD_SE_SE_EEEEZNS1_13binary_searchIS3_S5_PfSG_SI_NS1_21upper_bound_search_opENS9_16wrapped_functionINS8_6system6detail7generic6detail18binary_search_lessEbEEEE10hipError_tPvRmT1_T2_T3_mmT4_T5_P12ihipStream_tbEUlRKfE_EEST_SX_SY_mSZ_S12_bEUlT_E_NS1_11comp_targetILNS1_3genE2ELNS1_11target_archE906ELNS1_3gpuE6ELNS1_3repE0EEENS1_30default_config_static_selectorELNS0_4arch9wavefront6targetE0EEEvSW_, .Lfunc_end176-_ZN7rocprim17ROCPRIM_400000_NS6detail17trampoline_kernelINS0_14default_configENS1_27upper_bound_config_selectorIflEEZNS1_14transform_implILb0ES3_S5_N6thrust23THRUST_200600_302600_NS6detail15normal_iteratorINS8_7pointerIfNS8_11hip_rocprim5par_tENS8_11use_defaultESE_EEEENSA_INSB_IlSD_SE_SE_EEEEZNS1_13binary_searchIS3_S5_PfSG_SI_NS1_21upper_bound_search_opENS9_16wrapped_functionINS8_6system6detail7generic6detail18binary_search_lessEbEEEE10hipError_tPvRmT1_T2_T3_mmT4_T5_P12ihipStream_tbEUlRKfE_EEST_SX_SY_mSZ_S12_bEUlT_E_NS1_11comp_targetILNS1_3genE2ELNS1_11target_archE906ELNS1_3gpuE6ELNS1_3repE0EEENS1_30default_config_static_selectorELNS0_4arch9wavefront6targetE0EEEvSW_
                                        ; -- End function
	.set _ZN7rocprim17ROCPRIM_400000_NS6detail17trampoline_kernelINS0_14default_configENS1_27upper_bound_config_selectorIflEEZNS1_14transform_implILb0ES3_S5_N6thrust23THRUST_200600_302600_NS6detail15normal_iteratorINS8_7pointerIfNS8_11hip_rocprim5par_tENS8_11use_defaultESE_EEEENSA_INSB_IlSD_SE_SE_EEEEZNS1_13binary_searchIS3_S5_PfSG_SI_NS1_21upper_bound_search_opENS9_16wrapped_functionINS8_6system6detail7generic6detail18binary_search_lessEbEEEE10hipError_tPvRmT1_T2_T3_mmT4_T5_P12ihipStream_tbEUlRKfE_EEST_SX_SY_mSZ_S12_bEUlT_E_NS1_11comp_targetILNS1_3genE2ELNS1_11target_archE906ELNS1_3gpuE6ELNS1_3repE0EEENS1_30default_config_static_selectorELNS0_4arch9wavefront6targetE0EEEvSW_.num_vgpr, 0
	.set _ZN7rocprim17ROCPRIM_400000_NS6detail17trampoline_kernelINS0_14default_configENS1_27upper_bound_config_selectorIflEEZNS1_14transform_implILb0ES3_S5_N6thrust23THRUST_200600_302600_NS6detail15normal_iteratorINS8_7pointerIfNS8_11hip_rocprim5par_tENS8_11use_defaultESE_EEEENSA_INSB_IlSD_SE_SE_EEEEZNS1_13binary_searchIS3_S5_PfSG_SI_NS1_21upper_bound_search_opENS9_16wrapped_functionINS8_6system6detail7generic6detail18binary_search_lessEbEEEE10hipError_tPvRmT1_T2_T3_mmT4_T5_P12ihipStream_tbEUlRKfE_EEST_SX_SY_mSZ_S12_bEUlT_E_NS1_11comp_targetILNS1_3genE2ELNS1_11target_archE906ELNS1_3gpuE6ELNS1_3repE0EEENS1_30default_config_static_selectorELNS0_4arch9wavefront6targetE0EEEvSW_.num_agpr, 0
	.set _ZN7rocprim17ROCPRIM_400000_NS6detail17trampoline_kernelINS0_14default_configENS1_27upper_bound_config_selectorIflEEZNS1_14transform_implILb0ES3_S5_N6thrust23THRUST_200600_302600_NS6detail15normal_iteratorINS8_7pointerIfNS8_11hip_rocprim5par_tENS8_11use_defaultESE_EEEENSA_INSB_IlSD_SE_SE_EEEEZNS1_13binary_searchIS3_S5_PfSG_SI_NS1_21upper_bound_search_opENS9_16wrapped_functionINS8_6system6detail7generic6detail18binary_search_lessEbEEEE10hipError_tPvRmT1_T2_T3_mmT4_T5_P12ihipStream_tbEUlRKfE_EEST_SX_SY_mSZ_S12_bEUlT_E_NS1_11comp_targetILNS1_3genE2ELNS1_11target_archE906ELNS1_3gpuE6ELNS1_3repE0EEENS1_30default_config_static_selectorELNS0_4arch9wavefront6targetE0EEEvSW_.numbered_sgpr, 0
	.set _ZN7rocprim17ROCPRIM_400000_NS6detail17trampoline_kernelINS0_14default_configENS1_27upper_bound_config_selectorIflEEZNS1_14transform_implILb0ES3_S5_N6thrust23THRUST_200600_302600_NS6detail15normal_iteratorINS8_7pointerIfNS8_11hip_rocprim5par_tENS8_11use_defaultESE_EEEENSA_INSB_IlSD_SE_SE_EEEEZNS1_13binary_searchIS3_S5_PfSG_SI_NS1_21upper_bound_search_opENS9_16wrapped_functionINS8_6system6detail7generic6detail18binary_search_lessEbEEEE10hipError_tPvRmT1_T2_T3_mmT4_T5_P12ihipStream_tbEUlRKfE_EEST_SX_SY_mSZ_S12_bEUlT_E_NS1_11comp_targetILNS1_3genE2ELNS1_11target_archE906ELNS1_3gpuE6ELNS1_3repE0EEENS1_30default_config_static_selectorELNS0_4arch9wavefront6targetE0EEEvSW_.num_named_barrier, 0
	.set _ZN7rocprim17ROCPRIM_400000_NS6detail17trampoline_kernelINS0_14default_configENS1_27upper_bound_config_selectorIflEEZNS1_14transform_implILb0ES3_S5_N6thrust23THRUST_200600_302600_NS6detail15normal_iteratorINS8_7pointerIfNS8_11hip_rocprim5par_tENS8_11use_defaultESE_EEEENSA_INSB_IlSD_SE_SE_EEEEZNS1_13binary_searchIS3_S5_PfSG_SI_NS1_21upper_bound_search_opENS9_16wrapped_functionINS8_6system6detail7generic6detail18binary_search_lessEbEEEE10hipError_tPvRmT1_T2_T3_mmT4_T5_P12ihipStream_tbEUlRKfE_EEST_SX_SY_mSZ_S12_bEUlT_E_NS1_11comp_targetILNS1_3genE2ELNS1_11target_archE906ELNS1_3gpuE6ELNS1_3repE0EEENS1_30default_config_static_selectorELNS0_4arch9wavefront6targetE0EEEvSW_.private_seg_size, 0
	.set _ZN7rocprim17ROCPRIM_400000_NS6detail17trampoline_kernelINS0_14default_configENS1_27upper_bound_config_selectorIflEEZNS1_14transform_implILb0ES3_S5_N6thrust23THRUST_200600_302600_NS6detail15normal_iteratorINS8_7pointerIfNS8_11hip_rocprim5par_tENS8_11use_defaultESE_EEEENSA_INSB_IlSD_SE_SE_EEEEZNS1_13binary_searchIS3_S5_PfSG_SI_NS1_21upper_bound_search_opENS9_16wrapped_functionINS8_6system6detail7generic6detail18binary_search_lessEbEEEE10hipError_tPvRmT1_T2_T3_mmT4_T5_P12ihipStream_tbEUlRKfE_EEST_SX_SY_mSZ_S12_bEUlT_E_NS1_11comp_targetILNS1_3genE2ELNS1_11target_archE906ELNS1_3gpuE6ELNS1_3repE0EEENS1_30default_config_static_selectorELNS0_4arch9wavefront6targetE0EEEvSW_.uses_vcc, 0
	.set _ZN7rocprim17ROCPRIM_400000_NS6detail17trampoline_kernelINS0_14default_configENS1_27upper_bound_config_selectorIflEEZNS1_14transform_implILb0ES3_S5_N6thrust23THRUST_200600_302600_NS6detail15normal_iteratorINS8_7pointerIfNS8_11hip_rocprim5par_tENS8_11use_defaultESE_EEEENSA_INSB_IlSD_SE_SE_EEEEZNS1_13binary_searchIS3_S5_PfSG_SI_NS1_21upper_bound_search_opENS9_16wrapped_functionINS8_6system6detail7generic6detail18binary_search_lessEbEEEE10hipError_tPvRmT1_T2_T3_mmT4_T5_P12ihipStream_tbEUlRKfE_EEST_SX_SY_mSZ_S12_bEUlT_E_NS1_11comp_targetILNS1_3genE2ELNS1_11target_archE906ELNS1_3gpuE6ELNS1_3repE0EEENS1_30default_config_static_selectorELNS0_4arch9wavefront6targetE0EEEvSW_.uses_flat_scratch, 0
	.set _ZN7rocprim17ROCPRIM_400000_NS6detail17trampoline_kernelINS0_14default_configENS1_27upper_bound_config_selectorIflEEZNS1_14transform_implILb0ES3_S5_N6thrust23THRUST_200600_302600_NS6detail15normal_iteratorINS8_7pointerIfNS8_11hip_rocprim5par_tENS8_11use_defaultESE_EEEENSA_INSB_IlSD_SE_SE_EEEEZNS1_13binary_searchIS3_S5_PfSG_SI_NS1_21upper_bound_search_opENS9_16wrapped_functionINS8_6system6detail7generic6detail18binary_search_lessEbEEEE10hipError_tPvRmT1_T2_T3_mmT4_T5_P12ihipStream_tbEUlRKfE_EEST_SX_SY_mSZ_S12_bEUlT_E_NS1_11comp_targetILNS1_3genE2ELNS1_11target_archE906ELNS1_3gpuE6ELNS1_3repE0EEENS1_30default_config_static_selectorELNS0_4arch9wavefront6targetE0EEEvSW_.has_dyn_sized_stack, 0
	.set _ZN7rocprim17ROCPRIM_400000_NS6detail17trampoline_kernelINS0_14default_configENS1_27upper_bound_config_selectorIflEEZNS1_14transform_implILb0ES3_S5_N6thrust23THRUST_200600_302600_NS6detail15normal_iteratorINS8_7pointerIfNS8_11hip_rocprim5par_tENS8_11use_defaultESE_EEEENSA_INSB_IlSD_SE_SE_EEEEZNS1_13binary_searchIS3_S5_PfSG_SI_NS1_21upper_bound_search_opENS9_16wrapped_functionINS8_6system6detail7generic6detail18binary_search_lessEbEEEE10hipError_tPvRmT1_T2_T3_mmT4_T5_P12ihipStream_tbEUlRKfE_EEST_SX_SY_mSZ_S12_bEUlT_E_NS1_11comp_targetILNS1_3genE2ELNS1_11target_archE906ELNS1_3gpuE6ELNS1_3repE0EEENS1_30default_config_static_selectorELNS0_4arch9wavefront6targetE0EEEvSW_.has_recursion, 0
	.set _ZN7rocprim17ROCPRIM_400000_NS6detail17trampoline_kernelINS0_14default_configENS1_27upper_bound_config_selectorIflEEZNS1_14transform_implILb0ES3_S5_N6thrust23THRUST_200600_302600_NS6detail15normal_iteratorINS8_7pointerIfNS8_11hip_rocprim5par_tENS8_11use_defaultESE_EEEENSA_INSB_IlSD_SE_SE_EEEEZNS1_13binary_searchIS3_S5_PfSG_SI_NS1_21upper_bound_search_opENS9_16wrapped_functionINS8_6system6detail7generic6detail18binary_search_lessEbEEEE10hipError_tPvRmT1_T2_T3_mmT4_T5_P12ihipStream_tbEUlRKfE_EEST_SX_SY_mSZ_S12_bEUlT_E_NS1_11comp_targetILNS1_3genE2ELNS1_11target_archE906ELNS1_3gpuE6ELNS1_3repE0EEENS1_30default_config_static_selectorELNS0_4arch9wavefront6targetE0EEEvSW_.has_indirect_call, 0
	.section	.AMDGPU.csdata,"",@progbits
; Kernel info:
; codeLenInByte = 0
; TotalNumSgprs: 0
; NumVgprs: 0
; ScratchSize: 0
; MemoryBound: 0
; FloatMode: 240
; IeeeMode: 1
; LDSByteSize: 0 bytes/workgroup (compile time only)
; SGPRBlocks: 0
; VGPRBlocks: 0
; NumSGPRsForWavesPerEU: 1
; NumVGPRsForWavesPerEU: 1
; Occupancy: 16
; WaveLimiterHint : 0
; COMPUTE_PGM_RSRC2:SCRATCH_EN: 0
; COMPUTE_PGM_RSRC2:USER_SGPR: 6
; COMPUTE_PGM_RSRC2:TRAP_HANDLER: 0
; COMPUTE_PGM_RSRC2:TGID_X_EN: 1
; COMPUTE_PGM_RSRC2:TGID_Y_EN: 0
; COMPUTE_PGM_RSRC2:TGID_Z_EN: 0
; COMPUTE_PGM_RSRC2:TIDIG_COMP_CNT: 0
	.section	.text._ZN7rocprim17ROCPRIM_400000_NS6detail17trampoline_kernelINS0_14default_configENS1_27upper_bound_config_selectorIflEEZNS1_14transform_implILb0ES3_S5_N6thrust23THRUST_200600_302600_NS6detail15normal_iteratorINS8_7pointerIfNS8_11hip_rocprim5par_tENS8_11use_defaultESE_EEEENSA_INSB_IlSD_SE_SE_EEEEZNS1_13binary_searchIS3_S5_PfSG_SI_NS1_21upper_bound_search_opENS9_16wrapped_functionINS8_6system6detail7generic6detail18binary_search_lessEbEEEE10hipError_tPvRmT1_T2_T3_mmT4_T5_P12ihipStream_tbEUlRKfE_EEST_SX_SY_mSZ_S12_bEUlT_E_NS1_11comp_targetILNS1_3genE10ELNS1_11target_archE1201ELNS1_3gpuE5ELNS1_3repE0EEENS1_30default_config_static_selectorELNS0_4arch9wavefront6targetE0EEEvSW_,"axG",@progbits,_ZN7rocprim17ROCPRIM_400000_NS6detail17trampoline_kernelINS0_14default_configENS1_27upper_bound_config_selectorIflEEZNS1_14transform_implILb0ES3_S5_N6thrust23THRUST_200600_302600_NS6detail15normal_iteratorINS8_7pointerIfNS8_11hip_rocprim5par_tENS8_11use_defaultESE_EEEENSA_INSB_IlSD_SE_SE_EEEEZNS1_13binary_searchIS3_S5_PfSG_SI_NS1_21upper_bound_search_opENS9_16wrapped_functionINS8_6system6detail7generic6detail18binary_search_lessEbEEEE10hipError_tPvRmT1_T2_T3_mmT4_T5_P12ihipStream_tbEUlRKfE_EEST_SX_SY_mSZ_S12_bEUlT_E_NS1_11comp_targetILNS1_3genE10ELNS1_11target_archE1201ELNS1_3gpuE5ELNS1_3repE0EEENS1_30default_config_static_selectorELNS0_4arch9wavefront6targetE0EEEvSW_,comdat
	.protected	_ZN7rocprim17ROCPRIM_400000_NS6detail17trampoline_kernelINS0_14default_configENS1_27upper_bound_config_selectorIflEEZNS1_14transform_implILb0ES3_S5_N6thrust23THRUST_200600_302600_NS6detail15normal_iteratorINS8_7pointerIfNS8_11hip_rocprim5par_tENS8_11use_defaultESE_EEEENSA_INSB_IlSD_SE_SE_EEEEZNS1_13binary_searchIS3_S5_PfSG_SI_NS1_21upper_bound_search_opENS9_16wrapped_functionINS8_6system6detail7generic6detail18binary_search_lessEbEEEE10hipError_tPvRmT1_T2_T3_mmT4_T5_P12ihipStream_tbEUlRKfE_EEST_SX_SY_mSZ_S12_bEUlT_E_NS1_11comp_targetILNS1_3genE10ELNS1_11target_archE1201ELNS1_3gpuE5ELNS1_3repE0EEENS1_30default_config_static_selectorELNS0_4arch9wavefront6targetE0EEEvSW_ ; -- Begin function _ZN7rocprim17ROCPRIM_400000_NS6detail17trampoline_kernelINS0_14default_configENS1_27upper_bound_config_selectorIflEEZNS1_14transform_implILb0ES3_S5_N6thrust23THRUST_200600_302600_NS6detail15normal_iteratorINS8_7pointerIfNS8_11hip_rocprim5par_tENS8_11use_defaultESE_EEEENSA_INSB_IlSD_SE_SE_EEEEZNS1_13binary_searchIS3_S5_PfSG_SI_NS1_21upper_bound_search_opENS9_16wrapped_functionINS8_6system6detail7generic6detail18binary_search_lessEbEEEE10hipError_tPvRmT1_T2_T3_mmT4_T5_P12ihipStream_tbEUlRKfE_EEST_SX_SY_mSZ_S12_bEUlT_E_NS1_11comp_targetILNS1_3genE10ELNS1_11target_archE1201ELNS1_3gpuE5ELNS1_3repE0EEENS1_30default_config_static_selectorELNS0_4arch9wavefront6targetE0EEEvSW_
	.globl	_ZN7rocprim17ROCPRIM_400000_NS6detail17trampoline_kernelINS0_14default_configENS1_27upper_bound_config_selectorIflEEZNS1_14transform_implILb0ES3_S5_N6thrust23THRUST_200600_302600_NS6detail15normal_iteratorINS8_7pointerIfNS8_11hip_rocprim5par_tENS8_11use_defaultESE_EEEENSA_INSB_IlSD_SE_SE_EEEEZNS1_13binary_searchIS3_S5_PfSG_SI_NS1_21upper_bound_search_opENS9_16wrapped_functionINS8_6system6detail7generic6detail18binary_search_lessEbEEEE10hipError_tPvRmT1_T2_T3_mmT4_T5_P12ihipStream_tbEUlRKfE_EEST_SX_SY_mSZ_S12_bEUlT_E_NS1_11comp_targetILNS1_3genE10ELNS1_11target_archE1201ELNS1_3gpuE5ELNS1_3repE0EEENS1_30default_config_static_selectorELNS0_4arch9wavefront6targetE0EEEvSW_
	.p2align	8
	.type	_ZN7rocprim17ROCPRIM_400000_NS6detail17trampoline_kernelINS0_14default_configENS1_27upper_bound_config_selectorIflEEZNS1_14transform_implILb0ES3_S5_N6thrust23THRUST_200600_302600_NS6detail15normal_iteratorINS8_7pointerIfNS8_11hip_rocprim5par_tENS8_11use_defaultESE_EEEENSA_INSB_IlSD_SE_SE_EEEEZNS1_13binary_searchIS3_S5_PfSG_SI_NS1_21upper_bound_search_opENS9_16wrapped_functionINS8_6system6detail7generic6detail18binary_search_lessEbEEEE10hipError_tPvRmT1_T2_T3_mmT4_T5_P12ihipStream_tbEUlRKfE_EEST_SX_SY_mSZ_S12_bEUlT_E_NS1_11comp_targetILNS1_3genE10ELNS1_11target_archE1201ELNS1_3gpuE5ELNS1_3repE0EEENS1_30default_config_static_selectorELNS0_4arch9wavefront6targetE0EEEvSW_,@function
_ZN7rocprim17ROCPRIM_400000_NS6detail17trampoline_kernelINS0_14default_configENS1_27upper_bound_config_selectorIflEEZNS1_14transform_implILb0ES3_S5_N6thrust23THRUST_200600_302600_NS6detail15normal_iteratorINS8_7pointerIfNS8_11hip_rocprim5par_tENS8_11use_defaultESE_EEEENSA_INSB_IlSD_SE_SE_EEEEZNS1_13binary_searchIS3_S5_PfSG_SI_NS1_21upper_bound_search_opENS9_16wrapped_functionINS8_6system6detail7generic6detail18binary_search_lessEbEEEE10hipError_tPvRmT1_T2_T3_mmT4_T5_P12ihipStream_tbEUlRKfE_EEST_SX_SY_mSZ_S12_bEUlT_E_NS1_11comp_targetILNS1_3genE10ELNS1_11target_archE1201ELNS1_3gpuE5ELNS1_3repE0EEENS1_30default_config_static_selectorELNS0_4arch9wavefront6targetE0EEEvSW_: ; @_ZN7rocprim17ROCPRIM_400000_NS6detail17trampoline_kernelINS0_14default_configENS1_27upper_bound_config_selectorIflEEZNS1_14transform_implILb0ES3_S5_N6thrust23THRUST_200600_302600_NS6detail15normal_iteratorINS8_7pointerIfNS8_11hip_rocprim5par_tENS8_11use_defaultESE_EEEENSA_INSB_IlSD_SE_SE_EEEEZNS1_13binary_searchIS3_S5_PfSG_SI_NS1_21upper_bound_search_opENS9_16wrapped_functionINS8_6system6detail7generic6detail18binary_search_lessEbEEEE10hipError_tPvRmT1_T2_T3_mmT4_T5_P12ihipStream_tbEUlRKfE_EEST_SX_SY_mSZ_S12_bEUlT_E_NS1_11comp_targetILNS1_3genE10ELNS1_11target_archE1201ELNS1_3gpuE5ELNS1_3repE0EEENS1_30default_config_static_selectorELNS0_4arch9wavefront6targetE0EEEvSW_
; %bb.0:
	.section	.rodata,"a",@progbits
	.p2align	6, 0x0
	.amdhsa_kernel _ZN7rocprim17ROCPRIM_400000_NS6detail17trampoline_kernelINS0_14default_configENS1_27upper_bound_config_selectorIflEEZNS1_14transform_implILb0ES3_S5_N6thrust23THRUST_200600_302600_NS6detail15normal_iteratorINS8_7pointerIfNS8_11hip_rocprim5par_tENS8_11use_defaultESE_EEEENSA_INSB_IlSD_SE_SE_EEEEZNS1_13binary_searchIS3_S5_PfSG_SI_NS1_21upper_bound_search_opENS9_16wrapped_functionINS8_6system6detail7generic6detail18binary_search_lessEbEEEE10hipError_tPvRmT1_T2_T3_mmT4_T5_P12ihipStream_tbEUlRKfE_EEST_SX_SY_mSZ_S12_bEUlT_E_NS1_11comp_targetILNS1_3genE10ELNS1_11target_archE1201ELNS1_3gpuE5ELNS1_3repE0EEENS1_30default_config_static_selectorELNS0_4arch9wavefront6targetE0EEEvSW_
		.amdhsa_group_segment_fixed_size 0
		.amdhsa_private_segment_fixed_size 0
		.amdhsa_kernarg_size 56
		.amdhsa_user_sgpr_count 6
		.amdhsa_user_sgpr_private_segment_buffer 1
		.amdhsa_user_sgpr_dispatch_ptr 0
		.amdhsa_user_sgpr_queue_ptr 0
		.amdhsa_user_sgpr_kernarg_segment_ptr 1
		.amdhsa_user_sgpr_dispatch_id 0
		.amdhsa_user_sgpr_flat_scratch_init 0
		.amdhsa_user_sgpr_private_segment_size 0
		.amdhsa_wavefront_size32 1
		.amdhsa_uses_dynamic_stack 0
		.amdhsa_system_sgpr_private_segment_wavefront_offset 0
		.amdhsa_system_sgpr_workgroup_id_x 1
		.amdhsa_system_sgpr_workgroup_id_y 0
		.amdhsa_system_sgpr_workgroup_id_z 0
		.amdhsa_system_sgpr_workgroup_info 0
		.amdhsa_system_vgpr_workitem_id 0
		.amdhsa_next_free_vgpr 1
		.amdhsa_next_free_sgpr 1
		.amdhsa_reserve_vcc 0
		.amdhsa_reserve_flat_scratch 0
		.amdhsa_float_round_mode_32 0
		.amdhsa_float_round_mode_16_64 0
		.amdhsa_float_denorm_mode_32 3
		.amdhsa_float_denorm_mode_16_64 3
		.amdhsa_dx10_clamp 1
		.amdhsa_ieee_mode 1
		.amdhsa_fp16_overflow 0
		.amdhsa_workgroup_processor_mode 1
		.amdhsa_memory_ordered 1
		.amdhsa_forward_progress 1
		.amdhsa_shared_vgpr_count 0
		.amdhsa_exception_fp_ieee_invalid_op 0
		.amdhsa_exception_fp_denorm_src 0
		.amdhsa_exception_fp_ieee_div_zero 0
		.amdhsa_exception_fp_ieee_overflow 0
		.amdhsa_exception_fp_ieee_underflow 0
		.amdhsa_exception_fp_ieee_inexact 0
		.amdhsa_exception_int_div_zero 0
	.end_amdhsa_kernel
	.section	.text._ZN7rocprim17ROCPRIM_400000_NS6detail17trampoline_kernelINS0_14default_configENS1_27upper_bound_config_selectorIflEEZNS1_14transform_implILb0ES3_S5_N6thrust23THRUST_200600_302600_NS6detail15normal_iteratorINS8_7pointerIfNS8_11hip_rocprim5par_tENS8_11use_defaultESE_EEEENSA_INSB_IlSD_SE_SE_EEEEZNS1_13binary_searchIS3_S5_PfSG_SI_NS1_21upper_bound_search_opENS9_16wrapped_functionINS8_6system6detail7generic6detail18binary_search_lessEbEEEE10hipError_tPvRmT1_T2_T3_mmT4_T5_P12ihipStream_tbEUlRKfE_EEST_SX_SY_mSZ_S12_bEUlT_E_NS1_11comp_targetILNS1_3genE10ELNS1_11target_archE1201ELNS1_3gpuE5ELNS1_3repE0EEENS1_30default_config_static_selectorELNS0_4arch9wavefront6targetE0EEEvSW_,"axG",@progbits,_ZN7rocprim17ROCPRIM_400000_NS6detail17trampoline_kernelINS0_14default_configENS1_27upper_bound_config_selectorIflEEZNS1_14transform_implILb0ES3_S5_N6thrust23THRUST_200600_302600_NS6detail15normal_iteratorINS8_7pointerIfNS8_11hip_rocprim5par_tENS8_11use_defaultESE_EEEENSA_INSB_IlSD_SE_SE_EEEEZNS1_13binary_searchIS3_S5_PfSG_SI_NS1_21upper_bound_search_opENS9_16wrapped_functionINS8_6system6detail7generic6detail18binary_search_lessEbEEEE10hipError_tPvRmT1_T2_T3_mmT4_T5_P12ihipStream_tbEUlRKfE_EEST_SX_SY_mSZ_S12_bEUlT_E_NS1_11comp_targetILNS1_3genE10ELNS1_11target_archE1201ELNS1_3gpuE5ELNS1_3repE0EEENS1_30default_config_static_selectorELNS0_4arch9wavefront6targetE0EEEvSW_,comdat
.Lfunc_end177:
	.size	_ZN7rocprim17ROCPRIM_400000_NS6detail17trampoline_kernelINS0_14default_configENS1_27upper_bound_config_selectorIflEEZNS1_14transform_implILb0ES3_S5_N6thrust23THRUST_200600_302600_NS6detail15normal_iteratorINS8_7pointerIfNS8_11hip_rocprim5par_tENS8_11use_defaultESE_EEEENSA_INSB_IlSD_SE_SE_EEEEZNS1_13binary_searchIS3_S5_PfSG_SI_NS1_21upper_bound_search_opENS9_16wrapped_functionINS8_6system6detail7generic6detail18binary_search_lessEbEEEE10hipError_tPvRmT1_T2_T3_mmT4_T5_P12ihipStream_tbEUlRKfE_EEST_SX_SY_mSZ_S12_bEUlT_E_NS1_11comp_targetILNS1_3genE10ELNS1_11target_archE1201ELNS1_3gpuE5ELNS1_3repE0EEENS1_30default_config_static_selectorELNS0_4arch9wavefront6targetE0EEEvSW_, .Lfunc_end177-_ZN7rocprim17ROCPRIM_400000_NS6detail17trampoline_kernelINS0_14default_configENS1_27upper_bound_config_selectorIflEEZNS1_14transform_implILb0ES3_S5_N6thrust23THRUST_200600_302600_NS6detail15normal_iteratorINS8_7pointerIfNS8_11hip_rocprim5par_tENS8_11use_defaultESE_EEEENSA_INSB_IlSD_SE_SE_EEEEZNS1_13binary_searchIS3_S5_PfSG_SI_NS1_21upper_bound_search_opENS9_16wrapped_functionINS8_6system6detail7generic6detail18binary_search_lessEbEEEE10hipError_tPvRmT1_T2_T3_mmT4_T5_P12ihipStream_tbEUlRKfE_EEST_SX_SY_mSZ_S12_bEUlT_E_NS1_11comp_targetILNS1_3genE10ELNS1_11target_archE1201ELNS1_3gpuE5ELNS1_3repE0EEENS1_30default_config_static_selectorELNS0_4arch9wavefront6targetE0EEEvSW_
                                        ; -- End function
	.set _ZN7rocprim17ROCPRIM_400000_NS6detail17trampoline_kernelINS0_14default_configENS1_27upper_bound_config_selectorIflEEZNS1_14transform_implILb0ES3_S5_N6thrust23THRUST_200600_302600_NS6detail15normal_iteratorINS8_7pointerIfNS8_11hip_rocprim5par_tENS8_11use_defaultESE_EEEENSA_INSB_IlSD_SE_SE_EEEEZNS1_13binary_searchIS3_S5_PfSG_SI_NS1_21upper_bound_search_opENS9_16wrapped_functionINS8_6system6detail7generic6detail18binary_search_lessEbEEEE10hipError_tPvRmT1_T2_T3_mmT4_T5_P12ihipStream_tbEUlRKfE_EEST_SX_SY_mSZ_S12_bEUlT_E_NS1_11comp_targetILNS1_3genE10ELNS1_11target_archE1201ELNS1_3gpuE5ELNS1_3repE0EEENS1_30default_config_static_selectorELNS0_4arch9wavefront6targetE0EEEvSW_.num_vgpr, 0
	.set _ZN7rocprim17ROCPRIM_400000_NS6detail17trampoline_kernelINS0_14default_configENS1_27upper_bound_config_selectorIflEEZNS1_14transform_implILb0ES3_S5_N6thrust23THRUST_200600_302600_NS6detail15normal_iteratorINS8_7pointerIfNS8_11hip_rocprim5par_tENS8_11use_defaultESE_EEEENSA_INSB_IlSD_SE_SE_EEEEZNS1_13binary_searchIS3_S5_PfSG_SI_NS1_21upper_bound_search_opENS9_16wrapped_functionINS8_6system6detail7generic6detail18binary_search_lessEbEEEE10hipError_tPvRmT1_T2_T3_mmT4_T5_P12ihipStream_tbEUlRKfE_EEST_SX_SY_mSZ_S12_bEUlT_E_NS1_11comp_targetILNS1_3genE10ELNS1_11target_archE1201ELNS1_3gpuE5ELNS1_3repE0EEENS1_30default_config_static_selectorELNS0_4arch9wavefront6targetE0EEEvSW_.num_agpr, 0
	.set _ZN7rocprim17ROCPRIM_400000_NS6detail17trampoline_kernelINS0_14default_configENS1_27upper_bound_config_selectorIflEEZNS1_14transform_implILb0ES3_S5_N6thrust23THRUST_200600_302600_NS6detail15normal_iteratorINS8_7pointerIfNS8_11hip_rocprim5par_tENS8_11use_defaultESE_EEEENSA_INSB_IlSD_SE_SE_EEEEZNS1_13binary_searchIS3_S5_PfSG_SI_NS1_21upper_bound_search_opENS9_16wrapped_functionINS8_6system6detail7generic6detail18binary_search_lessEbEEEE10hipError_tPvRmT1_T2_T3_mmT4_T5_P12ihipStream_tbEUlRKfE_EEST_SX_SY_mSZ_S12_bEUlT_E_NS1_11comp_targetILNS1_3genE10ELNS1_11target_archE1201ELNS1_3gpuE5ELNS1_3repE0EEENS1_30default_config_static_selectorELNS0_4arch9wavefront6targetE0EEEvSW_.numbered_sgpr, 0
	.set _ZN7rocprim17ROCPRIM_400000_NS6detail17trampoline_kernelINS0_14default_configENS1_27upper_bound_config_selectorIflEEZNS1_14transform_implILb0ES3_S5_N6thrust23THRUST_200600_302600_NS6detail15normal_iteratorINS8_7pointerIfNS8_11hip_rocprim5par_tENS8_11use_defaultESE_EEEENSA_INSB_IlSD_SE_SE_EEEEZNS1_13binary_searchIS3_S5_PfSG_SI_NS1_21upper_bound_search_opENS9_16wrapped_functionINS8_6system6detail7generic6detail18binary_search_lessEbEEEE10hipError_tPvRmT1_T2_T3_mmT4_T5_P12ihipStream_tbEUlRKfE_EEST_SX_SY_mSZ_S12_bEUlT_E_NS1_11comp_targetILNS1_3genE10ELNS1_11target_archE1201ELNS1_3gpuE5ELNS1_3repE0EEENS1_30default_config_static_selectorELNS0_4arch9wavefront6targetE0EEEvSW_.num_named_barrier, 0
	.set _ZN7rocprim17ROCPRIM_400000_NS6detail17trampoline_kernelINS0_14default_configENS1_27upper_bound_config_selectorIflEEZNS1_14transform_implILb0ES3_S5_N6thrust23THRUST_200600_302600_NS6detail15normal_iteratorINS8_7pointerIfNS8_11hip_rocprim5par_tENS8_11use_defaultESE_EEEENSA_INSB_IlSD_SE_SE_EEEEZNS1_13binary_searchIS3_S5_PfSG_SI_NS1_21upper_bound_search_opENS9_16wrapped_functionINS8_6system6detail7generic6detail18binary_search_lessEbEEEE10hipError_tPvRmT1_T2_T3_mmT4_T5_P12ihipStream_tbEUlRKfE_EEST_SX_SY_mSZ_S12_bEUlT_E_NS1_11comp_targetILNS1_3genE10ELNS1_11target_archE1201ELNS1_3gpuE5ELNS1_3repE0EEENS1_30default_config_static_selectorELNS0_4arch9wavefront6targetE0EEEvSW_.private_seg_size, 0
	.set _ZN7rocprim17ROCPRIM_400000_NS6detail17trampoline_kernelINS0_14default_configENS1_27upper_bound_config_selectorIflEEZNS1_14transform_implILb0ES3_S5_N6thrust23THRUST_200600_302600_NS6detail15normal_iteratorINS8_7pointerIfNS8_11hip_rocprim5par_tENS8_11use_defaultESE_EEEENSA_INSB_IlSD_SE_SE_EEEEZNS1_13binary_searchIS3_S5_PfSG_SI_NS1_21upper_bound_search_opENS9_16wrapped_functionINS8_6system6detail7generic6detail18binary_search_lessEbEEEE10hipError_tPvRmT1_T2_T3_mmT4_T5_P12ihipStream_tbEUlRKfE_EEST_SX_SY_mSZ_S12_bEUlT_E_NS1_11comp_targetILNS1_3genE10ELNS1_11target_archE1201ELNS1_3gpuE5ELNS1_3repE0EEENS1_30default_config_static_selectorELNS0_4arch9wavefront6targetE0EEEvSW_.uses_vcc, 0
	.set _ZN7rocprim17ROCPRIM_400000_NS6detail17trampoline_kernelINS0_14default_configENS1_27upper_bound_config_selectorIflEEZNS1_14transform_implILb0ES3_S5_N6thrust23THRUST_200600_302600_NS6detail15normal_iteratorINS8_7pointerIfNS8_11hip_rocprim5par_tENS8_11use_defaultESE_EEEENSA_INSB_IlSD_SE_SE_EEEEZNS1_13binary_searchIS3_S5_PfSG_SI_NS1_21upper_bound_search_opENS9_16wrapped_functionINS8_6system6detail7generic6detail18binary_search_lessEbEEEE10hipError_tPvRmT1_T2_T3_mmT4_T5_P12ihipStream_tbEUlRKfE_EEST_SX_SY_mSZ_S12_bEUlT_E_NS1_11comp_targetILNS1_3genE10ELNS1_11target_archE1201ELNS1_3gpuE5ELNS1_3repE0EEENS1_30default_config_static_selectorELNS0_4arch9wavefront6targetE0EEEvSW_.uses_flat_scratch, 0
	.set _ZN7rocprim17ROCPRIM_400000_NS6detail17trampoline_kernelINS0_14default_configENS1_27upper_bound_config_selectorIflEEZNS1_14transform_implILb0ES3_S5_N6thrust23THRUST_200600_302600_NS6detail15normal_iteratorINS8_7pointerIfNS8_11hip_rocprim5par_tENS8_11use_defaultESE_EEEENSA_INSB_IlSD_SE_SE_EEEEZNS1_13binary_searchIS3_S5_PfSG_SI_NS1_21upper_bound_search_opENS9_16wrapped_functionINS8_6system6detail7generic6detail18binary_search_lessEbEEEE10hipError_tPvRmT1_T2_T3_mmT4_T5_P12ihipStream_tbEUlRKfE_EEST_SX_SY_mSZ_S12_bEUlT_E_NS1_11comp_targetILNS1_3genE10ELNS1_11target_archE1201ELNS1_3gpuE5ELNS1_3repE0EEENS1_30default_config_static_selectorELNS0_4arch9wavefront6targetE0EEEvSW_.has_dyn_sized_stack, 0
	.set _ZN7rocprim17ROCPRIM_400000_NS6detail17trampoline_kernelINS0_14default_configENS1_27upper_bound_config_selectorIflEEZNS1_14transform_implILb0ES3_S5_N6thrust23THRUST_200600_302600_NS6detail15normal_iteratorINS8_7pointerIfNS8_11hip_rocprim5par_tENS8_11use_defaultESE_EEEENSA_INSB_IlSD_SE_SE_EEEEZNS1_13binary_searchIS3_S5_PfSG_SI_NS1_21upper_bound_search_opENS9_16wrapped_functionINS8_6system6detail7generic6detail18binary_search_lessEbEEEE10hipError_tPvRmT1_T2_T3_mmT4_T5_P12ihipStream_tbEUlRKfE_EEST_SX_SY_mSZ_S12_bEUlT_E_NS1_11comp_targetILNS1_3genE10ELNS1_11target_archE1201ELNS1_3gpuE5ELNS1_3repE0EEENS1_30default_config_static_selectorELNS0_4arch9wavefront6targetE0EEEvSW_.has_recursion, 0
	.set _ZN7rocprim17ROCPRIM_400000_NS6detail17trampoline_kernelINS0_14default_configENS1_27upper_bound_config_selectorIflEEZNS1_14transform_implILb0ES3_S5_N6thrust23THRUST_200600_302600_NS6detail15normal_iteratorINS8_7pointerIfNS8_11hip_rocprim5par_tENS8_11use_defaultESE_EEEENSA_INSB_IlSD_SE_SE_EEEEZNS1_13binary_searchIS3_S5_PfSG_SI_NS1_21upper_bound_search_opENS9_16wrapped_functionINS8_6system6detail7generic6detail18binary_search_lessEbEEEE10hipError_tPvRmT1_T2_T3_mmT4_T5_P12ihipStream_tbEUlRKfE_EEST_SX_SY_mSZ_S12_bEUlT_E_NS1_11comp_targetILNS1_3genE10ELNS1_11target_archE1201ELNS1_3gpuE5ELNS1_3repE0EEENS1_30default_config_static_selectorELNS0_4arch9wavefront6targetE0EEEvSW_.has_indirect_call, 0
	.section	.AMDGPU.csdata,"",@progbits
; Kernel info:
; codeLenInByte = 0
; TotalNumSgprs: 0
; NumVgprs: 0
; ScratchSize: 0
; MemoryBound: 0
; FloatMode: 240
; IeeeMode: 1
; LDSByteSize: 0 bytes/workgroup (compile time only)
; SGPRBlocks: 0
; VGPRBlocks: 0
; NumSGPRsForWavesPerEU: 1
; NumVGPRsForWavesPerEU: 1
; Occupancy: 16
; WaveLimiterHint : 0
; COMPUTE_PGM_RSRC2:SCRATCH_EN: 0
; COMPUTE_PGM_RSRC2:USER_SGPR: 6
; COMPUTE_PGM_RSRC2:TRAP_HANDLER: 0
; COMPUTE_PGM_RSRC2:TGID_X_EN: 1
; COMPUTE_PGM_RSRC2:TGID_Y_EN: 0
; COMPUTE_PGM_RSRC2:TGID_Z_EN: 0
; COMPUTE_PGM_RSRC2:TIDIG_COMP_CNT: 0
	.section	.text._ZN7rocprim17ROCPRIM_400000_NS6detail17trampoline_kernelINS0_14default_configENS1_27upper_bound_config_selectorIflEEZNS1_14transform_implILb0ES3_S5_N6thrust23THRUST_200600_302600_NS6detail15normal_iteratorINS8_7pointerIfNS8_11hip_rocprim5par_tENS8_11use_defaultESE_EEEENSA_INSB_IlSD_SE_SE_EEEEZNS1_13binary_searchIS3_S5_PfSG_SI_NS1_21upper_bound_search_opENS9_16wrapped_functionINS8_6system6detail7generic6detail18binary_search_lessEbEEEE10hipError_tPvRmT1_T2_T3_mmT4_T5_P12ihipStream_tbEUlRKfE_EEST_SX_SY_mSZ_S12_bEUlT_E_NS1_11comp_targetILNS1_3genE10ELNS1_11target_archE1200ELNS1_3gpuE4ELNS1_3repE0EEENS1_30default_config_static_selectorELNS0_4arch9wavefront6targetE0EEEvSW_,"axG",@progbits,_ZN7rocprim17ROCPRIM_400000_NS6detail17trampoline_kernelINS0_14default_configENS1_27upper_bound_config_selectorIflEEZNS1_14transform_implILb0ES3_S5_N6thrust23THRUST_200600_302600_NS6detail15normal_iteratorINS8_7pointerIfNS8_11hip_rocprim5par_tENS8_11use_defaultESE_EEEENSA_INSB_IlSD_SE_SE_EEEEZNS1_13binary_searchIS3_S5_PfSG_SI_NS1_21upper_bound_search_opENS9_16wrapped_functionINS8_6system6detail7generic6detail18binary_search_lessEbEEEE10hipError_tPvRmT1_T2_T3_mmT4_T5_P12ihipStream_tbEUlRKfE_EEST_SX_SY_mSZ_S12_bEUlT_E_NS1_11comp_targetILNS1_3genE10ELNS1_11target_archE1200ELNS1_3gpuE4ELNS1_3repE0EEENS1_30default_config_static_selectorELNS0_4arch9wavefront6targetE0EEEvSW_,comdat
	.protected	_ZN7rocprim17ROCPRIM_400000_NS6detail17trampoline_kernelINS0_14default_configENS1_27upper_bound_config_selectorIflEEZNS1_14transform_implILb0ES3_S5_N6thrust23THRUST_200600_302600_NS6detail15normal_iteratorINS8_7pointerIfNS8_11hip_rocprim5par_tENS8_11use_defaultESE_EEEENSA_INSB_IlSD_SE_SE_EEEEZNS1_13binary_searchIS3_S5_PfSG_SI_NS1_21upper_bound_search_opENS9_16wrapped_functionINS8_6system6detail7generic6detail18binary_search_lessEbEEEE10hipError_tPvRmT1_T2_T3_mmT4_T5_P12ihipStream_tbEUlRKfE_EEST_SX_SY_mSZ_S12_bEUlT_E_NS1_11comp_targetILNS1_3genE10ELNS1_11target_archE1200ELNS1_3gpuE4ELNS1_3repE0EEENS1_30default_config_static_selectorELNS0_4arch9wavefront6targetE0EEEvSW_ ; -- Begin function _ZN7rocprim17ROCPRIM_400000_NS6detail17trampoline_kernelINS0_14default_configENS1_27upper_bound_config_selectorIflEEZNS1_14transform_implILb0ES3_S5_N6thrust23THRUST_200600_302600_NS6detail15normal_iteratorINS8_7pointerIfNS8_11hip_rocprim5par_tENS8_11use_defaultESE_EEEENSA_INSB_IlSD_SE_SE_EEEEZNS1_13binary_searchIS3_S5_PfSG_SI_NS1_21upper_bound_search_opENS9_16wrapped_functionINS8_6system6detail7generic6detail18binary_search_lessEbEEEE10hipError_tPvRmT1_T2_T3_mmT4_T5_P12ihipStream_tbEUlRKfE_EEST_SX_SY_mSZ_S12_bEUlT_E_NS1_11comp_targetILNS1_3genE10ELNS1_11target_archE1200ELNS1_3gpuE4ELNS1_3repE0EEENS1_30default_config_static_selectorELNS0_4arch9wavefront6targetE0EEEvSW_
	.globl	_ZN7rocprim17ROCPRIM_400000_NS6detail17trampoline_kernelINS0_14default_configENS1_27upper_bound_config_selectorIflEEZNS1_14transform_implILb0ES3_S5_N6thrust23THRUST_200600_302600_NS6detail15normal_iteratorINS8_7pointerIfNS8_11hip_rocprim5par_tENS8_11use_defaultESE_EEEENSA_INSB_IlSD_SE_SE_EEEEZNS1_13binary_searchIS3_S5_PfSG_SI_NS1_21upper_bound_search_opENS9_16wrapped_functionINS8_6system6detail7generic6detail18binary_search_lessEbEEEE10hipError_tPvRmT1_T2_T3_mmT4_T5_P12ihipStream_tbEUlRKfE_EEST_SX_SY_mSZ_S12_bEUlT_E_NS1_11comp_targetILNS1_3genE10ELNS1_11target_archE1200ELNS1_3gpuE4ELNS1_3repE0EEENS1_30default_config_static_selectorELNS0_4arch9wavefront6targetE0EEEvSW_
	.p2align	8
	.type	_ZN7rocprim17ROCPRIM_400000_NS6detail17trampoline_kernelINS0_14default_configENS1_27upper_bound_config_selectorIflEEZNS1_14transform_implILb0ES3_S5_N6thrust23THRUST_200600_302600_NS6detail15normal_iteratorINS8_7pointerIfNS8_11hip_rocprim5par_tENS8_11use_defaultESE_EEEENSA_INSB_IlSD_SE_SE_EEEEZNS1_13binary_searchIS3_S5_PfSG_SI_NS1_21upper_bound_search_opENS9_16wrapped_functionINS8_6system6detail7generic6detail18binary_search_lessEbEEEE10hipError_tPvRmT1_T2_T3_mmT4_T5_P12ihipStream_tbEUlRKfE_EEST_SX_SY_mSZ_S12_bEUlT_E_NS1_11comp_targetILNS1_3genE10ELNS1_11target_archE1200ELNS1_3gpuE4ELNS1_3repE0EEENS1_30default_config_static_selectorELNS0_4arch9wavefront6targetE0EEEvSW_,@function
_ZN7rocprim17ROCPRIM_400000_NS6detail17trampoline_kernelINS0_14default_configENS1_27upper_bound_config_selectorIflEEZNS1_14transform_implILb0ES3_S5_N6thrust23THRUST_200600_302600_NS6detail15normal_iteratorINS8_7pointerIfNS8_11hip_rocprim5par_tENS8_11use_defaultESE_EEEENSA_INSB_IlSD_SE_SE_EEEEZNS1_13binary_searchIS3_S5_PfSG_SI_NS1_21upper_bound_search_opENS9_16wrapped_functionINS8_6system6detail7generic6detail18binary_search_lessEbEEEE10hipError_tPvRmT1_T2_T3_mmT4_T5_P12ihipStream_tbEUlRKfE_EEST_SX_SY_mSZ_S12_bEUlT_E_NS1_11comp_targetILNS1_3genE10ELNS1_11target_archE1200ELNS1_3gpuE4ELNS1_3repE0EEENS1_30default_config_static_selectorELNS0_4arch9wavefront6targetE0EEEvSW_: ; @_ZN7rocprim17ROCPRIM_400000_NS6detail17trampoline_kernelINS0_14default_configENS1_27upper_bound_config_selectorIflEEZNS1_14transform_implILb0ES3_S5_N6thrust23THRUST_200600_302600_NS6detail15normal_iteratorINS8_7pointerIfNS8_11hip_rocprim5par_tENS8_11use_defaultESE_EEEENSA_INSB_IlSD_SE_SE_EEEEZNS1_13binary_searchIS3_S5_PfSG_SI_NS1_21upper_bound_search_opENS9_16wrapped_functionINS8_6system6detail7generic6detail18binary_search_lessEbEEEE10hipError_tPvRmT1_T2_T3_mmT4_T5_P12ihipStream_tbEUlRKfE_EEST_SX_SY_mSZ_S12_bEUlT_E_NS1_11comp_targetILNS1_3genE10ELNS1_11target_archE1200ELNS1_3gpuE4ELNS1_3repE0EEENS1_30default_config_static_selectorELNS0_4arch9wavefront6targetE0EEEvSW_
; %bb.0:
	.section	.rodata,"a",@progbits
	.p2align	6, 0x0
	.amdhsa_kernel _ZN7rocprim17ROCPRIM_400000_NS6detail17trampoline_kernelINS0_14default_configENS1_27upper_bound_config_selectorIflEEZNS1_14transform_implILb0ES3_S5_N6thrust23THRUST_200600_302600_NS6detail15normal_iteratorINS8_7pointerIfNS8_11hip_rocprim5par_tENS8_11use_defaultESE_EEEENSA_INSB_IlSD_SE_SE_EEEEZNS1_13binary_searchIS3_S5_PfSG_SI_NS1_21upper_bound_search_opENS9_16wrapped_functionINS8_6system6detail7generic6detail18binary_search_lessEbEEEE10hipError_tPvRmT1_T2_T3_mmT4_T5_P12ihipStream_tbEUlRKfE_EEST_SX_SY_mSZ_S12_bEUlT_E_NS1_11comp_targetILNS1_3genE10ELNS1_11target_archE1200ELNS1_3gpuE4ELNS1_3repE0EEENS1_30default_config_static_selectorELNS0_4arch9wavefront6targetE0EEEvSW_
		.amdhsa_group_segment_fixed_size 0
		.amdhsa_private_segment_fixed_size 0
		.amdhsa_kernarg_size 56
		.amdhsa_user_sgpr_count 6
		.amdhsa_user_sgpr_private_segment_buffer 1
		.amdhsa_user_sgpr_dispatch_ptr 0
		.amdhsa_user_sgpr_queue_ptr 0
		.amdhsa_user_sgpr_kernarg_segment_ptr 1
		.amdhsa_user_sgpr_dispatch_id 0
		.amdhsa_user_sgpr_flat_scratch_init 0
		.amdhsa_user_sgpr_private_segment_size 0
		.amdhsa_wavefront_size32 1
		.amdhsa_uses_dynamic_stack 0
		.amdhsa_system_sgpr_private_segment_wavefront_offset 0
		.amdhsa_system_sgpr_workgroup_id_x 1
		.amdhsa_system_sgpr_workgroup_id_y 0
		.amdhsa_system_sgpr_workgroup_id_z 0
		.amdhsa_system_sgpr_workgroup_info 0
		.amdhsa_system_vgpr_workitem_id 0
		.amdhsa_next_free_vgpr 1
		.amdhsa_next_free_sgpr 1
		.amdhsa_reserve_vcc 0
		.amdhsa_reserve_flat_scratch 0
		.amdhsa_float_round_mode_32 0
		.amdhsa_float_round_mode_16_64 0
		.amdhsa_float_denorm_mode_32 3
		.amdhsa_float_denorm_mode_16_64 3
		.amdhsa_dx10_clamp 1
		.amdhsa_ieee_mode 1
		.amdhsa_fp16_overflow 0
		.amdhsa_workgroup_processor_mode 1
		.amdhsa_memory_ordered 1
		.amdhsa_forward_progress 1
		.amdhsa_shared_vgpr_count 0
		.amdhsa_exception_fp_ieee_invalid_op 0
		.amdhsa_exception_fp_denorm_src 0
		.amdhsa_exception_fp_ieee_div_zero 0
		.amdhsa_exception_fp_ieee_overflow 0
		.amdhsa_exception_fp_ieee_underflow 0
		.amdhsa_exception_fp_ieee_inexact 0
		.amdhsa_exception_int_div_zero 0
	.end_amdhsa_kernel
	.section	.text._ZN7rocprim17ROCPRIM_400000_NS6detail17trampoline_kernelINS0_14default_configENS1_27upper_bound_config_selectorIflEEZNS1_14transform_implILb0ES3_S5_N6thrust23THRUST_200600_302600_NS6detail15normal_iteratorINS8_7pointerIfNS8_11hip_rocprim5par_tENS8_11use_defaultESE_EEEENSA_INSB_IlSD_SE_SE_EEEEZNS1_13binary_searchIS3_S5_PfSG_SI_NS1_21upper_bound_search_opENS9_16wrapped_functionINS8_6system6detail7generic6detail18binary_search_lessEbEEEE10hipError_tPvRmT1_T2_T3_mmT4_T5_P12ihipStream_tbEUlRKfE_EEST_SX_SY_mSZ_S12_bEUlT_E_NS1_11comp_targetILNS1_3genE10ELNS1_11target_archE1200ELNS1_3gpuE4ELNS1_3repE0EEENS1_30default_config_static_selectorELNS0_4arch9wavefront6targetE0EEEvSW_,"axG",@progbits,_ZN7rocprim17ROCPRIM_400000_NS6detail17trampoline_kernelINS0_14default_configENS1_27upper_bound_config_selectorIflEEZNS1_14transform_implILb0ES3_S5_N6thrust23THRUST_200600_302600_NS6detail15normal_iteratorINS8_7pointerIfNS8_11hip_rocprim5par_tENS8_11use_defaultESE_EEEENSA_INSB_IlSD_SE_SE_EEEEZNS1_13binary_searchIS3_S5_PfSG_SI_NS1_21upper_bound_search_opENS9_16wrapped_functionINS8_6system6detail7generic6detail18binary_search_lessEbEEEE10hipError_tPvRmT1_T2_T3_mmT4_T5_P12ihipStream_tbEUlRKfE_EEST_SX_SY_mSZ_S12_bEUlT_E_NS1_11comp_targetILNS1_3genE10ELNS1_11target_archE1200ELNS1_3gpuE4ELNS1_3repE0EEENS1_30default_config_static_selectorELNS0_4arch9wavefront6targetE0EEEvSW_,comdat
.Lfunc_end178:
	.size	_ZN7rocprim17ROCPRIM_400000_NS6detail17trampoline_kernelINS0_14default_configENS1_27upper_bound_config_selectorIflEEZNS1_14transform_implILb0ES3_S5_N6thrust23THRUST_200600_302600_NS6detail15normal_iteratorINS8_7pointerIfNS8_11hip_rocprim5par_tENS8_11use_defaultESE_EEEENSA_INSB_IlSD_SE_SE_EEEEZNS1_13binary_searchIS3_S5_PfSG_SI_NS1_21upper_bound_search_opENS9_16wrapped_functionINS8_6system6detail7generic6detail18binary_search_lessEbEEEE10hipError_tPvRmT1_T2_T3_mmT4_T5_P12ihipStream_tbEUlRKfE_EEST_SX_SY_mSZ_S12_bEUlT_E_NS1_11comp_targetILNS1_3genE10ELNS1_11target_archE1200ELNS1_3gpuE4ELNS1_3repE0EEENS1_30default_config_static_selectorELNS0_4arch9wavefront6targetE0EEEvSW_, .Lfunc_end178-_ZN7rocprim17ROCPRIM_400000_NS6detail17trampoline_kernelINS0_14default_configENS1_27upper_bound_config_selectorIflEEZNS1_14transform_implILb0ES3_S5_N6thrust23THRUST_200600_302600_NS6detail15normal_iteratorINS8_7pointerIfNS8_11hip_rocprim5par_tENS8_11use_defaultESE_EEEENSA_INSB_IlSD_SE_SE_EEEEZNS1_13binary_searchIS3_S5_PfSG_SI_NS1_21upper_bound_search_opENS9_16wrapped_functionINS8_6system6detail7generic6detail18binary_search_lessEbEEEE10hipError_tPvRmT1_T2_T3_mmT4_T5_P12ihipStream_tbEUlRKfE_EEST_SX_SY_mSZ_S12_bEUlT_E_NS1_11comp_targetILNS1_3genE10ELNS1_11target_archE1200ELNS1_3gpuE4ELNS1_3repE0EEENS1_30default_config_static_selectorELNS0_4arch9wavefront6targetE0EEEvSW_
                                        ; -- End function
	.set _ZN7rocprim17ROCPRIM_400000_NS6detail17trampoline_kernelINS0_14default_configENS1_27upper_bound_config_selectorIflEEZNS1_14transform_implILb0ES3_S5_N6thrust23THRUST_200600_302600_NS6detail15normal_iteratorINS8_7pointerIfNS8_11hip_rocprim5par_tENS8_11use_defaultESE_EEEENSA_INSB_IlSD_SE_SE_EEEEZNS1_13binary_searchIS3_S5_PfSG_SI_NS1_21upper_bound_search_opENS9_16wrapped_functionINS8_6system6detail7generic6detail18binary_search_lessEbEEEE10hipError_tPvRmT1_T2_T3_mmT4_T5_P12ihipStream_tbEUlRKfE_EEST_SX_SY_mSZ_S12_bEUlT_E_NS1_11comp_targetILNS1_3genE10ELNS1_11target_archE1200ELNS1_3gpuE4ELNS1_3repE0EEENS1_30default_config_static_selectorELNS0_4arch9wavefront6targetE0EEEvSW_.num_vgpr, 0
	.set _ZN7rocprim17ROCPRIM_400000_NS6detail17trampoline_kernelINS0_14default_configENS1_27upper_bound_config_selectorIflEEZNS1_14transform_implILb0ES3_S5_N6thrust23THRUST_200600_302600_NS6detail15normal_iteratorINS8_7pointerIfNS8_11hip_rocprim5par_tENS8_11use_defaultESE_EEEENSA_INSB_IlSD_SE_SE_EEEEZNS1_13binary_searchIS3_S5_PfSG_SI_NS1_21upper_bound_search_opENS9_16wrapped_functionINS8_6system6detail7generic6detail18binary_search_lessEbEEEE10hipError_tPvRmT1_T2_T3_mmT4_T5_P12ihipStream_tbEUlRKfE_EEST_SX_SY_mSZ_S12_bEUlT_E_NS1_11comp_targetILNS1_3genE10ELNS1_11target_archE1200ELNS1_3gpuE4ELNS1_3repE0EEENS1_30default_config_static_selectorELNS0_4arch9wavefront6targetE0EEEvSW_.num_agpr, 0
	.set _ZN7rocprim17ROCPRIM_400000_NS6detail17trampoline_kernelINS0_14default_configENS1_27upper_bound_config_selectorIflEEZNS1_14transform_implILb0ES3_S5_N6thrust23THRUST_200600_302600_NS6detail15normal_iteratorINS8_7pointerIfNS8_11hip_rocprim5par_tENS8_11use_defaultESE_EEEENSA_INSB_IlSD_SE_SE_EEEEZNS1_13binary_searchIS3_S5_PfSG_SI_NS1_21upper_bound_search_opENS9_16wrapped_functionINS8_6system6detail7generic6detail18binary_search_lessEbEEEE10hipError_tPvRmT1_T2_T3_mmT4_T5_P12ihipStream_tbEUlRKfE_EEST_SX_SY_mSZ_S12_bEUlT_E_NS1_11comp_targetILNS1_3genE10ELNS1_11target_archE1200ELNS1_3gpuE4ELNS1_3repE0EEENS1_30default_config_static_selectorELNS0_4arch9wavefront6targetE0EEEvSW_.numbered_sgpr, 0
	.set _ZN7rocprim17ROCPRIM_400000_NS6detail17trampoline_kernelINS0_14default_configENS1_27upper_bound_config_selectorIflEEZNS1_14transform_implILb0ES3_S5_N6thrust23THRUST_200600_302600_NS6detail15normal_iteratorINS8_7pointerIfNS8_11hip_rocprim5par_tENS8_11use_defaultESE_EEEENSA_INSB_IlSD_SE_SE_EEEEZNS1_13binary_searchIS3_S5_PfSG_SI_NS1_21upper_bound_search_opENS9_16wrapped_functionINS8_6system6detail7generic6detail18binary_search_lessEbEEEE10hipError_tPvRmT1_T2_T3_mmT4_T5_P12ihipStream_tbEUlRKfE_EEST_SX_SY_mSZ_S12_bEUlT_E_NS1_11comp_targetILNS1_3genE10ELNS1_11target_archE1200ELNS1_3gpuE4ELNS1_3repE0EEENS1_30default_config_static_selectorELNS0_4arch9wavefront6targetE0EEEvSW_.num_named_barrier, 0
	.set _ZN7rocprim17ROCPRIM_400000_NS6detail17trampoline_kernelINS0_14default_configENS1_27upper_bound_config_selectorIflEEZNS1_14transform_implILb0ES3_S5_N6thrust23THRUST_200600_302600_NS6detail15normal_iteratorINS8_7pointerIfNS8_11hip_rocprim5par_tENS8_11use_defaultESE_EEEENSA_INSB_IlSD_SE_SE_EEEEZNS1_13binary_searchIS3_S5_PfSG_SI_NS1_21upper_bound_search_opENS9_16wrapped_functionINS8_6system6detail7generic6detail18binary_search_lessEbEEEE10hipError_tPvRmT1_T2_T3_mmT4_T5_P12ihipStream_tbEUlRKfE_EEST_SX_SY_mSZ_S12_bEUlT_E_NS1_11comp_targetILNS1_3genE10ELNS1_11target_archE1200ELNS1_3gpuE4ELNS1_3repE0EEENS1_30default_config_static_selectorELNS0_4arch9wavefront6targetE0EEEvSW_.private_seg_size, 0
	.set _ZN7rocprim17ROCPRIM_400000_NS6detail17trampoline_kernelINS0_14default_configENS1_27upper_bound_config_selectorIflEEZNS1_14transform_implILb0ES3_S5_N6thrust23THRUST_200600_302600_NS6detail15normal_iteratorINS8_7pointerIfNS8_11hip_rocprim5par_tENS8_11use_defaultESE_EEEENSA_INSB_IlSD_SE_SE_EEEEZNS1_13binary_searchIS3_S5_PfSG_SI_NS1_21upper_bound_search_opENS9_16wrapped_functionINS8_6system6detail7generic6detail18binary_search_lessEbEEEE10hipError_tPvRmT1_T2_T3_mmT4_T5_P12ihipStream_tbEUlRKfE_EEST_SX_SY_mSZ_S12_bEUlT_E_NS1_11comp_targetILNS1_3genE10ELNS1_11target_archE1200ELNS1_3gpuE4ELNS1_3repE0EEENS1_30default_config_static_selectorELNS0_4arch9wavefront6targetE0EEEvSW_.uses_vcc, 0
	.set _ZN7rocprim17ROCPRIM_400000_NS6detail17trampoline_kernelINS0_14default_configENS1_27upper_bound_config_selectorIflEEZNS1_14transform_implILb0ES3_S5_N6thrust23THRUST_200600_302600_NS6detail15normal_iteratorINS8_7pointerIfNS8_11hip_rocprim5par_tENS8_11use_defaultESE_EEEENSA_INSB_IlSD_SE_SE_EEEEZNS1_13binary_searchIS3_S5_PfSG_SI_NS1_21upper_bound_search_opENS9_16wrapped_functionINS8_6system6detail7generic6detail18binary_search_lessEbEEEE10hipError_tPvRmT1_T2_T3_mmT4_T5_P12ihipStream_tbEUlRKfE_EEST_SX_SY_mSZ_S12_bEUlT_E_NS1_11comp_targetILNS1_3genE10ELNS1_11target_archE1200ELNS1_3gpuE4ELNS1_3repE0EEENS1_30default_config_static_selectorELNS0_4arch9wavefront6targetE0EEEvSW_.uses_flat_scratch, 0
	.set _ZN7rocprim17ROCPRIM_400000_NS6detail17trampoline_kernelINS0_14default_configENS1_27upper_bound_config_selectorIflEEZNS1_14transform_implILb0ES3_S5_N6thrust23THRUST_200600_302600_NS6detail15normal_iteratorINS8_7pointerIfNS8_11hip_rocprim5par_tENS8_11use_defaultESE_EEEENSA_INSB_IlSD_SE_SE_EEEEZNS1_13binary_searchIS3_S5_PfSG_SI_NS1_21upper_bound_search_opENS9_16wrapped_functionINS8_6system6detail7generic6detail18binary_search_lessEbEEEE10hipError_tPvRmT1_T2_T3_mmT4_T5_P12ihipStream_tbEUlRKfE_EEST_SX_SY_mSZ_S12_bEUlT_E_NS1_11comp_targetILNS1_3genE10ELNS1_11target_archE1200ELNS1_3gpuE4ELNS1_3repE0EEENS1_30default_config_static_selectorELNS0_4arch9wavefront6targetE0EEEvSW_.has_dyn_sized_stack, 0
	.set _ZN7rocprim17ROCPRIM_400000_NS6detail17trampoline_kernelINS0_14default_configENS1_27upper_bound_config_selectorIflEEZNS1_14transform_implILb0ES3_S5_N6thrust23THRUST_200600_302600_NS6detail15normal_iteratorINS8_7pointerIfNS8_11hip_rocprim5par_tENS8_11use_defaultESE_EEEENSA_INSB_IlSD_SE_SE_EEEEZNS1_13binary_searchIS3_S5_PfSG_SI_NS1_21upper_bound_search_opENS9_16wrapped_functionINS8_6system6detail7generic6detail18binary_search_lessEbEEEE10hipError_tPvRmT1_T2_T3_mmT4_T5_P12ihipStream_tbEUlRKfE_EEST_SX_SY_mSZ_S12_bEUlT_E_NS1_11comp_targetILNS1_3genE10ELNS1_11target_archE1200ELNS1_3gpuE4ELNS1_3repE0EEENS1_30default_config_static_selectorELNS0_4arch9wavefront6targetE0EEEvSW_.has_recursion, 0
	.set _ZN7rocprim17ROCPRIM_400000_NS6detail17trampoline_kernelINS0_14default_configENS1_27upper_bound_config_selectorIflEEZNS1_14transform_implILb0ES3_S5_N6thrust23THRUST_200600_302600_NS6detail15normal_iteratorINS8_7pointerIfNS8_11hip_rocprim5par_tENS8_11use_defaultESE_EEEENSA_INSB_IlSD_SE_SE_EEEEZNS1_13binary_searchIS3_S5_PfSG_SI_NS1_21upper_bound_search_opENS9_16wrapped_functionINS8_6system6detail7generic6detail18binary_search_lessEbEEEE10hipError_tPvRmT1_T2_T3_mmT4_T5_P12ihipStream_tbEUlRKfE_EEST_SX_SY_mSZ_S12_bEUlT_E_NS1_11comp_targetILNS1_3genE10ELNS1_11target_archE1200ELNS1_3gpuE4ELNS1_3repE0EEENS1_30default_config_static_selectorELNS0_4arch9wavefront6targetE0EEEvSW_.has_indirect_call, 0
	.section	.AMDGPU.csdata,"",@progbits
; Kernel info:
; codeLenInByte = 0
; TotalNumSgprs: 0
; NumVgprs: 0
; ScratchSize: 0
; MemoryBound: 0
; FloatMode: 240
; IeeeMode: 1
; LDSByteSize: 0 bytes/workgroup (compile time only)
; SGPRBlocks: 0
; VGPRBlocks: 0
; NumSGPRsForWavesPerEU: 1
; NumVGPRsForWavesPerEU: 1
; Occupancy: 16
; WaveLimiterHint : 0
; COMPUTE_PGM_RSRC2:SCRATCH_EN: 0
; COMPUTE_PGM_RSRC2:USER_SGPR: 6
; COMPUTE_PGM_RSRC2:TRAP_HANDLER: 0
; COMPUTE_PGM_RSRC2:TGID_X_EN: 1
; COMPUTE_PGM_RSRC2:TGID_Y_EN: 0
; COMPUTE_PGM_RSRC2:TGID_Z_EN: 0
; COMPUTE_PGM_RSRC2:TIDIG_COMP_CNT: 0
	.section	.text._ZN7rocprim17ROCPRIM_400000_NS6detail17trampoline_kernelINS0_14default_configENS1_27upper_bound_config_selectorIflEEZNS1_14transform_implILb0ES3_S5_N6thrust23THRUST_200600_302600_NS6detail15normal_iteratorINS8_7pointerIfNS8_11hip_rocprim5par_tENS8_11use_defaultESE_EEEENSA_INSB_IlSD_SE_SE_EEEEZNS1_13binary_searchIS3_S5_PfSG_SI_NS1_21upper_bound_search_opENS9_16wrapped_functionINS8_6system6detail7generic6detail18binary_search_lessEbEEEE10hipError_tPvRmT1_T2_T3_mmT4_T5_P12ihipStream_tbEUlRKfE_EEST_SX_SY_mSZ_S12_bEUlT_E_NS1_11comp_targetILNS1_3genE9ELNS1_11target_archE1100ELNS1_3gpuE3ELNS1_3repE0EEENS1_30default_config_static_selectorELNS0_4arch9wavefront6targetE0EEEvSW_,"axG",@progbits,_ZN7rocprim17ROCPRIM_400000_NS6detail17trampoline_kernelINS0_14default_configENS1_27upper_bound_config_selectorIflEEZNS1_14transform_implILb0ES3_S5_N6thrust23THRUST_200600_302600_NS6detail15normal_iteratorINS8_7pointerIfNS8_11hip_rocprim5par_tENS8_11use_defaultESE_EEEENSA_INSB_IlSD_SE_SE_EEEEZNS1_13binary_searchIS3_S5_PfSG_SI_NS1_21upper_bound_search_opENS9_16wrapped_functionINS8_6system6detail7generic6detail18binary_search_lessEbEEEE10hipError_tPvRmT1_T2_T3_mmT4_T5_P12ihipStream_tbEUlRKfE_EEST_SX_SY_mSZ_S12_bEUlT_E_NS1_11comp_targetILNS1_3genE9ELNS1_11target_archE1100ELNS1_3gpuE3ELNS1_3repE0EEENS1_30default_config_static_selectorELNS0_4arch9wavefront6targetE0EEEvSW_,comdat
	.protected	_ZN7rocprim17ROCPRIM_400000_NS6detail17trampoline_kernelINS0_14default_configENS1_27upper_bound_config_selectorIflEEZNS1_14transform_implILb0ES3_S5_N6thrust23THRUST_200600_302600_NS6detail15normal_iteratorINS8_7pointerIfNS8_11hip_rocprim5par_tENS8_11use_defaultESE_EEEENSA_INSB_IlSD_SE_SE_EEEEZNS1_13binary_searchIS3_S5_PfSG_SI_NS1_21upper_bound_search_opENS9_16wrapped_functionINS8_6system6detail7generic6detail18binary_search_lessEbEEEE10hipError_tPvRmT1_T2_T3_mmT4_T5_P12ihipStream_tbEUlRKfE_EEST_SX_SY_mSZ_S12_bEUlT_E_NS1_11comp_targetILNS1_3genE9ELNS1_11target_archE1100ELNS1_3gpuE3ELNS1_3repE0EEENS1_30default_config_static_selectorELNS0_4arch9wavefront6targetE0EEEvSW_ ; -- Begin function _ZN7rocprim17ROCPRIM_400000_NS6detail17trampoline_kernelINS0_14default_configENS1_27upper_bound_config_selectorIflEEZNS1_14transform_implILb0ES3_S5_N6thrust23THRUST_200600_302600_NS6detail15normal_iteratorINS8_7pointerIfNS8_11hip_rocprim5par_tENS8_11use_defaultESE_EEEENSA_INSB_IlSD_SE_SE_EEEEZNS1_13binary_searchIS3_S5_PfSG_SI_NS1_21upper_bound_search_opENS9_16wrapped_functionINS8_6system6detail7generic6detail18binary_search_lessEbEEEE10hipError_tPvRmT1_T2_T3_mmT4_T5_P12ihipStream_tbEUlRKfE_EEST_SX_SY_mSZ_S12_bEUlT_E_NS1_11comp_targetILNS1_3genE9ELNS1_11target_archE1100ELNS1_3gpuE3ELNS1_3repE0EEENS1_30default_config_static_selectorELNS0_4arch9wavefront6targetE0EEEvSW_
	.globl	_ZN7rocprim17ROCPRIM_400000_NS6detail17trampoline_kernelINS0_14default_configENS1_27upper_bound_config_selectorIflEEZNS1_14transform_implILb0ES3_S5_N6thrust23THRUST_200600_302600_NS6detail15normal_iteratorINS8_7pointerIfNS8_11hip_rocprim5par_tENS8_11use_defaultESE_EEEENSA_INSB_IlSD_SE_SE_EEEEZNS1_13binary_searchIS3_S5_PfSG_SI_NS1_21upper_bound_search_opENS9_16wrapped_functionINS8_6system6detail7generic6detail18binary_search_lessEbEEEE10hipError_tPvRmT1_T2_T3_mmT4_T5_P12ihipStream_tbEUlRKfE_EEST_SX_SY_mSZ_S12_bEUlT_E_NS1_11comp_targetILNS1_3genE9ELNS1_11target_archE1100ELNS1_3gpuE3ELNS1_3repE0EEENS1_30default_config_static_selectorELNS0_4arch9wavefront6targetE0EEEvSW_
	.p2align	8
	.type	_ZN7rocprim17ROCPRIM_400000_NS6detail17trampoline_kernelINS0_14default_configENS1_27upper_bound_config_selectorIflEEZNS1_14transform_implILb0ES3_S5_N6thrust23THRUST_200600_302600_NS6detail15normal_iteratorINS8_7pointerIfNS8_11hip_rocprim5par_tENS8_11use_defaultESE_EEEENSA_INSB_IlSD_SE_SE_EEEEZNS1_13binary_searchIS3_S5_PfSG_SI_NS1_21upper_bound_search_opENS9_16wrapped_functionINS8_6system6detail7generic6detail18binary_search_lessEbEEEE10hipError_tPvRmT1_T2_T3_mmT4_T5_P12ihipStream_tbEUlRKfE_EEST_SX_SY_mSZ_S12_bEUlT_E_NS1_11comp_targetILNS1_3genE9ELNS1_11target_archE1100ELNS1_3gpuE3ELNS1_3repE0EEENS1_30default_config_static_selectorELNS0_4arch9wavefront6targetE0EEEvSW_,@function
_ZN7rocprim17ROCPRIM_400000_NS6detail17trampoline_kernelINS0_14default_configENS1_27upper_bound_config_selectorIflEEZNS1_14transform_implILb0ES3_S5_N6thrust23THRUST_200600_302600_NS6detail15normal_iteratorINS8_7pointerIfNS8_11hip_rocprim5par_tENS8_11use_defaultESE_EEEENSA_INSB_IlSD_SE_SE_EEEEZNS1_13binary_searchIS3_S5_PfSG_SI_NS1_21upper_bound_search_opENS9_16wrapped_functionINS8_6system6detail7generic6detail18binary_search_lessEbEEEE10hipError_tPvRmT1_T2_T3_mmT4_T5_P12ihipStream_tbEUlRKfE_EEST_SX_SY_mSZ_S12_bEUlT_E_NS1_11comp_targetILNS1_3genE9ELNS1_11target_archE1100ELNS1_3gpuE3ELNS1_3repE0EEENS1_30default_config_static_selectorELNS0_4arch9wavefront6targetE0EEEvSW_: ; @_ZN7rocprim17ROCPRIM_400000_NS6detail17trampoline_kernelINS0_14default_configENS1_27upper_bound_config_selectorIflEEZNS1_14transform_implILb0ES3_S5_N6thrust23THRUST_200600_302600_NS6detail15normal_iteratorINS8_7pointerIfNS8_11hip_rocprim5par_tENS8_11use_defaultESE_EEEENSA_INSB_IlSD_SE_SE_EEEEZNS1_13binary_searchIS3_S5_PfSG_SI_NS1_21upper_bound_search_opENS9_16wrapped_functionINS8_6system6detail7generic6detail18binary_search_lessEbEEEE10hipError_tPvRmT1_T2_T3_mmT4_T5_P12ihipStream_tbEUlRKfE_EEST_SX_SY_mSZ_S12_bEUlT_E_NS1_11comp_targetILNS1_3genE9ELNS1_11target_archE1100ELNS1_3gpuE3ELNS1_3repE0EEENS1_30default_config_static_selectorELNS0_4arch9wavefront6targetE0EEEvSW_
; %bb.0:
	.section	.rodata,"a",@progbits
	.p2align	6, 0x0
	.amdhsa_kernel _ZN7rocprim17ROCPRIM_400000_NS6detail17trampoline_kernelINS0_14default_configENS1_27upper_bound_config_selectorIflEEZNS1_14transform_implILb0ES3_S5_N6thrust23THRUST_200600_302600_NS6detail15normal_iteratorINS8_7pointerIfNS8_11hip_rocprim5par_tENS8_11use_defaultESE_EEEENSA_INSB_IlSD_SE_SE_EEEEZNS1_13binary_searchIS3_S5_PfSG_SI_NS1_21upper_bound_search_opENS9_16wrapped_functionINS8_6system6detail7generic6detail18binary_search_lessEbEEEE10hipError_tPvRmT1_T2_T3_mmT4_T5_P12ihipStream_tbEUlRKfE_EEST_SX_SY_mSZ_S12_bEUlT_E_NS1_11comp_targetILNS1_3genE9ELNS1_11target_archE1100ELNS1_3gpuE3ELNS1_3repE0EEENS1_30default_config_static_selectorELNS0_4arch9wavefront6targetE0EEEvSW_
		.amdhsa_group_segment_fixed_size 0
		.amdhsa_private_segment_fixed_size 0
		.amdhsa_kernarg_size 56
		.amdhsa_user_sgpr_count 6
		.amdhsa_user_sgpr_private_segment_buffer 1
		.amdhsa_user_sgpr_dispatch_ptr 0
		.amdhsa_user_sgpr_queue_ptr 0
		.amdhsa_user_sgpr_kernarg_segment_ptr 1
		.amdhsa_user_sgpr_dispatch_id 0
		.amdhsa_user_sgpr_flat_scratch_init 0
		.amdhsa_user_sgpr_private_segment_size 0
		.amdhsa_wavefront_size32 1
		.amdhsa_uses_dynamic_stack 0
		.amdhsa_system_sgpr_private_segment_wavefront_offset 0
		.amdhsa_system_sgpr_workgroup_id_x 1
		.amdhsa_system_sgpr_workgroup_id_y 0
		.amdhsa_system_sgpr_workgroup_id_z 0
		.amdhsa_system_sgpr_workgroup_info 0
		.amdhsa_system_vgpr_workitem_id 0
		.amdhsa_next_free_vgpr 1
		.amdhsa_next_free_sgpr 1
		.amdhsa_reserve_vcc 0
		.amdhsa_reserve_flat_scratch 0
		.amdhsa_float_round_mode_32 0
		.amdhsa_float_round_mode_16_64 0
		.amdhsa_float_denorm_mode_32 3
		.amdhsa_float_denorm_mode_16_64 3
		.amdhsa_dx10_clamp 1
		.amdhsa_ieee_mode 1
		.amdhsa_fp16_overflow 0
		.amdhsa_workgroup_processor_mode 1
		.amdhsa_memory_ordered 1
		.amdhsa_forward_progress 1
		.amdhsa_shared_vgpr_count 0
		.amdhsa_exception_fp_ieee_invalid_op 0
		.amdhsa_exception_fp_denorm_src 0
		.amdhsa_exception_fp_ieee_div_zero 0
		.amdhsa_exception_fp_ieee_overflow 0
		.amdhsa_exception_fp_ieee_underflow 0
		.amdhsa_exception_fp_ieee_inexact 0
		.amdhsa_exception_int_div_zero 0
	.end_amdhsa_kernel
	.section	.text._ZN7rocprim17ROCPRIM_400000_NS6detail17trampoline_kernelINS0_14default_configENS1_27upper_bound_config_selectorIflEEZNS1_14transform_implILb0ES3_S5_N6thrust23THRUST_200600_302600_NS6detail15normal_iteratorINS8_7pointerIfNS8_11hip_rocprim5par_tENS8_11use_defaultESE_EEEENSA_INSB_IlSD_SE_SE_EEEEZNS1_13binary_searchIS3_S5_PfSG_SI_NS1_21upper_bound_search_opENS9_16wrapped_functionINS8_6system6detail7generic6detail18binary_search_lessEbEEEE10hipError_tPvRmT1_T2_T3_mmT4_T5_P12ihipStream_tbEUlRKfE_EEST_SX_SY_mSZ_S12_bEUlT_E_NS1_11comp_targetILNS1_3genE9ELNS1_11target_archE1100ELNS1_3gpuE3ELNS1_3repE0EEENS1_30default_config_static_selectorELNS0_4arch9wavefront6targetE0EEEvSW_,"axG",@progbits,_ZN7rocprim17ROCPRIM_400000_NS6detail17trampoline_kernelINS0_14default_configENS1_27upper_bound_config_selectorIflEEZNS1_14transform_implILb0ES3_S5_N6thrust23THRUST_200600_302600_NS6detail15normal_iteratorINS8_7pointerIfNS8_11hip_rocprim5par_tENS8_11use_defaultESE_EEEENSA_INSB_IlSD_SE_SE_EEEEZNS1_13binary_searchIS3_S5_PfSG_SI_NS1_21upper_bound_search_opENS9_16wrapped_functionINS8_6system6detail7generic6detail18binary_search_lessEbEEEE10hipError_tPvRmT1_T2_T3_mmT4_T5_P12ihipStream_tbEUlRKfE_EEST_SX_SY_mSZ_S12_bEUlT_E_NS1_11comp_targetILNS1_3genE9ELNS1_11target_archE1100ELNS1_3gpuE3ELNS1_3repE0EEENS1_30default_config_static_selectorELNS0_4arch9wavefront6targetE0EEEvSW_,comdat
.Lfunc_end179:
	.size	_ZN7rocprim17ROCPRIM_400000_NS6detail17trampoline_kernelINS0_14default_configENS1_27upper_bound_config_selectorIflEEZNS1_14transform_implILb0ES3_S5_N6thrust23THRUST_200600_302600_NS6detail15normal_iteratorINS8_7pointerIfNS8_11hip_rocprim5par_tENS8_11use_defaultESE_EEEENSA_INSB_IlSD_SE_SE_EEEEZNS1_13binary_searchIS3_S5_PfSG_SI_NS1_21upper_bound_search_opENS9_16wrapped_functionINS8_6system6detail7generic6detail18binary_search_lessEbEEEE10hipError_tPvRmT1_T2_T3_mmT4_T5_P12ihipStream_tbEUlRKfE_EEST_SX_SY_mSZ_S12_bEUlT_E_NS1_11comp_targetILNS1_3genE9ELNS1_11target_archE1100ELNS1_3gpuE3ELNS1_3repE0EEENS1_30default_config_static_selectorELNS0_4arch9wavefront6targetE0EEEvSW_, .Lfunc_end179-_ZN7rocprim17ROCPRIM_400000_NS6detail17trampoline_kernelINS0_14default_configENS1_27upper_bound_config_selectorIflEEZNS1_14transform_implILb0ES3_S5_N6thrust23THRUST_200600_302600_NS6detail15normal_iteratorINS8_7pointerIfNS8_11hip_rocprim5par_tENS8_11use_defaultESE_EEEENSA_INSB_IlSD_SE_SE_EEEEZNS1_13binary_searchIS3_S5_PfSG_SI_NS1_21upper_bound_search_opENS9_16wrapped_functionINS8_6system6detail7generic6detail18binary_search_lessEbEEEE10hipError_tPvRmT1_T2_T3_mmT4_T5_P12ihipStream_tbEUlRKfE_EEST_SX_SY_mSZ_S12_bEUlT_E_NS1_11comp_targetILNS1_3genE9ELNS1_11target_archE1100ELNS1_3gpuE3ELNS1_3repE0EEENS1_30default_config_static_selectorELNS0_4arch9wavefront6targetE0EEEvSW_
                                        ; -- End function
	.set _ZN7rocprim17ROCPRIM_400000_NS6detail17trampoline_kernelINS0_14default_configENS1_27upper_bound_config_selectorIflEEZNS1_14transform_implILb0ES3_S5_N6thrust23THRUST_200600_302600_NS6detail15normal_iteratorINS8_7pointerIfNS8_11hip_rocprim5par_tENS8_11use_defaultESE_EEEENSA_INSB_IlSD_SE_SE_EEEEZNS1_13binary_searchIS3_S5_PfSG_SI_NS1_21upper_bound_search_opENS9_16wrapped_functionINS8_6system6detail7generic6detail18binary_search_lessEbEEEE10hipError_tPvRmT1_T2_T3_mmT4_T5_P12ihipStream_tbEUlRKfE_EEST_SX_SY_mSZ_S12_bEUlT_E_NS1_11comp_targetILNS1_3genE9ELNS1_11target_archE1100ELNS1_3gpuE3ELNS1_3repE0EEENS1_30default_config_static_selectorELNS0_4arch9wavefront6targetE0EEEvSW_.num_vgpr, 0
	.set _ZN7rocprim17ROCPRIM_400000_NS6detail17trampoline_kernelINS0_14default_configENS1_27upper_bound_config_selectorIflEEZNS1_14transform_implILb0ES3_S5_N6thrust23THRUST_200600_302600_NS6detail15normal_iteratorINS8_7pointerIfNS8_11hip_rocprim5par_tENS8_11use_defaultESE_EEEENSA_INSB_IlSD_SE_SE_EEEEZNS1_13binary_searchIS3_S5_PfSG_SI_NS1_21upper_bound_search_opENS9_16wrapped_functionINS8_6system6detail7generic6detail18binary_search_lessEbEEEE10hipError_tPvRmT1_T2_T3_mmT4_T5_P12ihipStream_tbEUlRKfE_EEST_SX_SY_mSZ_S12_bEUlT_E_NS1_11comp_targetILNS1_3genE9ELNS1_11target_archE1100ELNS1_3gpuE3ELNS1_3repE0EEENS1_30default_config_static_selectorELNS0_4arch9wavefront6targetE0EEEvSW_.num_agpr, 0
	.set _ZN7rocprim17ROCPRIM_400000_NS6detail17trampoline_kernelINS0_14default_configENS1_27upper_bound_config_selectorIflEEZNS1_14transform_implILb0ES3_S5_N6thrust23THRUST_200600_302600_NS6detail15normal_iteratorINS8_7pointerIfNS8_11hip_rocprim5par_tENS8_11use_defaultESE_EEEENSA_INSB_IlSD_SE_SE_EEEEZNS1_13binary_searchIS3_S5_PfSG_SI_NS1_21upper_bound_search_opENS9_16wrapped_functionINS8_6system6detail7generic6detail18binary_search_lessEbEEEE10hipError_tPvRmT1_T2_T3_mmT4_T5_P12ihipStream_tbEUlRKfE_EEST_SX_SY_mSZ_S12_bEUlT_E_NS1_11comp_targetILNS1_3genE9ELNS1_11target_archE1100ELNS1_3gpuE3ELNS1_3repE0EEENS1_30default_config_static_selectorELNS0_4arch9wavefront6targetE0EEEvSW_.numbered_sgpr, 0
	.set _ZN7rocprim17ROCPRIM_400000_NS6detail17trampoline_kernelINS0_14default_configENS1_27upper_bound_config_selectorIflEEZNS1_14transform_implILb0ES3_S5_N6thrust23THRUST_200600_302600_NS6detail15normal_iteratorINS8_7pointerIfNS8_11hip_rocprim5par_tENS8_11use_defaultESE_EEEENSA_INSB_IlSD_SE_SE_EEEEZNS1_13binary_searchIS3_S5_PfSG_SI_NS1_21upper_bound_search_opENS9_16wrapped_functionINS8_6system6detail7generic6detail18binary_search_lessEbEEEE10hipError_tPvRmT1_T2_T3_mmT4_T5_P12ihipStream_tbEUlRKfE_EEST_SX_SY_mSZ_S12_bEUlT_E_NS1_11comp_targetILNS1_3genE9ELNS1_11target_archE1100ELNS1_3gpuE3ELNS1_3repE0EEENS1_30default_config_static_selectorELNS0_4arch9wavefront6targetE0EEEvSW_.num_named_barrier, 0
	.set _ZN7rocprim17ROCPRIM_400000_NS6detail17trampoline_kernelINS0_14default_configENS1_27upper_bound_config_selectorIflEEZNS1_14transform_implILb0ES3_S5_N6thrust23THRUST_200600_302600_NS6detail15normal_iteratorINS8_7pointerIfNS8_11hip_rocprim5par_tENS8_11use_defaultESE_EEEENSA_INSB_IlSD_SE_SE_EEEEZNS1_13binary_searchIS3_S5_PfSG_SI_NS1_21upper_bound_search_opENS9_16wrapped_functionINS8_6system6detail7generic6detail18binary_search_lessEbEEEE10hipError_tPvRmT1_T2_T3_mmT4_T5_P12ihipStream_tbEUlRKfE_EEST_SX_SY_mSZ_S12_bEUlT_E_NS1_11comp_targetILNS1_3genE9ELNS1_11target_archE1100ELNS1_3gpuE3ELNS1_3repE0EEENS1_30default_config_static_selectorELNS0_4arch9wavefront6targetE0EEEvSW_.private_seg_size, 0
	.set _ZN7rocprim17ROCPRIM_400000_NS6detail17trampoline_kernelINS0_14default_configENS1_27upper_bound_config_selectorIflEEZNS1_14transform_implILb0ES3_S5_N6thrust23THRUST_200600_302600_NS6detail15normal_iteratorINS8_7pointerIfNS8_11hip_rocprim5par_tENS8_11use_defaultESE_EEEENSA_INSB_IlSD_SE_SE_EEEEZNS1_13binary_searchIS3_S5_PfSG_SI_NS1_21upper_bound_search_opENS9_16wrapped_functionINS8_6system6detail7generic6detail18binary_search_lessEbEEEE10hipError_tPvRmT1_T2_T3_mmT4_T5_P12ihipStream_tbEUlRKfE_EEST_SX_SY_mSZ_S12_bEUlT_E_NS1_11comp_targetILNS1_3genE9ELNS1_11target_archE1100ELNS1_3gpuE3ELNS1_3repE0EEENS1_30default_config_static_selectorELNS0_4arch9wavefront6targetE0EEEvSW_.uses_vcc, 0
	.set _ZN7rocprim17ROCPRIM_400000_NS6detail17trampoline_kernelINS0_14default_configENS1_27upper_bound_config_selectorIflEEZNS1_14transform_implILb0ES3_S5_N6thrust23THRUST_200600_302600_NS6detail15normal_iteratorINS8_7pointerIfNS8_11hip_rocprim5par_tENS8_11use_defaultESE_EEEENSA_INSB_IlSD_SE_SE_EEEEZNS1_13binary_searchIS3_S5_PfSG_SI_NS1_21upper_bound_search_opENS9_16wrapped_functionINS8_6system6detail7generic6detail18binary_search_lessEbEEEE10hipError_tPvRmT1_T2_T3_mmT4_T5_P12ihipStream_tbEUlRKfE_EEST_SX_SY_mSZ_S12_bEUlT_E_NS1_11comp_targetILNS1_3genE9ELNS1_11target_archE1100ELNS1_3gpuE3ELNS1_3repE0EEENS1_30default_config_static_selectorELNS0_4arch9wavefront6targetE0EEEvSW_.uses_flat_scratch, 0
	.set _ZN7rocprim17ROCPRIM_400000_NS6detail17trampoline_kernelINS0_14default_configENS1_27upper_bound_config_selectorIflEEZNS1_14transform_implILb0ES3_S5_N6thrust23THRUST_200600_302600_NS6detail15normal_iteratorINS8_7pointerIfNS8_11hip_rocprim5par_tENS8_11use_defaultESE_EEEENSA_INSB_IlSD_SE_SE_EEEEZNS1_13binary_searchIS3_S5_PfSG_SI_NS1_21upper_bound_search_opENS9_16wrapped_functionINS8_6system6detail7generic6detail18binary_search_lessEbEEEE10hipError_tPvRmT1_T2_T3_mmT4_T5_P12ihipStream_tbEUlRKfE_EEST_SX_SY_mSZ_S12_bEUlT_E_NS1_11comp_targetILNS1_3genE9ELNS1_11target_archE1100ELNS1_3gpuE3ELNS1_3repE0EEENS1_30default_config_static_selectorELNS0_4arch9wavefront6targetE0EEEvSW_.has_dyn_sized_stack, 0
	.set _ZN7rocprim17ROCPRIM_400000_NS6detail17trampoline_kernelINS0_14default_configENS1_27upper_bound_config_selectorIflEEZNS1_14transform_implILb0ES3_S5_N6thrust23THRUST_200600_302600_NS6detail15normal_iteratorINS8_7pointerIfNS8_11hip_rocprim5par_tENS8_11use_defaultESE_EEEENSA_INSB_IlSD_SE_SE_EEEEZNS1_13binary_searchIS3_S5_PfSG_SI_NS1_21upper_bound_search_opENS9_16wrapped_functionINS8_6system6detail7generic6detail18binary_search_lessEbEEEE10hipError_tPvRmT1_T2_T3_mmT4_T5_P12ihipStream_tbEUlRKfE_EEST_SX_SY_mSZ_S12_bEUlT_E_NS1_11comp_targetILNS1_3genE9ELNS1_11target_archE1100ELNS1_3gpuE3ELNS1_3repE0EEENS1_30default_config_static_selectorELNS0_4arch9wavefront6targetE0EEEvSW_.has_recursion, 0
	.set _ZN7rocprim17ROCPRIM_400000_NS6detail17trampoline_kernelINS0_14default_configENS1_27upper_bound_config_selectorIflEEZNS1_14transform_implILb0ES3_S5_N6thrust23THRUST_200600_302600_NS6detail15normal_iteratorINS8_7pointerIfNS8_11hip_rocprim5par_tENS8_11use_defaultESE_EEEENSA_INSB_IlSD_SE_SE_EEEEZNS1_13binary_searchIS3_S5_PfSG_SI_NS1_21upper_bound_search_opENS9_16wrapped_functionINS8_6system6detail7generic6detail18binary_search_lessEbEEEE10hipError_tPvRmT1_T2_T3_mmT4_T5_P12ihipStream_tbEUlRKfE_EEST_SX_SY_mSZ_S12_bEUlT_E_NS1_11comp_targetILNS1_3genE9ELNS1_11target_archE1100ELNS1_3gpuE3ELNS1_3repE0EEENS1_30default_config_static_selectorELNS0_4arch9wavefront6targetE0EEEvSW_.has_indirect_call, 0
	.section	.AMDGPU.csdata,"",@progbits
; Kernel info:
; codeLenInByte = 0
; TotalNumSgprs: 0
; NumVgprs: 0
; ScratchSize: 0
; MemoryBound: 0
; FloatMode: 240
; IeeeMode: 1
; LDSByteSize: 0 bytes/workgroup (compile time only)
; SGPRBlocks: 0
; VGPRBlocks: 0
; NumSGPRsForWavesPerEU: 1
; NumVGPRsForWavesPerEU: 1
; Occupancy: 16
; WaveLimiterHint : 0
; COMPUTE_PGM_RSRC2:SCRATCH_EN: 0
; COMPUTE_PGM_RSRC2:USER_SGPR: 6
; COMPUTE_PGM_RSRC2:TRAP_HANDLER: 0
; COMPUTE_PGM_RSRC2:TGID_X_EN: 1
; COMPUTE_PGM_RSRC2:TGID_Y_EN: 0
; COMPUTE_PGM_RSRC2:TGID_Z_EN: 0
; COMPUTE_PGM_RSRC2:TIDIG_COMP_CNT: 0
	.section	.text._ZN7rocprim17ROCPRIM_400000_NS6detail17trampoline_kernelINS0_14default_configENS1_27upper_bound_config_selectorIflEEZNS1_14transform_implILb0ES3_S5_N6thrust23THRUST_200600_302600_NS6detail15normal_iteratorINS8_7pointerIfNS8_11hip_rocprim5par_tENS8_11use_defaultESE_EEEENSA_INSB_IlSD_SE_SE_EEEEZNS1_13binary_searchIS3_S5_PfSG_SI_NS1_21upper_bound_search_opENS9_16wrapped_functionINS8_6system6detail7generic6detail18binary_search_lessEbEEEE10hipError_tPvRmT1_T2_T3_mmT4_T5_P12ihipStream_tbEUlRKfE_EEST_SX_SY_mSZ_S12_bEUlT_E_NS1_11comp_targetILNS1_3genE8ELNS1_11target_archE1030ELNS1_3gpuE2ELNS1_3repE0EEENS1_30default_config_static_selectorELNS0_4arch9wavefront6targetE0EEEvSW_,"axG",@progbits,_ZN7rocprim17ROCPRIM_400000_NS6detail17trampoline_kernelINS0_14default_configENS1_27upper_bound_config_selectorIflEEZNS1_14transform_implILb0ES3_S5_N6thrust23THRUST_200600_302600_NS6detail15normal_iteratorINS8_7pointerIfNS8_11hip_rocprim5par_tENS8_11use_defaultESE_EEEENSA_INSB_IlSD_SE_SE_EEEEZNS1_13binary_searchIS3_S5_PfSG_SI_NS1_21upper_bound_search_opENS9_16wrapped_functionINS8_6system6detail7generic6detail18binary_search_lessEbEEEE10hipError_tPvRmT1_T2_T3_mmT4_T5_P12ihipStream_tbEUlRKfE_EEST_SX_SY_mSZ_S12_bEUlT_E_NS1_11comp_targetILNS1_3genE8ELNS1_11target_archE1030ELNS1_3gpuE2ELNS1_3repE0EEENS1_30default_config_static_selectorELNS0_4arch9wavefront6targetE0EEEvSW_,comdat
	.protected	_ZN7rocprim17ROCPRIM_400000_NS6detail17trampoline_kernelINS0_14default_configENS1_27upper_bound_config_selectorIflEEZNS1_14transform_implILb0ES3_S5_N6thrust23THRUST_200600_302600_NS6detail15normal_iteratorINS8_7pointerIfNS8_11hip_rocprim5par_tENS8_11use_defaultESE_EEEENSA_INSB_IlSD_SE_SE_EEEEZNS1_13binary_searchIS3_S5_PfSG_SI_NS1_21upper_bound_search_opENS9_16wrapped_functionINS8_6system6detail7generic6detail18binary_search_lessEbEEEE10hipError_tPvRmT1_T2_T3_mmT4_T5_P12ihipStream_tbEUlRKfE_EEST_SX_SY_mSZ_S12_bEUlT_E_NS1_11comp_targetILNS1_3genE8ELNS1_11target_archE1030ELNS1_3gpuE2ELNS1_3repE0EEENS1_30default_config_static_selectorELNS0_4arch9wavefront6targetE0EEEvSW_ ; -- Begin function _ZN7rocprim17ROCPRIM_400000_NS6detail17trampoline_kernelINS0_14default_configENS1_27upper_bound_config_selectorIflEEZNS1_14transform_implILb0ES3_S5_N6thrust23THRUST_200600_302600_NS6detail15normal_iteratorINS8_7pointerIfNS8_11hip_rocprim5par_tENS8_11use_defaultESE_EEEENSA_INSB_IlSD_SE_SE_EEEEZNS1_13binary_searchIS3_S5_PfSG_SI_NS1_21upper_bound_search_opENS9_16wrapped_functionINS8_6system6detail7generic6detail18binary_search_lessEbEEEE10hipError_tPvRmT1_T2_T3_mmT4_T5_P12ihipStream_tbEUlRKfE_EEST_SX_SY_mSZ_S12_bEUlT_E_NS1_11comp_targetILNS1_3genE8ELNS1_11target_archE1030ELNS1_3gpuE2ELNS1_3repE0EEENS1_30default_config_static_selectorELNS0_4arch9wavefront6targetE0EEEvSW_
	.globl	_ZN7rocprim17ROCPRIM_400000_NS6detail17trampoline_kernelINS0_14default_configENS1_27upper_bound_config_selectorIflEEZNS1_14transform_implILb0ES3_S5_N6thrust23THRUST_200600_302600_NS6detail15normal_iteratorINS8_7pointerIfNS8_11hip_rocprim5par_tENS8_11use_defaultESE_EEEENSA_INSB_IlSD_SE_SE_EEEEZNS1_13binary_searchIS3_S5_PfSG_SI_NS1_21upper_bound_search_opENS9_16wrapped_functionINS8_6system6detail7generic6detail18binary_search_lessEbEEEE10hipError_tPvRmT1_T2_T3_mmT4_T5_P12ihipStream_tbEUlRKfE_EEST_SX_SY_mSZ_S12_bEUlT_E_NS1_11comp_targetILNS1_3genE8ELNS1_11target_archE1030ELNS1_3gpuE2ELNS1_3repE0EEENS1_30default_config_static_selectorELNS0_4arch9wavefront6targetE0EEEvSW_
	.p2align	8
	.type	_ZN7rocprim17ROCPRIM_400000_NS6detail17trampoline_kernelINS0_14default_configENS1_27upper_bound_config_selectorIflEEZNS1_14transform_implILb0ES3_S5_N6thrust23THRUST_200600_302600_NS6detail15normal_iteratorINS8_7pointerIfNS8_11hip_rocprim5par_tENS8_11use_defaultESE_EEEENSA_INSB_IlSD_SE_SE_EEEEZNS1_13binary_searchIS3_S5_PfSG_SI_NS1_21upper_bound_search_opENS9_16wrapped_functionINS8_6system6detail7generic6detail18binary_search_lessEbEEEE10hipError_tPvRmT1_T2_T3_mmT4_T5_P12ihipStream_tbEUlRKfE_EEST_SX_SY_mSZ_S12_bEUlT_E_NS1_11comp_targetILNS1_3genE8ELNS1_11target_archE1030ELNS1_3gpuE2ELNS1_3repE0EEENS1_30default_config_static_selectorELNS0_4arch9wavefront6targetE0EEEvSW_,@function
_ZN7rocprim17ROCPRIM_400000_NS6detail17trampoline_kernelINS0_14default_configENS1_27upper_bound_config_selectorIflEEZNS1_14transform_implILb0ES3_S5_N6thrust23THRUST_200600_302600_NS6detail15normal_iteratorINS8_7pointerIfNS8_11hip_rocprim5par_tENS8_11use_defaultESE_EEEENSA_INSB_IlSD_SE_SE_EEEEZNS1_13binary_searchIS3_S5_PfSG_SI_NS1_21upper_bound_search_opENS9_16wrapped_functionINS8_6system6detail7generic6detail18binary_search_lessEbEEEE10hipError_tPvRmT1_T2_T3_mmT4_T5_P12ihipStream_tbEUlRKfE_EEST_SX_SY_mSZ_S12_bEUlT_E_NS1_11comp_targetILNS1_3genE8ELNS1_11target_archE1030ELNS1_3gpuE2ELNS1_3repE0EEENS1_30default_config_static_selectorELNS0_4arch9wavefront6targetE0EEEvSW_: ; @_ZN7rocprim17ROCPRIM_400000_NS6detail17trampoline_kernelINS0_14default_configENS1_27upper_bound_config_selectorIflEEZNS1_14transform_implILb0ES3_S5_N6thrust23THRUST_200600_302600_NS6detail15normal_iteratorINS8_7pointerIfNS8_11hip_rocprim5par_tENS8_11use_defaultESE_EEEENSA_INSB_IlSD_SE_SE_EEEEZNS1_13binary_searchIS3_S5_PfSG_SI_NS1_21upper_bound_search_opENS9_16wrapped_functionINS8_6system6detail7generic6detail18binary_search_lessEbEEEE10hipError_tPvRmT1_T2_T3_mmT4_T5_P12ihipStream_tbEUlRKfE_EEST_SX_SY_mSZ_S12_bEUlT_E_NS1_11comp_targetILNS1_3genE8ELNS1_11target_archE1030ELNS1_3gpuE2ELNS1_3repE0EEENS1_30default_config_static_selectorELNS0_4arch9wavefront6targetE0EEEvSW_
; %bb.0:
	s_clause 0x3
	s_load_dwordx4 s[12:15], s[4:5], 0x0
	s_load_dwordx4 s[0:3], s[4:5], 0x18
	s_load_dword s16, s[4:5], 0x38
	s_load_dwordx2 s[10:11], s[4:5], 0x28
	s_waitcnt lgkmcnt(0)
	s_lshl_b64 s[8:9], s[14:15], 2
	s_add_u32 s12, s12, s8
	s_addc_u32 s13, s13, s9
	s_lshl_b64 s[8:9], s[14:15], 3
	s_add_u32 s7, s0, s8
	s_addc_u32 s1, s1, s9
	s_add_i32 s16, s16, -1
	s_lshl_b32 s8, s6, 8
	s_mov_b32 s9, 0
	s_cmp_lg_u32 s6, s16
	s_mov_b32 s0, -1
	s_cbranch_scc0 .LBB180_7
; %bb.1:
	s_cmp_eq_u64 s[10:11], 0
	s_cbranch_scc1 .LBB180_5
; %bb.2:
	v_lshlrev_b32_e32 v1, 2, v0
	s_lshl_b64 s[14:15], s[8:9], 2
	v_mov_b32_e32 v3, s10
	s_add_u32 s0, s12, s14
	s_addc_u32 s6, s13, s15
	v_add_co_u32 v1, s0, s0, v1
	v_add_co_ci_u32_e64 v2, null, s6, 0, s0
	v_mov_b32_e32 v4, s11
	s_mov_b32 s0, 0
	flat_load_dword v5, v[1:2]
	v_mov_b32_e32 v1, 0
	v_mov_b32_e32 v2, 0
	s_inst_prefetch 0x1
	.p2align	6
.LBB180_3:                              ; =>This Inner Loop Header: Depth=1
	v_sub_co_u32 v6, vcc_lo, v3, v1
	v_sub_co_ci_u32_e64 v7, null, v4, v2, vcc_lo
	v_lshrrev_b64 v[8:9], 1, v[6:7]
	v_lshrrev_b64 v[6:7], 6, v[6:7]
	v_add_co_u32 v8, vcc_lo, v8, v1
	v_add_co_ci_u32_e64 v9, null, v9, v2, vcc_lo
	v_add_co_u32 v6, vcc_lo, v8, v6
	v_add_co_ci_u32_e64 v7, null, v9, v7, vcc_lo
	v_lshlrev_b64 v[8:9], 2, v[6:7]
	v_add_co_u32 v8, vcc_lo, s2, v8
	v_add_co_ci_u32_e64 v9, null, s3, v9, vcc_lo
	global_load_dword v8, v[8:9], off
	v_add_co_u32 v9, vcc_lo, v6, 1
	v_add_co_ci_u32_e64 v10, null, 0, v7, vcc_lo
	s_waitcnt vmcnt(0) lgkmcnt(0)
	v_cmp_lt_f32_e32 vcc_lo, v5, v8
	v_cndmask_b32_e32 v4, v4, v7, vcc_lo
	v_cndmask_b32_e32 v3, v3, v6, vcc_lo
	v_cndmask_b32_e32 v2, v10, v2, vcc_lo
	v_cndmask_b32_e32 v1, v9, v1, vcc_lo
	v_cmp_ge_u64_e32 vcc_lo, v[1:2], v[3:4]
	s_or_b32 s0, vcc_lo, s0
	s_andn2_b32 exec_lo, exec_lo, s0
	s_cbranch_execnz .LBB180_3
; %bb.4:
	s_inst_prefetch 0x2
	s_or_b32 exec_lo, exec_lo, s0
	s_branch .LBB180_6
.LBB180_5:
	v_mov_b32_e32 v1, 0
	v_mov_b32_e32 v2, 0
.LBB180_6:
	v_lshlrev_b32_e32 v3, 3, v0
	s_lshl_b64 s[14:15], s[8:9], 3
	s_add_u32 s0, s7, s14
	s_addc_u32 s6, s1, s15
	v_add_co_u32 v3, s0, s0, v3
	v_add_co_ci_u32_e64 v4, null, s6, 0, s0
	s_mov_b32 s0, 0
	flat_store_dwordx2 v[3:4], v[1:2]
.LBB180_7:
	s_and_b32 vcc_lo, exec_lo, s0
	s_cbranch_vccz .LBB180_16
; %bb.8:
	s_load_dword s0, s[4:5], 0x10
                                        ; implicit-def: $vgpr5
	s_waitcnt lgkmcnt(0)
	s_sub_i32 s4, s0, s8
	v_cmp_le_u32_e64 s0, s4, v0
	v_cmp_gt_u32_e32 vcc_lo, s4, v0
	s_and_saveexec_b32 s4, vcc_lo
	s_cbranch_execz .LBB180_10
; %bb.9:
	v_lshlrev_b32_e32 v1, 2, v0
	s_lshl_b64 s[14:15], s[8:9], 2
	s_add_u32 s5, s12, s14
	s_addc_u32 s6, s13, s15
	v_add_co_u32 v1, s5, s5, v1
	v_add_co_ci_u32_e64 v2, null, s6, 0, s5
	flat_load_dword v5, v[1:2]
.LBB180_10:
	s_or_b32 exec_lo, exec_lo, s4
	s_cmp_lg_u64 s[10:11], 0
	v_mov_b32_e32 v1, 0
	v_mov_b32_e32 v2, 0
	s_cselect_b32 s4, -1, 0
	s_xor_b32 s0, s0, -1
	s_and_b32 s0, s0, s4
	s_and_saveexec_b32 s4, s0
	s_cbranch_execz .LBB180_14
; %bb.11:
	v_mov_b32_e32 v1, 0
	v_mov_b32_e32 v3, s10
	;; [unrolled: 1-line block ×4, first 2 shown]
	s_mov_b32 s5, 0
	s_inst_prefetch 0x1
	.p2align	6
.LBB180_12:                             ; =>This Inner Loop Header: Depth=1
	v_sub_co_u32 v6, s0, v3, v1
	v_sub_co_ci_u32_e64 v7, null, v4, v2, s0
	v_lshrrev_b64 v[8:9], 1, v[6:7]
	v_lshrrev_b64 v[6:7], 6, v[6:7]
	v_add_co_u32 v8, s0, v8, v1
	v_add_co_ci_u32_e64 v9, null, v9, v2, s0
	v_add_co_u32 v6, s0, v8, v6
	v_add_co_ci_u32_e64 v7, null, v9, v7, s0
	v_lshlrev_b64 v[8:9], 2, v[6:7]
	v_add_co_u32 v8, s0, s2, v8
	v_add_co_ci_u32_e64 v9, null, s3, v9, s0
	global_load_dword v8, v[8:9], off
	v_add_co_u32 v9, s0, v6, 1
	v_add_co_ci_u32_e64 v10, null, 0, v7, s0
	s_waitcnt vmcnt(0) lgkmcnt(0)
	v_cmp_lt_f32_e64 s0, v5, v8
	v_cndmask_b32_e64 v4, v4, v7, s0
	v_cndmask_b32_e64 v3, v3, v6, s0
	;; [unrolled: 1-line block ×4, first 2 shown]
	v_cmp_ge_u64_e64 s0, v[1:2], v[3:4]
	s_or_b32 s5, s0, s5
	s_andn2_b32 exec_lo, exec_lo, s5
	s_cbranch_execnz .LBB180_12
; %bb.13:
	s_inst_prefetch 0x2
	s_or_b32 exec_lo, exec_lo, s5
.LBB180_14:
	s_or_b32 exec_lo, exec_lo, s4
	s_and_saveexec_b32 s0, vcc_lo
	s_cbranch_execz .LBB180_16
; %bb.15:
	v_lshlrev_b32_e32 v0, 3, v0
	s_lshl_b64 s[2:3], s[8:9], 3
	s_add_u32 s0, s7, s2
	s_addc_u32 s1, s1, s3
	v_add_co_u32 v3, s0, s0, v0
	v_add_co_ci_u32_e64 v4, null, s1, 0, s0
	flat_store_dwordx2 v[3:4], v[1:2]
.LBB180_16:
	s_endpgm
	.section	.rodata,"a",@progbits
	.p2align	6, 0x0
	.amdhsa_kernel _ZN7rocprim17ROCPRIM_400000_NS6detail17trampoline_kernelINS0_14default_configENS1_27upper_bound_config_selectorIflEEZNS1_14transform_implILb0ES3_S5_N6thrust23THRUST_200600_302600_NS6detail15normal_iteratorINS8_7pointerIfNS8_11hip_rocprim5par_tENS8_11use_defaultESE_EEEENSA_INSB_IlSD_SE_SE_EEEEZNS1_13binary_searchIS3_S5_PfSG_SI_NS1_21upper_bound_search_opENS9_16wrapped_functionINS8_6system6detail7generic6detail18binary_search_lessEbEEEE10hipError_tPvRmT1_T2_T3_mmT4_T5_P12ihipStream_tbEUlRKfE_EEST_SX_SY_mSZ_S12_bEUlT_E_NS1_11comp_targetILNS1_3genE8ELNS1_11target_archE1030ELNS1_3gpuE2ELNS1_3repE0EEENS1_30default_config_static_selectorELNS0_4arch9wavefront6targetE0EEEvSW_
		.amdhsa_group_segment_fixed_size 0
		.amdhsa_private_segment_fixed_size 0
		.amdhsa_kernarg_size 312
		.amdhsa_user_sgpr_count 6
		.amdhsa_user_sgpr_private_segment_buffer 1
		.amdhsa_user_sgpr_dispatch_ptr 0
		.amdhsa_user_sgpr_queue_ptr 0
		.amdhsa_user_sgpr_kernarg_segment_ptr 1
		.amdhsa_user_sgpr_dispatch_id 0
		.amdhsa_user_sgpr_flat_scratch_init 0
		.amdhsa_user_sgpr_private_segment_size 0
		.amdhsa_wavefront_size32 1
		.amdhsa_uses_dynamic_stack 0
		.amdhsa_system_sgpr_private_segment_wavefront_offset 0
		.amdhsa_system_sgpr_workgroup_id_x 1
		.amdhsa_system_sgpr_workgroup_id_y 0
		.amdhsa_system_sgpr_workgroup_id_z 0
		.amdhsa_system_sgpr_workgroup_info 0
		.amdhsa_system_vgpr_workitem_id 0
		.amdhsa_next_free_vgpr 11
		.amdhsa_next_free_sgpr 17
		.amdhsa_reserve_vcc 1
		.amdhsa_reserve_flat_scratch 0
		.amdhsa_float_round_mode_32 0
		.amdhsa_float_round_mode_16_64 0
		.amdhsa_float_denorm_mode_32 3
		.amdhsa_float_denorm_mode_16_64 3
		.amdhsa_dx10_clamp 1
		.amdhsa_ieee_mode 1
		.amdhsa_fp16_overflow 0
		.amdhsa_workgroup_processor_mode 1
		.amdhsa_memory_ordered 1
		.amdhsa_forward_progress 1
		.amdhsa_shared_vgpr_count 0
		.amdhsa_exception_fp_ieee_invalid_op 0
		.amdhsa_exception_fp_denorm_src 0
		.amdhsa_exception_fp_ieee_div_zero 0
		.amdhsa_exception_fp_ieee_overflow 0
		.amdhsa_exception_fp_ieee_underflow 0
		.amdhsa_exception_fp_ieee_inexact 0
		.amdhsa_exception_int_div_zero 0
	.end_amdhsa_kernel
	.section	.text._ZN7rocprim17ROCPRIM_400000_NS6detail17trampoline_kernelINS0_14default_configENS1_27upper_bound_config_selectorIflEEZNS1_14transform_implILb0ES3_S5_N6thrust23THRUST_200600_302600_NS6detail15normal_iteratorINS8_7pointerIfNS8_11hip_rocprim5par_tENS8_11use_defaultESE_EEEENSA_INSB_IlSD_SE_SE_EEEEZNS1_13binary_searchIS3_S5_PfSG_SI_NS1_21upper_bound_search_opENS9_16wrapped_functionINS8_6system6detail7generic6detail18binary_search_lessEbEEEE10hipError_tPvRmT1_T2_T3_mmT4_T5_P12ihipStream_tbEUlRKfE_EEST_SX_SY_mSZ_S12_bEUlT_E_NS1_11comp_targetILNS1_3genE8ELNS1_11target_archE1030ELNS1_3gpuE2ELNS1_3repE0EEENS1_30default_config_static_selectorELNS0_4arch9wavefront6targetE0EEEvSW_,"axG",@progbits,_ZN7rocprim17ROCPRIM_400000_NS6detail17trampoline_kernelINS0_14default_configENS1_27upper_bound_config_selectorIflEEZNS1_14transform_implILb0ES3_S5_N6thrust23THRUST_200600_302600_NS6detail15normal_iteratorINS8_7pointerIfNS8_11hip_rocprim5par_tENS8_11use_defaultESE_EEEENSA_INSB_IlSD_SE_SE_EEEEZNS1_13binary_searchIS3_S5_PfSG_SI_NS1_21upper_bound_search_opENS9_16wrapped_functionINS8_6system6detail7generic6detail18binary_search_lessEbEEEE10hipError_tPvRmT1_T2_T3_mmT4_T5_P12ihipStream_tbEUlRKfE_EEST_SX_SY_mSZ_S12_bEUlT_E_NS1_11comp_targetILNS1_3genE8ELNS1_11target_archE1030ELNS1_3gpuE2ELNS1_3repE0EEENS1_30default_config_static_selectorELNS0_4arch9wavefront6targetE0EEEvSW_,comdat
.Lfunc_end180:
	.size	_ZN7rocprim17ROCPRIM_400000_NS6detail17trampoline_kernelINS0_14default_configENS1_27upper_bound_config_selectorIflEEZNS1_14transform_implILb0ES3_S5_N6thrust23THRUST_200600_302600_NS6detail15normal_iteratorINS8_7pointerIfNS8_11hip_rocprim5par_tENS8_11use_defaultESE_EEEENSA_INSB_IlSD_SE_SE_EEEEZNS1_13binary_searchIS3_S5_PfSG_SI_NS1_21upper_bound_search_opENS9_16wrapped_functionINS8_6system6detail7generic6detail18binary_search_lessEbEEEE10hipError_tPvRmT1_T2_T3_mmT4_T5_P12ihipStream_tbEUlRKfE_EEST_SX_SY_mSZ_S12_bEUlT_E_NS1_11comp_targetILNS1_3genE8ELNS1_11target_archE1030ELNS1_3gpuE2ELNS1_3repE0EEENS1_30default_config_static_selectorELNS0_4arch9wavefront6targetE0EEEvSW_, .Lfunc_end180-_ZN7rocprim17ROCPRIM_400000_NS6detail17trampoline_kernelINS0_14default_configENS1_27upper_bound_config_selectorIflEEZNS1_14transform_implILb0ES3_S5_N6thrust23THRUST_200600_302600_NS6detail15normal_iteratorINS8_7pointerIfNS8_11hip_rocprim5par_tENS8_11use_defaultESE_EEEENSA_INSB_IlSD_SE_SE_EEEEZNS1_13binary_searchIS3_S5_PfSG_SI_NS1_21upper_bound_search_opENS9_16wrapped_functionINS8_6system6detail7generic6detail18binary_search_lessEbEEEE10hipError_tPvRmT1_T2_T3_mmT4_T5_P12ihipStream_tbEUlRKfE_EEST_SX_SY_mSZ_S12_bEUlT_E_NS1_11comp_targetILNS1_3genE8ELNS1_11target_archE1030ELNS1_3gpuE2ELNS1_3repE0EEENS1_30default_config_static_selectorELNS0_4arch9wavefront6targetE0EEEvSW_
                                        ; -- End function
	.set _ZN7rocprim17ROCPRIM_400000_NS6detail17trampoline_kernelINS0_14default_configENS1_27upper_bound_config_selectorIflEEZNS1_14transform_implILb0ES3_S5_N6thrust23THRUST_200600_302600_NS6detail15normal_iteratorINS8_7pointerIfNS8_11hip_rocprim5par_tENS8_11use_defaultESE_EEEENSA_INSB_IlSD_SE_SE_EEEEZNS1_13binary_searchIS3_S5_PfSG_SI_NS1_21upper_bound_search_opENS9_16wrapped_functionINS8_6system6detail7generic6detail18binary_search_lessEbEEEE10hipError_tPvRmT1_T2_T3_mmT4_T5_P12ihipStream_tbEUlRKfE_EEST_SX_SY_mSZ_S12_bEUlT_E_NS1_11comp_targetILNS1_3genE8ELNS1_11target_archE1030ELNS1_3gpuE2ELNS1_3repE0EEENS1_30default_config_static_selectorELNS0_4arch9wavefront6targetE0EEEvSW_.num_vgpr, 11
	.set _ZN7rocprim17ROCPRIM_400000_NS6detail17trampoline_kernelINS0_14default_configENS1_27upper_bound_config_selectorIflEEZNS1_14transform_implILb0ES3_S5_N6thrust23THRUST_200600_302600_NS6detail15normal_iteratorINS8_7pointerIfNS8_11hip_rocprim5par_tENS8_11use_defaultESE_EEEENSA_INSB_IlSD_SE_SE_EEEEZNS1_13binary_searchIS3_S5_PfSG_SI_NS1_21upper_bound_search_opENS9_16wrapped_functionINS8_6system6detail7generic6detail18binary_search_lessEbEEEE10hipError_tPvRmT1_T2_T3_mmT4_T5_P12ihipStream_tbEUlRKfE_EEST_SX_SY_mSZ_S12_bEUlT_E_NS1_11comp_targetILNS1_3genE8ELNS1_11target_archE1030ELNS1_3gpuE2ELNS1_3repE0EEENS1_30default_config_static_selectorELNS0_4arch9wavefront6targetE0EEEvSW_.num_agpr, 0
	.set _ZN7rocprim17ROCPRIM_400000_NS6detail17trampoline_kernelINS0_14default_configENS1_27upper_bound_config_selectorIflEEZNS1_14transform_implILb0ES3_S5_N6thrust23THRUST_200600_302600_NS6detail15normal_iteratorINS8_7pointerIfNS8_11hip_rocprim5par_tENS8_11use_defaultESE_EEEENSA_INSB_IlSD_SE_SE_EEEEZNS1_13binary_searchIS3_S5_PfSG_SI_NS1_21upper_bound_search_opENS9_16wrapped_functionINS8_6system6detail7generic6detail18binary_search_lessEbEEEE10hipError_tPvRmT1_T2_T3_mmT4_T5_P12ihipStream_tbEUlRKfE_EEST_SX_SY_mSZ_S12_bEUlT_E_NS1_11comp_targetILNS1_3genE8ELNS1_11target_archE1030ELNS1_3gpuE2ELNS1_3repE0EEENS1_30default_config_static_selectorELNS0_4arch9wavefront6targetE0EEEvSW_.numbered_sgpr, 17
	.set _ZN7rocprim17ROCPRIM_400000_NS6detail17trampoline_kernelINS0_14default_configENS1_27upper_bound_config_selectorIflEEZNS1_14transform_implILb0ES3_S5_N6thrust23THRUST_200600_302600_NS6detail15normal_iteratorINS8_7pointerIfNS8_11hip_rocprim5par_tENS8_11use_defaultESE_EEEENSA_INSB_IlSD_SE_SE_EEEEZNS1_13binary_searchIS3_S5_PfSG_SI_NS1_21upper_bound_search_opENS9_16wrapped_functionINS8_6system6detail7generic6detail18binary_search_lessEbEEEE10hipError_tPvRmT1_T2_T3_mmT4_T5_P12ihipStream_tbEUlRKfE_EEST_SX_SY_mSZ_S12_bEUlT_E_NS1_11comp_targetILNS1_3genE8ELNS1_11target_archE1030ELNS1_3gpuE2ELNS1_3repE0EEENS1_30default_config_static_selectorELNS0_4arch9wavefront6targetE0EEEvSW_.num_named_barrier, 0
	.set _ZN7rocprim17ROCPRIM_400000_NS6detail17trampoline_kernelINS0_14default_configENS1_27upper_bound_config_selectorIflEEZNS1_14transform_implILb0ES3_S5_N6thrust23THRUST_200600_302600_NS6detail15normal_iteratorINS8_7pointerIfNS8_11hip_rocprim5par_tENS8_11use_defaultESE_EEEENSA_INSB_IlSD_SE_SE_EEEEZNS1_13binary_searchIS3_S5_PfSG_SI_NS1_21upper_bound_search_opENS9_16wrapped_functionINS8_6system6detail7generic6detail18binary_search_lessEbEEEE10hipError_tPvRmT1_T2_T3_mmT4_T5_P12ihipStream_tbEUlRKfE_EEST_SX_SY_mSZ_S12_bEUlT_E_NS1_11comp_targetILNS1_3genE8ELNS1_11target_archE1030ELNS1_3gpuE2ELNS1_3repE0EEENS1_30default_config_static_selectorELNS0_4arch9wavefront6targetE0EEEvSW_.private_seg_size, 0
	.set _ZN7rocprim17ROCPRIM_400000_NS6detail17trampoline_kernelINS0_14default_configENS1_27upper_bound_config_selectorIflEEZNS1_14transform_implILb0ES3_S5_N6thrust23THRUST_200600_302600_NS6detail15normal_iteratorINS8_7pointerIfNS8_11hip_rocprim5par_tENS8_11use_defaultESE_EEEENSA_INSB_IlSD_SE_SE_EEEEZNS1_13binary_searchIS3_S5_PfSG_SI_NS1_21upper_bound_search_opENS9_16wrapped_functionINS8_6system6detail7generic6detail18binary_search_lessEbEEEE10hipError_tPvRmT1_T2_T3_mmT4_T5_P12ihipStream_tbEUlRKfE_EEST_SX_SY_mSZ_S12_bEUlT_E_NS1_11comp_targetILNS1_3genE8ELNS1_11target_archE1030ELNS1_3gpuE2ELNS1_3repE0EEENS1_30default_config_static_selectorELNS0_4arch9wavefront6targetE0EEEvSW_.uses_vcc, 1
	.set _ZN7rocprim17ROCPRIM_400000_NS6detail17trampoline_kernelINS0_14default_configENS1_27upper_bound_config_selectorIflEEZNS1_14transform_implILb0ES3_S5_N6thrust23THRUST_200600_302600_NS6detail15normal_iteratorINS8_7pointerIfNS8_11hip_rocprim5par_tENS8_11use_defaultESE_EEEENSA_INSB_IlSD_SE_SE_EEEEZNS1_13binary_searchIS3_S5_PfSG_SI_NS1_21upper_bound_search_opENS9_16wrapped_functionINS8_6system6detail7generic6detail18binary_search_lessEbEEEE10hipError_tPvRmT1_T2_T3_mmT4_T5_P12ihipStream_tbEUlRKfE_EEST_SX_SY_mSZ_S12_bEUlT_E_NS1_11comp_targetILNS1_3genE8ELNS1_11target_archE1030ELNS1_3gpuE2ELNS1_3repE0EEENS1_30default_config_static_selectorELNS0_4arch9wavefront6targetE0EEEvSW_.uses_flat_scratch, 0
	.set _ZN7rocprim17ROCPRIM_400000_NS6detail17trampoline_kernelINS0_14default_configENS1_27upper_bound_config_selectorIflEEZNS1_14transform_implILb0ES3_S5_N6thrust23THRUST_200600_302600_NS6detail15normal_iteratorINS8_7pointerIfNS8_11hip_rocprim5par_tENS8_11use_defaultESE_EEEENSA_INSB_IlSD_SE_SE_EEEEZNS1_13binary_searchIS3_S5_PfSG_SI_NS1_21upper_bound_search_opENS9_16wrapped_functionINS8_6system6detail7generic6detail18binary_search_lessEbEEEE10hipError_tPvRmT1_T2_T3_mmT4_T5_P12ihipStream_tbEUlRKfE_EEST_SX_SY_mSZ_S12_bEUlT_E_NS1_11comp_targetILNS1_3genE8ELNS1_11target_archE1030ELNS1_3gpuE2ELNS1_3repE0EEENS1_30default_config_static_selectorELNS0_4arch9wavefront6targetE0EEEvSW_.has_dyn_sized_stack, 0
	.set _ZN7rocprim17ROCPRIM_400000_NS6detail17trampoline_kernelINS0_14default_configENS1_27upper_bound_config_selectorIflEEZNS1_14transform_implILb0ES3_S5_N6thrust23THRUST_200600_302600_NS6detail15normal_iteratorINS8_7pointerIfNS8_11hip_rocprim5par_tENS8_11use_defaultESE_EEEENSA_INSB_IlSD_SE_SE_EEEEZNS1_13binary_searchIS3_S5_PfSG_SI_NS1_21upper_bound_search_opENS9_16wrapped_functionINS8_6system6detail7generic6detail18binary_search_lessEbEEEE10hipError_tPvRmT1_T2_T3_mmT4_T5_P12ihipStream_tbEUlRKfE_EEST_SX_SY_mSZ_S12_bEUlT_E_NS1_11comp_targetILNS1_3genE8ELNS1_11target_archE1030ELNS1_3gpuE2ELNS1_3repE0EEENS1_30default_config_static_selectorELNS0_4arch9wavefront6targetE0EEEvSW_.has_recursion, 0
	.set _ZN7rocprim17ROCPRIM_400000_NS6detail17trampoline_kernelINS0_14default_configENS1_27upper_bound_config_selectorIflEEZNS1_14transform_implILb0ES3_S5_N6thrust23THRUST_200600_302600_NS6detail15normal_iteratorINS8_7pointerIfNS8_11hip_rocprim5par_tENS8_11use_defaultESE_EEEENSA_INSB_IlSD_SE_SE_EEEEZNS1_13binary_searchIS3_S5_PfSG_SI_NS1_21upper_bound_search_opENS9_16wrapped_functionINS8_6system6detail7generic6detail18binary_search_lessEbEEEE10hipError_tPvRmT1_T2_T3_mmT4_T5_P12ihipStream_tbEUlRKfE_EEST_SX_SY_mSZ_S12_bEUlT_E_NS1_11comp_targetILNS1_3genE8ELNS1_11target_archE1030ELNS1_3gpuE2ELNS1_3repE0EEENS1_30default_config_static_selectorELNS0_4arch9wavefront6targetE0EEEvSW_.has_indirect_call, 0
	.section	.AMDGPU.csdata,"",@progbits
; Kernel info:
; codeLenInByte = 816
; TotalNumSgprs: 19
; NumVgprs: 11
; ScratchSize: 0
; MemoryBound: 0
; FloatMode: 240
; IeeeMode: 1
; LDSByteSize: 0 bytes/workgroup (compile time only)
; SGPRBlocks: 0
; VGPRBlocks: 1
; NumSGPRsForWavesPerEU: 19
; NumVGPRsForWavesPerEU: 11
; Occupancy: 16
; WaveLimiterHint : 0
; COMPUTE_PGM_RSRC2:SCRATCH_EN: 0
; COMPUTE_PGM_RSRC2:USER_SGPR: 6
; COMPUTE_PGM_RSRC2:TRAP_HANDLER: 0
; COMPUTE_PGM_RSRC2:TGID_X_EN: 1
; COMPUTE_PGM_RSRC2:TGID_Y_EN: 0
; COMPUTE_PGM_RSRC2:TGID_Z_EN: 0
; COMPUTE_PGM_RSRC2:TIDIG_COMP_CNT: 0
	.section	.text._Z18upper_bound_kernelIyEvmPT_Pl,"axG",@progbits,_Z18upper_bound_kernelIyEvmPT_Pl,comdat
	.protected	_Z18upper_bound_kernelIyEvmPT_Pl ; -- Begin function _Z18upper_bound_kernelIyEvmPT_Pl
	.globl	_Z18upper_bound_kernelIyEvmPT_Pl
	.p2align	8
	.type	_Z18upper_bound_kernelIyEvmPT_Pl,@function
_Z18upper_bound_kernelIyEvmPT_Pl:       ; @_Z18upper_bound_kernelIyEvmPT_Pl
; %bb.0:
	s_clause 0x1
	s_load_dwordx4 s[0:3], s[4:5], 0x0
	s_load_dwordx2 s[4:5], s[4:5], 0x10
	s_waitcnt lgkmcnt(0)
	s_lshl_b64 s[0:1], s[0:1], 3
	s_add_u32 s0, s2, s0
	s_addc_u32 s1, s3, s1
	s_sub_u32 s0, s0, s2
	s_subb_u32 s1, s1, s3
	s_ashr_i64 s[6:7], s[0:1], 3
	s_mov_b32 s1, -1
	v_cmp_lt_i64_e64 s0, s[6:7], 1
	s_and_b32 s0, exec_lo, s0
	s_mov_b32 vcc_lo, s0
	s_cbranch_vccz .LBB181_2
; %bb.1:
	v_mov_b32_e32 v0, 0
	s_mov_b32 s1, 0
	v_mov_b32_e32 v1, v0
	global_store_dwordx2 v0, v[0:1], s[4:5]
.LBB181_2:
	s_andn2_b32 vcc_lo, exec_lo, s1
	s_mov_b64 s[8:9], 0
	s_cbranch_vccnz .LBB181_7
; %bb.3:
	s_mov_b64 s[10:11], s[6:7]
	.p2align	6
.LBB181_4:                              ; =>This Inner Loop Header: Depth=1
	s_sub_u32 s12, s10, s8
	s_subb_u32 s13, s11, s9
	s_lshr_b64 s[12:13], s[12:13], 1
	s_add_u32 s12, s12, s8
	s_addc_u32 s13, s13, s9
	s_lshl_b64 s[14:15], s[12:13], 3
	s_add_u32 s14, s2, s14
	s_addc_u32 s15, s3, s15
	s_add_u32 s1, s12, 1
	s_load_dwordx2 s[14:15], s[14:15], 0x0
	s_addc_u32 s16, s13, 0
	s_waitcnt lgkmcnt(0)
	s_cmp_eq_u64 s[14:15], 0
	s_cselect_b32 s9, s16, s9
	s_cselect_b32 s8, s1, s8
	;; [unrolled: 1-line block ×4, first 2 shown]
	v_cmp_lt_i64_e64 s1, s[8:9], s[10:11]
	s_and_b32 vcc_lo, exec_lo, s1
	s_cbranch_vccnz .LBB181_4
; %bb.5:
	s_lshl_b64 s[8:9], s[8:9], 3
	v_mov_b32_e32 v2, 0
	s_add_u32 s1, s2, s8
	s_addc_u32 s9, s3, s9
	s_sub_u32 s8, s1, s2
	s_subb_u32 s9, s9, s3
	s_mov_b64 s[10:11], s[6:7]
	s_ashr_i64 s[8:9], s[8:9], 3
	v_mov_b32_e32 v0, s8
	v_mov_b32_e32 v1, s9
	s_mov_b64 s[8:9], 0
	global_store_dwordx2 v2, v[0:1], s[4:5]
	.p2align	6
.LBB181_6:                              ; =>This Inner Loop Header: Depth=1
	s_sub_u32 s12, s10, s8
	s_subb_u32 s13, s11, s9
	s_lshr_b64 s[12:13], s[12:13], 1
	s_add_u32 s12, s12, s8
	s_addc_u32 s13, s13, s9
	s_lshl_b64 s[14:15], s[12:13], 3
	s_add_u32 s14, s2, s14
	s_addc_u32 s15, s3, s15
	s_load_dwordx2 s[14:15], s[14:15], 0x0
	s_waitcnt lgkmcnt(0)
	v_cmp_gt_u64_e64 s1, s[14:15], 1
	s_add_u32 s14, s12, 1
	s_addc_u32 s15, s13, 0
	s_and_b32 s1, s1, exec_lo
	s_cselect_b32 s9, s9, s15
	s_cselect_b32 s8, s8, s14
	;; [unrolled: 1-line block ×4, first 2 shown]
	v_cmp_ge_i64_e64 s1, s[8:9], s[10:11]
	s_and_b32 vcc_lo, exec_lo, s1
	s_cbranch_vccz .LBB181_6
.LBB181_7:
	s_lshl_b64 s[8:9], s[8:9], 3
	v_mov_b32_e32 v0, 0
	s_add_u32 s1, s2, s8
	s_addc_u32 s9, s3, s9
	s_sub_u32 s8, s1, s2
	s_subb_u32 s9, s9, s3
	s_mov_b32 s1, -1
	s_ashr_i64 s[8:9], s[8:9], 3
	s_mov_b32 vcc_lo, s0
	v_mov_b32_e32 v1, s8
	v_mov_b32_e32 v2, s9
	global_store_dwordx2 v0, v[1:2], s[4:5] offset:8
	s_cbranch_vccz .LBB181_9
; %bb.8:
	v_mov_b32_e32 v1, v0
	s_mov_b32 s1, 0
	global_store_dwordx2 v0, v[0:1], s[4:5] offset:16
.LBB181_9:
	s_andn2_b32 vcc_lo, exec_lo, s1
	s_mov_b64 s[8:9], 0
	s_cbranch_vccnz .LBB181_14
; %bb.10:
	s_mov_b64 s[10:11], s[6:7]
	.p2align	6
.LBB181_11:                             ; =>This Inner Loop Header: Depth=1
	s_sub_u32 s12, s10, s8
	s_subb_u32 s13, s11, s9
	s_lshr_b64 s[12:13], s[12:13], 1
	s_add_u32 s12, s12, s8
	s_addc_u32 s13, s13, s9
	s_lshl_b64 s[14:15], s[12:13], 3
	s_add_u32 s14, s2, s14
	s_addc_u32 s15, s3, s15
	s_load_dwordx2 s[14:15], s[14:15], 0x0
	s_waitcnt lgkmcnt(0)
	v_cmp_gt_u64_e64 s1, s[14:15], 2
	s_add_u32 s14, s12, 1
	s_addc_u32 s15, s13, 0
	s_and_b32 s1, s1, exec_lo
	s_cselect_b32 s9, s9, s15
	s_cselect_b32 s8, s8, s14
	;; [unrolled: 1-line block ×4, first 2 shown]
	v_cmp_lt_i64_e64 s1, s[8:9], s[10:11]
	s_and_b32 vcc_lo, exec_lo, s1
	s_cbranch_vccnz .LBB181_11
; %bb.12:
	s_lshl_b64 s[8:9], s[8:9], 3
	v_mov_b32_e32 v2, 0
	s_add_u32 s1, s2, s8
	s_addc_u32 s9, s3, s9
	s_sub_u32 s8, s1, s2
	s_subb_u32 s9, s9, s3
	s_mov_b64 s[10:11], s[6:7]
	s_ashr_i64 s[8:9], s[8:9], 3
	v_mov_b32_e32 v0, s8
	v_mov_b32_e32 v1, s9
	s_mov_b64 s[8:9], 0
	global_store_dwordx2 v2, v[0:1], s[4:5] offset:16
	.p2align	6
.LBB181_13:                             ; =>This Inner Loop Header: Depth=1
	s_sub_u32 s12, s10, s8
	s_subb_u32 s13, s11, s9
	s_lshr_b64 s[12:13], s[12:13], 1
	s_add_u32 s12, s12, s8
	s_addc_u32 s13, s13, s9
	s_lshl_b64 s[14:15], s[12:13], 3
	s_add_u32 s14, s2, s14
	s_addc_u32 s15, s3, s15
	s_load_dwordx2 s[14:15], s[14:15], 0x0
	s_waitcnt lgkmcnt(0)
	v_cmp_gt_u64_e64 s1, s[14:15], 3
	s_add_u32 s14, s12, 1
	s_addc_u32 s15, s13, 0
	s_and_b32 s1, s1, exec_lo
	s_cselect_b32 s9, s9, s15
	s_cselect_b32 s8, s8, s14
	;; [unrolled: 1-line block ×4, first 2 shown]
	v_cmp_ge_i64_e64 s1, s[8:9], s[10:11]
	s_and_b32 vcc_lo, exec_lo, s1
	s_cbranch_vccz .LBB181_13
.LBB181_14:
	s_lshl_b64 s[8:9], s[8:9], 3
	v_mov_b32_e32 v0, 0
	s_add_u32 s1, s2, s8
	s_addc_u32 s9, s3, s9
	s_sub_u32 s8, s1, s2
	s_subb_u32 s9, s9, s3
	s_mov_b32 s1, -1
	s_ashr_i64 s[8:9], s[8:9], 3
	s_mov_b32 vcc_lo, s0
	v_mov_b32_e32 v1, s8
	v_mov_b32_e32 v2, s9
	global_store_dwordx2 v0, v[1:2], s[4:5] offset:24
	s_cbranch_vccz .LBB181_16
; %bb.15:
	v_mov_b32_e32 v1, v0
	s_mov_b32 s1, 0
	global_store_dwordx2 v0, v[0:1], s[4:5] offset:32
.LBB181_16:
	s_andn2_b32 vcc_lo, exec_lo, s1
	s_mov_b64 s[8:9], 0
	s_cbranch_vccnz .LBB181_21
; %bb.17:
	s_mov_b64 s[10:11], s[6:7]
	.p2align	6
.LBB181_18:                             ; =>This Inner Loop Header: Depth=1
	s_sub_u32 s12, s10, s8
	s_subb_u32 s13, s11, s9
	s_lshr_b64 s[12:13], s[12:13], 1
	s_add_u32 s12, s12, s8
	s_addc_u32 s13, s13, s9
	s_lshl_b64 s[14:15], s[12:13], 3
	s_add_u32 s14, s2, s14
	s_addc_u32 s15, s3, s15
	s_load_dwordx2 s[14:15], s[14:15], 0x0
	s_waitcnt lgkmcnt(0)
	v_cmp_gt_u64_e64 s1, s[14:15], 4
	s_add_u32 s14, s12, 1
	s_addc_u32 s15, s13, 0
	s_and_b32 s1, s1, exec_lo
	s_cselect_b32 s9, s9, s15
	s_cselect_b32 s8, s8, s14
	;; [unrolled: 1-line block ×4, first 2 shown]
	v_cmp_lt_i64_e64 s1, s[8:9], s[10:11]
	s_and_b32 vcc_lo, exec_lo, s1
	s_cbranch_vccnz .LBB181_18
; %bb.19:
	s_lshl_b64 s[8:9], s[8:9], 3
	v_mov_b32_e32 v2, 0
	s_add_u32 s1, s2, s8
	s_addc_u32 s9, s3, s9
	s_sub_u32 s8, s1, s2
	s_subb_u32 s9, s9, s3
	s_mov_b64 s[10:11], s[6:7]
	s_ashr_i64 s[8:9], s[8:9], 3
	v_mov_b32_e32 v0, s8
	v_mov_b32_e32 v1, s9
	s_mov_b64 s[8:9], 0
	global_store_dwordx2 v2, v[0:1], s[4:5] offset:32
	.p2align	6
.LBB181_20:                             ; =>This Inner Loop Header: Depth=1
	s_sub_u32 s12, s10, s8
	s_subb_u32 s13, s11, s9
	s_lshr_b64 s[12:13], s[12:13], 1
	s_add_u32 s12, s12, s8
	s_addc_u32 s13, s13, s9
	s_lshl_b64 s[14:15], s[12:13], 3
	s_add_u32 s14, s2, s14
	s_addc_u32 s15, s3, s15
	s_load_dwordx2 s[14:15], s[14:15], 0x0
	s_waitcnt lgkmcnt(0)
	v_cmp_gt_u64_e64 s1, s[14:15], 5
	s_add_u32 s14, s12, 1
	s_addc_u32 s15, s13, 0
	s_and_b32 s1, s1, exec_lo
	s_cselect_b32 s9, s9, s15
	s_cselect_b32 s8, s8, s14
	;; [unrolled: 1-line block ×4, first 2 shown]
	v_cmp_ge_i64_e64 s1, s[8:9], s[10:11]
	s_and_b32 vcc_lo, exec_lo, s1
	s_cbranch_vccz .LBB181_20
.LBB181_21:
	s_lshl_b64 s[8:9], s[8:9], 3
	v_mov_b32_e32 v0, 0
	s_add_u32 s1, s2, s8
	s_addc_u32 s9, s3, s9
	s_sub_u32 s8, s1, s2
	s_subb_u32 s9, s9, s3
	s_mov_b32 s1, -1
	s_ashr_i64 s[8:9], s[8:9], 3
	s_mov_b32 vcc_lo, s0
	v_mov_b32_e32 v1, s8
	v_mov_b32_e32 v2, s9
	global_store_dwordx2 v0, v[1:2], s[4:5] offset:40
	s_cbranch_vccz .LBB181_23
; %bb.22:
	v_mov_b32_e32 v1, v0
	s_mov_b32 s1, 0
	global_store_dwordx2 v0, v[0:1], s[4:5] offset:48
.LBB181_23:
	s_andn2_b32 vcc_lo, exec_lo, s1
	s_mov_b64 s[8:9], 0
	s_cbranch_vccnz .LBB181_28
; %bb.24:
	s_mov_b64 s[10:11], s[6:7]
	.p2align	6
.LBB181_25:                             ; =>This Inner Loop Header: Depth=1
	s_sub_u32 s12, s10, s8
	s_subb_u32 s13, s11, s9
	s_lshr_b64 s[12:13], s[12:13], 1
	s_add_u32 s12, s12, s8
	s_addc_u32 s13, s13, s9
	s_lshl_b64 s[14:15], s[12:13], 3
	s_add_u32 s14, s2, s14
	s_addc_u32 s15, s3, s15
	s_load_dwordx2 s[14:15], s[14:15], 0x0
	s_waitcnt lgkmcnt(0)
	v_cmp_gt_u64_e64 s1, s[14:15], 6
	s_add_u32 s14, s12, 1
	s_addc_u32 s15, s13, 0
	s_and_b32 s1, s1, exec_lo
	s_cselect_b32 s9, s9, s15
	s_cselect_b32 s8, s8, s14
	;; [unrolled: 1-line block ×4, first 2 shown]
	v_cmp_lt_i64_e64 s1, s[8:9], s[10:11]
	s_and_b32 vcc_lo, exec_lo, s1
	s_cbranch_vccnz .LBB181_25
; %bb.26:
	s_lshl_b64 s[8:9], s[8:9], 3
	v_mov_b32_e32 v2, 0
	s_add_u32 s1, s2, s8
	s_addc_u32 s9, s3, s9
	s_sub_u32 s8, s1, s2
	s_subb_u32 s9, s9, s3
	s_mov_b64 s[10:11], s[6:7]
	s_ashr_i64 s[8:9], s[8:9], 3
	v_mov_b32_e32 v0, s8
	v_mov_b32_e32 v1, s9
	s_mov_b64 s[8:9], 0
	global_store_dwordx2 v2, v[0:1], s[4:5] offset:48
	.p2align	6
.LBB181_27:                             ; =>This Inner Loop Header: Depth=1
	s_sub_u32 s12, s10, s8
	s_subb_u32 s13, s11, s9
	s_lshr_b64 s[12:13], s[12:13], 1
	s_add_u32 s12, s12, s8
	s_addc_u32 s13, s13, s9
	s_lshl_b64 s[14:15], s[12:13], 3
	s_add_u32 s14, s2, s14
	s_addc_u32 s15, s3, s15
	s_load_dwordx2 s[14:15], s[14:15], 0x0
	s_waitcnt lgkmcnt(0)
	v_cmp_gt_u64_e64 s1, s[14:15], 7
	s_add_u32 s14, s12, 1
	s_addc_u32 s15, s13, 0
	s_and_b32 s1, s1, exec_lo
	s_cselect_b32 s9, s9, s15
	s_cselect_b32 s8, s8, s14
	;; [unrolled: 1-line block ×4, first 2 shown]
	v_cmp_ge_i64_e64 s1, s[8:9], s[10:11]
	s_and_b32 vcc_lo, exec_lo, s1
	s_cbranch_vccz .LBB181_27
.LBB181_28:
	s_lshl_b64 s[8:9], s[8:9], 3
	v_mov_b32_e32 v0, 0
	s_add_u32 s1, s2, s8
	s_addc_u32 s9, s3, s9
	s_sub_u32 s8, s1, s2
	s_subb_u32 s9, s9, s3
	s_mov_b32 s1, -1
	s_ashr_i64 s[8:9], s[8:9], 3
	s_mov_b32 vcc_lo, s0
	v_mov_b32_e32 v1, s8
	v_mov_b32_e32 v2, s9
	global_store_dwordx2 v0, v[1:2], s[4:5] offset:56
	s_cbranch_vccz .LBB181_30
; %bb.29:
	v_mov_b32_e32 v1, v0
	s_mov_b32 s1, 0
	global_store_dwordx2 v0, v[0:1], s[4:5] offset:64
.LBB181_30:
	s_andn2_b32 vcc_lo, exec_lo, s1
	s_mov_b64 s[0:1], 0
	s_cbranch_vccnz .LBB181_35
; %bb.31:
	s_mov_b64 s[8:9], s[6:7]
	.p2align	6
.LBB181_32:                             ; =>This Inner Loop Header: Depth=1
	s_sub_u32 s10, s8, s0
	s_subb_u32 s11, s9, s1
	s_lshr_b64 s[10:11], s[10:11], 1
	s_add_u32 s10, s10, s0
	s_addc_u32 s11, s11, s1
	s_lshl_b64 s[12:13], s[10:11], 3
	s_add_u32 s12, s2, s12
	s_addc_u32 s13, s3, s13
	s_load_dwordx2 s[12:13], s[12:13], 0x0
	s_waitcnt lgkmcnt(0)
	v_cmp_gt_u64_e64 s12, s[12:13], 8
	s_add_u32 s13, s10, 1
	s_addc_u32 s14, s11, 0
	s_and_b32 s12, s12, exec_lo
	s_cselect_b32 s1, s1, s14
	s_cselect_b32 s0, s0, s13
	;; [unrolled: 1-line block ×4, first 2 shown]
	v_cmp_lt_i64_e64 s10, s[0:1], s[8:9]
	s_and_b32 vcc_lo, exec_lo, s10
	s_cbranch_vccnz .LBB181_32
; %bb.33:
	s_lshl_b64 s[0:1], s[0:1], 3
	v_mov_b32_e32 v2, 0
	s_add_u32 s0, s2, s0
	s_addc_u32 s1, s3, s1
	s_sub_u32 s0, s0, s2
	s_subb_u32 s1, s1, s3
	s_ashr_i64 s[0:1], s[0:1], 3
	v_mov_b32_e32 v0, s0
	v_mov_b32_e32 v1, s1
	s_mov_b64 s[0:1], 0
	global_store_dwordx2 v2, v[0:1], s[4:5] offset:64
	.p2align	6
.LBB181_34:                             ; =>This Inner Loop Header: Depth=1
	s_sub_u32 s8, s6, s0
	s_subb_u32 s9, s7, s1
	s_lshr_b64 s[8:9], s[8:9], 1
	s_add_u32 s8, s8, s0
	s_addc_u32 s9, s9, s1
	s_lshl_b64 s[10:11], s[8:9], 3
	s_add_u32 s10, s2, s10
	s_addc_u32 s11, s3, s11
	s_load_dwordx2 s[10:11], s[10:11], 0x0
	s_waitcnt lgkmcnt(0)
	v_cmp_gt_u64_e64 s10, s[10:11], 9
	s_add_u32 s11, s8, 1
	s_addc_u32 s12, s9, 0
	s_and_b32 s10, s10, exec_lo
	s_cselect_b32 s1, s1, s12
	s_cselect_b32 s0, s0, s11
	;; [unrolled: 1-line block ×4, first 2 shown]
	v_cmp_ge_i64_e64 s8, s[0:1], s[6:7]
	s_and_b32 vcc_lo, exec_lo, s8
	s_cbranch_vccz .LBB181_34
.LBB181_35:
	s_lshl_b64 s[0:1], s[0:1], 3
	v_mov_b32_e32 v2, 0
	s_add_u32 s0, s2, s0
	s_addc_u32 s1, s3, s1
	s_sub_u32 s0, s0, s2
	s_subb_u32 s1, s1, s3
	s_ashr_i64 s[0:1], s[0:1], 3
	v_mov_b32_e32 v0, s0
	v_mov_b32_e32 v1, s1
	global_store_dwordx2 v2, v[0:1], s[4:5] offset:72
	s_endpgm
	.section	.rodata,"a",@progbits
	.p2align	6, 0x0
	.amdhsa_kernel _Z18upper_bound_kernelIyEvmPT_Pl
		.amdhsa_group_segment_fixed_size 0
		.amdhsa_private_segment_fixed_size 0
		.amdhsa_kernarg_size 24
		.amdhsa_user_sgpr_count 6
		.amdhsa_user_sgpr_private_segment_buffer 1
		.amdhsa_user_sgpr_dispatch_ptr 0
		.amdhsa_user_sgpr_queue_ptr 0
		.amdhsa_user_sgpr_kernarg_segment_ptr 1
		.amdhsa_user_sgpr_dispatch_id 0
		.amdhsa_user_sgpr_flat_scratch_init 0
		.amdhsa_user_sgpr_private_segment_size 0
		.amdhsa_wavefront_size32 1
		.amdhsa_uses_dynamic_stack 0
		.amdhsa_system_sgpr_private_segment_wavefront_offset 0
		.amdhsa_system_sgpr_workgroup_id_x 1
		.amdhsa_system_sgpr_workgroup_id_y 0
		.amdhsa_system_sgpr_workgroup_id_z 0
		.amdhsa_system_sgpr_workgroup_info 0
		.amdhsa_system_vgpr_workitem_id 0
		.amdhsa_next_free_vgpr 3
		.amdhsa_next_free_sgpr 17
		.amdhsa_reserve_vcc 1
		.amdhsa_reserve_flat_scratch 0
		.amdhsa_float_round_mode_32 0
		.amdhsa_float_round_mode_16_64 0
		.amdhsa_float_denorm_mode_32 3
		.amdhsa_float_denorm_mode_16_64 3
		.amdhsa_dx10_clamp 1
		.amdhsa_ieee_mode 1
		.amdhsa_fp16_overflow 0
		.amdhsa_workgroup_processor_mode 1
		.amdhsa_memory_ordered 1
		.amdhsa_forward_progress 1
		.amdhsa_shared_vgpr_count 0
		.amdhsa_exception_fp_ieee_invalid_op 0
		.amdhsa_exception_fp_denorm_src 0
		.amdhsa_exception_fp_ieee_div_zero 0
		.amdhsa_exception_fp_ieee_overflow 0
		.amdhsa_exception_fp_ieee_underflow 0
		.amdhsa_exception_fp_ieee_inexact 0
		.amdhsa_exception_int_div_zero 0
	.end_amdhsa_kernel
	.section	.text._Z18upper_bound_kernelIyEvmPT_Pl,"axG",@progbits,_Z18upper_bound_kernelIyEvmPT_Pl,comdat
.Lfunc_end181:
	.size	_Z18upper_bound_kernelIyEvmPT_Pl, .Lfunc_end181-_Z18upper_bound_kernelIyEvmPT_Pl
                                        ; -- End function
	.set _Z18upper_bound_kernelIyEvmPT_Pl.num_vgpr, 3
	.set _Z18upper_bound_kernelIyEvmPT_Pl.num_agpr, 0
	.set _Z18upper_bound_kernelIyEvmPT_Pl.numbered_sgpr, 17
	.set _Z18upper_bound_kernelIyEvmPT_Pl.num_named_barrier, 0
	.set _Z18upper_bound_kernelIyEvmPT_Pl.private_seg_size, 0
	.set _Z18upper_bound_kernelIyEvmPT_Pl.uses_vcc, 1
	.set _Z18upper_bound_kernelIyEvmPT_Pl.uses_flat_scratch, 0
	.set _Z18upper_bound_kernelIyEvmPT_Pl.has_dyn_sized_stack, 0
	.set _Z18upper_bound_kernelIyEvmPT_Pl.has_recursion, 0
	.set _Z18upper_bound_kernelIyEvmPT_Pl.has_indirect_call, 0
	.section	.AMDGPU.csdata,"",@progbits
; Kernel info:
; codeLenInByte = 2000
; TotalNumSgprs: 19
; NumVgprs: 3
; ScratchSize: 0
; MemoryBound: 0
; FloatMode: 240
; IeeeMode: 1
; LDSByteSize: 0 bytes/workgroup (compile time only)
; SGPRBlocks: 0
; VGPRBlocks: 0
; NumSGPRsForWavesPerEU: 19
; NumVGPRsForWavesPerEU: 3
; Occupancy: 16
; WaveLimiterHint : 0
; COMPUTE_PGM_RSRC2:SCRATCH_EN: 0
; COMPUTE_PGM_RSRC2:USER_SGPR: 6
; COMPUTE_PGM_RSRC2:TRAP_HANDLER: 0
; COMPUTE_PGM_RSRC2:TGID_X_EN: 1
; COMPUTE_PGM_RSRC2:TGID_Y_EN: 0
; COMPUTE_PGM_RSRC2:TGID_Z_EN: 0
; COMPUTE_PGM_RSRC2:TIDIG_COMP_CNT: 0
	.section	.text._ZN7rocprim17ROCPRIM_400000_NS6detail17trampoline_kernelINS0_14default_configENS1_27upper_bound_config_selectorIylEEZNS1_14transform_implILb0ES3_S5_N6thrust23THRUST_200600_302600_NS6detail15normal_iteratorINS8_7pointerIyNS8_11hip_rocprim5par_tENS8_11use_defaultESE_EEEENSA_INSB_IlSD_SE_SE_EEEEZNS1_13binary_searchIS3_S5_PySG_SI_NS1_21upper_bound_search_opENS9_16wrapped_functionINS8_6system6detail7generic6detail18binary_search_lessEbEEEE10hipError_tPvRmT1_T2_T3_mmT4_T5_P12ihipStream_tbEUlRKyE_EEST_SX_SY_mSZ_S12_bEUlT_E_NS1_11comp_targetILNS1_3genE0ELNS1_11target_archE4294967295ELNS1_3gpuE0ELNS1_3repE0EEENS1_30default_config_static_selectorELNS0_4arch9wavefront6targetE0EEEvSW_,"axG",@progbits,_ZN7rocprim17ROCPRIM_400000_NS6detail17trampoline_kernelINS0_14default_configENS1_27upper_bound_config_selectorIylEEZNS1_14transform_implILb0ES3_S5_N6thrust23THRUST_200600_302600_NS6detail15normal_iteratorINS8_7pointerIyNS8_11hip_rocprim5par_tENS8_11use_defaultESE_EEEENSA_INSB_IlSD_SE_SE_EEEEZNS1_13binary_searchIS3_S5_PySG_SI_NS1_21upper_bound_search_opENS9_16wrapped_functionINS8_6system6detail7generic6detail18binary_search_lessEbEEEE10hipError_tPvRmT1_T2_T3_mmT4_T5_P12ihipStream_tbEUlRKyE_EEST_SX_SY_mSZ_S12_bEUlT_E_NS1_11comp_targetILNS1_3genE0ELNS1_11target_archE4294967295ELNS1_3gpuE0ELNS1_3repE0EEENS1_30default_config_static_selectorELNS0_4arch9wavefront6targetE0EEEvSW_,comdat
	.protected	_ZN7rocprim17ROCPRIM_400000_NS6detail17trampoline_kernelINS0_14default_configENS1_27upper_bound_config_selectorIylEEZNS1_14transform_implILb0ES3_S5_N6thrust23THRUST_200600_302600_NS6detail15normal_iteratorINS8_7pointerIyNS8_11hip_rocprim5par_tENS8_11use_defaultESE_EEEENSA_INSB_IlSD_SE_SE_EEEEZNS1_13binary_searchIS3_S5_PySG_SI_NS1_21upper_bound_search_opENS9_16wrapped_functionINS8_6system6detail7generic6detail18binary_search_lessEbEEEE10hipError_tPvRmT1_T2_T3_mmT4_T5_P12ihipStream_tbEUlRKyE_EEST_SX_SY_mSZ_S12_bEUlT_E_NS1_11comp_targetILNS1_3genE0ELNS1_11target_archE4294967295ELNS1_3gpuE0ELNS1_3repE0EEENS1_30default_config_static_selectorELNS0_4arch9wavefront6targetE0EEEvSW_ ; -- Begin function _ZN7rocprim17ROCPRIM_400000_NS6detail17trampoline_kernelINS0_14default_configENS1_27upper_bound_config_selectorIylEEZNS1_14transform_implILb0ES3_S5_N6thrust23THRUST_200600_302600_NS6detail15normal_iteratorINS8_7pointerIyNS8_11hip_rocprim5par_tENS8_11use_defaultESE_EEEENSA_INSB_IlSD_SE_SE_EEEEZNS1_13binary_searchIS3_S5_PySG_SI_NS1_21upper_bound_search_opENS9_16wrapped_functionINS8_6system6detail7generic6detail18binary_search_lessEbEEEE10hipError_tPvRmT1_T2_T3_mmT4_T5_P12ihipStream_tbEUlRKyE_EEST_SX_SY_mSZ_S12_bEUlT_E_NS1_11comp_targetILNS1_3genE0ELNS1_11target_archE4294967295ELNS1_3gpuE0ELNS1_3repE0EEENS1_30default_config_static_selectorELNS0_4arch9wavefront6targetE0EEEvSW_
	.globl	_ZN7rocprim17ROCPRIM_400000_NS6detail17trampoline_kernelINS0_14default_configENS1_27upper_bound_config_selectorIylEEZNS1_14transform_implILb0ES3_S5_N6thrust23THRUST_200600_302600_NS6detail15normal_iteratorINS8_7pointerIyNS8_11hip_rocprim5par_tENS8_11use_defaultESE_EEEENSA_INSB_IlSD_SE_SE_EEEEZNS1_13binary_searchIS3_S5_PySG_SI_NS1_21upper_bound_search_opENS9_16wrapped_functionINS8_6system6detail7generic6detail18binary_search_lessEbEEEE10hipError_tPvRmT1_T2_T3_mmT4_T5_P12ihipStream_tbEUlRKyE_EEST_SX_SY_mSZ_S12_bEUlT_E_NS1_11comp_targetILNS1_3genE0ELNS1_11target_archE4294967295ELNS1_3gpuE0ELNS1_3repE0EEENS1_30default_config_static_selectorELNS0_4arch9wavefront6targetE0EEEvSW_
	.p2align	8
	.type	_ZN7rocprim17ROCPRIM_400000_NS6detail17trampoline_kernelINS0_14default_configENS1_27upper_bound_config_selectorIylEEZNS1_14transform_implILb0ES3_S5_N6thrust23THRUST_200600_302600_NS6detail15normal_iteratorINS8_7pointerIyNS8_11hip_rocprim5par_tENS8_11use_defaultESE_EEEENSA_INSB_IlSD_SE_SE_EEEEZNS1_13binary_searchIS3_S5_PySG_SI_NS1_21upper_bound_search_opENS9_16wrapped_functionINS8_6system6detail7generic6detail18binary_search_lessEbEEEE10hipError_tPvRmT1_T2_T3_mmT4_T5_P12ihipStream_tbEUlRKyE_EEST_SX_SY_mSZ_S12_bEUlT_E_NS1_11comp_targetILNS1_3genE0ELNS1_11target_archE4294967295ELNS1_3gpuE0ELNS1_3repE0EEENS1_30default_config_static_selectorELNS0_4arch9wavefront6targetE0EEEvSW_,@function
_ZN7rocprim17ROCPRIM_400000_NS6detail17trampoline_kernelINS0_14default_configENS1_27upper_bound_config_selectorIylEEZNS1_14transform_implILb0ES3_S5_N6thrust23THRUST_200600_302600_NS6detail15normal_iteratorINS8_7pointerIyNS8_11hip_rocprim5par_tENS8_11use_defaultESE_EEEENSA_INSB_IlSD_SE_SE_EEEEZNS1_13binary_searchIS3_S5_PySG_SI_NS1_21upper_bound_search_opENS9_16wrapped_functionINS8_6system6detail7generic6detail18binary_search_lessEbEEEE10hipError_tPvRmT1_T2_T3_mmT4_T5_P12ihipStream_tbEUlRKyE_EEST_SX_SY_mSZ_S12_bEUlT_E_NS1_11comp_targetILNS1_3genE0ELNS1_11target_archE4294967295ELNS1_3gpuE0ELNS1_3repE0EEENS1_30default_config_static_selectorELNS0_4arch9wavefront6targetE0EEEvSW_: ; @_ZN7rocprim17ROCPRIM_400000_NS6detail17trampoline_kernelINS0_14default_configENS1_27upper_bound_config_selectorIylEEZNS1_14transform_implILb0ES3_S5_N6thrust23THRUST_200600_302600_NS6detail15normal_iteratorINS8_7pointerIyNS8_11hip_rocprim5par_tENS8_11use_defaultESE_EEEENSA_INSB_IlSD_SE_SE_EEEEZNS1_13binary_searchIS3_S5_PySG_SI_NS1_21upper_bound_search_opENS9_16wrapped_functionINS8_6system6detail7generic6detail18binary_search_lessEbEEEE10hipError_tPvRmT1_T2_T3_mmT4_T5_P12ihipStream_tbEUlRKyE_EEST_SX_SY_mSZ_S12_bEUlT_E_NS1_11comp_targetILNS1_3genE0ELNS1_11target_archE4294967295ELNS1_3gpuE0ELNS1_3repE0EEENS1_30default_config_static_selectorELNS0_4arch9wavefront6targetE0EEEvSW_
; %bb.0:
	.section	.rodata,"a",@progbits
	.p2align	6, 0x0
	.amdhsa_kernel _ZN7rocprim17ROCPRIM_400000_NS6detail17trampoline_kernelINS0_14default_configENS1_27upper_bound_config_selectorIylEEZNS1_14transform_implILb0ES3_S5_N6thrust23THRUST_200600_302600_NS6detail15normal_iteratorINS8_7pointerIyNS8_11hip_rocprim5par_tENS8_11use_defaultESE_EEEENSA_INSB_IlSD_SE_SE_EEEEZNS1_13binary_searchIS3_S5_PySG_SI_NS1_21upper_bound_search_opENS9_16wrapped_functionINS8_6system6detail7generic6detail18binary_search_lessEbEEEE10hipError_tPvRmT1_T2_T3_mmT4_T5_P12ihipStream_tbEUlRKyE_EEST_SX_SY_mSZ_S12_bEUlT_E_NS1_11comp_targetILNS1_3genE0ELNS1_11target_archE4294967295ELNS1_3gpuE0ELNS1_3repE0EEENS1_30default_config_static_selectorELNS0_4arch9wavefront6targetE0EEEvSW_
		.amdhsa_group_segment_fixed_size 0
		.amdhsa_private_segment_fixed_size 0
		.amdhsa_kernarg_size 56
		.amdhsa_user_sgpr_count 6
		.amdhsa_user_sgpr_private_segment_buffer 1
		.amdhsa_user_sgpr_dispatch_ptr 0
		.amdhsa_user_sgpr_queue_ptr 0
		.amdhsa_user_sgpr_kernarg_segment_ptr 1
		.amdhsa_user_sgpr_dispatch_id 0
		.amdhsa_user_sgpr_flat_scratch_init 0
		.amdhsa_user_sgpr_private_segment_size 0
		.amdhsa_wavefront_size32 1
		.amdhsa_uses_dynamic_stack 0
		.amdhsa_system_sgpr_private_segment_wavefront_offset 0
		.amdhsa_system_sgpr_workgroup_id_x 1
		.amdhsa_system_sgpr_workgroup_id_y 0
		.amdhsa_system_sgpr_workgroup_id_z 0
		.amdhsa_system_sgpr_workgroup_info 0
		.amdhsa_system_vgpr_workitem_id 0
		.amdhsa_next_free_vgpr 1
		.amdhsa_next_free_sgpr 1
		.amdhsa_reserve_vcc 0
		.amdhsa_reserve_flat_scratch 0
		.amdhsa_float_round_mode_32 0
		.amdhsa_float_round_mode_16_64 0
		.amdhsa_float_denorm_mode_32 3
		.amdhsa_float_denorm_mode_16_64 3
		.amdhsa_dx10_clamp 1
		.amdhsa_ieee_mode 1
		.amdhsa_fp16_overflow 0
		.amdhsa_workgroup_processor_mode 1
		.amdhsa_memory_ordered 1
		.amdhsa_forward_progress 1
		.amdhsa_shared_vgpr_count 0
		.amdhsa_exception_fp_ieee_invalid_op 0
		.amdhsa_exception_fp_denorm_src 0
		.amdhsa_exception_fp_ieee_div_zero 0
		.amdhsa_exception_fp_ieee_overflow 0
		.amdhsa_exception_fp_ieee_underflow 0
		.amdhsa_exception_fp_ieee_inexact 0
		.amdhsa_exception_int_div_zero 0
	.end_amdhsa_kernel
	.section	.text._ZN7rocprim17ROCPRIM_400000_NS6detail17trampoline_kernelINS0_14default_configENS1_27upper_bound_config_selectorIylEEZNS1_14transform_implILb0ES3_S5_N6thrust23THRUST_200600_302600_NS6detail15normal_iteratorINS8_7pointerIyNS8_11hip_rocprim5par_tENS8_11use_defaultESE_EEEENSA_INSB_IlSD_SE_SE_EEEEZNS1_13binary_searchIS3_S5_PySG_SI_NS1_21upper_bound_search_opENS9_16wrapped_functionINS8_6system6detail7generic6detail18binary_search_lessEbEEEE10hipError_tPvRmT1_T2_T3_mmT4_T5_P12ihipStream_tbEUlRKyE_EEST_SX_SY_mSZ_S12_bEUlT_E_NS1_11comp_targetILNS1_3genE0ELNS1_11target_archE4294967295ELNS1_3gpuE0ELNS1_3repE0EEENS1_30default_config_static_selectorELNS0_4arch9wavefront6targetE0EEEvSW_,"axG",@progbits,_ZN7rocprim17ROCPRIM_400000_NS6detail17trampoline_kernelINS0_14default_configENS1_27upper_bound_config_selectorIylEEZNS1_14transform_implILb0ES3_S5_N6thrust23THRUST_200600_302600_NS6detail15normal_iteratorINS8_7pointerIyNS8_11hip_rocprim5par_tENS8_11use_defaultESE_EEEENSA_INSB_IlSD_SE_SE_EEEEZNS1_13binary_searchIS3_S5_PySG_SI_NS1_21upper_bound_search_opENS9_16wrapped_functionINS8_6system6detail7generic6detail18binary_search_lessEbEEEE10hipError_tPvRmT1_T2_T3_mmT4_T5_P12ihipStream_tbEUlRKyE_EEST_SX_SY_mSZ_S12_bEUlT_E_NS1_11comp_targetILNS1_3genE0ELNS1_11target_archE4294967295ELNS1_3gpuE0ELNS1_3repE0EEENS1_30default_config_static_selectorELNS0_4arch9wavefront6targetE0EEEvSW_,comdat
.Lfunc_end182:
	.size	_ZN7rocprim17ROCPRIM_400000_NS6detail17trampoline_kernelINS0_14default_configENS1_27upper_bound_config_selectorIylEEZNS1_14transform_implILb0ES3_S5_N6thrust23THRUST_200600_302600_NS6detail15normal_iteratorINS8_7pointerIyNS8_11hip_rocprim5par_tENS8_11use_defaultESE_EEEENSA_INSB_IlSD_SE_SE_EEEEZNS1_13binary_searchIS3_S5_PySG_SI_NS1_21upper_bound_search_opENS9_16wrapped_functionINS8_6system6detail7generic6detail18binary_search_lessEbEEEE10hipError_tPvRmT1_T2_T3_mmT4_T5_P12ihipStream_tbEUlRKyE_EEST_SX_SY_mSZ_S12_bEUlT_E_NS1_11comp_targetILNS1_3genE0ELNS1_11target_archE4294967295ELNS1_3gpuE0ELNS1_3repE0EEENS1_30default_config_static_selectorELNS0_4arch9wavefront6targetE0EEEvSW_, .Lfunc_end182-_ZN7rocprim17ROCPRIM_400000_NS6detail17trampoline_kernelINS0_14default_configENS1_27upper_bound_config_selectorIylEEZNS1_14transform_implILb0ES3_S5_N6thrust23THRUST_200600_302600_NS6detail15normal_iteratorINS8_7pointerIyNS8_11hip_rocprim5par_tENS8_11use_defaultESE_EEEENSA_INSB_IlSD_SE_SE_EEEEZNS1_13binary_searchIS3_S5_PySG_SI_NS1_21upper_bound_search_opENS9_16wrapped_functionINS8_6system6detail7generic6detail18binary_search_lessEbEEEE10hipError_tPvRmT1_T2_T3_mmT4_T5_P12ihipStream_tbEUlRKyE_EEST_SX_SY_mSZ_S12_bEUlT_E_NS1_11comp_targetILNS1_3genE0ELNS1_11target_archE4294967295ELNS1_3gpuE0ELNS1_3repE0EEENS1_30default_config_static_selectorELNS0_4arch9wavefront6targetE0EEEvSW_
                                        ; -- End function
	.set _ZN7rocprim17ROCPRIM_400000_NS6detail17trampoline_kernelINS0_14default_configENS1_27upper_bound_config_selectorIylEEZNS1_14transform_implILb0ES3_S5_N6thrust23THRUST_200600_302600_NS6detail15normal_iteratorINS8_7pointerIyNS8_11hip_rocprim5par_tENS8_11use_defaultESE_EEEENSA_INSB_IlSD_SE_SE_EEEEZNS1_13binary_searchIS3_S5_PySG_SI_NS1_21upper_bound_search_opENS9_16wrapped_functionINS8_6system6detail7generic6detail18binary_search_lessEbEEEE10hipError_tPvRmT1_T2_T3_mmT4_T5_P12ihipStream_tbEUlRKyE_EEST_SX_SY_mSZ_S12_bEUlT_E_NS1_11comp_targetILNS1_3genE0ELNS1_11target_archE4294967295ELNS1_3gpuE0ELNS1_3repE0EEENS1_30default_config_static_selectorELNS0_4arch9wavefront6targetE0EEEvSW_.num_vgpr, 0
	.set _ZN7rocprim17ROCPRIM_400000_NS6detail17trampoline_kernelINS0_14default_configENS1_27upper_bound_config_selectorIylEEZNS1_14transform_implILb0ES3_S5_N6thrust23THRUST_200600_302600_NS6detail15normal_iteratorINS8_7pointerIyNS8_11hip_rocprim5par_tENS8_11use_defaultESE_EEEENSA_INSB_IlSD_SE_SE_EEEEZNS1_13binary_searchIS3_S5_PySG_SI_NS1_21upper_bound_search_opENS9_16wrapped_functionINS8_6system6detail7generic6detail18binary_search_lessEbEEEE10hipError_tPvRmT1_T2_T3_mmT4_T5_P12ihipStream_tbEUlRKyE_EEST_SX_SY_mSZ_S12_bEUlT_E_NS1_11comp_targetILNS1_3genE0ELNS1_11target_archE4294967295ELNS1_3gpuE0ELNS1_3repE0EEENS1_30default_config_static_selectorELNS0_4arch9wavefront6targetE0EEEvSW_.num_agpr, 0
	.set _ZN7rocprim17ROCPRIM_400000_NS6detail17trampoline_kernelINS0_14default_configENS1_27upper_bound_config_selectorIylEEZNS1_14transform_implILb0ES3_S5_N6thrust23THRUST_200600_302600_NS6detail15normal_iteratorINS8_7pointerIyNS8_11hip_rocprim5par_tENS8_11use_defaultESE_EEEENSA_INSB_IlSD_SE_SE_EEEEZNS1_13binary_searchIS3_S5_PySG_SI_NS1_21upper_bound_search_opENS9_16wrapped_functionINS8_6system6detail7generic6detail18binary_search_lessEbEEEE10hipError_tPvRmT1_T2_T3_mmT4_T5_P12ihipStream_tbEUlRKyE_EEST_SX_SY_mSZ_S12_bEUlT_E_NS1_11comp_targetILNS1_3genE0ELNS1_11target_archE4294967295ELNS1_3gpuE0ELNS1_3repE0EEENS1_30default_config_static_selectorELNS0_4arch9wavefront6targetE0EEEvSW_.numbered_sgpr, 0
	.set _ZN7rocprim17ROCPRIM_400000_NS6detail17trampoline_kernelINS0_14default_configENS1_27upper_bound_config_selectorIylEEZNS1_14transform_implILb0ES3_S5_N6thrust23THRUST_200600_302600_NS6detail15normal_iteratorINS8_7pointerIyNS8_11hip_rocprim5par_tENS8_11use_defaultESE_EEEENSA_INSB_IlSD_SE_SE_EEEEZNS1_13binary_searchIS3_S5_PySG_SI_NS1_21upper_bound_search_opENS9_16wrapped_functionINS8_6system6detail7generic6detail18binary_search_lessEbEEEE10hipError_tPvRmT1_T2_T3_mmT4_T5_P12ihipStream_tbEUlRKyE_EEST_SX_SY_mSZ_S12_bEUlT_E_NS1_11comp_targetILNS1_3genE0ELNS1_11target_archE4294967295ELNS1_3gpuE0ELNS1_3repE0EEENS1_30default_config_static_selectorELNS0_4arch9wavefront6targetE0EEEvSW_.num_named_barrier, 0
	.set _ZN7rocprim17ROCPRIM_400000_NS6detail17trampoline_kernelINS0_14default_configENS1_27upper_bound_config_selectorIylEEZNS1_14transform_implILb0ES3_S5_N6thrust23THRUST_200600_302600_NS6detail15normal_iteratorINS8_7pointerIyNS8_11hip_rocprim5par_tENS8_11use_defaultESE_EEEENSA_INSB_IlSD_SE_SE_EEEEZNS1_13binary_searchIS3_S5_PySG_SI_NS1_21upper_bound_search_opENS9_16wrapped_functionINS8_6system6detail7generic6detail18binary_search_lessEbEEEE10hipError_tPvRmT1_T2_T3_mmT4_T5_P12ihipStream_tbEUlRKyE_EEST_SX_SY_mSZ_S12_bEUlT_E_NS1_11comp_targetILNS1_3genE0ELNS1_11target_archE4294967295ELNS1_3gpuE0ELNS1_3repE0EEENS1_30default_config_static_selectorELNS0_4arch9wavefront6targetE0EEEvSW_.private_seg_size, 0
	.set _ZN7rocprim17ROCPRIM_400000_NS6detail17trampoline_kernelINS0_14default_configENS1_27upper_bound_config_selectorIylEEZNS1_14transform_implILb0ES3_S5_N6thrust23THRUST_200600_302600_NS6detail15normal_iteratorINS8_7pointerIyNS8_11hip_rocprim5par_tENS8_11use_defaultESE_EEEENSA_INSB_IlSD_SE_SE_EEEEZNS1_13binary_searchIS3_S5_PySG_SI_NS1_21upper_bound_search_opENS9_16wrapped_functionINS8_6system6detail7generic6detail18binary_search_lessEbEEEE10hipError_tPvRmT1_T2_T3_mmT4_T5_P12ihipStream_tbEUlRKyE_EEST_SX_SY_mSZ_S12_bEUlT_E_NS1_11comp_targetILNS1_3genE0ELNS1_11target_archE4294967295ELNS1_3gpuE0ELNS1_3repE0EEENS1_30default_config_static_selectorELNS0_4arch9wavefront6targetE0EEEvSW_.uses_vcc, 0
	.set _ZN7rocprim17ROCPRIM_400000_NS6detail17trampoline_kernelINS0_14default_configENS1_27upper_bound_config_selectorIylEEZNS1_14transform_implILb0ES3_S5_N6thrust23THRUST_200600_302600_NS6detail15normal_iteratorINS8_7pointerIyNS8_11hip_rocprim5par_tENS8_11use_defaultESE_EEEENSA_INSB_IlSD_SE_SE_EEEEZNS1_13binary_searchIS3_S5_PySG_SI_NS1_21upper_bound_search_opENS9_16wrapped_functionINS8_6system6detail7generic6detail18binary_search_lessEbEEEE10hipError_tPvRmT1_T2_T3_mmT4_T5_P12ihipStream_tbEUlRKyE_EEST_SX_SY_mSZ_S12_bEUlT_E_NS1_11comp_targetILNS1_3genE0ELNS1_11target_archE4294967295ELNS1_3gpuE0ELNS1_3repE0EEENS1_30default_config_static_selectorELNS0_4arch9wavefront6targetE0EEEvSW_.uses_flat_scratch, 0
	.set _ZN7rocprim17ROCPRIM_400000_NS6detail17trampoline_kernelINS0_14default_configENS1_27upper_bound_config_selectorIylEEZNS1_14transform_implILb0ES3_S5_N6thrust23THRUST_200600_302600_NS6detail15normal_iteratorINS8_7pointerIyNS8_11hip_rocprim5par_tENS8_11use_defaultESE_EEEENSA_INSB_IlSD_SE_SE_EEEEZNS1_13binary_searchIS3_S5_PySG_SI_NS1_21upper_bound_search_opENS9_16wrapped_functionINS8_6system6detail7generic6detail18binary_search_lessEbEEEE10hipError_tPvRmT1_T2_T3_mmT4_T5_P12ihipStream_tbEUlRKyE_EEST_SX_SY_mSZ_S12_bEUlT_E_NS1_11comp_targetILNS1_3genE0ELNS1_11target_archE4294967295ELNS1_3gpuE0ELNS1_3repE0EEENS1_30default_config_static_selectorELNS0_4arch9wavefront6targetE0EEEvSW_.has_dyn_sized_stack, 0
	.set _ZN7rocprim17ROCPRIM_400000_NS6detail17trampoline_kernelINS0_14default_configENS1_27upper_bound_config_selectorIylEEZNS1_14transform_implILb0ES3_S5_N6thrust23THRUST_200600_302600_NS6detail15normal_iteratorINS8_7pointerIyNS8_11hip_rocprim5par_tENS8_11use_defaultESE_EEEENSA_INSB_IlSD_SE_SE_EEEEZNS1_13binary_searchIS3_S5_PySG_SI_NS1_21upper_bound_search_opENS9_16wrapped_functionINS8_6system6detail7generic6detail18binary_search_lessEbEEEE10hipError_tPvRmT1_T2_T3_mmT4_T5_P12ihipStream_tbEUlRKyE_EEST_SX_SY_mSZ_S12_bEUlT_E_NS1_11comp_targetILNS1_3genE0ELNS1_11target_archE4294967295ELNS1_3gpuE0ELNS1_3repE0EEENS1_30default_config_static_selectorELNS0_4arch9wavefront6targetE0EEEvSW_.has_recursion, 0
	.set _ZN7rocprim17ROCPRIM_400000_NS6detail17trampoline_kernelINS0_14default_configENS1_27upper_bound_config_selectorIylEEZNS1_14transform_implILb0ES3_S5_N6thrust23THRUST_200600_302600_NS6detail15normal_iteratorINS8_7pointerIyNS8_11hip_rocprim5par_tENS8_11use_defaultESE_EEEENSA_INSB_IlSD_SE_SE_EEEEZNS1_13binary_searchIS3_S5_PySG_SI_NS1_21upper_bound_search_opENS9_16wrapped_functionINS8_6system6detail7generic6detail18binary_search_lessEbEEEE10hipError_tPvRmT1_T2_T3_mmT4_T5_P12ihipStream_tbEUlRKyE_EEST_SX_SY_mSZ_S12_bEUlT_E_NS1_11comp_targetILNS1_3genE0ELNS1_11target_archE4294967295ELNS1_3gpuE0ELNS1_3repE0EEENS1_30default_config_static_selectorELNS0_4arch9wavefront6targetE0EEEvSW_.has_indirect_call, 0
	.section	.AMDGPU.csdata,"",@progbits
; Kernel info:
; codeLenInByte = 0
; TotalNumSgprs: 0
; NumVgprs: 0
; ScratchSize: 0
; MemoryBound: 0
; FloatMode: 240
; IeeeMode: 1
; LDSByteSize: 0 bytes/workgroup (compile time only)
; SGPRBlocks: 0
; VGPRBlocks: 0
; NumSGPRsForWavesPerEU: 1
; NumVGPRsForWavesPerEU: 1
; Occupancy: 16
; WaveLimiterHint : 0
; COMPUTE_PGM_RSRC2:SCRATCH_EN: 0
; COMPUTE_PGM_RSRC2:USER_SGPR: 6
; COMPUTE_PGM_RSRC2:TRAP_HANDLER: 0
; COMPUTE_PGM_RSRC2:TGID_X_EN: 1
; COMPUTE_PGM_RSRC2:TGID_Y_EN: 0
; COMPUTE_PGM_RSRC2:TGID_Z_EN: 0
; COMPUTE_PGM_RSRC2:TIDIG_COMP_CNT: 0
	.section	.text._ZN7rocprim17ROCPRIM_400000_NS6detail17trampoline_kernelINS0_14default_configENS1_27upper_bound_config_selectorIylEEZNS1_14transform_implILb0ES3_S5_N6thrust23THRUST_200600_302600_NS6detail15normal_iteratorINS8_7pointerIyNS8_11hip_rocprim5par_tENS8_11use_defaultESE_EEEENSA_INSB_IlSD_SE_SE_EEEEZNS1_13binary_searchIS3_S5_PySG_SI_NS1_21upper_bound_search_opENS9_16wrapped_functionINS8_6system6detail7generic6detail18binary_search_lessEbEEEE10hipError_tPvRmT1_T2_T3_mmT4_T5_P12ihipStream_tbEUlRKyE_EEST_SX_SY_mSZ_S12_bEUlT_E_NS1_11comp_targetILNS1_3genE5ELNS1_11target_archE942ELNS1_3gpuE9ELNS1_3repE0EEENS1_30default_config_static_selectorELNS0_4arch9wavefront6targetE0EEEvSW_,"axG",@progbits,_ZN7rocprim17ROCPRIM_400000_NS6detail17trampoline_kernelINS0_14default_configENS1_27upper_bound_config_selectorIylEEZNS1_14transform_implILb0ES3_S5_N6thrust23THRUST_200600_302600_NS6detail15normal_iteratorINS8_7pointerIyNS8_11hip_rocprim5par_tENS8_11use_defaultESE_EEEENSA_INSB_IlSD_SE_SE_EEEEZNS1_13binary_searchIS3_S5_PySG_SI_NS1_21upper_bound_search_opENS9_16wrapped_functionINS8_6system6detail7generic6detail18binary_search_lessEbEEEE10hipError_tPvRmT1_T2_T3_mmT4_T5_P12ihipStream_tbEUlRKyE_EEST_SX_SY_mSZ_S12_bEUlT_E_NS1_11comp_targetILNS1_3genE5ELNS1_11target_archE942ELNS1_3gpuE9ELNS1_3repE0EEENS1_30default_config_static_selectorELNS0_4arch9wavefront6targetE0EEEvSW_,comdat
	.protected	_ZN7rocprim17ROCPRIM_400000_NS6detail17trampoline_kernelINS0_14default_configENS1_27upper_bound_config_selectorIylEEZNS1_14transform_implILb0ES3_S5_N6thrust23THRUST_200600_302600_NS6detail15normal_iteratorINS8_7pointerIyNS8_11hip_rocprim5par_tENS8_11use_defaultESE_EEEENSA_INSB_IlSD_SE_SE_EEEEZNS1_13binary_searchIS3_S5_PySG_SI_NS1_21upper_bound_search_opENS9_16wrapped_functionINS8_6system6detail7generic6detail18binary_search_lessEbEEEE10hipError_tPvRmT1_T2_T3_mmT4_T5_P12ihipStream_tbEUlRKyE_EEST_SX_SY_mSZ_S12_bEUlT_E_NS1_11comp_targetILNS1_3genE5ELNS1_11target_archE942ELNS1_3gpuE9ELNS1_3repE0EEENS1_30default_config_static_selectorELNS0_4arch9wavefront6targetE0EEEvSW_ ; -- Begin function _ZN7rocprim17ROCPRIM_400000_NS6detail17trampoline_kernelINS0_14default_configENS1_27upper_bound_config_selectorIylEEZNS1_14transform_implILb0ES3_S5_N6thrust23THRUST_200600_302600_NS6detail15normal_iteratorINS8_7pointerIyNS8_11hip_rocprim5par_tENS8_11use_defaultESE_EEEENSA_INSB_IlSD_SE_SE_EEEEZNS1_13binary_searchIS3_S5_PySG_SI_NS1_21upper_bound_search_opENS9_16wrapped_functionINS8_6system6detail7generic6detail18binary_search_lessEbEEEE10hipError_tPvRmT1_T2_T3_mmT4_T5_P12ihipStream_tbEUlRKyE_EEST_SX_SY_mSZ_S12_bEUlT_E_NS1_11comp_targetILNS1_3genE5ELNS1_11target_archE942ELNS1_3gpuE9ELNS1_3repE0EEENS1_30default_config_static_selectorELNS0_4arch9wavefront6targetE0EEEvSW_
	.globl	_ZN7rocprim17ROCPRIM_400000_NS6detail17trampoline_kernelINS0_14default_configENS1_27upper_bound_config_selectorIylEEZNS1_14transform_implILb0ES3_S5_N6thrust23THRUST_200600_302600_NS6detail15normal_iteratorINS8_7pointerIyNS8_11hip_rocprim5par_tENS8_11use_defaultESE_EEEENSA_INSB_IlSD_SE_SE_EEEEZNS1_13binary_searchIS3_S5_PySG_SI_NS1_21upper_bound_search_opENS9_16wrapped_functionINS8_6system6detail7generic6detail18binary_search_lessEbEEEE10hipError_tPvRmT1_T2_T3_mmT4_T5_P12ihipStream_tbEUlRKyE_EEST_SX_SY_mSZ_S12_bEUlT_E_NS1_11comp_targetILNS1_3genE5ELNS1_11target_archE942ELNS1_3gpuE9ELNS1_3repE0EEENS1_30default_config_static_selectorELNS0_4arch9wavefront6targetE0EEEvSW_
	.p2align	8
	.type	_ZN7rocprim17ROCPRIM_400000_NS6detail17trampoline_kernelINS0_14default_configENS1_27upper_bound_config_selectorIylEEZNS1_14transform_implILb0ES3_S5_N6thrust23THRUST_200600_302600_NS6detail15normal_iteratorINS8_7pointerIyNS8_11hip_rocprim5par_tENS8_11use_defaultESE_EEEENSA_INSB_IlSD_SE_SE_EEEEZNS1_13binary_searchIS3_S5_PySG_SI_NS1_21upper_bound_search_opENS9_16wrapped_functionINS8_6system6detail7generic6detail18binary_search_lessEbEEEE10hipError_tPvRmT1_T2_T3_mmT4_T5_P12ihipStream_tbEUlRKyE_EEST_SX_SY_mSZ_S12_bEUlT_E_NS1_11comp_targetILNS1_3genE5ELNS1_11target_archE942ELNS1_3gpuE9ELNS1_3repE0EEENS1_30default_config_static_selectorELNS0_4arch9wavefront6targetE0EEEvSW_,@function
_ZN7rocprim17ROCPRIM_400000_NS6detail17trampoline_kernelINS0_14default_configENS1_27upper_bound_config_selectorIylEEZNS1_14transform_implILb0ES3_S5_N6thrust23THRUST_200600_302600_NS6detail15normal_iteratorINS8_7pointerIyNS8_11hip_rocprim5par_tENS8_11use_defaultESE_EEEENSA_INSB_IlSD_SE_SE_EEEEZNS1_13binary_searchIS3_S5_PySG_SI_NS1_21upper_bound_search_opENS9_16wrapped_functionINS8_6system6detail7generic6detail18binary_search_lessEbEEEE10hipError_tPvRmT1_T2_T3_mmT4_T5_P12ihipStream_tbEUlRKyE_EEST_SX_SY_mSZ_S12_bEUlT_E_NS1_11comp_targetILNS1_3genE5ELNS1_11target_archE942ELNS1_3gpuE9ELNS1_3repE0EEENS1_30default_config_static_selectorELNS0_4arch9wavefront6targetE0EEEvSW_: ; @_ZN7rocprim17ROCPRIM_400000_NS6detail17trampoline_kernelINS0_14default_configENS1_27upper_bound_config_selectorIylEEZNS1_14transform_implILb0ES3_S5_N6thrust23THRUST_200600_302600_NS6detail15normal_iteratorINS8_7pointerIyNS8_11hip_rocprim5par_tENS8_11use_defaultESE_EEEENSA_INSB_IlSD_SE_SE_EEEEZNS1_13binary_searchIS3_S5_PySG_SI_NS1_21upper_bound_search_opENS9_16wrapped_functionINS8_6system6detail7generic6detail18binary_search_lessEbEEEE10hipError_tPvRmT1_T2_T3_mmT4_T5_P12ihipStream_tbEUlRKyE_EEST_SX_SY_mSZ_S12_bEUlT_E_NS1_11comp_targetILNS1_3genE5ELNS1_11target_archE942ELNS1_3gpuE9ELNS1_3repE0EEENS1_30default_config_static_selectorELNS0_4arch9wavefront6targetE0EEEvSW_
; %bb.0:
	.section	.rodata,"a",@progbits
	.p2align	6, 0x0
	.amdhsa_kernel _ZN7rocprim17ROCPRIM_400000_NS6detail17trampoline_kernelINS0_14default_configENS1_27upper_bound_config_selectorIylEEZNS1_14transform_implILb0ES3_S5_N6thrust23THRUST_200600_302600_NS6detail15normal_iteratorINS8_7pointerIyNS8_11hip_rocprim5par_tENS8_11use_defaultESE_EEEENSA_INSB_IlSD_SE_SE_EEEEZNS1_13binary_searchIS3_S5_PySG_SI_NS1_21upper_bound_search_opENS9_16wrapped_functionINS8_6system6detail7generic6detail18binary_search_lessEbEEEE10hipError_tPvRmT1_T2_T3_mmT4_T5_P12ihipStream_tbEUlRKyE_EEST_SX_SY_mSZ_S12_bEUlT_E_NS1_11comp_targetILNS1_3genE5ELNS1_11target_archE942ELNS1_3gpuE9ELNS1_3repE0EEENS1_30default_config_static_selectorELNS0_4arch9wavefront6targetE0EEEvSW_
		.amdhsa_group_segment_fixed_size 0
		.amdhsa_private_segment_fixed_size 0
		.amdhsa_kernarg_size 56
		.amdhsa_user_sgpr_count 6
		.amdhsa_user_sgpr_private_segment_buffer 1
		.amdhsa_user_sgpr_dispatch_ptr 0
		.amdhsa_user_sgpr_queue_ptr 0
		.amdhsa_user_sgpr_kernarg_segment_ptr 1
		.amdhsa_user_sgpr_dispatch_id 0
		.amdhsa_user_sgpr_flat_scratch_init 0
		.amdhsa_user_sgpr_private_segment_size 0
		.amdhsa_wavefront_size32 1
		.amdhsa_uses_dynamic_stack 0
		.amdhsa_system_sgpr_private_segment_wavefront_offset 0
		.amdhsa_system_sgpr_workgroup_id_x 1
		.amdhsa_system_sgpr_workgroup_id_y 0
		.amdhsa_system_sgpr_workgroup_id_z 0
		.amdhsa_system_sgpr_workgroup_info 0
		.amdhsa_system_vgpr_workitem_id 0
		.amdhsa_next_free_vgpr 1
		.amdhsa_next_free_sgpr 1
		.amdhsa_reserve_vcc 0
		.amdhsa_reserve_flat_scratch 0
		.amdhsa_float_round_mode_32 0
		.amdhsa_float_round_mode_16_64 0
		.amdhsa_float_denorm_mode_32 3
		.amdhsa_float_denorm_mode_16_64 3
		.amdhsa_dx10_clamp 1
		.amdhsa_ieee_mode 1
		.amdhsa_fp16_overflow 0
		.amdhsa_workgroup_processor_mode 1
		.amdhsa_memory_ordered 1
		.amdhsa_forward_progress 1
		.amdhsa_shared_vgpr_count 0
		.amdhsa_exception_fp_ieee_invalid_op 0
		.amdhsa_exception_fp_denorm_src 0
		.amdhsa_exception_fp_ieee_div_zero 0
		.amdhsa_exception_fp_ieee_overflow 0
		.amdhsa_exception_fp_ieee_underflow 0
		.amdhsa_exception_fp_ieee_inexact 0
		.amdhsa_exception_int_div_zero 0
	.end_amdhsa_kernel
	.section	.text._ZN7rocprim17ROCPRIM_400000_NS6detail17trampoline_kernelINS0_14default_configENS1_27upper_bound_config_selectorIylEEZNS1_14transform_implILb0ES3_S5_N6thrust23THRUST_200600_302600_NS6detail15normal_iteratorINS8_7pointerIyNS8_11hip_rocprim5par_tENS8_11use_defaultESE_EEEENSA_INSB_IlSD_SE_SE_EEEEZNS1_13binary_searchIS3_S5_PySG_SI_NS1_21upper_bound_search_opENS9_16wrapped_functionINS8_6system6detail7generic6detail18binary_search_lessEbEEEE10hipError_tPvRmT1_T2_T3_mmT4_T5_P12ihipStream_tbEUlRKyE_EEST_SX_SY_mSZ_S12_bEUlT_E_NS1_11comp_targetILNS1_3genE5ELNS1_11target_archE942ELNS1_3gpuE9ELNS1_3repE0EEENS1_30default_config_static_selectorELNS0_4arch9wavefront6targetE0EEEvSW_,"axG",@progbits,_ZN7rocprim17ROCPRIM_400000_NS6detail17trampoline_kernelINS0_14default_configENS1_27upper_bound_config_selectorIylEEZNS1_14transform_implILb0ES3_S5_N6thrust23THRUST_200600_302600_NS6detail15normal_iteratorINS8_7pointerIyNS8_11hip_rocprim5par_tENS8_11use_defaultESE_EEEENSA_INSB_IlSD_SE_SE_EEEEZNS1_13binary_searchIS3_S5_PySG_SI_NS1_21upper_bound_search_opENS9_16wrapped_functionINS8_6system6detail7generic6detail18binary_search_lessEbEEEE10hipError_tPvRmT1_T2_T3_mmT4_T5_P12ihipStream_tbEUlRKyE_EEST_SX_SY_mSZ_S12_bEUlT_E_NS1_11comp_targetILNS1_3genE5ELNS1_11target_archE942ELNS1_3gpuE9ELNS1_3repE0EEENS1_30default_config_static_selectorELNS0_4arch9wavefront6targetE0EEEvSW_,comdat
.Lfunc_end183:
	.size	_ZN7rocprim17ROCPRIM_400000_NS6detail17trampoline_kernelINS0_14default_configENS1_27upper_bound_config_selectorIylEEZNS1_14transform_implILb0ES3_S5_N6thrust23THRUST_200600_302600_NS6detail15normal_iteratorINS8_7pointerIyNS8_11hip_rocprim5par_tENS8_11use_defaultESE_EEEENSA_INSB_IlSD_SE_SE_EEEEZNS1_13binary_searchIS3_S5_PySG_SI_NS1_21upper_bound_search_opENS9_16wrapped_functionINS8_6system6detail7generic6detail18binary_search_lessEbEEEE10hipError_tPvRmT1_T2_T3_mmT4_T5_P12ihipStream_tbEUlRKyE_EEST_SX_SY_mSZ_S12_bEUlT_E_NS1_11comp_targetILNS1_3genE5ELNS1_11target_archE942ELNS1_3gpuE9ELNS1_3repE0EEENS1_30default_config_static_selectorELNS0_4arch9wavefront6targetE0EEEvSW_, .Lfunc_end183-_ZN7rocprim17ROCPRIM_400000_NS6detail17trampoline_kernelINS0_14default_configENS1_27upper_bound_config_selectorIylEEZNS1_14transform_implILb0ES3_S5_N6thrust23THRUST_200600_302600_NS6detail15normal_iteratorINS8_7pointerIyNS8_11hip_rocprim5par_tENS8_11use_defaultESE_EEEENSA_INSB_IlSD_SE_SE_EEEEZNS1_13binary_searchIS3_S5_PySG_SI_NS1_21upper_bound_search_opENS9_16wrapped_functionINS8_6system6detail7generic6detail18binary_search_lessEbEEEE10hipError_tPvRmT1_T2_T3_mmT4_T5_P12ihipStream_tbEUlRKyE_EEST_SX_SY_mSZ_S12_bEUlT_E_NS1_11comp_targetILNS1_3genE5ELNS1_11target_archE942ELNS1_3gpuE9ELNS1_3repE0EEENS1_30default_config_static_selectorELNS0_4arch9wavefront6targetE0EEEvSW_
                                        ; -- End function
	.set _ZN7rocprim17ROCPRIM_400000_NS6detail17trampoline_kernelINS0_14default_configENS1_27upper_bound_config_selectorIylEEZNS1_14transform_implILb0ES3_S5_N6thrust23THRUST_200600_302600_NS6detail15normal_iteratorINS8_7pointerIyNS8_11hip_rocprim5par_tENS8_11use_defaultESE_EEEENSA_INSB_IlSD_SE_SE_EEEEZNS1_13binary_searchIS3_S5_PySG_SI_NS1_21upper_bound_search_opENS9_16wrapped_functionINS8_6system6detail7generic6detail18binary_search_lessEbEEEE10hipError_tPvRmT1_T2_T3_mmT4_T5_P12ihipStream_tbEUlRKyE_EEST_SX_SY_mSZ_S12_bEUlT_E_NS1_11comp_targetILNS1_3genE5ELNS1_11target_archE942ELNS1_3gpuE9ELNS1_3repE0EEENS1_30default_config_static_selectorELNS0_4arch9wavefront6targetE0EEEvSW_.num_vgpr, 0
	.set _ZN7rocprim17ROCPRIM_400000_NS6detail17trampoline_kernelINS0_14default_configENS1_27upper_bound_config_selectorIylEEZNS1_14transform_implILb0ES3_S5_N6thrust23THRUST_200600_302600_NS6detail15normal_iteratorINS8_7pointerIyNS8_11hip_rocprim5par_tENS8_11use_defaultESE_EEEENSA_INSB_IlSD_SE_SE_EEEEZNS1_13binary_searchIS3_S5_PySG_SI_NS1_21upper_bound_search_opENS9_16wrapped_functionINS8_6system6detail7generic6detail18binary_search_lessEbEEEE10hipError_tPvRmT1_T2_T3_mmT4_T5_P12ihipStream_tbEUlRKyE_EEST_SX_SY_mSZ_S12_bEUlT_E_NS1_11comp_targetILNS1_3genE5ELNS1_11target_archE942ELNS1_3gpuE9ELNS1_3repE0EEENS1_30default_config_static_selectorELNS0_4arch9wavefront6targetE0EEEvSW_.num_agpr, 0
	.set _ZN7rocprim17ROCPRIM_400000_NS6detail17trampoline_kernelINS0_14default_configENS1_27upper_bound_config_selectorIylEEZNS1_14transform_implILb0ES3_S5_N6thrust23THRUST_200600_302600_NS6detail15normal_iteratorINS8_7pointerIyNS8_11hip_rocprim5par_tENS8_11use_defaultESE_EEEENSA_INSB_IlSD_SE_SE_EEEEZNS1_13binary_searchIS3_S5_PySG_SI_NS1_21upper_bound_search_opENS9_16wrapped_functionINS8_6system6detail7generic6detail18binary_search_lessEbEEEE10hipError_tPvRmT1_T2_T3_mmT4_T5_P12ihipStream_tbEUlRKyE_EEST_SX_SY_mSZ_S12_bEUlT_E_NS1_11comp_targetILNS1_3genE5ELNS1_11target_archE942ELNS1_3gpuE9ELNS1_3repE0EEENS1_30default_config_static_selectorELNS0_4arch9wavefront6targetE0EEEvSW_.numbered_sgpr, 0
	.set _ZN7rocprim17ROCPRIM_400000_NS6detail17trampoline_kernelINS0_14default_configENS1_27upper_bound_config_selectorIylEEZNS1_14transform_implILb0ES3_S5_N6thrust23THRUST_200600_302600_NS6detail15normal_iteratorINS8_7pointerIyNS8_11hip_rocprim5par_tENS8_11use_defaultESE_EEEENSA_INSB_IlSD_SE_SE_EEEEZNS1_13binary_searchIS3_S5_PySG_SI_NS1_21upper_bound_search_opENS9_16wrapped_functionINS8_6system6detail7generic6detail18binary_search_lessEbEEEE10hipError_tPvRmT1_T2_T3_mmT4_T5_P12ihipStream_tbEUlRKyE_EEST_SX_SY_mSZ_S12_bEUlT_E_NS1_11comp_targetILNS1_3genE5ELNS1_11target_archE942ELNS1_3gpuE9ELNS1_3repE0EEENS1_30default_config_static_selectorELNS0_4arch9wavefront6targetE0EEEvSW_.num_named_barrier, 0
	.set _ZN7rocprim17ROCPRIM_400000_NS6detail17trampoline_kernelINS0_14default_configENS1_27upper_bound_config_selectorIylEEZNS1_14transform_implILb0ES3_S5_N6thrust23THRUST_200600_302600_NS6detail15normal_iteratorINS8_7pointerIyNS8_11hip_rocprim5par_tENS8_11use_defaultESE_EEEENSA_INSB_IlSD_SE_SE_EEEEZNS1_13binary_searchIS3_S5_PySG_SI_NS1_21upper_bound_search_opENS9_16wrapped_functionINS8_6system6detail7generic6detail18binary_search_lessEbEEEE10hipError_tPvRmT1_T2_T3_mmT4_T5_P12ihipStream_tbEUlRKyE_EEST_SX_SY_mSZ_S12_bEUlT_E_NS1_11comp_targetILNS1_3genE5ELNS1_11target_archE942ELNS1_3gpuE9ELNS1_3repE0EEENS1_30default_config_static_selectorELNS0_4arch9wavefront6targetE0EEEvSW_.private_seg_size, 0
	.set _ZN7rocprim17ROCPRIM_400000_NS6detail17trampoline_kernelINS0_14default_configENS1_27upper_bound_config_selectorIylEEZNS1_14transform_implILb0ES3_S5_N6thrust23THRUST_200600_302600_NS6detail15normal_iteratorINS8_7pointerIyNS8_11hip_rocprim5par_tENS8_11use_defaultESE_EEEENSA_INSB_IlSD_SE_SE_EEEEZNS1_13binary_searchIS3_S5_PySG_SI_NS1_21upper_bound_search_opENS9_16wrapped_functionINS8_6system6detail7generic6detail18binary_search_lessEbEEEE10hipError_tPvRmT1_T2_T3_mmT4_T5_P12ihipStream_tbEUlRKyE_EEST_SX_SY_mSZ_S12_bEUlT_E_NS1_11comp_targetILNS1_3genE5ELNS1_11target_archE942ELNS1_3gpuE9ELNS1_3repE0EEENS1_30default_config_static_selectorELNS0_4arch9wavefront6targetE0EEEvSW_.uses_vcc, 0
	.set _ZN7rocprim17ROCPRIM_400000_NS6detail17trampoline_kernelINS0_14default_configENS1_27upper_bound_config_selectorIylEEZNS1_14transform_implILb0ES3_S5_N6thrust23THRUST_200600_302600_NS6detail15normal_iteratorINS8_7pointerIyNS8_11hip_rocprim5par_tENS8_11use_defaultESE_EEEENSA_INSB_IlSD_SE_SE_EEEEZNS1_13binary_searchIS3_S5_PySG_SI_NS1_21upper_bound_search_opENS9_16wrapped_functionINS8_6system6detail7generic6detail18binary_search_lessEbEEEE10hipError_tPvRmT1_T2_T3_mmT4_T5_P12ihipStream_tbEUlRKyE_EEST_SX_SY_mSZ_S12_bEUlT_E_NS1_11comp_targetILNS1_3genE5ELNS1_11target_archE942ELNS1_3gpuE9ELNS1_3repE0EEENS1_30default_config_static_selectorELNS0_4arch9wavefront6targetE0EEEvSW_.uses_flat_scratch, 0
	.set _ZN7rocprim17ROCPRIM_400000_NS6detail17trampoline_kernelINS0_14default_configENS1_27upper_bound_config_selectorIylEEZNS1_14transform_implILb0ES3_S5_N6thrust23THRUST_200600_302600_NS6detail15normal_iteratorINS8_7pointerIyNS8_11hip_rocprim5par_tENS8_11use_defaultESE_EEEENSA_INSB_IlSD_SE_SE_EEEEZNS1_13binary_searchIS3_S5_PySG_SI_NS1_21upper_bound_search_opENS9_16wrapped_functionINS8_6system6detail7generic6detail18binary_search_lessEbEEEE10hipError_tPvRmT1_T2_T3_mmT4_T5_P12ihipStream_tbEUlRKyE_EEST_SX_SY_mSZ_S12_bEUlT_E_NS1_11comp_targetILNS1_3genE5ELNS1_11target_archE942ELNS1_3gpuE9ELNS1_3repE0EEENS1_30default_config_static_selectorELNS0_4arch9wavefront6targetE0EEEvSW_.has_dyn_sized_stack, 0
	.set _ZN7rocprim17ROCPRIM_400000_NS6detail17trampoline_kernelINS0_14default_configENS1_27upper_bound_config_selectorIylEEZNS1_14transform_implILb0ES3_S5_N6thrust23THRUST_200600_302600_NS6detail15normal_iteratorINS8_7pointerIyNS8_11hip_rocprim5par_tENS8_11use_defaultESE_EEEENSA_INSB_IlSD_SE_SE_EEEEZNS1_13binary_searchIS3_S5_PySG_SI_NS1_21upper_bound_search_opENS9_16wrapped_functionINS8_6system6detail7generic6detail18binary_search_lessEbEEEE10hipError_tPvRmT1_T2_T3_mmT4_T5_P12ihipStream_tbEUlRKyE_EEST_SX_SY_mSZ_S12_bEUlT_E_NS1_11comp_targetILNS1_3genE5ELNS1_11target_archE942ELNS1_3gpuE9ELNS1_3repE0EEENS1_30default_config_static_selectorELNS0_4arch9wavefront6targetE0EEEvSW_.has_recursion, 0
	.set _ZN7rocprim17ROCPRIM_400000_NS6detail17trampoline_kernelINS0_14default_configENS1_27upper_bound_config_selectorIylEEZNS1_14transform_implILb0ES3_S5_N6thrust23THRUST_200600_302600_NS6detail15normal_iteratorINS8_7pointerIyNS8_11hip_rocprim5par_tENS8_11use_defaultESE_EEEENSA_INSB_IlSD_SE_SE_EEEEZNS1_13binary_searchIS3_S5_PySG_SI_NS1_21upper_bound_search_opENS9_16wrapped_functionINS8_6system6detail7generic6detail18binary_search_lessEbEEEE10hipError_tPvRmT1_T2_T3_mmT4_T5_P12ihipStream_tbEUlRKyE_EEST_SX_SY_mSZ_S12_bEUlT_E_NS1_11comp_targetILNS1_3genE5ELNS1_11target_archE942ELNS1_3gpuE9ELNS1_3repE0EEENS1_30default_config_static_selectorELNS0_4arch9wavefront6targetE0EEEvSW_.has_indirect_call, 0
	.section	.AMDGPU.csdata,"",@progbits
; Kernel info:
; codeLenInByte = 0
; TotalNumSgprs: 0
; NumVgprs: 0
; ScratchSize: 0
; MemoryBound: 0
; FloatMode: 240
; IeeeMode: 1
; LDSByteSize: 0 bytes/workgroup (compile time only)
; SGPRBlocks: 0
; VGPRBlocks: 0
; NumSGPRsForWavesPerEU: 1
; NumVGPRsForWavesPerEU: 1
; Occupancy: 16
; WaveLimiterHint : 0
; COMPUTE_PGM_RSRC2:SCRATCH_EN: 0
; COMPUTE_PGM_RSRC2:USER_SGPR: 6
; COMPUTE_PGM_RSRC2:TRAP_HANDLER: 0
; COMPUTE_PGM_RSRC2:TGID_X_EN: 1
; COMPUTE_PGM_RSRC2:TGID_Y_EN: 0
; COMPUTE_PGM_RSRC2:TGID_Z_EN: 0
; COMPUTE_PGM_RSRC2:TIDIG_COMP_CNT: 0
	.section	.text._ZN7rocprim17ROCPRIM_400000_NS6detail17trampoline_kernelINS0_14default_configENS1_27upper_bound_config_selectorIylEEZNS1_14transform_implILb0ES3_S5_N6thrust23THRUST_200600_302600_NS6detail15normal_iteratorINS8_7pointerIyNS8_11hip_rocprim5par_tENS8_11use_defaultESE_EEEENSA_INSB_IlSD_SE_SE_EEEEZNS1_13binary_searchIS3_S5_PySG_SI_NS1_21upper_bound_search_opENS9_16wrapped_functionINS8_6system6detail7generic6detail18binary_search_lessEbEEEE10hipError_tPvRmT1_T2_T3_mmT4_T5_P12ihipStream_tbEUlRKyE_EEST_SX_SY_mSZ_S12_bEUlT_E_NS1_11comp_targetILNS1_3genE4ELNS1_11target_archE910ELNS1_3gpuE8ELNS1_3repE0EEENS1_30default_config_static_selectorELNS0_4arch9wavefront6targetE0EEEvSW_,"axG",@progbits,_ZN7rocprim17ROCPRIM_400000_NS6detail17trampoline_kernelINS0_14default_configENS1_27upper_bound_config_selectorIylEEZNS1_14transform_implILb0ES3_S5_N6thrust23THRUST_200600_302600_NS6detail15normal_iteratorINS8_7pointerIyNS8_11hip_rocprim5par_tENS8_11use_defaultESE_EEEENSA_INSB_IlSD_SE_SE_EEEEZNS1_13binary_searchIS3_S5_PySG_SI_NS1_21upper_bound_search_opENS9_16wrapped_functionINS8_6system6detail7generic6detail18binary_search_lessEbEEEE10hipError_tPvRmT1_T2_T3_mmT4_T5_P12ihipStream_tbEUlRKyE_EEST_SX_SY_mSZ_S12_bEUlT_E_NS1_11comp_targetILNS1_3genE4ELNS1_11target_archE910ELNS1_3gpuE8ELNS1_3repE0EEENS1_30default_config_static_selectorELNS0_4arch9wavefront6targetE0EEEvSW_,comdat
	.protected	_ZN7rocprim17ROCPRIM_400000_NS6detail17trampoline_kernelINS0_14default_configENS1_27upper_bound_config_selectorIylEEZNS1_14transform_implILb0ES3_S5_N6thrust23THRUST_200600_302600_NS6detail15normal_iteratorINS8_7pointerIyNS8_11hip_rocprim5par_tENS8_11use_defaultESE_EEEENSA_INSB_IlSD_SE_SE_EEEEZNS1_13binary_searchIS3_S5_PySG_SI_NS1_21upper_bound_search_opENS9_16wrapped_functionINS8_6system6detail7generic6detail18binary_search_lessEbEEEE10hipError_tPvRmT1_T2_T3_mmT4_T5_P12ihipStream_tbEUlRKyE_EEST_SX_SY_mSZ_S12_bEUlT_E_NS1_11comp_targetILNS1_3genE4ELNS1_11target_archE910ELNS1_3gpuE8ELNS1_3repE0EEENS1_30default_config_static_selectorELNS0_4arch9wavefront6targetE0EEEvSW_ ; -- Begin function _ZN7rocprim17ROCPRIM_400000_NS6detail17trampoline_kernelINS0_14default_configENS1_27upper_bound_config_selectorIylEEZNS1_14transform_implILb0ES3_S5_N6thrust23THRUST_200600_302600_NS6detail15normal_iteratorINS8_7pointerIyNS8_11hip_rocprim5par_tENS8_11use_defaultESE_EEEENSA_INSB_IlSD_SE_SE_EEEEZNS1_13binary_searchIS3_S5_PySG_SI_NS1_21upper_bound_search_opENS9_16wrapped_functionINS8_6system6detail7generic6detail18binary_search_lessEbEEEE10hipError_tPvRmT1_T2_T3_mmT4_T5_P12ihipStream_tbEUlRKyE_EEST_SX_SY_mSZ_S12_bEUlT_E_NS1_11comp_targetILNS1_3genE4ELNS1_11target_archE910ELNS1_3gpuE8ELNS1_3repE0EEENS1_30default_config_static_selectorELNS0_4arch9wavefront6targetE0EEEvSW_
	.globl	_ZN7rocprim17ROCPRIM_400000_NS6detail17trampoline_kernelINS0_14default_configENS1_27upper_bound_config_selectorIylEEZNS1_14transform_implILb0ES3_S5_N6thrust23THRUST_200600_302600_NS6detail15normal_iteratorINS8_7pointerIyNS8_11hip_rocprim5par_tENS8_11use_defaultESE_EEEENSA_INSB_IlSD_SE_SE_EEEEZNS1_13binary_searchIS3_S5_PySG_SI_NS1_21upper_bound_search_opENS9_16wrapped_functionINS8_6system6detail7generic6detail18binary_search_lessEbEEEE10hipError_tPvRmT1_T2_T3_mmT4_T5_P12ihipStream_tbEUlRKyE_EEST_SX_SY_mSZ_S12_bEUlT_E_NS1_11comp_targetILNS1_3genE4ELNS1_11target_archE910ELNS1_3gpuE8ELNS1_3repE0EEENS1_30default_config_static_selectorELNS0_4arch9wavefront6targetE0EEEvSW_
	.p2align	8
	.type	_ZN7rocprim17ROCPRIM_400000_NS6detail17trampoline_kernelINS0_14default_configENS1_27upper_bound_config_selectorIylEEZNS1_14transform_implILb0ES3_S5_N6thrust23THRUST_200600_302600_NS6detail15normal_iteratorINS8_7pointerIyNS8_11hip_rocprim5par_tENS8_11use_defaultESE_EEEENSA_INSB_IlSD_SE_SE_EEEEZNS1_13binary_searchIS3_S5_PySG_SI_NS1_21upper_bound_search_opENS9_16wrapped_functionINS8_6system6detail7generic6detail18binary_search_lessEbEEEE10hipError_tPvRmT1_T2_T3_mmT4_T5_P12ihipStream_tbEUlRKyE_EEST_SX_SY_mSZ_S12_bEUlT_E_NS1_11comp_targetILNS1_3genE4ELNS1_11target_archE910ELNS1_3gpuE8ELNS1_3repE0EEENS1_30default_config_static_selectorELNS0_4arch9wavefront6targetE0EEEvSW_,@function
_ZN7rocprim17ROCPRIM_400000_NS6detail17trampoline_kernelINS0_14default_configENS1_27upper_bound_config_selectorIylEEZNS1_14transform_implILb0ES3_S5_N6thrust23THRUST_200600_302600_NS6detail15normal_iteratorINS8_7pointerIyNS8_11hip_rocprim5par_tENS8_11use_defaultESE_EEEENSA_INSB_IlSD_SE_SE_EEEEZNS1_13binary_searchIS3_S5_PySG_SI_NS1_21upper_bound_search_opENS9_16wrapped_functionINS8_6system6detail7generic6detail18binary_search_lessEbEEEE10hipError_tPvRmT1_T2_T3_mmT4_T5_P12ihipStream_tbEUlRKyE_EEST_SX_SY_mSZ_S12_bEUlT_E_NS1_11comp_targetILNS1_3genE4ELNS1_11target_archE910ELNS1_3gpuE8ELNS1_3repE0EEENS1_30default_config_static_selectorELNS0_4arch9wavefront6targetE0EEEvSW_: ; @_ZN7rocprim17ROCPRIM_400000_NS6detail17trampoline_kernelINS0_14default_configENS1_27upper_bound_config_selectorIylEEZNS1_14transform_implILb0ES3_S5_N6thrust23THRUST_200600_302600_NS6detail15normal_iteratorINS8_7pointerIyNS8_11hip_rocprim5par_tENS8_11use_defaultESE_EEEENSA_INSB_IlSD_SE_SE_EEEEZNS1_13binary_searchIS3_S5_PySG_SI_NS1_21upper_bound_search_opENS9_16wrapped_functionINS8_6system6detail7generic6detail18binary_search_lessEbEEEE10hipError_tPvRmT1_T2_T3_mmT4_T5_P12ihipStream_tbEUlRKyE_EEST_SX_SY_mSZ_S12_bEUlT_E_NS1_11comp_targetILNS1_3genE4ELNS1_11target_archE910ELNS1_3gpuE8ELNS1_3repE0EEENS1_30default_config_static_selectorELNS0_4arch9wavefront6targetE0EEEvSW_
; %bb.0:
	.section	.rodata,"a",@progbits
	.p2align	6, 0x0
	.amdhsa_kernel _ZN7rocprim17ROCPRIM_400000_NS6detail17trampoline_kernelINS0_14default_configENS1_27upper_bound_config_selectorIylEEZNS1_14transform_implILb0ES3_S5_N6thrust23THRUST_200600_302600_NS6detail15normal_iteratorINS8_7pointerIyNS8_11hip_rocprim5par_tENS8_11use_defaultESE_EEEENSA_INSB_IlSD_SE_SE_EEEEZNS1_13binary_searchIS3_S5_PySG_SI_NS1_21upper_bound_search_opENS9_16wrapped_functionINS8_6system6detail7generic6detail18binary_search_lessEbEEEE10hipError_tPvRmT1_T2_T3_mmT4_T5_P12ihipStream_tbEUlRKyE_EEST_SX_SY_mSZ_S12_bEUlT_E_NS1_11comp_targetILNS1_3genE4ELNS1_11target_archE910ELNS1_3gpuE8ELNS1_3repE0EEENS1_30default_config_static_selectorELNS0_4arch9wavefront6targetE0EEEvSW_
		.amdhsa_group_segment_fixed_size 0
		.amdhsa_private_segment_fixed_size 0
		.amdhsa_kernarg_size 56
		.amdhsa_user_sgpr_count 6
		.amdhsa_user_sgpr_private_segment_buffer 1
		.amdhsa_user_sgpr_dispatch_ptr 0
		.amdhsa_user_sgpr_queue_ptr 0
		.amdhsa_user_sgpr_kernarg_segment_ptr 1
		.amdhsa_user_sgpr_dispatch_id 0
		.amdhsa_user_sgpr_flat_scratch_init 0
		.amdhsa_user_sgpr_private_segment_size 0
		.amdhsa_wavefront_size32 1
		.amdhsa_uses_dynamic_stack 0
		.amdhsa_system_sgpr_private_segment_wavefront_offset 0
		.amdhsa_system_sgpr_workgroup_id_x 1
		.amdhsa_system_sgpr_workgroup_id_y 0
		.amdhsa_system_sgpr_workgroup_id_z 0
		.amdhsa_system_sgpr_workgroup_info 0
		.amdhsa_system_vgpr_workitem_id 0
		.amdhsa_next_free_vgpr 1
		.amdhsa_next_free_sgpr 1
		.amdhsa_reserve_vcc 0
		.amdhsa_reserve_flat_scratch 0
		.amdhsa_float_round_mode_32 0
		.amdhsa_float_round_mode_16_64 0
		.amdhsa_float_denorm_mode_32 3
		.amdhsa_float_denorm_mode_16_64 3
		.amdhsa_dx10_clamp 1
		.amdhsa_ieee_mode 1
		.amdhsa_fp16_overflow 0
		.amdhsa_workgroup_processor_mode 1
		.amdhsa_memory_ordered 1
		.amdhsa_forward_progress 1
		.amdhsa_shared_vgpr_count 0
		.amdhsa_exception_fp_ieee_invalid_op 0
		.amdhsa_exception_fp_denorm_src 0
		.amdhsa_exception_fp_ieee_div_zero 0
		.amdhsa_exception_fp_ieee_overflow 0
		.amdhsa_exception_fp_ieee_underflow 0
		.amdhsa_exception_fp_ieee_inexact 0
		.amdhsa_exception_int_div_zero 0
	.end_amdhsa_kernel
	.section	.text._ZN7rocprim17ROCPRIM_400000_NS6detail17trampoline_kernelINS0_14default_configENS1_27upper_bound_config_selectorIylEEZNS1_14transform_implILb0ES3_S5_N6thrust23THRUST_200600_302600_NS6detail15normal_iteratorINS8_7pointerIyNS8_11hip_rocprim5par_tENS8_11use_defaultESE_EEEENSA_INSB_IlSD_SE_SE_EEEEZNS1_13binary_searchIS3_S5_PySG_SI_NS1_21upper_bound_search_opENS9_16wrapped_functionINS8_6system6detail7generic6detail18binary_search_lessEbEEEE10hipError_tPvRmT1_T2_T3_mmT4_T5_P12ihipStream_tbEUlRKyE_EEST_SX_SY_mSZ_S12_bEUlT_E_NS1_11comp_targetILNS1_3genE4ELNS1_11target_archE910ELNS1_3gpuE8ELNS1_3repE0EEENS1_30default_config_static_selectorELNS0_4arch9wavefront6targetE0EEEvSW_,"axG",@progbits,_ZN7rocprim17ROCPRIM_400000_NS6detail17trampoline_kernelINS0_14default_configENS1_27upper_bound_config_selectorIylEEZNS1_14transform_implILb0ES3_S5_N6thrust23THRUST_200600_302600_NS6detail15normal_iteratorINS8_7pointerIyNS8_11hip_rocprim5par_tENS8_11use_defaultESE_EEEENSA_INSB_IlSD_SE_SE_EEEEZNS1_13binary_searchIS3_S5_PySG_SI_NS1_21upper_bound_search_opENS9_16wrapped_functionINS8_6system6detail7generic6detail18binary_search_lessEbEEEE10hipError_tPvRmT1_T2_T3_mmT4_T5_P12ihipStream_tbEUlRKyE_EEST_SX_SY_mSZ_S12_bEUlT_E_NS1_11comp_targetILNS1_3genE4ELNS1_11target_archE910ELNS1_3gpuE8ELNS1_3repE0EEENS1_30default_config_static_selectorELNS0_4arch9wavefront6targetE0EEEvSW_,comdat
.Lfunc_end184:
	.size	_ZN7rocprim17ROCPRIM_400000_NS6detail17trampoline_kernelINS0_14default_configENS1_27upper_bound_config_selectorIylEEZNS1_14transform_implILb0ES3_S5_N6thrust23THRUST_200600_302600_NS6detail15normal_iteratorINS8_7pointerIyNS8_11hip_rocprim5par_tENS8_11use_defaultESE_EEEENSA_INSB_IlSD_SE_SE_EEEEZNS1_13binary_searchIS3_S5_PySG_SI_NS1_21upper_bound_search_opENS9_16wrapped_functionINS8_6system6detail7generic6detail18binary_search_lessEbEEEE10hipError_tPvRmT1_T2_T3_mmT4_T5_P12ihipStream_tbEUlRKyE_EEST_SX_SY_mSZ_S12_bEUlT_E_NS1_11comp_targetILNS1_3genE4ELNS1_11target_archE910ELNS1_3gpuE8ELNS1_3repE0EEENS1_30default_config_static_selectorELNS0_4arch9wavefront6targetE0EEEvSW_, .Lfunc_end184-_ZN7rocprim17ROCPRIM_400000_NS6detail17trampoline_kernelINS0_14default_configENS1_27upper_bound_config_selectorIylEEZNS1_14transform_implILb0ES3_S5_N6thrust23THRUST_200600_302600_NS6detail15normal_iteratorINS8_7pointerIyNS8_11hip_rocprim5par_tENS8_11use_defaultESE_EEEENSA_INSB_IlSD_SE_SE_EEEEZNS1_13binary_searchIS3_S5_PySG_SI_NS1_21upper_bound_search_opENS9_16wrapped_functionINS8_6system6detail7generic6detail18binary_search_lessEbEEEE10hipError_tPvRmT1_T2_T3_mmT4_T5_P12ihipStream_tbEUlRKyE_EEST_SX_SY_mSZ_S12_bEUlT_E_NS1_11comp_targetILNS1_3genE4ELNS1_11target_archE910ELNS1_3gpuE8ELNS1_3repE0EEENS1_30default_config_static_selectorELNS0_4arch9wavefront6targetE0EEEvSW_
                                        ; -- End function
	.set _ZN7rocprim17ROCPRIM_400000_NS6detail17trampoline_kernelINS0_14default_configENS1_27upper_bound_config_selectorIylEEZNS1_14transform_implILb0ES3_S5_N6thrust23THRUST_200600_302600_NS6detail15normal_iteratorINS8_7pointerIyNS8_11hip_rocprim5par_tENS8_11use_defaultESE_EEEENSA_INSB_IlSD_SE_SE_EEEEZNS1_13binary_searchIS3_S5_PySG_SI_NS1_21upper_bound_search_opENS9_16wrapped_functionINS8_6system6detail7generic6detail18binary_search_lessEbEEEE10hipError_tPvRmT1_T2_T3_mmT4_T5_P12ihipStream_tbEUlRKyE_EEST_SX_SY_mSZ_S12_bEUlT_E_NS1_11comp_targetILNS1_3genE4ELNS1_11target_archE910ELNS1_3gpuE8ELNS1_3repE0EEENS1_30default_config_static_selectorELNS0_4arch9wavefront6targetE0EEEvSW_.num_vgpr, 0
	.set _ZN7rocprim17ROCPRIM_400000_NS6detail17trampoline_kernelINS0_14default_configENS1_27upper_bound_config_selectorIylEEZNS1_14transform_implILb0ES3_S5_N6thrust23THRUST_200600_302600_NS6detail15normal_iteratorINS8_7pointerIyNS8_11hip_rocprim5par_tENS8_11use_defaultESE_EEEENSA_INSB_IlSD_SE_SE_EEEEZNS1_13binary_searchIS3_S5_PySG_SI_NS1_21upper_bound_search_opENS9_16wrapped_functionINS8_6system6detail7generic6detail18binary_search_lessEbEEEE10hipError_tPvRmT1_T2_T3_mmT4_T5_P12ihipStream_tbEUlRKyE_EEST_SX_SY_mSZ_S12_bEUlT_E_NS1_11comp_targetILNS1_3genE4ELNS1_11target_archE910ELNS1_3gpuE8ELNS1_3repE0EEENS1_30default_config_static_selectorELNS0_4arch9wavefront6targetE0EEEvSW_.num_agpr, 0
	.set _ZN7rocprim17ROCPRIM_400000_NS6detail17trampoline_kernelINS0_14default_configENS1_27upper_bound_config_selectorIylEEZNS1_14transform_implILb0ES3_S5_N6thrust23THRUST_200600_302600_NS6detail15normal_iteratorINS8_7pointerIyNS8_11hip_rocprim5par_tENS8_11use_defaultESE_EEEENSA_INSB_IlSD_SE_SE_EEEEZNS1_13binary_searchIS3_S5_PySG_SI_NS1_21upper_bound_search_opENS9_16wrapped_functionINS8_6system6detail7generic6detail18binary_search_lessEbEEEE10hipError_tPvRmT1_T2_T3_mmT4_T5_P12ihipStream_tbEUlRKyE_EEST_SX_SY_mSZ_S12_bEUlT_E_NS1_11comp_targetILNS1_3genE4ELNS1_11target_archE910ELNS1_3gpuE8ELNS1_3repE0EEENS1_30default_config_static_selectorELNS0_4arch9wavefront6targetE0EEEvSW_.numbered_sgpr, 0
	.set _ZN7rocprim17ROCPRIM_400000_NS6detail17trampoline_kernelINS0_14default_configENS1_27upper_bound_config_selectorIylEEZNS1_14transform_implILb0ES3_S5_N6thrust23THRUST_200600_302600_NS6detail15normal_iteratorINS8_7pointerIyNS8_11hip_rocprim5par_tENS8_11use_defaultESE_EEEENSA_INSB_IlSD_SE_SE_EEEEZNS1_13binary_searchIS3_S5_PySG_SI_NS1_21upper_bound_search_opENS9_16wrapped_functionINS8_6system6detail7generic6detail18binary_search_lessEbEEEE10hipError_tPvRmT1_T2_T3_mmT4_T5_P12ihipStream_tbEUlRKyE_EEST_SX_SY_mSZ_S12_bEUlT_E_NS1_11comp_targetILNS1_3genE4ELNS1_11target_archE910ELNS1_3gpuE8ELNS1_3repE0EEENS1_30default_config_static_selectorELNS0_4arch9wavefront6targetE0EEEvSW_.num_named_barrier, 0
	.set _ZN7rocprim17ROCPRIM_400000_NS6detail17trampoline_kernelINS0_14default_configENS1_27upper_bound_config_selectorIylEEZNS1_14transform_implILb0ES3_S5_N6thrust23THRUST_200600_302600_NS6detail15normal_iteratorINS8_7pointerIyNS8_11hip_rocprim5par_tENS8_11use_defaultESE_EEEENSA_INSB_IlSD_SE_SE_EEEEZNS1_13binary_searchIS3_S5_PySG_SI_NS1_21upper_bound_search_opENS9_16wrapped_functionINS8_6system6detail7generic6detail18binary_search_lessEbEEEE10hipError_tPvRmT1_T2_T3_mmT4_T5_P12ihipStream_tbEUlRKyE_EEST_SX_SY_mSZ_S12_bEUlT_E_NS1_11comp_targetILNS1_3genE4ELNS1_11target_archE910ELNS1_3gpuE8ELNS1_3repE0EEENS1_30default_config_static_selectorELNS0_4arch9wavefront6targetE0EEEvSW_.private_seg_size, 0
	.set _ZN7rocprim17ROCPRIM_400000_NS6detail17trampoline_kernelINS0_14default_configENS1_27upper_bound_config_selectorIylEEZNS1_14transform_implILb0ES3_S5_N6thrust23THRUST_200600_302600_NS6detail15normal_iteratorINS8_7pointerIyNS8_11hip_rocprim5par_tENS8_11use_defaultESE_EEEENSA_INSB_IlSD_SE_SE_EEEEZNS1_13binary_searchIS3_S5_PySG_SI_NS1_21upper_bound_search_opENS9_16wrapped_functionINS8_6system6detail7generic6detail18binary_search_lessEbEEEE10hipError_tPvRmT1_T2_T3_mmT4_T5_P12ihipStream_tbEUlRKyE_EEST_SX_SY_mSZ_S12_bEUlT_E_NS1_11comp_targetILNS1_3genE4ELNS1_11target_archE910ELNS1_3gpuE8ELNS1_3repE0EEENS1_30default_config_static_selectorELNS0_4arch9wavefront6targetE0EEEvSW_.uses_vcc, 0
	.set _ZN7rocprim17ROCPRIM_400000_NS6detail17trampoline_kernelINS0_14default_configENS1_27upper_bound_config_selectorIylEEZNS1_14transform_implILb0ES3_S5_N6thrust23THRUST_200600_302600_NS6detail15normal_iteratorINS8_7pointerIyNS8_11hip_rocprim5par_tENS8_11use_defaultESE_EEEENSA_INSB_IlSD_SE_SE_EEEEZNS1_13binary_searchIS3_S5_PySG_SI_NS1_21upper_bound_search_opENS9_16wrapped_functionINS8_6system6detail7generic6detail18binary_search_lessEbEEEE10hipError_tPvRmT1_T2_T3_mmT4_T5_P12ihipStream_tbEUlRKyE_EEST_SX_SY_mSZ_S12_bEUlT_E_NS1_11comp_targetILNS1_3genE4ELNS1_11target_archE910ELNS1_3gpuE8ELNS1_3repE0EEENS1_30default_config_static_selectorELNS0_4arch9wavefront6targetE0EEEvSW_.uses_flat_scratch, 0
	.set _ZN7rocprim17ROCPRIM_400000_NS6detail17trampoline_kernelINS0_14default_configENS1_27upper_bound_config_selectorIylEEZNS1_14transform_implILb0ES3_S5_N6thrust23THRUST_200600_302600_NS6detail15normal_iteratorINS8_7pointerIyNS8_11hip_rocprim5par_tENS8_11use_defaultESE_EEEENSA_INSB_IlSD_SE_SE_EEEEZNS1_13binary_searchIS3_S5_PySG_SI_NS1_21upper_bound_search_opENS9_16wrapped_functionINS8_6system6detail7generic6detail18binary_search_lessEbEEEE10hipError_tPvRmT1_T2_T3_mmT4_T5_P12ihipStream_tbEUlRKyE_EEST_SX_SY_mSZ_S12_bEUlT_E_NS1_11comp_targetILNS1_3genE4ELNS1_11target_archE910ELNS1_3gpuE8ELNS1_3repE0EEENS1_30default_config_static_selectorELNS0_4arch9wavefront6targetE0EEEvSW_.has_dyn_sized_stack, 0
	.set _ZN7rocprim17ROCPRIM_400000_NS6detail17trampoline_kernelINS0_14default_configENS1_27upper_bound_config_selectorIylEEZNS1_14transform_implILb0ES3_S5_N6thrust23THRUST_200600_302600_NS6detail15normal_iteratorINS8_7pointerIyNS8_11hip_rocprim5par_tENS8_11use_defaultESE_EEEENSA_INSB_IlSD_SE_SE_EEEEZNS1_13binary_searchIS3_S5_PySG_SI_NS1_21upper_bound_search_opENS9_16wrapped_functionINS8_6system6detail7generic6detail18binary_search_lessEbEEEE10hipError_tPvRmT1_T2_T3_mmT4_T5_P12ihipStream_tbEUlRKyE_EEST_SX_SY_mSZ_S12_bEUlT_E_NS1_11comp_targetILNS1_3genE4ELNS1_11target_archE910ELNS1_3gpuE8ELNS1_3repE0EEENS1_30default_config_static_selectorELNS0_4arch9wavefront6targetE0EEEvSW_.has_recursion, 0
	.set _ZN7rocprim17ROCPRIM_400000_NS6detail17trampoline_kernelINS0_14default_configENS1_27upper_bound_config_selectorIylEEZNS1_14transform_implILb0ES3_S5_N6thrust23THRUST_200600_302600_NS6detail15normal_iteratorINS8_7pointerIyNS8_11hip_rocprim5par_tENS8_11use_defaultESE_EEEENSA_INSB_IlSD_SE_SE_EEEEZNS1_13binary_searchIS3_S5_PySG_SI_NS1_21upper_bound_search_opENS9_16wrapped_functionINS8_6system6detail7generic6detail18binary_search_lessEbEEEE10hipError_tPvRmT1_T2_T3_mmT4_T5_P12ihipStream_tbEUlRKyE_EEST_SX_SY_mSZ_S12_bEUlT_E_NS1_11comp_targetILNS1_3genE4ELNS1_11target_archE910ELNS1_3gpuE8ELNS1_3repE0EEENS1_30default_config_static_selectorELNS0_4arch9wavefront6targetE0EEEvSW_.has_indirect_call, 0
	.section	.AMDGPU.csdata,"",@progbits
; Kernel info:
; codeLenInByte = 0
; TotalNumSgprs: 0
; NumVgprs: 0
; ScratchSize: 0
; MemoryBound: 0
; FloatMode: 240
; IeeeMode: 1
; LDSByteSize: 0 bytes/workgroup (compile time only)
; SGPRBlocks: 0
; VGPRBlocks: 0
; NumSGPRsForWavesPerEU: 1
; NumVGPRsForWavesPerEU: 1
; Occupancy: 16
; WaveLimiterHint : 0
; COMPUTE_PGM_RSRC2:SCRATCH_EN: 0
; COMPUTE_PGM_RSRC2:USER_SGPR: 6
; COMPUTE_PGM_RSRC2:TRAP_HANDLER: 0
; COMPUTE_PGM_RSRC2:TGID_X_EN: 1
; COMPUTE_PGM_RSRC2:TGID_Y_EN: 0
; COMPUTE_PGM_RSRC2:TGID_Z_EN: 0
; COMPUTE_PGM_RSRC2:TIDIG_COMP_CNT: 0
	.section	.text._ZN7rocprim17ROCPRIM_400000_NS6detail17trampoline_kernelINS0_14default_configENS1_27upper_bound_config_selectorIylEEZNS1_14transform_implILb0ES3_S5_N6thrust23THRUST_200600_302600_NS6detail15normal_iteratorINS8_7pointerIyNS8_11hip_rocprim5par_tENS8_11use_defaultESE_EEEENSA_INSB_IlSD_SE_SE_EEEEZNS1_13binary_searchIS3_S5_PySG_SI_NS1_21upper_bound_search_opENS9_16wrapped_functionINS8_6system6detail7generic6detail18binary_search_lessEbEEEE10hipError_tPvRmT1_T2_T3_mmT4_T5_P12ihipStream_tbEUlRKyE_EEST_SX_SY_mSZ_S12_bEUlT_E_NS1_11comp_targetILNS1_3genE3ELNS1_11target_archE908ELNS1_3gpuE7ELNS1_3repE0EEENS1_30default_config_static_selectorELNS0_4arch9wavefront6targetE0EEEvSW_,"axG",@progbits,_ZN7rocprim17ROCPRIM_400000_NS6detail17trampoline_kernelINS0_14default_configENS1_27upper_bound_config_selectorIylEEZNS1_14transform_implILb0ES3_S5_N6thrust23THRUST_200600_302600_NS6detail15normal_iteratorINS8_7pointerIyNS8_11hip_rocprim5par_tENS8_11use_defaultESE_EEEENSA_INSB_IlSD_SE_SE_EEEEZNS1_13binary_searchIS3_S5_PySG_SI_NS1_21upper_bound_search_opENS9_16wrapped_functionINS8_6system6detail7generic6detail18binary_search_lessEbEEEE10hipError_tPvRmT1_T2_T3_mmT4_T5_P12ihipStream_tbEUlRKyE_EEST_SX_SY_mSZ_S12_bEUlT_E_NS1_11comp_targetILNS1_3genE3ELNS1_11target_archE908ELNS1_3gpuE7ELNS1_3repE0EEENS1_30default_config_static_selectorELNS0_4arch9wavefront6targetE0EEEvSW_,comdat
	.protected	_ZN7rocprim17ROCPRIM_400000_NS6detail17trampoline_kernelINS0_14default_configENS1_27upper_bound_config_selectorIylEEZNS1_14transform_implILb0ES3_S5_N6thrust23THRUST_200600_302600_NS6detail15normal_iteratorINS8_7pointerIyNS8_11hip_rocprim5par_tENS8_11use_defaultESE_EEEENSA_INSB_IlSD_SE_SE_EEEEZNS1_13binary_searchIS3_S5_PySG_SI_NS1_21upper_bound_search_opENS9_16wrapped_functionINS8_6system6detail7generic6detail18binary_search_lessEbEEEE10hipError_tPvRmT1_T2_T3_mmT4_T5_P12ihipStream_tbEUlRKyE_EEST_SX_SY_mSZ_S12_bEUlT_E_NS1_11comp_targetILNS1_3genE3ELNS1_11target_archE908ELNS1_3gpuE7ELNS1_3repE0EEENS1_30default_config_static_selectorELNS0_4arch9wavefront6targetE0EEEvSW_ ; -- Begin function _ZN7rocprim17ROCPRIM_400000_NS6detail17trampoline_kernelINS0_14default_configENS1_27upper_bound_config_selectorIylEEZNS1_14transform_implILb0ES3_S5_N6thrust23THRUST_200600_302600_NS6detail15normal_iteratorINS8_7pointerIyNS8_11hip_rocprim5par_tENS8_11use_defaultESE_EEEENSA_INSB_IlSD_SE_SE_EEEEZNS1_13binary_searchIS3_S5_PySG_SI_NS1_21upper_bound_search_opENS9_16wrapped_functionINS8_6system6detail7generic6detail18binary_search_lessEbEEEE10hipError_tPvRmT1_T2_T3_mmT4_T5_P12ihipStream_tbEUlRKyE_EEST_SX_SY_mSZ_S12_bEUlT_E_NS1_11comp_targetILNS1_3genE3ELNS1_11target_archE908ELNS1_3gpuE7ELNS1_3repE0EEENS1_30default_config_static_selectorELNS0_4arch9wavefront6targetE0EEEvSW_
	.globl	_ZN7rocprim17ROCPRIM_400000_NS6detail17trampoline_kernelINS0_14default_configENS1_27upper_bound_config_selectorIylEEZNS1_14transform_implILb0ES3_S5_N6thrust23THRUST_200600_302600_NS6detail15normal_iteratorINS8_7pointerIyNS8_11hip_rocprim5par_tENS8_11use_defaultESE_EEEENSA_INSB_IlSD_SE_SE_EEEEZNS1_13binary_searchIS3_S5_PySG_SI_NS1_21upper_bound_search_opENS9_16wrapped_functionINS8_6system6detail7generic6detail18binary_search_lessEbEEEE10hipError_tPvRmT1_T2_T3_mmT4_T5_P12ihipStream_tbEUlRKyE_EEST_SX_SY_mSZ_S12_bEUlT_E_NS1_11comp_targetILNS1_3genE3ELNS1_11target_archE908ELNS1_3gpuE7ELNS1_3repE0EEENS1_30default_config_static_selectorELNS0_4arch9wavefront6targetE0EEEvSW_
	.p2align	8
	.type	_ZN7rocprim17ROCPRIM_400000_NS6detail17trampoline_kernelINS0_14default_configENS1_27upper_bound_config_selectorIylEEZNS1_14transform_implILb0ES3_S5_N6thrust23THRUST_200600_302600_NS6detail15normal_iteratorINS8_7pointerIyNS8_11hip_rocprim5par_tENS8_11use_defaultESE_EEEENSA_INSB_IlSD_SE_SE_EEEEZNS1_13binary_searchIS3_S5_PySG_SI_NS1_21upper_bound_search_opENS9_16wrapped_functionINS8_6system6detail7generic6detail18binary_search_lessEbEEEE10hipError_tPvRmT1_T2_T3_mmT4_T5_P12ihipStream_tbEUlRKyE_EEST_SX_SY_mSZ_S12_bEUlT_E_NS1_11comp_targetILNS1_3genE3ELNS1_11target_archE908ELNS1_3gpuE7ELNS1_3repE0EEENS1_30default_config_static_selectorELNS0_4arch9wavefront6targetE0EEEvSW_,@function
_ZN7rocprim17ROCPRIM_400000_NS6detail17trampoline_kernelINS0_14default_configENS1_27upper_bound_config_selectorIylEEZNS1_14transform_implILb0ES3_S5_N6thrust23THRUST_200600_302600_NS6detail15normal_iteratorINS8_7pointerIyNS8_11hip_rocprim5par_tENS8_11use_defaultESE_EEEENSA_INSB_IlSD_SE_SE_EEEEZNS1_13binary_searchIS3_S5_PySG_SI_NS1_21upper_bound_search_opENS9_16wrapped_functionINS8_6system6detail7generic6detail18binary_search_lessEbEEEE10hipError_tPvRmT1_T2_T3_mmT4_T5_P12ihipStream_tbEUlRKyE_EEST_SX_SY_mSZ_S12_bEUlT_E_NS1_11comp_targetILNS1_3genE3ELNS1_11target_archE908ELNS1_3gpuE7ELNS1_3repE0EEENS1_30default_config_static_selectorELNS0_4arch9wavefront6targetE0EEEvSW_: ; @_ZN7rocprim17ROCPRIM_400000_NS6detail17trampoline_kernelINS0_14default_configENS1_27upper_bound_config_selectorIylEEZNS1_14transform_implILb0ES3_S5_N6thrust23THRUST_200600_302600_NS6detail15normal_iteratorINS8_7pointerIyNS8_11hip_rocprim5par_tENS8_11use_defaultESE_EEEENSA_INSB_IlSD_SE_SE_EEEEZNS1_13binary_searchIS3_S5_PySG_SI_NS1_21upper_bound_search_opENS9_16wrapped_functionINS8_6system6detail7generic6detail18binary_search_lessEbEEEE10hipError_tPvRmT1_T2_T3_mmT4_T5_P12ihipStream_tbEUlRKyE_EEST_SX_SY_mSZ_S12_bEUlT_E_NS1_11comp_targetILNS1_3genE3ELNS1_11target_archE908ELNS1_3gpuE7ELNS1_3repE0EEENS1_30default_config_static_selectorELNS0_4arch9wavefront6targetE0EEEvSW_
; %bb.0:
	.section	.rodata,"a",@progbits
	.p2align	6, 0x0
	.amdhsa_kernel _ZN7rocprim17ROCPRIM_400000_NS6detail17trampoline_kernelINS0_14default_configENS1_27upper_bound_config_selectorIylEEZNS1_14transform_implILb0ES3_S5_N6thrust23THRUST_200600_302600_NS6detail15normal_iteratorINS8_7pointerIyNS8_11hip_rocprim5par_tENS8_11use_defaultESE_EEEENSA_INSB_IlSD_SE_SE_EEEEZNS1_13binary_searchIS3_S5_PySG_SI_NS1_21upper_bound_search_opENS9_16wrapped_functionINS8_6system6detail7generic6detail18binary_search_lessEbEEEE10hipError_tPvRmT1_T2_T3_mmT4_T5_P12ihipStream_tbEUlRKyE_EEST_SX_SY_mSZ_S12_bEUlT_E_NS1_11comp_targetILNS1_3genE3ELNS1_11target_archE908ELNS1_3gpuE7ELNS1_3repE0EEENS1_30default_config_static_selectorELNS0_4arch9wavefront6targetE0EEEvSW_
		.amdhsa_group_segment_fixed_size 0
		.amdhsa_private_segment_fixed_size 0
		.amdhsa_kernarg_size 56
		.amdhsa_user_sgpr_count 6
		.amdhsa_user_sgpr_private_segment_buffer 1
		.amdhsa_user_sgpr_dispatch_ptr 0
		.amdhsa_user_sgpr_queue_ptr 0
		.amdhsa_user_sgpr_kernarg_segment_ptr 1
		.amdhsa_user_sgpr_dispatch_id 0
		.amdhsa_user_sgpr_flat_scratch_init 0
		.amdhsa_user_sgpr_private_segment_size 0
		.amdhsa_wavefront_size32 1
		.amdhsa_uses_dynamic_stack 0
		.amdhsa_system_sgpr_private_segment_wavefront_offset 0
		.amdhsa_system_sgpr_workgroup_id_x 1
		.amdhsa_system_sgpr_workgroup_id_y 0
		.amdhsa_system_sgpr_workgroup_id_z 0
		.amdhsa_system_sgpr_workgroup_info 0
		.amdhsa_system_vgpr_workitem_id 0
		.amdhsa_next_free_vgpr 1
		.amdhsa_next_free_sgpr 1
		.amdhsa_reserve_vcc 0
		.amdhsa_reserve_flat_scratch 0
		.amdhsa_float_round_mode_32 0
		.amdhsa_float_round_mode_16_64 0
		.amdhsa_float_denorm_mode_32 3
		.amdhsa_float_denorm_mode_16_64 3
		.amdhsa_dx10_clamp 1
		.amdhsa_ieee_mode 1
		.amdhsa_fp16_overflow 0
		.amdhsa_workgroup_processor_mode 1
		.amdhsa_memory_ordered 1
		.amdhsa_forward_progress 1
		.amdhsa_shared_vgpr_count 0
		.amdhsa_exception_fp_ieee_invalid_op 0
		.amdhsa_exception_fp_denorm_src 0
		.amdhsa_exception_fp_ieee_div_zero 0
		.amdhsa_exception_fp_ieee_overflow 0
		.amdhsa_exception_fp_ieee_underflow 0
		.amdhsa_exception_fp_ieee_inexact 0
		.amdhsa_exception_int_div_zero 0
	.end_amdhsa_kernel
	.section	.text._ZN7rocprim17ROCPRIM_400000_NS6detail17trampoline_kernelINS0_14default_configENS1_27upper_bound_config_selectorIylEEZNS1_14transform_implILb0ES3_S5_N6thrust23THRUST_200600_302600_NS6detail15normal_iteratorINS8_7pointerIyNS8_11hip_rocprim5par_tENS8_11use_defaultESE_EEEENSA_INSB_IlSD_SE_SE_EEEEZNS1_13binary_searchIS3_S5_PySG_SI_NS1_21upper_bound_search_opENS9_16wrapped_functionINS8_6system6detail7generic6detail18binary_search_lessEbEEEE10hipError_tPvRmT1_T2_T3_mmT4_T5_P12ihipStream_tbEUlRKyE_EEST_SX_SY_mSZ_S12_bEUlT_E_NS1_11comp_targetILNS1_3genE3ELNS1_11target_archE908ELNS1_3gpuE7ELNS1_3repE0EEENS1_30default_config_static_selectorELNS0_4arch9wavefront6targetE0EEEvSW_,"axG",@progbits,_ZN7rocprim17ROCPRIM_400000_NS6detail17trampoline_kernelINS0_14default_configENS1_27upper_bound_config_selectorIylEEZNS1_14transform_implILb0ES3_S5_N6thrust23THRUST_200600_302600_NS6detail15normal_iteratorINS8_7pointerIyNS8_11hip_rocprim5par_tENS8_11use_defaultESE_EEEENSA_INSB_IlSD_SE_SE_EEEEZNS1_13binary_searchIS3_S5_PySG_SI_NS1_21upper_bound_search_opENS9_16wrapped_functionINS8_6system6detail7generic6detail18binary_search_lessEbEEEE10hipError_tPvRmT1_T2_T3_mmT4_T5_P12ihipStream_tbEUlRKyE_EEST_SX_SY_mSZ_S12_bEUlT_E_NS1_11comp_targetILNS1_3genE3ELNS1_11target_archE908ELNS1_3gpuE7ELNS1_3repE0EEENS1_30default_config_static_selectorELNS0_4arch9wavefront6targetE0EEEvSW_,comdat
.Lfunc_end185:
	.size	_ZN7rocprim17ROCPRIM_400000_NS6detail17trampoline_kernelINS0_14default_configENS1_27upper_bound_config_selectorIylEEZNS1_14transform_implILb0ES3_S5_N6thrust23THRUST_200600_302600_NS6detail15normal_iteratorINS8_7pointerIyNS8_11hip_rocprim5par_tENS8_11use_defaultESE_EEEENSA_INSB_IlSD_SE_SE_EEEEZNS1_13binary_searchIS3_S5_PySG_SI_NS1_21upper_bound_search_opENS9_16wrapped_functionINS8_6system6detail7generic6detail18binary_search_lessEbEEEE10hipError_tPvRmT1_T2_T3_mmT4_T5_P12ihipStream_tbEUlRKyE_EEST_SX_SY_mSZ_S12_bEUlT_E_NS1_11comp_targetILNS1_3genE3ELNS1_11target_archE908ELNS1_3gpuE7ELNS1_3repE0EEENS1_30default_config_static_selectorELNS0_4arch9wavefront6targetE0EEEvSW_, .Lfunc_end185-_ZN7rocprim17ROCPRIM_400000_NS6detail17trampoline_kernelINS0_14default_configENS1_27upper_bound_config_selectorIylEEZNS1_14transform_implILb0ES3_S5_N6thrust23THRUST_200600_302600_NS6detail15normal_iteratorINS8_7pointerIyNS8_11hip_rocprim5par_tENS8_11use_defaultESE_EEEENSA_INSB_IlSD_SE_SE_EEEEZNS1_13binary_searchIS3_S5_PySG_SI_NS1_21upper_bound_search_opENS9_16wrapped_functionINS8_6system6detail7generic6detail18binary_search_lessEbEEEE10hipError_tPvRmT1_T2_T3_mmT4_T5_P12ihipStream_tbEUlRKyE_EEST_SX_SY_mSZ_S12_bEUlT_E_NS1_11comp_targetILNS1_3genE3ELNS1_11target_archE908ELNS1_3gpuE7ELNS1_3repE0EEENS1_30default_config_static_selectorELNS0_4arch9wavefront6targetE0EEEvSW_
                                        ; -- End function
	.set _ZN7rocprim17ROCPRIM_400000_NS6detail17trampoline_kernelINS0_14default_configENS1_27upper_bound_config_selectorIylEEZNS1_14transform_implILb0ES3_S5_N6thrust23THRUST_200600_302600_NS6detail15normal_iteratorINS8_7pointerIyNS8_11hip_rocprim5par_tENS8_11use_defaultESE_EEEENSA_INSB_IlSD_SE_SE_EEEEZNS1_13binary_searchIS3_S5_PySG_SI_NS1_21upper_bound_search_opENS9_16wrapped_functionINS8_6system6detail7generic6detail18binary_search_lessEbEEEE10hipError_tPvRmT1_T2_T3_mmT4_T5_P12ihipStream_tbEUlRKyE_EEST_SX_SY_mSZ_S12_bEUlT_E_NS1_11comp_targetILNS1_3genE3ELNS1_11target_archE908ELNS1_3gpuE7ELNS1_3repE0EEENS1_30default_config_static_selectorELNS0_4arch9wavefront6targetE0EEEvSW_.num_vgpr, 0
	.set _ZN7rocprim17ROCPRIM_400000_NS6detail17trampoline_kernelINS0_14default_configENS1_27upper_bound_config_selectorIylEEZNS1_14transform_implILb0ES3_S5_N6thrust23THRUST_200600_302600_NS6detail15normal_iteratorINS8_7pointerIyNS8_11hip_rocprim5par_tENS8_11use_defaultESE_EEEENSA_INSB_IlSD_SE_SE_EEEEZNS1_13binary_searchIS3_S5_PySG_SI_NS1_21upper_bound_search_opENS9_16wrapped_functionINS8_6system6detail7generic6detail18binary_search_lessEbEEEE10hipError_tPvRmT1_T2_T3_mmT4_T5_P12ihipStream_tbEUlRKyE_EEST_SX_SY_mSZ_S12_bEUlT_E_NS1_11comp_targetILNS1_3genE3ELNS1_11target_archE908ELNS1_3gpuE7ELNS1_3repE0EEENS1_30default_config_static_selectorELNS0_4arch9wavefront6targetE0EEEvSW_.num_agpr, 0
	.set _ZN7rocprim17ROCPRIM_400000_NS6detail17trampoline_kernelINS0_14default_configENS1_27upper_bound_config_selectorIylEEZNS1_14transform_implILb0ES3_S5_N6thrust23THRUST_200600_302600_NS6detail15normal_iteratorINS8_7pointerIyNS8_11hip_rocprim5par_tENS8_11use_defaultESE_EEEENSA_INSB_IlSD_SE_SE_EEEEZNS1_13binary_searchIS3_S5_PySG_SI_NS1_21upper_bound_search_opENS9_16wrapped_functionINS8_6system6detail7generic6detail18binary_search_lessEbEEEE10hipError_tPvRmT1_T2_T3_mmT4_T5_P12ihipStream_tbEUlRKyE_EEST_SX_SY_mSZ_S12_bEUlT_E_NS1_11comp_targetILNS1_3genE3ELNS1_11target_archE908ELNS1_3gpuE7ELNS1_3repE0EEENS1_30default_config_static_selectorELNS0_4arch9wavefront6targetE0EEEvSW_.numbered_sgpr, 0
	.set _ZN7rocprim17ROCPRIM_400000_NS6detail17trampoline_kernelINS0_14default_configENS1_27upper_bound_config_selectorIylEEZNS1_14transform_implILb0ES3_S5_N6thrust23THRUST_200600_302600_NS6detail15normal_iteratorINS8_7pointerIyNS8_11hip_rocprim5par_tENS8_11use_defaultESE_EEEENSA_INSB_IlSD_SE_SE_EEEEZNS1_13binary_searchIS3_S5_PySG_SI_NS1_21upper_bound_search_opENS9_16wrapped_functionINS8_6system6detail7generic6detail18binary_search_lessEbEEEE10hipError_tPvRmT1_T2_T3_mmT4_T5_P12ihipStream_tbEUlRKyE_EEST_SX_SY_mSZ_S12_bEUlT_E_NS1_11comp_targetILNS1_3genE3ELNS1_11target_archE908ELNS1_3gpuE7ELNS1_3repE0EEENS1_30default_config_static_selectorELNS0_4arch9wavefront6targetE0EEEvSW_.num_named_barrier, 0
	.set _ZN7rocprim17ROCPRIM_400000_NS6detail17trampoline_kernelINS0_14default_configENS1_27upper_bound_config_selectorIylEEZNS1_14transform_implILb0ES3_S5_N6thrust23THRUST_200600_302600_NS6detail15normal_iteratorINS8_7pointerIyNS8_11hip_rocprim5par_tENS8_11use_defaultESE_EEEENSA_INSB_IlSD_SE_SE_EEEEZNS1_13binary_searchIS3_S5_PySG_SI_NS1_21upper_bound_search_opENS9_16wrapped_functionINS8_6system6detail7generic6detail18binary_search_lessEbEEEE10hipError_tPvRmT1_T2_T3_mmT4_T5_P12ihipStream_tbEUlRKyE_EEST_SX_SY_mSZ_S12_bEUlT_E_NS1_11comp_targetILNS1_3genE3ELNS1_11target_archE908ELNS1_3gpuE7ELNS1_3repE0EEENS1_30default_config_static_selectorELNS0_4arch9wavefront6targetE0EEEvSW_.private_seg_size, 0
	.set _ZN7rocprim17ROCPRIM_400000_NS6detail17trampoline_kernelINS0_14default_configENS1_27upper_bound_config_selectorIylEEZNS1_14transform_implILb0ES3_S5_N6thrust23THRUST_200600_302600_NS6detail15normal_iteratorINS8_7pointerIyNS8_11hip_rocprim5par_tENS8_11use_defaultESE_EEEENSA_INSB_IlSD_SE_SE_EEEEZNS1_13binary_searchIS3_S5_PySG_SI_NS1_21upper_bound_search_opENS9_16wrapped_functionINS8_6system6detail7generic6detail18binary_search_lessEbEEEE10hipError_tPvRmT1_T2_T3_mmT4_T5_P12ihipStream_tbEUlRKyE_EEST_SX_SY_mSZ_S12_bEUlT_E_NS1_11comp_targetILNS1_3genE3ELNS1_11target_archE908ELNS1_3gpuE7ELNS1_3repE0EEENS1_30default_config_static_selectorELNS0_4arch9wavefront6targetE0EEEvSW_.uses_vcc, 0
	.set _ZN7rocprim17ROCPRIM_400000_NS6detail17trampoline_kernelINS0_14default_configENS1_27upper_bound_config_selectorIylEEZNS1_14transform_implILb0ES3_S5_N6thrust23THRUST_200600_302600_NS6detail15normal_iteratorINS8_7pointerIyNS8_11hip_rocprim5par_tENS8_11use_defaultESE_EEEENSA_INSB_IlSD_SE_SE_EEEEZNS1_13binary_searchIS3_S5_PySG_SI_NS1_21upper_bound_search_opENS9_16wrapped_functionINS8_6system6detail7generic6detail18binary_search_lessEbEEEE10hipError_tPvRmT1_T2_T3_mmT4_T5_P12ihipStream_tbEUlRKyE_EEST_SX_SY_mSZ_S12_bEUlT_E_NS1_11comp_targetILNS1_3genE3ELNS1_11target_archE908ELNS1_3gpuE7ELNS1_3repE0EEENS1_30default_config_static_selectorELNS0_4arch9wavefront6targetE0EEEvSW_.uses_flat_scratch, 0
	.set _ZN7rocprim17ROCPRIM_400000_NS6detail17trampoline_kernelINS0_14default_configENS1_27upper_bound_config_selectorIylEEZNS1_14transform_implILb0ES3_S5_N6thrust23THRUST_200600_302600_NS6detail15normal_iteratorINS8_7pointerIyNS8_11hip_rocprim5par_tENS8_11use_defaultESE_EEEENSA_INSB_IlSD_SE_SE_EEEEZNS1_13binary_searchIS3_S5_PySG_SI_NS1_21upper_bound_search_opENS9_16wrapped_functionINS8_6system6detail7generic6detail18binary_search_lessEbEEEE10hipError_tPvRmT1_T2_T3_mmT4_T5_P12ihipStream_tbEUlRKyE_EEST_SX_SY_mSZ_S12_bEUlT_E_NS1_11comp_targetILNS1_3genE3ELNS1_11target_archE908ELNS1_3gpuE7ELNS1_3repE0EEENS1_30default_config_static_selectorELNS0_4arch9wavefront6targetE0EEEvSW_.has_dyn_sized_stack, 0
	.set _ZN7rocprim17ROCPRIM_400000_NS6detail17trampoline_kernelINS0_14default_configENS1_27upper_bound_config_selectorIylEEZNS1_14transform_implILb0ES3_S5_N6thrust23THRUST_200600_302600_NS6detail15normal_iteratorINS8_7pointerIyNS8_11hip_rocprim5par_tENS8_11use_defaultESE_EEEENSA_INSB_IlSD_SE_SE_EEEEZNS1_13binary_searchIS3_S5_PySG_SI_NS1_21upper_bound_search_opENS9_16wrapped_functionINS8_6system6detail7generic6detail18binary_search_lessEbEEEE10hipError_tPvRmT1_T2_T3_mmT4_T5_P12ihipStream_tbEUlRKyE_EEST_SX_SY_mSZ_S12_bEUlT_E_NS1_11comp_targetILNS1_3genE3ELNS1_11target_archE908ELNS1_3gpuE7ELNS1_3repE0EEENS1_30default_config_static_selectorELNS0_4arch9wavefront6targetE0EEEvSW_.has_recursion, 0
	.set _ZN7rocprim17ROCPRIM_400000_NS6detail17trampoline_kernelINS0_14default_configENS1_27upper_bound_config_selectorIylEEZNS1_14transform_implILb0ES3_S5_N6thrust23THRUST_200600_302600_NS6detail15normal_iteratorINS8_7pointerIyNS8_11hip_rocprim5par_tENS8_11use_defaultESE_EEEENSA_INSB_IlSD_SE_SE_EEEEZNS1_13binary_searchIS3_S5_PySG_SI_NS1_21upper_bound_search_opENS9_16wrapped_functionINS8_6system6detail7generic6detail18binary_search_lessEbEEEE10hipError_tPvRmT1_T2_T3_mmT4_T5_P12ihipStream_tbEUlRKyE_EEST_SX_SY_mSZ_S12_bEUlT_E_NS1_11comp_targetILNS1_3genE3ELNS1_11target_archE908ELNS1_3gpuE7ELNS1_3repE0EEENS1_30default_config_static_selectorELNS0_4arch9wavefront6targetE0EEEvSW_.has_indirect_call, 0
	.section	.AMDGPU.csdata,"",@progbits
; Kernel info:
; codeLenInByte = 0
; TotalNumSgprs: 0
; NumVgprs: 0
; ScratchSize: 0
; MemoryBound: 0
; FloatMode: 240
; IeeeMode: 1
; LDSByteSize: 0 bytes/workgroup (compile time only)
; SGPRBlocks: 0
; VGPRBlocks: 0
; NumSGPRsForWavesPerEU: 1
; NumVGPRsForWavesPerEU: 1
; Occupancy: 16
; WaveLimiterHint : 0
; COMPUTE_PGM_RSRC2:SCRATCH_EN: 0
; COMPUTE_PGM_RSRC2:USER_SGPR: 6
; COMPUTE_PGM_RSRC2:TRAP_HANDLER: 0
; COMPUTE_PGM_RSRC2:TGID_X_EN: 1
; COMPUTE_PGM_RSRC2:TGID_Y_EN: 0
; COMPUTE_PGM_RSRC2:TGID_Z_EN: 0
; COMPUTE_PGM_RSRC2:TIDIG_COMP_CNT: 0
	.section	.text._ZN7rocprim17ROCPRIM_400000_NS6detail17trampoline_kernelINS0_14default_configENS1_27upper_bound_config_selectorIylEEZNS1_14transform_implILb0ES3_S5_N6thrust23THRUST_200600_302600_NS6detail15normal_iteratorINS8_7pointerIyNS8_11hip_rocprim5par_tENS8_11use_defaultESE_EEEENSA_INSB_IlSD_SE_SE_EEEEZNS1_13binary_searchIS3_S5_PySG_SI_NS1_21upper_bound_search_opENS9_16wrapped_functionINS8_6system6detail7generic6detail18binary_search_lessEbEEEE10hipError_tPvRmT1_T2_T3_mmT4_T5_P12ihipStream_tbEUlRKyE_EEST_SX_SY_mSZ_S12_bEUlT_E_NS1_11comp_targetILNS1_3genE2ELNS1_11target_archE906ELNS1_3gpuE6ELNS1_3repE0EEENS1_30default_config_static_selectorELNS0_4arch9wavefront6targetE0EEEvSW_,"axG",@progbits,_ZN7rocprim17ROCPRIM_400000_NS6detail17trampoline_kernelINS0_14default_configENS1_27upper_bound_config_selectorIylEEZNS1_14transform_implILb0ES3_S5_N6thrust23THRUST_200600_302600_NS6detail15normal_iteratorINS8_7pointerIyNS8_11hip_rocprim5par_tENS8_11use_defaultESE_EEEENSA_INSB_IlSD_SE_SE_EEEEZNS1_13binary_searchIS3_S5_PySG_SI_NS1_21upper_bound_search_opENS9_16wrapped_functionINS8_6system6detail7generic6detail18binary_search_lessEbEEEE10hipError_tPvRmT1_T2_T3_mmT4_T5_P12ihipStream_tbEUlRKyE_EEST_SX_SY_mSZ_S12_bEUlT_E_NS1_11comp_targetILNS1_3genE2ELNS1_11target_archE906ELNS1_3gpuE6ELNS1_3repE0EEENS1_30default_config_static_selectorELNS0_4arch9wavefront6targetE0EEEvSW_,comdat
	.protected	_ZN7rocprim17ROCPRIM_400000_NS6detail17trampoline_kernelINS0_14default_configENS1_27upper_bound_config_selectorIylEEZNS1_14transform_implILb0ES3_S5_N6thrust23THRUST_200600_302600_NS6detail15normal_iteratorINS8_7pointerIyNS8_11hip_rocprim5par_tENS8_11use_defaultESE_EEEENSA_INSB_IlSD_SE_SE_EEEEZNS1_13binary_searchIS3_S5_PySG_SI_NS1_21upper_bound_search_opENS9_16wrapped_functionINS8_6system6detail7generic6detail18binary_search_lessEbEEEE10hipError_tPvRmT1_T2_T3_mmT4_T5_P12ihipStream_tbEUlRKyE_EEST_SX_SY_mSZ_S12_bEUlT_E_NS1_11comp_targetILNS1_3genE2ELNS1_11target_archE906ELNS1_3gpuE6ELNS1_3repE0EEENS1_30default_config_static_selectorELNS0_4arch9wavefront6targetE0EEEvSW_ ; -- Begin function _ZN7rocprim17ROCPRIM_400000_NS6detail17trampoline_kernelINS0_14default_configENS1_27upper_bound_config_selectorIylEEZNS1_14transform_implILb0ES3_S5_N6thrust23THRUST_200600_302600_NS6detail15normal_iteratorINS8_7pointerIyNS8_11hip_rocprim5par_tENS8_11use_defaultESE_EEEENSA_INSB_IlSD_SE_SE_EEEEZNS1_13binary_searchIS3_S5_PySG_SI_NS1_21upper_bound_search_opENS9_16wrapped_functionINS8_6system6detail7generic6detail18binary_search_lessEbEEEE10hipError_tPvRmT1_T2_T3_mmT4_T5_P12ihipStream_tbEUlRKyE_EEST_SX_SY_mSZ_S12_bEUlT_E_NS1_11comp_targetILNS1_3genE2ELNS1_11target_archE906ELNS1_3gpuE6ELNS1_3repE0EEENS1_30default_config_static_selectorELNS0_4arch9wavefront6targetE0EEEvSW_
	.globl	_ZN7rocprim17ROCPRIM_400000_NS6detail17trampoline_kernelINS0_14default_configENS1_27upper_bound_config_selectorIylEEZNS1_14transform_implILb0ES3_S5_N6thrust23THRUST_200600_302600_NS6detail15normal_iteratorINS8_7pointerIyNS8_11hip_rocprim5par_tENS8_11use_defaultESE_EEEENSA_INSB_IlSD_SE_SE_EEEEZNS1_13binary_searchIS3_S5_PySG_SI_NS1_21upper_bound_search_opENS9_16wrapped_functionINS8_6system6detail7generic6detail18binary_search_lessEbEEEE10hipError_tPvRmT1_T2_T3_mmT4_T5_P12ihipStream_tbEUlRKyE_EEST_SX_SY_mSZ_S12_bEUlT_E_NS1_11comp_targetILNS1_3genE2ELNS1_11target_archE906ELNS1_3gpuE6ELNS1_3repE0EEENS1_30default_config_static_selectorELNS0_4arch9wavefront6targetE0EEEvSW_
	.p2align	8
	.type	_ZN7rocprim17ROCPRIM_400000_NS6detail17trampoline_kernelINS0_14default_configENS1_27upper_bound_config_selectorIylEEZNS1_14transform_implILb0ES3_S5_N6thrust23THRUST_200600_302600_NS6detail15normal_iteratorINS8_7pointerIyNS8_11hip_rocprim5par_tENS8_11use_defaultESE_EEEENSA_INSB_IlSD_SE_SE_EEEEZNS1_13binary_searchIS3_S5_PySG_SI_NS1_21upper_bound_search_opENS9_16wrapped_functionINS8_6system6detail7generic6detail18binary_search_lessEbEEEE10hipError_tPvRmT1_T2_T3_mmT4_T5_P12ihipStream_tbEUlRKyE_EEST_SX_SY_mSZ_S12_bEUlT_E_NS1_11comp_targetILNS1_3genE2ELNS1_11target_archE906ELNS1_3gpuE6ELNS1_3repE0EEENS1_30default_config_static_selectorELNS0_4arch9wavefront6targetE0EEEvSW_,@function
_ZN7rocprim17ROCPRIM_400000_NS6detail17trampoline_kernelINS0_14default_configENS1_27upper_bound_config_selectorIylEEZNS1_14transform_implILb0ES3_S5_N6thrust23THRUST_200600_302600_NS6detail15normal_iteratorINS8_7pointerIyNS8_11hip_rocprim5par_tENS8_11use_defaultESE_EEEENSA_INSB_IlSD_SE_SE_EEEEZNS1_13binary_searchIS3_S5_PySG_SI_NS1_21upper_bound_search_opENS9_16wrapped_functionINS8_6system6detail7generic6detail18binary_search_lessEbEEEE10hipError_tPvRmT1_T2_T3_mmT4_T5_P12ihipStream_tbEUlRKyE_EEST_SX_SY_mSZ_S12_bEUlT_E_NS1_11comp_targetILNS1_3genE2ELNS1_11target_archE906ELNS1_3gpuE6ELNS1_3repE0EEENS1_30default_config_static_selectorELNS0_4arch9wavefront6targetE0EEEvSW_: ; @_ZN7rocprim17ROCPRIM_400000_NS6detail17trampoline_kernelINS0_14default_configENS1_27upper_bound_config_selectorIylEEZNS1_14transform_implILb0ES3_S5_N6thrust23THRUST_200600_302600_NS6detail15normal_iteratorINS8_7pointerIyNS8_11hip_rocprim5par_tENS8_11use_defaultESE_EEEENSA_INSB_IlSD_SE_SE_EEEEZNS1_13binary_searchIS3_S5_PySG_SI_NS1_21upper_bound_search_opENS9_16wrapped_functionINS8_6system6detail7generic6detail18binary_search_lessEbEEEE10hipError_tPvRmT1_T2_T3_mmT4_T5_P12ihipStream_tbEUlRKyE_EEST_SX_SY_mSZ_S12_bEUlT_E_NS1_11comp_targetILNS1_3genE2ELNS1_11target_archE906ELNS1_3gpuE6ELNS1_3repE0EEENS1_30default_config_static_selectorELNS0_4arch9wavefront6targetE0EEEvSW_
; %bb.0:
	.section	.rodata,"a",@progbits
	.p2align	6, 0x0
	.amdhsa_kernel _ZN7rocprim17ROCPRIM_400000_NS6detail17trampoline_kernelINS0_14default_configENS1_27upper_bound_config_selectorIylEEZNS1_14transform_implILb0ES3_S5_N6thrust23THRUST_200600_302600_NS6detail15normal_iteratorINS8_7pointerIyNS8_11hip_rocprim5par_tENS8_11use_defaultESE_EEEENSA_INSB_IlSD_SE_SE_EEEEZNS1_13binary_searchIS3_S5_PySG_SI_NS1_21upper_bound_search_opENS9_16wrapped_functionINS8_6system6detail7generic6detail18binary_search_lessEbEEEE10hipError_tPvRmT1_T2_T3_mmT4_T5_P12ihipStream_tbEUlRKyE_EEST_SX_SY_mSZ_S12_bEUlT_E_NS1_11comp_targetILNS1_3genE2ELNS1_11target_archE906ELNS1_3gpuE6ELNS1_3repE0EEENS1_30default_config_static_selectorELNS0_4arch9wavefront6targetE0EEEvSW_
		.amdhsa_group_segment_fixed_size 0
		.amdhsa_private_segment_fixed_size 0
		.amdhsa_kernarg_size 56
		.amdhsa_user_sgpr_count 6
		.amdhsa_user_sgpr_private_segment_buffer 1
		.amdhsa_user_sgpr_dispatch_ptr 0
		.amdhsa_user_sgpr_queue_ptr 0
		.amdhsa_user_sgpr_kernarg_segment_ptr 1
		.amdhsa_user_sgpr_dispatch_id 0
		.amdhsa_user_sgpr_flat_scratch_init 0
		.amdhsa_user_sgpr_private_segment_size 0
		.amdhsa_wavefront_size32 1
		.amdhsa_uses_dynamic_stack 0
		.amdhsa_system_sgpr_private_segment_wavefront_offset 0
		.amdhsa_system_sgpr_workgroup_id_x 1
		.amdhsa_system_sgpr_workgroup_id_y 0
		.amdhsa_system_sgpr_workgroup_id_z 0
		.amdhsa_system_sgpr_workgroup_info 0
		.amdhsa_system_vgpr_workitem_id 0
		.amdhsa_next_free_vgpr 1
		.amdhsa_next_free_sgpr 1
		.amdhsa_reserve_vcc 0
		.amdhsa_reserve_flat_scratch 0
		.amdhsa_float_round_mode_32 0
		.amdhsa_float_round_mode_16_64 0
		.amdhsa_float_denorm_mode_32 3
		.amdhsa_float_denorm_mode_16_64 3
		.amdhsa_dx10_clamp 1
		.amdhsa_ieee_mode 1
		.amdhsa_fp16_overflow 0
		.amdhsa_workgroup_processor_mode 1
		.amdhsa_memory_ordered 1
		.amdhsa_forward_progress 1
		.amdhsa_shared_vgpr_count 0
		.amdhsa_exception_fp_ieee_invalid_op 0
		.amdhsa_exception_fp_denorm_src 0
		.amdhsa_exception_fp_ieee_div_zero 0
		.amdhsa_exception_fp_ieee_overflow 0
		.amdhsa_exception_fp_ieee_underflow 0
		.amdhsa_exception_fp_ieee_inexact 0
		.amdhsa_exception_int_div_zero 0
	.end_amdhsa_kernel
	.section	.text._ZN7rocprim17ROCPRIM_400000_NS6detail17trampoline_kernelINS0_14default_configENS1_27upper_bound_config_selectorIylEEZNS1_14transform_implILb0ES3_S5_N6thrust23THRUST_200600_302600_NS6detail15normal_iteratorINS8_7pointerIyNS8_11hip_rocprim5par_tENS8_11use_defaultESE_EEEENSA_INSB_IlSD_SE_SE_EEEEZNS1_13binary_searchIS3_S5_PySG_SI_NS1_21upper_bound_search_opENS9_16wrapped_functionINS8_6system6detail7generic6detail18binary_search_lessEbEEEE10hipError_tPvRmT1_T2_T3_mmT4_T5_P12ihipStream_tbEUlRKyE_EEST_SX_SY_mSZ_S12_bEUlT_E_NS1_11comp_targetILNS1_3genE2ELNS1_11target_archE906ELNS1_3gpuE6ELNS1_3repE0EEENS1_30default_config_static_selectorELNS0_4arch9wavefront6targetE0EEEvSW_,"axG",@progbits,_ZN7rocprim17ROCPRIM_400000_NS6detail17trampoline_kernelINS0_14default_configENS1_27upper_bound_config_selectorIylEEZNS1_14transform_implILb0ES3_S5_N6thrust23THRUST_200600_302600_NS6detail15normal_iteratorINS8_7pointerIyNS8_11hip_rocprim5par_tENS8_11use_defaultESE_EEEENSA_INSB_IlSD_SE_SE_EEEEZNS1_13binary_searchIS3_S5_PySG_SI_NS1_21upper_bound_search_opENS9_16wrapped_functionINS8_6system6detail7generic6detail18binary_search_lessEbEEEE10hipError_tPvRmT1_T2_T3_mmT4_T5_P12ihipStream_tbEUlRKyE_EEST_SX_SY_mSZ_S12_bEUlT_E_NS1_11comp_targetILNS1_3genE2ELNS1_11target_archE906ELNS1_3gpuE6ELNS1_3repE0EEENS1_30default_config_static_selectorELNS0_4arch9wavefront6targetE0EEEvSW_,comdat
.Lfunc_end186:
	.size	_ZN7rocprim17ROCPRIM_400000_NS6detail17trampoline_kernelINS0_14default_configENS1_27upper_bound_config_selectorIylEEZNS1_14transform_implILb0ES3_S5_N6thrust23THRUST_200600_302600_NS6detail15normal_iteratorINS8_7pointerIyNS8_11hip_rocprim5par_tENS8_11use_defaultESE_EEEENSA_INSB_IlSD_SE_SE_EEEEZNS1_13binary_searchIS3_S5_PySG_SI_NS1_21upper_bound_search_opENS9_16wrapped_functionINS8_6system6detail7generic6detail18binary_search_lessEbEEEE10hipError_tPvRmT1_T2_T3_mmT4_T5_P12ihipStream_tbEUlRKyE_EEST_SX_SY_mSZ_S12_bEUlT_E_NS1_11comp_targetILNS1_3genE2ELNS1_11target_archE906ELNS1_3gpuE6ELNS1_3repE0EEENS1_30default_config_static_selectorELNS0_4arch9wavefront6targetE0EEEvSW_, .Lfunc_end186-_ZN7rocprim17ROCPRIM_400000_NS6detail17trampoline_kernelINS0_14default_configENS1_27upper_bound_config_selectorIylEEZNS1_14transform_implILb0ES3_S5_N6thrust23THRUST_200600_302600_NS6detail15normal_iteratorINS8_7pointerIyNS8_11hip_rocprim5par_tENS8_11use_defaultESE_EEEENSA_INSB_IlSD_SE_SE_EEEEZNS1_13binary_searchIS3_S5_PySG_SI_NS1_21upper_bound_search_opENS9_16wrapped_functionINS8_6system6detail7generic6detail18binary_search_lessEbEEEE10hipError_tPvRmT1_T2_T3_mmT4_T5_P12ihipStream_tbEUlRKyE_EEST_SX_SY_mSZ_S12_bEUlT_E_NS1_11comp_targetILNS1_3genE2ELNS1_11target_archE906ELNS1_3gpuE6ELNS1_3repE0EEENS1_30default_config_static_selectorELNS0_4arch9wavefront6targetE0EEEvSW_
                                        ; -- End function
	.set _ZN7rocprim17ROCPRIM_400000_NS6detail17trampoline_kernelINS0_14default_configENS1_27upper_bound_config_selectorIylEEZNS1_14transform_implILb0ES3_S5_N6thrust23THRUST_200600_302600_NS6detail15normal_iteratorINS8_7pointerIyNS8_11hip_rocprim5par_tENS8_11use_defaultESE_EEEENSA_INSB_IlSD_SE_SE_EEEEZNS1_13binary_searchIS3_S5_PySG_SI_NS1_21upper_bound_search_opENS9_16wrapped_functionINS8_6system6detail7generic6detail18binary_search_lessEbEEEE10hipError_tPvRmT1_T2_T3_mmT4_T5_P12ihipStream_tbEUlRKyE_EEST_SX_SY_mSZ_S12_bEUlT_E_NS1_11comp_targetILNS1_3genE2ELNS1_11target_archE906ELNS1_3gpuE6ELNS1_3repE0EEENS1_30default_config_static_selectorELNS0_4arch9wavefront6targetE0EEEvSW_.num_vgpr, 0
	.set _ZN7rocprim17ROCPRIM_400000_NS6detail17trampoline_kernelINS0_14default_configENS1_27upper_bound_config_selectorIylEEZNS1_14transform_implILb0ES3_S5_N6thrust23THRUST_200600_302600_NS6detail15normal_iteratorINS8_7pointerIyNS8_11hip_rocprim5par_tENS8_11use_defaultESE_EEEENSA_INSB_IlSD_SE_SE_EEEEZNS1_13binary_searchIS3_S5_PySG_SI_NS1_21upper_bound_search_opENS9_16wrapped_functionINS8_6system6detail7generic6detail18binary_search_lessEbEEEE10hipError_tPvRmT1_T2_T3_mmT4_T5_P12ihipStream_tbEUlRKyE_EEST_SX_SY_mSZ_S12_bEUlT_E_NS1_11comp_targetILNS1_3genE2ELNS1_11target_archE906ELNS1_3gpuE6ELNS1_3repE0EEENS1_30default_config_static_selectorELNS0_4arch9wavefront6targetE0EEEvSW_.num_agpr, 0
	.set _ZN7rocprim17ROCPRIM_400000_NS6detail17trampoline_kernelINS0_14default_configENS1_27upper_bound_config_selectorIylEEZNS1_14transform_implILb0ES3_S5_N6thrust23THRUST_200600_302600_NS6detail15normal_iteratorINS8_7pointerIyNS8_11hip_rocprim5par_tENS8_11use_defaultESE_EEEENSA_INSB_IlSD_SE_SE_EEEEZNS1_13binary_searchIS3_S5_PySG_SI_NS1_21upper_bound_search_opENS9_16wrapped_functionINS8_6system6detail7generic6detail18binary_search_lessEbEEEE10hipError_tPvRmT1_T2_T3_mmT4_T5_P12ihipStream_tbEUlRKyE_EEST_SX_SY_mSZ_S12_bEUlT_E_NS1_11comp_targetILNS1_3genE2ELNS1_11target_archE906ELNS1_3gpuE6ELNS1_3repE0EEENS1_30default_config_static_selectorELNS0_4arch9wavefront6targetE0EEEvSW_.numbered_sgpr, 0
	.set _ZN7rocprim17ROCPRIM_400000_NS6detail17trampoline_kernelINS0_14default_configENS1_27upper_bound_config_selectorIylEEZNS1_14transform_implILb0ES3_S5_N6thrust23THRUST_200600_302600_NS6detail15normal_iteratorINS8_7pointerIyNS8_11hip_rocprim5par_tENS8_11use_defaultESE_EEEENSA_INSB_IlSD_SE_SE_EEEEZNS1_13binary_searchIS3_S5_PySG_SI_NS1_21upper_bound_search_opENS9_16wrapped_functionINS8_6system6detail7generic6detail18binary_search_lessEbEEEE10hipError_tPvRmT1_T2_T3_mmT4_T5_P12ihipStream_tbEUlRKyE_EEST_SX_SY_mSZ_S12_bEUlT_E_NS1_11comp_targetILNS1_3genE2ELNS1_11target_archE906ELNS1_3gpuE6ELNS1_3repE0EEENS1_30default_config_static_selectorELNS0_4arch9wavefront6targetE0EEEvSW_.num_named_barrier, 0
	.set _ZN7rocprim17ROCPRIM_400000_NS6detail17trampoline_kernelINS0_14default_configENS1_27upper_bound_config_selectorIylEEZNS1_14transform_implILb0ES3_S5_N6thrust23THRUST_200600_302600_NS6detail15normal_iteratorINS8_7pointerIyNS8_11hip_rocprim5par_tENS8_11use_defaultESE_EEEENSA_INSB_IlSD_SE_SE_EEEEZNS1_13binary_searchIS3_S5_PySG_SI_NS1_21upper_bound_search_opENS9_16wrapped_functionINS8_6system6detail7generic6detail18binary_search_lessEbEEEE10hipError_tPvRmT1_T2_T3_mmT4_T5_P12ihipStream_tbEUlRKyE_EEST_SX_SY_mSZ_S12_bEUlT_E_NS1_11comp_targetILNS1_3genE2ELNS1_11target_archE906ELNS1_3gpuE6ELNS1_3repE0EEENS1_30default_config_static_selectorELNS0_4arch9wavefront6targetE0EEEvSW_.private_seg_size, 0
	.set _ZN7rocprim17ROCPRIM_400000_NS6detail17trampoline_kernelINS0_14default_configENS1_27upper_bound_config_selectorIylEEZNS1_14transform_implILb0ES3_S5_N6thrust23THRUST_200600_302600_NS6detail15normal_iteratorINS8_7pointerIyNS8_11hip_rocprim5par_tENS8_11use_defaultESE_EEEENSA_INSB_IlSD_SE_SE_EEEEZNS1_13binary_searchIS3_S5_PySG_SI_NS1_21upper_bound_search_opENS9_16wrapped_functionINS8_6system6detail7generic6detail18binary_search_lessEbEEEE10hipError_tPvRmT1_T2_T3_mmT4_T5_P12ihipStream_tbEUlRKyE_EEST_SX_SY_mSZ_S12_bEUlT_E_NS1_11comp_targetILNS1_3genE2ELNS1_11target_archE906ELNS1_3gpuE6ELNS1_3repE0EEENS1_30default_config_static_selectorELNS0_4arch9wavefront6targetE0EEEvSW_.uses_vcc, 0
	.set _ZN7rocprim17ROCPRIM_400000_NS6detail17trampoline_kernelINS0_14default_configENS1_27upper_bound_config_selectorIylEEZNS1_14transform_implILb0ES3_S5_N6thrust23THRUST_200600_302600_NS6detail15normal_iteratorINS8_7pointerIyNS8_11hip_rocprim5par_tENS8_11use_defaultESE_EEEENSA_INSB_IlSD_SE_SE_EEEEZNS1_13binary_searchIS3_S5_PySG_SI_NS1_21upper_bound_search_opENS9_16wrapped_functionINS8_6system6detail7generic6detail18binary_search_lessEbEEEE10hipError_tPvRmT1_T2_T3_mmT4_T5_P12ihipStream_tbEUlRKyE_EEST_SX_SY_mSZ_S12_bEUlT_E_NS1_11comp_targetILNS1_3genE2ELNS1_11target_archE906ELNS1_3gpuE6ELNS1_3repE0EEENS1_30default_config_static_selectorELNS0_4arch9wavefront6targetE0EEEvSW_.uses_flat_scratch, 0
	.set _ZN7rocprim17ROCPRIM_400000_NS6detail17trampoline_kernelINS0_14default_configENS1_27upper_bound_config_selectorIylEEZNS1_14transform_implILb0ES3_S5_N6thrust23THRUST_200600_302600_NS6detail15normal_iteratorINS8_7pointerIyNS8_11hip_rocprim5par_tENS8_11use_defaultESE_EEEENSA_INSB_IlSD_SE_SE_EEEEZNS1_13binary_searchIS3_S5_PySG_SI_NS1_21upper_bound_search_opENS9_16wrapped_functionINS8_6system6detail7generic6detail18binary_search_lessEbEEEE10hipError_tPvRmT1_T2_T3_mmT4_T5_P12ihipStream_tbEUlRKyE_EEST_SX_SY_mSZ_S12_bEUlT_E_NS1_11comp_targetILNS1_3genE2ELNS1_11target_archE906ELNS1_3gpuE6ELNS1_3repE0EEENS1_30default_config_static_selectorELNS0_4arch9wavefront6targetE0EEEvSW_.has_dyn_sized_stack, 0
	.set _ZN7rocprim17ROCPRIM_400000_NS6detail17trampoline_kernelINS0_14default_configENS1_27upper_bound_config_selectorIylEEZNS1_14transform_implILb0ES3_S5_N6thrust23THRUST_200600_302600_NS6detail15normal_iteratorINS8_7pointerIyNS8_11hip_rocprim5par_tENS8_11use_defaultESE_EEEENSA_INSB_IlSD_SE_SE_EEEEZNS1_13binary_searchIS3_S5_PySG_SI_NS1_21upper_bound_search_opENS9_16wrapped_functionINS8_6system6detail7generic6detail18binary_search_lessEbEEEE10hipError_tPvRmT1_T2_T3_mmT4_T5_P12ihipStream_tbEUlRKyE_EEST_SX_SY_mSZ_S12_bEUlT_E_NS1_11comp_targetILNS1_3genE2ELNS1_11target_archE906ELNS1_3gpuE6ELNS1_3repE0EEENS1_30default_config_static_selectorELNS0_4arch9wavefront6targetE0EEEvSW_.has_recursion, 0
	.set _ZN7rocprim17ROCPRIM_400000_NS6detail17trampoline_kernelINS0_14default_configENS1_27upper_bound_config_selectorIylEEZNS1_14transform_implILb0ES3_S5_N6thrust23THRUST_200600_302600_NS6detail15normal_iteratorINS8_7pointerIyNS8_11hip_rocprim5par_tENS8_11use_defaultESE_EEEENSA_INSB_IlSD_SE_SE_EEEEZNS1_13binary_searchIS3_S5_PySG_SI_NS1_21upper_bound_search_opENS9_16wrapped_functionINS8_6system6detail7generic6detail18binary_search_lessEbEEEE10hipError_tPvRmT1_T2_T3_mmT4_T5_P12ihipStream_tbEUlRKyE_EEST_SX_SY_mSZ_S12_bEUlT_E_NS1_11comp_targetILNS1_3genE2ELNS1_11target_archE906ELNS1_3gpuE6ELNS1_3repE0EEENS1_30default_config_static_selectorELNS0_4arch9wavefront6targetE0EEEvSW_.has_indirect_call, 0
	.section	.AMDGPU.csdata,"",@progbits
; Kernel info:
; codeLenInByte = 0
; TotalNumSgprs: 0
; NumVgprs: 0
; ScratchSize: 0
; MemoryBound: 0
; FloatMode: 240
; IeeeMode: 1
; LDSByteSize: 0 bytes/workgroup (compile time only)
; SGPRBlocks: 0
; VGPRBlocks: 0
; NumSGPRsForWavesPerEU: 1
; NumVGPRsForWavesPerEU: 1
; Occupancy: 16
; WaveLimiterHint : 0
; COMPUTE_PGM_RSRC2:SCRATCH_EN: 0
; COMPUTE_PGM_RSRC2:USER_SGPR: 6
; COMPUTE_PGM_RSRC2:TRAP_HANDLER: 0
; COMPUTE_PGM_RSRC2:TGID_X_EN: 1
; COMPUTE_PGM_RSRC2:TGID_Y_EN: 0
; COMPUTE_PGM_RSRC2:TGID_Z_EN: 0
; COMPUTE_PGM_RSRC2:TIDIG_COMP_CNT: 0
	.section	.text._ZN7rocprim17ROCPRIM_400000_NS6detail17trampoline_kernelINS0_14default_configENS1_27upper_bound_config_selectorIylEEZNS1_14transform_implILb0ES3_S5_N6thrust23THRUST_200600_302600_NS6detail15normal_iteratorINS8_7pointerIyNS8_11hip_rocprim5par_tENS8_11use_defaultESE_EEEENSA_INSB_IlSD_SE_SE_EEEEZNS1_13binary_searchIS3_S5_PySG_SI_NS1_21upper_bound_search_opENS9_16wrapped_functionINS8_6system6detail7generic6detail18binary_search_lessEbEEEE10hipError_tPvRmT1_T2_T3_mmT4_T5_P12ihipStream_tbEUlRKyE_EEST_SX_SY_mSZ_S12_bEUlT_E_NS1_11comp_targetILNS1_3genE10ELNS1_11target_archE1201ELNS1_3gpuE5ELNS1_3repE0EEENS1_30default_config_static_selectorELNS0_4arch9wavefront6targetE0EEEvSW_,"axG",@progbits,_ZN7rocprim17ROCPRIM_400000_NS6detail17trampoline_kernelINS0_14default_configENS1_27upper_bound_config_selectorIylEEZNS1_14transform_implILb0ES3_S5_N6thrust23THRUST_200600_302600_NS6detail15normal_iteratorINS8_7pointerIyNS8_11hip_rocprim5par_tENS8_11use_defaultESE_EEEENSA_INSB_IlSD_SE_SE_EEEEZNS1_13binary_searchIS3_S5_PySG_SI_NS1_21upper_bound_search_opENS9_16wrapped_functionINS8_6system6detail7generic6detail18binary_search_lessEbEEEE10hipError_tPvRmT1_T2_T3_mmT4_T5_P12ihipStream_tbEUlRKyE_EEST_SX_SY_mSZ_S12_bEUlT_E_NS1_11comp_targetILNS1_3genE10ELNS1_11target_archE1201ELNS1_3gpuE5ELNS1_3repE0EEENS1_30default_config_static_selectorELNS0_4arch9wavefront6targetE0EEEvSW_,comdat
	.protected	_ZN7rocprim17ROCPRIM_400000_NS6detail17trampoline_kernelINS0_14default_configENS1_27upper_bound_config_selectorIylEEZNS1_14transform_implILb0ES3_S5_N6thrust23THRUST_200600_302600_NS6detail15normal_iteratorINS8_7pointerIyNS8_11hip_rocprim5par_tENS8_11use_defaultESE_EEEENSA_INSB_IlSD_SE_SE_EEEEZNS1_13binary_searchIS3_S5_PySG_SI_NS1_21upper_bound_search_opENS9_16wrapped_functionINS8_6system6detail7generic6detail18binary_search_lessEbEEEE10hipError_tPvRmT1_T2_T3_mmT4_T5_P12ihipStream_tbEUlRKyE_EEST_SX_SY_mSZ_S12_bEUlT_E_NS1_11comp_targetILNS1_3genE10ELNS1_11target_archE1201ELNS1_3gpuE5ELNS1_3repE0EEENS1_30default_config_static_selectorELNS0_4arch9wavefront6targetE0EEEvSW_ ; -- Begin function _ZN7rocprim17ROCPRIM_400000_NS6detail17trampoline_kernelINS0_14default_configENS1_27upper_bound_config_selectorIylEEZNS1_14transform_implILb0ES3_S5_N6thrust23THRUST_200600_302600_NS6detail15normal_iteratorINS8_7pointerIyNS8_11hip_rocprim5par_tENS8_11use_defaultESE_EEEENSA_INSB_IlSD_SE_SE_EEEEZNS1_13binary_searchIS3_S5_PySG_SI_NS1_21upper_bound_search_opENS9_16wrapped_functionINS8_6system6detail7generic6detail18binary_search_lessEbEEEE10hipError_tPvRmT1_T2_T3_mmT4_T5_P12ihipStream_tbEUlRKyE_EEST_SX_SY_mSZ_S12_bEUlT_E_NS1_11comp_targetILNS1_3genE10ELNS1_11target_archE1201ELNS1_3gpuE5ELNS1_3repE0EEENS1_30default_config_static_selectorELNS0_4arch9wavefront6targetE0EEEvSW_
	.globl	_ZN7rocprim17ROCPRIM_400000_NS6detail17trampoline_kernelINS0_14default_configENS1_27upper_bound_config_selectorIylEEZNS1_14transform_implILb0ES3_S5_N6thrust23THRUST_200600_302600_NS6detail15normal_iteratorINS8_7pointerIyNS8_11hip_rocprim5par_tENS8_11use_defaultESE_EEEENSA_INSB_IlSD_SE_SE_EEEEZNS1_13binary_searchIS3_S5_PySG_SI_NS1_21upper_bound_search_opENS9_16wrapped_functionINS8_6system6detail7generic6detail18binary_search_lessEbEEEE10hipError_tPvRmT1_T2_T3_mmT4_T5_P12ihipStream_tbEUlRKyE_EEST_SX_SY_mSZ_S12_bEUlT_E_NS1_11comp_targetILNS1_3genE10ELNS1_11target_archE1201ELNS1_3gpuE5ELNS1_3repE0EEENS1_30default_config_static_selectorELNS0_4arch9wavefront6targetE0EEEvSW_
	.p2align	8
	.type	_ZN7rocprim17ROCPRIM_400000_NS6detail17trampoline_kernelINS0_14default_configENS1_27upper_bound_config_selectorIylEEZNS1_14transform_implILb0ES3_S5_N6thrust23THRUST_200600_302600_NS6detail15normal_iteratorINS8_7pointerIyNS8_11hip_rocprim5par_tENS8_11use_defaultESE_EEEENSA_INSB_IlSD_SE_SE_EEEEZNS1_13binary_searchIS3_S5_PySG_SI_NS1_21upper_bound_search_opENS9_16wrapped_functionINS8_6system6detail7generic6detail18binary_search_lessEbEEEE10hipError_tPvRmT1_T2_T3_mmT4_T5_P12ihipStream_tbEUlRKyE_EEST_SX_SY_mSZ_S12_bEUlT_E_NS1_11comp_targetILNS1_3genE10ELNS1_11target_archE1201ELNS1_3gpuE5ELNS1_3repE0EEENS1_30default_config_static_selectorELNS0_4arch9wavefront6targetE0EEEvSW_,@function
_ZN7rocprim17ROCPRIM_400000_NS6detail17trampoline_kernelINS0_14default_configENS1_27upper_bound_config_selectorIylEEZNS1_14transform_implILb0ES3_S5_N6thrust23THRUST_200600_302600_NS6detail15normal_iteratorINS8_7pointerIyNS8_11hip_rocprim5par_tENS8_11use_defaultESE_EEEENSA_INSB_IlSD_SE_SE_EEEEZNS1_13binary_searchIS3_S5_PySG_SI_NS1_21upper_bound_search_opENS9_16wrapped_functionINS8_6system6detail7generic6detail18binary_search_lessEbEEEE10hipError_tPvRmT1_T2_T3_mmT4_T5_P12ihipStream_tbEUlRKyE_EEST_SX_SY_mSZ_S12_bEUlT_E_NS1_11comp_targetILNS1_3genE10ELNS1_11target_archE1201ELNS1_3gpuE5ELNS1_3repE0EEENS1_30default_config_static_selectorELNS0_4arch9wavefront6targetE0EEEvSW_: ; @_ZN7rocprim17ROCPRIM_400000_NS6detail17trampoline_kernelINS0_14default_configENS1_27upper_bound_config_selectorIylEEZNS1_14transform_implILb0ES3_S5_N6thrust23THRUST_200600_302600_NS6detail15normal_iteratorINS8_7pointerIyNS8_11hip_rocprim5par_tENS8_11use_defaultESE_EEEENSA_INSB_IlSD_SE_SE_EEEEZNS1_13binary_searchIS3_S5_PySG_SI_NS1_21upper_bound_search_opENS9_16wrapped_functionINS8_6system6detail7generic6detail18binary_search_lessEbEEEE10hipError_tPvRmT1_T2_T3_mmT4_T5_P12ihipStream_tbEUlRKyE_EEST_SX_SY_mSZ_S12_bEUlT_E_NS1_11comp_targetILNS1_3genE10ELNS1_11target_archE1201ELNS1_3gpuE5ELNS1_3repE0EEENS1_30default_config_static_selectorELNS0_4arch9wavefront6targetE0EEEvSW_
; %bb.0:
	.section	.rodata,"a",@progbits
	.p2align	6, 0x0
	.amdhsa_kernel _ZN7rocprim17ROCPRIM_400000_NS6detail17trampoline_kernelINS0_14default_configENS1_27upper_bound_config_selectorIylEEZNS1_14transform_implILb0ES3_S5_N6thrust23THRUST_200600_302600_NS6detail15normal_iteratorINS8_7pointerIyNS8_11hip_rocprim5par_tENS8_11use_defaultESE_EEEENSA_INSB_IlSD_SE_SE_EEEEZNS1_13binary_searchIS3_S5_PySG_SI_NS1_21upper_bound_search_opENS9_16wrapped_functionINS8_6system6detail7generic6detail18binary_search_lessEbEEEE10hipError_tPvRmT1_T2_T3_mmT4_T5_P12ihipStream_tbEUlRKyE_EEST_SX_SY_mSZ_S12_bEUlT_E_NS1_11comp_targetILNS1_3genE10ELNS1_11target_archE1201ELNS1_3gpuE5ELNS1_3repE0EEENS1_30default_config_static_selectorELNS0_4arch9wavefront6targetE0EEEvSW_
		.amdhsa_group_segment_fixed_size 0
		.amdhsa_private_segment_fixed_size 0
		.amdhsa_kernarg_size 56
		.amdhsa_user_sgpr_count 6
		.amdhsa_user_sgpr_private_segment_buffer 1
		.amdhsa_user_sgpr_dispatch_ptr 0
		.amdhsa_user_sgpr_queue_ptr 0
		.amdhsa_user_sgpr_kernarg_segment_ptr 1
		.amdhsa_user_sgpr_dispatch_id 0
		.amdhsa_user_sgpr_flat_scratch_init 0
		.amdhsa_user_sgpr_private_segment_size 0
		.amdhsa_wavefront_size32 1
		.amdhsa_uses_dynamic_stack 0
		.amdhsa_system_sgpr_private_segment_wavefront_offset 0
		.amdhsa_system_sgpr_workgroup_id_x 1
		.amdhsa_system_sgpr_workgroup_id_y 0
		.amdhsa_system_sgpr_workgroup_id_z 0
		.amdhsa_system_sgpr_workgroup_info 0
		.amdhsa_system_vgpr_workitem_id 0
		.amdhsa_next_free_vgpr 1
		.amdhsa_next_free_sgpr 1
		.amdhsa_reserve_vcc 0
		.amdhsa_reserve_flat_scratch 0
		.amdhsa_float_round_mode_32 0
		.amdhsa_float_round_mode_16_64 0
		.amdhsa_float_denorm_mode_32 3
		.amdhsa_float_denorm_mode_16_64 3
		.amdhsa_dx10_clamp 1
		.amdhsa_ieee_mode 1
		.amdhsa_fp16_overflow 0
		.amdhsa_workgroup_processor_mode 1
		.amdhsa_memory_ordered 1
		.amdhsa_forward_progress 1
		.amdhsa_shared_vgpr_count 0
		.amdhsa_exception_fp_ieee_invalid_op 0
		.amdhsa_exception_fp_denorm_src 0
		.amdhsa_exception_fp_ieee_div_zero 0
		.amdhsa_exception_fp_ieee_overflow 0
		.amdhsa_exception_fp_ieee_underflow 0
		.amdhsa_exception_fp_ieee_inexact 0
		.amdhsa_exception_int_div_zero 0
	.end_amdhsa_kernel
	.section	.text._ZN7rocprim17ROCPRIM_400000_NS6detail17trampoline_kernelINS0_14default_configENS1_27upper_bound_config_selectorIylEEZNS1_14transform_implILb0ES3_S5_N6thrust23THRUST_200600_302600_NS6detail15normal_iteratorINS8_7pointerIyNS8_11hip_rocprim5par_tENS8_11use_defaultESE_EEEENSA_INSB_IlSD_SE_SE_EEEEZNS1_13binary_searchIS3_S5_PySG_SI_NS1_21upper_bound_search_opENS9_16wrapped_functionINS8_6system6detail7generic6detail18binary_search_lessEbEEEE10hipError_tPvRmT1_T2_T3_mmT4_T5_P12ihipStream_tbEUlRKyE_EEST_SX_SY_mSZ_S12_bEUlT_E_NS1_11comp_targetILNS1_3genE10ELNS1_11target_archE1201ELNS1_3gpuE5ELNS1_3repE0EEENS1_30default_config_static_selectorELNS0_4arch9wavefront6targetE0EEEvSW_,"axG",@progbits,_ZN7rocprim17ROCPRIM_400000_NS6detail17trampoline_kernelINS0_14default_configENS1_27upper_bound_config_selectorIylEEZNS1_14transform_implILb0ES3_S5_N6thrust23THRUST_200600_302600_NS6detail15normal_iteratorINS8_7pointerIyNS8_11hip_rocprim5par_tENS8_11use_defaultESE_EEEENSA_INSB_IlSD_SE_SE_EEEEZNS1_13binary_searchIS3_S5_PySG_SI_NS1_21upper_bound_search_opENS9_16wrapped_functionINS8_6system6detail7generic6detail18binary_search_lessEbEEEE10hipError_tPvRmT1_T2_T3_mmT4_T5_P12ihipStream_tbEUlRKyE_EEST_SX_SY_mSZ_S12_bEUlT_E_NS1_11comp_targetILNS1_3genE10ELNS1_11target_archE1201ELNS1_3gpuE5ELNS1_3repE0EEENS1_30default_config_static_selectorELNS0_4arch9wavefront6targetE0EEEvSW_,comdat
.Lfunc_end187:
	.size	_ZN7rocprim17ROCPRIM_400000_NS6detail17trampoline_kernelINS0_14default_configENS1_27upper_bound_config_selectorIylEEZNS1_14transform_implILb0ES3_S5_N6thrust23THRUST_200600_302600_NS6detail15normal_iteratorINS8_7pointerIyNS8_11hip_rocprim5par_tENS8_11use_defaultESE_EEEENSA_INSB_IlSD_SE_SE_EEEEZNS1_13binary_searchIS3_S5_PySG_SI_NS1_21upper_bound_search_opENS9_16wrapped_functionINS8_6system6detail7generic6detail18binary_search_lessEbEEEE10hipError_tPvRmT1_T2_T3_mmT4_T5_P12ihipStream_tbEUlRKyE_EEST_SX_SY_mSZ_S12_bEUlT_E_NS1_11comp_targetILNS1_3genE10ELNS1_11target_archE1201ELNS1_3gpuE5ELNS1_3repE0EEENS1_30default_config_static_selectorELNS0_4arch9wavefront6targetE0EEEvSW_, .Lfunc_end187-_ZN7rocprim17ROCPRIM_400000_NS6detail17trampoline_kernelINS0_14default_configENS1_27upper_bound_config_selectorIylEEZNS1_14transform_implILb0ES3_S5_N6thrust23THRUST_200600_302600_NS6detail15normal_iteratorINS8_7pointerIyNS8_11hip_rocprim5par_tENS8_11use_defaultESE_EEEENSA_INSB_IlSD_SE_SE_EEEEZNS1_13binary_searchIS3_S5_PySG_SI_NS1_21upper_bound_search_opENS9_16wrapped_functionINS8_6system6detail7generic6detail18binary_search_lessEbEEEE10hipError_tPvRmT1_T2_T3_mmT4_T5_P12ihipStream_tbEUlRKyE_EEST_SX_SY_mSZ_S12_bEUlT_E_NS1_11comp_targetILNS1_3genE10ELNS1_11target_archE1201ELNS1_3gpuE5ELNS1_3repE0EEENS1_30default_config_static_selectorELNS0_4arch9wavefront6targetE0EEEvSW_
                                        ; -- End function
	.set _ZN7rocprim17ROCPRIM_400000_NS6detail17trampoline_kernelINS0_14default_configENS1_27upper_bound_config_selectorIylEEZNS1_14transform_implILb0ES3_S5_N6thrust23THRUST_200600_302600_NS6detail15normal_iteratorINS8_7pointerIyNS8_11hip_rocprim5par_tENS8_11use_defaultESE_EEEENSA_INSB_IlSD_SE_SE_EEEEZNS1_13binary_searchIS3_S5_PySG_SI_NS1_21upper_bound_search_opENS9_16wrapped_functionINS8_6system6detail7generic6detail18binary_search_lessEbEEEE10hipError_tPvRmT1_T2_T3_mmT4_T5_P12ihipStream_tbEUlRKyE_EEST_SX_SY_mSZ_S12_bEUlT_E_NS1_11comp_targetILNS1_3genE10ELNS1_11target_archE1201ELNS1_3gpuE5ELNS1_3repE0EEENS1_30default_config_static_selectorELNS0_4arch9wavefront6targetE0EEEvSW_.num_vgpr, 0
	.set _ZN7rocprim17ROCPRIM_400000_NS6detail17trampoline_kernelINS0_14default_configENS1_27upper_bound_config_selectorIylEEZNS1_14transform_implILb0ES3_S5_N6thrust23THRUST_200600_302600_NS6detail15normal_iteratorINS8_7pointerIyNS8_11hip_rocprim5par_tENS8_11use_defaultESE_EEEENSA_INSB_IlSD_SE_SE_EEEEZNS1_13binary_searchIS3_S5_PySG_SI_NS1_21upper_bound_search_opENS9_16wrapped_functionINS8_6system6detail7generic6detail18binary_search_lessEbEEEE10hipError_tPvRmT1_T2_T3_mmT4_T5_P12ihipStream_tbEUlRKyE_EEST_SX_SY_mSZ_S12_bEUlT_E_NS1_11comp_targetILNS1_3genE10ELNS1_11target_archE1201ELNS1_3gpuE5ELNS1_3repE0EEENS1_30default_config_static_selectorELNS0_4arch9wavefront6targetE0EEEvSW_.num_agpr, 0
	.set _ZN7rocprim17ROCPRIM_400000_NS6detail17trampoline_kernelINS0_14default_configENS1_27upper_bound_config_selectorIylEEZNS1_14transform_implILb0ES3_S5_N6thrust23THRUST_200600_302600_NS6detail15normal_iteratorINS8_7pointerIyNS8_11hip_rocprim5par_tENS8_11use_defaultESE_EEEENSA_INSB_IlSD_SE_SE_EEEEZNS1_13binary_searchIS3_S5_PySG_SI_NS1_21upper_bound_search_opENS9_16wrapped_functionINS8_6system6detail7generic6detail18binary_search_lessEbEEEE10hipError_tPvRmT1_T2_T3_mmT4_T5_P12ihipStream_tbEUlRKyE_EEST_SX_SY_mSZ_S12_bEUlT_E_NS1_11comp_targetILNS1_3genE10ELNS1_11target_archE1201ELNS1_3gpuE5ELNS1_3repE0EEENS1_30default_config_static_selectorELNS0_4arch9wavefront6targetE0EEEvSW_.numbered_sgpr, 0
	.set _ZN7rocprim17ROCPRIM_400000_NS6detail17trampoline_kernelINS0_14default_configENS1_27upper_bound_config_selectorIylEEZNS1_14transform_implILb0ES3_S5_N6thrust23THRUST_200600_302600_NS6detail15normal_iteratorINS8_7pointerIyNS8_11hip_rocprim5par_tENS8_11use_defaultESE_EEEENSA_INSB_IlSD_SE_SE_EEEEZNS1_13binary_searchIS3_S5_PySG_SI_NS1_21upper_bound_search_opENS9_16wrapped_functionINS8_6system6detail7generic6detail18binary_search_lessEbEEEE10hipError_tPvRmT1_T2_T3_mmT4_T5_P12ihipStream_tbEUlRKyE_EEST_SX_SY_mSZ_S12_bEUlT_E_NS1_11comp_targetILNS1_3genE10ELNS1_11target_archE1201ELNS1_3gpuE5ELNS1_3repE0EEENS1_30default_config_static_selectorELNS0_4arch9wavefront6targetE0EEEvSW_.num_named_barrier, 0
	.set _ZN7rocprim17ROCPRIM_400000_NS6detail17trampoline_kernelINS0_14default_configENS1_27upper_bound_config_selectorIylEEZNS1_14transform_implILb0ES3_S5_N6thrust23THRUST_200600_302600_NS6detail15normal_iteratorINS8_7pointerIyNS8_11hip_rocprim5par_tENS8_11use_defaultESE_EEEENSA_INSB_IlSD_SE_SE_EEEEZNS1_13binary_searchIS3_S5_PySG_SI_NS1_21upper_bound_search_opENS9_16wrapped_functionINS8_6system6detail7generic6detail18binary_search_lessEbEEEE10hipError_tPvRmT1_T2_T3_mmT4_T5_P12ihipStream_tbEUlRKyE_EEST_SX_SY_mSZ_S12_bEUlT_E_NS1_11comp_targetILNS1_3genE10ELNS1_11target_archE1201ELNS1_3gpuE5ELNS1_3repE0EEENS1_30default_config_static_selectorELNS0_4arch9wavefront6targetE0EEEvSW_.private_seg_size, 0
	.set _ZN7rocprim17ROCPRIM_400000_NS6detail17trampoline_kernelINS0_14default_configENS1_27upper_bound_config_selectorIylEEZNS1_14transform_implILb0ES3_S5_N6thrust23THRUST_200600_302600_NS6detail15normal_iteratorINS8_7pointerIyNS8_11hip_rocprim5par_tENS8_11use_defaultESE_EEEENSA_INSB_IlSD_SE_SE_EEEEZNS1_13binary_searchIS3_S5_PySG_SI_NS1_21upper_bound_search_opENS9_16wrapped_functionINS8_6system6detail7generic6detail18binary_search_lessEbEEEE10hipError_tPvRmT1_T2_T3_mmT4_T5_P12ihipStream_tbEUlRKyE_EEST_SX_SY_mSZ_S12_bEUlT_E_NS1_11comp_targetILNS1_3genE10ELNS1_11target_archE1201ELNS1_3gpuE5ELNS1_3repE0EEENS1_30default_config_static_selectorELNS0_4arch9wavefront6targetE0EEEvSW_.uses_vcc, 0
	.set _ZN7rocprim17ROCPRIM_400000_NS6detail17trampoline_kernelINS0_14default_configENS1_27upper_bound_config_selectorIylEEZNS1_14transform_implILb0ES3_S5_N6thrust23THRUST_200600_302600_NS6detail15normal_iteratorINS8_7pointerIyNS8_11hip_rocprim5par_tENS8_11use_defaultESE_EEEENSA_INSB_IlSD_SE_SE_EEEEZNS1_13binary_searchIS3_S5_PySG_SI_NS1_21upper_bound_search_opENS9_16wrapped_functionINS8_6system6detail7generic6detail18binary_search_lessEbEEEE10hipError_tPvRmT1_T2_T3_mmT4_T5_P12ihipStream_tbEUlRKyE_EEST_SX_SY_mSZ_S12_bEUlT_E_NS1_11comp_targetILNS1_3genE10ELNS1_11target_archE1201ELNS1_3gpuE5ELNS1_3repE0EEENS1_30default_config_static_selectorELNS0_4arch9wavefront6targetE0EEEvSW_.uses_flat_scratch, 0
	.set _ZN7rocprim17ROCPRIM_400000_NS6detail17trampoline_kernelINS0_14default_configENS1_27upper_bound_config_selectorIylEEZNS1_14transform_implILb0ES3_S5_N6thrust23THRUST_200600_302600_NS6detail15normal_iteratorINS8_7pointerIyNS8_11hip_rocprim5par_tENS8_11use_defaultESE_EEEENSA_INSB_IlSD_SE_SE_EEEEZNS1_13binary_searchIS3_S5_PySG_SI_NS1_21upper_bound_search_opENS9_16wrapped_functionINS8_6system6detail7generic6detail18binary_search_lessEbEEEE10hipError_tPvRmT1_T2_T3_mmT4_T5_P12ihipStream_tbEUlRKyE_EEST_SX_SY_mSZ_S12_bEUlT_E_NS1_11comp_targetILNS1_3genE10ELNS1_11target_archE1201ELNS1_3gpuE5ELNS1_3repE0EEENS1_30default_config_static_selectorELNS0_4arch9wavefront6targetE0EEEvSW_.has_dyn_sized_stack, 0
	.set _ZN7rocprim17ROCPRIM_400000_NS6detail17trampoline_kernelINS0_14default_configENS1_27upper_bound_config_selectorIylEEZNS1_14transform_implILb0ES3_S5_N6thrust23THRUST_200600_302600_NS6detail15normal_iteratorINS8_7pointerIyNS8_11hip_rocprim5par_tENS8_11use_defaultESE_EEEENSA_INSB_IlSD_SE_SE_EEEEZNS1_13binary_searchIS3_S5_PySG_SI_NS1_21upper_bound_search_opENS9_16wrapped_functionINS8_6system6detail7generic6detail18binary_search_lessEbEEEE10hipError_tPvRmT1_T2_T3_mmT4_T5_P12ihipStream_tbEUlRKyE_EEST_SX_SY_mSZ_S12_bEUlT_E_NS1_11comp_targetILNS1_3genE10ELNS1_11target_archE1201ELNS1_3gpuE5ELNS1_3repE0EEENS1_30default_config_static_selectorELNS0_4arch9wavefront6targetE0EEEvSW_.has_recursion, 0
	.set _ZN7rocprim17ROCPRIM_400000_NS6detail17trampoline_kernelINS0_14default_configENS1_27upper_bound_config_selectorIylEEZNS1_14transform_implILb0ES3_S5_N6thrust23THRUST_200600_302600_NS6detail15normal_iteratorINS8_7pointerIyNS8_11hip_rocprim5par_tENS8_11use_defaultESE_EEEENSA_INSB_IlSD_SE_SE_EEEEZNS1_13binary_searchIS3_S5_PySG_SI_NS1_21upper_bound_search_opENS9_16wrapped_functionINS8_6system6detail7generic6detail18binary_search_lessEbEEEE10hipError_tPvRmT1_T2_T3_mmT4_T5_P12ihipStream_tbEUlRKyE_EEST_SX_SY_mSZ_S12_bEUlT_E_NS1_11comp_targetILNS1_3genE10ELNS1_11target_archE1201ELNS1_3gpuE5ELNS1_3repE0EEENS1_30default_config_static_selectorELNS0_4arch9wavefront6targetE0EEEvSW_.has_indirect_call, 0
	.section	.AMDGPU.csdata,"",@progbits
; Kernel info:
; codeLenInByte = 0
; TotalNumSgprs: 0
; NumVgprs: 0
; ScratchSize: 0
; MemoryBound: 0
; FloatMode: 240
; IeeeMode: 1
; LDSByteSize: 0 bytes/workgroup (compile time only)
; SGPRBlocks: 0
; VGPRBlocks: 0
; NumSGPRsForWavesPerEU: 1
; NumVGPRsForWavesPerEU: 1
; Occupancy: 16
; WaveLimiterHint : 0
; COMPUTE_PGM_RSRC2:SCRATCH_EN: 0
; COMPUTE_PGM_RSRC2:USER_SGPR: 6
; COMPUTE_PGM_RSRC2:TRAP_HANDLER: 0
; COMPUTE_PGM_RSRC2:TGID_X_EN: 1
; COMPUTE_PGM_RSRC2:TGID_Y_EN: 0
; COMPUTE_PGM_RSRC2:TGID_Z_EN: 0
; COMPUTE_PGM_RSRC2:TIDIG_COMP_CNT: 0
	.section	.text._ZN7rocprim17ROCPRIM_400000_NS6detail17trampoline_kernelINS0_14default_configENS1_27upper_bound_config_selectorIylEEZNS1_14transform_implILb0ES3_S5_N6thrust23THRUST_200600_302600_NS6detail15normal_iteratorINS8_7pointerIyNS8_11hip_rocprim5par_tENS8_11use_defaultESE_EEEENSA_INSB_IlSD_SE_SE_EEEEZNS1_13binary_searchIS3_S5_PySG_SI_NS1_21upper_bound_search_opENS9_16wrapped_functionINS8_6system6detail7generic6detail18binary_search_lessEbEEEE10hipError_tPvRmT1_T2_T3_mmT4_T5_P12ihipStream_tbEUlRKyE_EEST_SX_SY_mSZ_S12_bEUlT_E_NS1_11comp_targetILNS1_3genE10ELNS1_11target_archE1200ELNS1_3gpuE4ELNS1_3repE0EEENS1_30default_config_static_selectorELNS0_4arch9wavefront6targetE0EEEvSW_,"axG",@progbits,_ZN7rocprim17ROCPRIM_400000_NS6detail17trampoline_kernelINS0_14default_configENS1_27upper_bound_config_selectorIylEEZNS1_14transform_implILb0ES3_S5_N6thrust23THRUST_200600_302600_NS6detail15normal_iteratorINS8_7pointerIyNS8_11hip_rocprim5par_tENS8_11use_defaultESE_EEEENSA_INSB_IlSD_SE_SE_EEEEZNS1_13binary_searchIS3_S5_PySG_SI_NS1_21upper_bound_search_opENS9_16wrapped_functionINS8_6system6detail7generic6detail18binary_search_lessEbEEEE10hipError_tPvRmT1_T2_T3_mmT4_T5_P12ihipStream_tbEUlRKyE_EEST_SX_SY_mSZ_S12_bEUlT_E_NS1_11comp_targetILNS1_3genE10ELNS1_11target_archE1200ELNS1_3gpuE4ELNS1_3repE0EEENS1_30default_config_static_selectorELNS0_4arch9wavefront6targetE0EEEvSW_,comdat
	.protected	_ZN7rocprim17ROCPRIM_400000_NS6detail17trampoline_kernelINS0_14default_configENS1_27upper_bound_config_selectorIylEEZNS1_14transform_implILb0ES3_S5_N6thrust23THRUST_200600_302600_NS6detail15normal_iteratorINS8_7pointerIyNS8_11hip_rocprim5par_tENS8_11use_defaultESE_EEEENSA_INSB_IlSD_SE_SE_EEEEZNS1_13binary_searchIS3_S5_PySG_SI_NS1_21upper_bound_search_opENS9_16wrapped_functionINS8_6system6detail7generic6detail18binary_search_lessEbEEEE10hipError_tPvRmT1_T2_T3_mmT4_T5_P12ihipStream_tbEUlRKyE_EEST_SX_SY_mSZ_S12_bEUlT_E_NS1_11comp_targetILNS1_3genE10ELNS1_11target_archE1200ELNS1_3gpuE4ELNS1_3repE0EEENS1_30default_config_static_selectorELNS0_4arch9wavefront6targetE0EEEvSW_ ; -- Begin function _ZN7rocprim17ROCPRIM_400000_NS6detail17trampoline_kernelINS0_14default_configENS1_27upper_bound_config_selectorIylEEZNS1_14transform_implILb0ES3_S5_N6thrust23THRUST_200600_302600_NS6detail15normal_iteratorINS8_7pointerIyNS8_11hip_rocprim5par_tENS8_11use_defaultESE_EEEENSA_INSB_IlSD_SE_SE_EEEEZNS1_13binary_searchIS3_S5_PySG_SI_NS1_21upper_bound_search_opENS9_16wrapped_functionINS8_6system6detail7generic6detail18binary_search_lessEbEEEE10hipError_tPvRmT1_T2_T3_mmT4_T5_P12ihipStream_tbEUlRKyE_EEST_SX_SY_mSZ_S12_bEUlT_E_NS1_11comp_targetILNS1_3genE10ELNS1_11target_archE1200ELNS1_3gpuE4ELNS1_3repE0EEENS1_30default_config_static_selectorELNS0_4arch9wavefront6targetE0EEEvSW_
	.globl	_ZN7rocprim17ROCPRIM_400000_NS6detail17trampoline_kernelINS0_14default_configENS1_27upper_bound_config_selectorIylEEZNS1_14transform_implILb0ES3_S5_N6thrust23THRUST_200600_302600_NS6detail15normal_iteratorINS8_7pointerIyNS8_11hip_rocprim5par_tENS8_11use_defaultESE_EEEENSA_INSB_IlSD_SE_SE_EEEEZNS1_13binary_searchIS3_S5_PySG_SI_NS1_21upper_bound_search_opENS9_16wrapped_functionINS8_6system6detail7generic6detail18binary_search_lessEbEEEE10hipError_tPvRmT1_T2_T3_mmT4_T5_P12ihipStream_tbEUlRKyE_EEST_SX_SY_mSZ_S12_bEUlT_E_NS1_11comp_targetILNS1_3genE10ELNS1_11target_archE1200ELNS1_3gpuE4ELNS1_3repE0EEENS1_30default_config_static_selectorELNS0_4arch9wavefront6targetE0EEEvSW_
	.p2align	8
	.type	_ZN7rocprim17ROCPRIM_400000_NS6detail17trampoline_kernelINS0_14default_configENS1_27upper_bound_config_selectorIylEEZNS1_14transform_implILb0ES3_S5_N6thrust23THRUST_200600_302600_NS6detail15normal_iteratorINS8_7pointerIyNS8_11hip_rocprim5par_tENS8_11use_defaultESE_EEEENSA_INSB_IlSD_SE_SE_EEEEZNS1_13binary_searchIS3_S5_PySG_SI_NS1_21upper_bound_search_opENS9_16wrapped_functionINS8_6system6detail7generic6detail18binary_search_lessEbEEEE10hipError_tPvRmT1_T2_T3_mmT4_T5_P12ihipStream_tbEUlRKyE_EEST_SX_SY_mSZ_S12_bEUlT_E_NS1_11comp_targetILNS1_3genE10ELNS1_11target_archE1200ELNS1_3gpuE4ELNS1_3repE0EEENS1_30default_config_static_selectorELNS0_4arch9wavefront6targetE0EEEvSW_,@function
_ZN7rocprim17ROCPRIM_400000_NS6detail17trampoline_kernelINS0_14default_configENS1_27upper_bound_config_selectorIylEEZNS1_14transform_implILb0ES3_S5_N6thrust23THRUST_200600_302600_NS6detail15normal_iteratorINS8_7pointerIyNS8_11hip_rocprim5par_tENS8_11use_defaultESE_EEEENSA_INSB_IlSD_SE_SE_EEEEZNS1_13binary_searchIS3_S5_PySG_SI_NS1_21upper_bound_search_opENS9_16wrapped_functionINS8_6system6detail7generic6detail18binary_search_lessEbEEEE10hipError_tPvRmT1_T2_T3_mmT4_T5_P12ihipStream_tbEUlRKyE_EEST_SX_SY_mSZ_S12_bEUlT_E_NS1_11comp_targetILNS1_3genE10ELNS1_11target_archE1200ELNS1_3gpuE4ELNS1_3repE0EEENS1_30default_config_static_selectorELNS0_4arch9wavefront6targetE0EEEvSW_: ; @_ZN7rocprim17ROCPRIM_400000_NS6detail17trampoline_kernelINS0_14default_configENS1_27upper_bound_config_selectorIylEEZNS1_14transform_implILb0ES3_S5_N6thrust23THRUST_200600_302600_NS6detail15normal_iteratorINS8_7pointerIyNS8_11hip_rocprim5par_tENS8_11use_defaultESE_EEEENSA_INSB_IlSD_SE_SE_EEEEZNS1_13binary_searchIS3_S5_PySG_SI_NS1_21upper_bound_search_opENS9_16wrapped_functionINS8_6system6detail7generic6detail18binary_search_lessEbEEEE10hipError_tPvRmT1_T2_T3_mmT4_T5_P12ihipStream_tbEUlRKyE_EEST_SX_SY_mSZ_S12_bEUlT_E_NS1_11comp_targetILNS1_3genE10ELNS1_11target_archE1200ELNS1_3gpuE4ELNS1_3repE0EEENS1_30default_config_static_selectorELNS0_4arch9wavefront6targetE0EEEvSW_
; %bb.0:
	.section	.rodata,"a",@progbits
	.p2align	6, 0x0
	.amdhsa_kernel _ZN7rocprim17ROCPRIM_400000_NS6detail17trampoline_kernelINS0_14default_configENS1_27upper_bound_config_selectorIylEEZNS1_14transform_implILb0ES3_S5_N6thrust23THRUST_200600_302600_NS6detail15normal_iteratorINS8_7pointerIyNS8_11hip_rocprim5par_tENS8_11use_defaultESE_EEEENSA_INSB_IlSD_SE_SE_EEEEZNS1_13binary_searchIS3_S5_PySG_SI_NS1_21upper_bound_search_opENS9_16wrapped_functionINS8_6system6detail7generic6detail18binary_search_lessEbEEEE10hipError_tPvRmT1_T2_T3_mmT4_T5_P12ihipStream_tbEUlRKyE_EEST_SX_SY_mSZ_S12_bEUlT_E_NS1_11comp_targetILNS1_3genE10ELNS1_11target_archE1200ELNS1_3gpuE4ELNS1_3repE0EEENS1_30default_config_static_selectorELNS0_4arch9wavefront6targetE0EEEvSW_
		.amdhsa_group_segment_fixed_size 0
		.amdhsa_private_segment_fixed_size 0
		.amdhsa_kernarg_size 56
		.amdhsa_user_sgpr_count 6
		.amdhsa_user_sgpr_private_segment_buffer 1
		.amdhsa_user_sgpr_dispatch_ptr 0
		.amdhsa_user_sgpr_queue_ptr 0
		.amdhsa_user_sgpr_kernarg_segment_ptr 1
		.amdhsa_user_sgpr_dispatch_id 0
		.amdhsa_user_sgpr_flat_scratch_init 0
		.amdhsa_user_sgpr_private_segment_size 0
		.amdhsa_wavefront_size32 1
		.amdhsa_uses_dynamic_stack 0
		.amdhsa_system_sgpr_private_segment_wavefront_offset 0
		.amdhsa_system_sgpr_workgroup_id_x 1
		.amdhsa_system_sgpr_workgroup_id_y 0
		.amdhsa_system_sgpr_workgroup_id_z 0
		.amdhsa_system_sgpr_workgroup_info 0
		.amdhsa_system_vgpr_workitem_id 0
		.amdhsa_next_free_vgpr 1
		.amdhsa_next_free_sgpr 1
		.amdhsa_reserve_vcc 0
		.amdhsa_reserve_flat_scratch 0
		.amdhsa_float_round_mode_32 0
		.amdhsa_float_round_mode_16_64 0
		.amdhsa_float_denorm_mode_32 3
		.amdhsa_float_denorm_mode_16_64 3
		.amdhsa_dx10_clamp 1
		.amdhsa_ieee_mode 1
		.amdhsa_fp16_overflow 0
		.amdhsa_workgroup_processor_mode 1
		.amdhsa_memory_ordered 1
		.amdhsa_forward_progress 1
		.amdhsa_shared_vgpr_count 0
		.amdhsa_exception_fp_ieee_invalid_op 0
		.amdhsa_exception_fp_denorm_src 0
		.amdhsa_exception_fp_ieee_div_zero 0
		.amdhsa_exception_fp_ieee_overflow 0
		.amdhsa_exception_fp_ieee_underflow 0
		.amdhsa_exception_fp_ieee_inexact 0
		.amdhsa_exception_int_div_zero 0
	.end_amdhsa_kernel
	.section	.text._ZN7rocprim17ROCPRIM_400000_NS6detail17trampoline_kernelINS0_14default_configENS1_27upper_bound_config_selectorIylEEZNS1_14transform_implILb0ES3_S5_N6thrust23THRUST_200600_302600_NS6detail15normal_iteratorINS8_7pointerIyNS8_11hip_rocprim5par_tENS8_11use_defaultESE_EEEENSA_INSB_IlSD_SE_SE_EEEEZNS1_13binary_searchIS3_S5_PySG_SI_NS1_21upper_bound_search_opENS9_16wrapped_functionINS8_6system6detail7generic6detail18binary_search_lessEbEEEE10hipError_tPvRmT1_T2_T3_mmT4_T5_P12ihipStream_tbEUlRKyE_EEST_SX_SY_mSZ_S12_bEUlT_E_NS1_11comp_targetILNS1_3genE10ELNS1_11target_archE1200ELNS1_3gpuE4ELNS1_3repE0EEENS1_30default_config_static_selectorELNS0_4arch9wavefront6targetE0EEEvSW_,"axG",@progbits,_ZN7rocprim17ROCPRIM_400000_NS6detail17trampoline_kernelINS0_14default_configENS1_27upper_bound_config_selectorIylEEZNS1_14transform_implILb0ES3_S5_N6thrust23THRUST_200600_302600_NS6detail15normal_iteratorINS8_7pointerIyNS8_11hip_rocprim5par_tENS8_11use_defaultESE_EEEENSA_INSB_IlSD_SE_SE_EEEEZNS1_13binary_searchIS3_S5_PySG_SI_NS1_21upper_bound_search_opENS9_16wrapped_functionINS8_6system6detail7generic6detail18binary_search_lessEbEEEE10hipError_tPvRmT1_T2_T3_mmT4_T5_P12ihipStream_tbEUlRKyE_EEST_SX_SY_mSZ_S12_bEUlT_E_NS1_11comp_targetILNS1_3genE10ELNS1_11target_archE1200ELNS1_3gpuE4ELNS1_3repE0EEENS1_30default_config_static_selectorELNS0_4arch9wavefront6targetE0EEEvSW_,comdat
.Lfunc_end188:
	.size	_ZN7rocprim17ROCPRIM_400000_NS6detail17trampoline_kernelINS0_14default_configENS1_27upper_bound_config_selectorIylEEZNS1_14transform_implILb0ES3_S5_N6thrust23THRUST_200600_302600_NS6detail15normal_iteratorINS8_7pointerIyNS8_11hip_rocprim5par_tENS8_11use_defaultESE_EEEENSA_INSB_IlSD_SE_SE_EEEEZNS1_13binary_searchIS3_S5_PySG_SI_NS1_21upper_bound_search_opENS9_16wrapped_functionINS8_6system6detail7generic6detail18binary_search_lessEbEEEE10hipError_tPvRmT1_T2_T3_mmT4_T5_P12ihipStream_tbEUlRKyE_EEST_SX_SY_mSZ_S12_bEUlT_E_NS1_11comp_targetILNS1_3genE10ELNS1_11target_archE1200ELNS1_3gpuE4ELNS1_3repE0EEENS1_30default_config_static_selectorELNS0_4arch9wavefront6targetE0EEEvSW_, .Lfunc_end188-_ZN7rocprim17ROCPRIM_400000_NS6detail17trampoline_kernelINS0_14default_configENS1_27upper_bound_config_selectorIylEEZNS1_14transform_implILb0ES3_S5_N6thrust23THRUST_200600_302600_NS6detail15normal_iteratorINS8_7pointerIyNS8_11hip_rocprim5par_tENS8_11use_defaultESE_EEEENSA_INSB_IlSD_SE_SE_EEEEZNS1_13binary_searchIS3_S5_PySG_SI_NS1_21upper_bound_search_opENS9_16wrapped_functionINS8_6system6detail7generic6detail18binary_search_lessEbEEEE10hipError_tPvRmT1_T2_T3_mmT4_T5_P12ihipStream_tbEUlRKyE_EEST_SX_SY_mSZ_S12_bEUlT_E_NS1_11comp_targetILNS1_3genE10ELNS1_11target_archE1200ELNS1_3gpuE4ELNS1_3repE0EEENS1_30default_config_static_selectorELNS0_4arch9wavefront6targetE0EEEvSW_
                                        ; -- End function
	.set _ZN7rocprim17ROCPRIM_400000_NS6detail17trampoline_kernelINS0_14default_configENS1_27upper_bound_config_selectorIylEEZNS1_14transform_implILb0ES3_S5_N6thrust23THRUST_200600_302600_NS6detail15normal_iteratorINS8_7pointerIyNS8_11hip_rocprim5par_tENS8_11use_defaultESE_EEEENSA_INSB_IlSD_SE_SE_EEEEZNS1_13binary_searchIS3_S5_PySG_SI_NS1_21upper_bound_search_opENS9_16wrapped_functionINS8_6system6detail7generic6detail18binary_search_lessEbEEEE10hipError_tPvRmT1_T2_T3_mmT4_T5_P12ihipStream_tbEUlRKyE_EEST_SX_SY_mSZ_S12_bEUlT_E_NS1_11comp_targetILNS1_3genE10ELNS1_11target_archE1200ELNS1_3gpuE4ELNS1_3repE0EEENS1_30default_config_static_selectorELNS0_4arch9wavefront6targetE0EEEvSW_.num_vgpr, 0
	.set _ZN7rocprim17ROCPRIM_400000_NS6detail17trampoline_kernelINS0_14default_configENS1_27upper_bound_config_selectorIylEEZNS1_14transform_implILb0ES3_S5_N6thrust23THRUST_200600_302600_NS6detail15normal_iteratorINS8_7pointerIyNS8_11hip_rocprim5par_tENS8_11use_defaultESE_EEEENSA_INSB_IlSD_SE_SE_EEEEZNS1_13binary_searchIS3_S5_PySG_SI_NS1_21upper_bound_search_opENS9_16wrapped_functionINS8_6system6detail7generic6detail18binary_search_lessEbEEEE10hipError_tPvRmT1_T2_T3_mmT4_T5_P12ihipStream_tbEUlRKyE_EEST_SX_SY_mSZ_S12_bEUlT_E_NS1_11comp_targetILNS1_3genE10ELNS1_11target_archE1200ELNS1_3gpuE4ELNS1_3repE0EEENS1_30default_config_static_selectorELNS0_4arch9wavefront6targetE0EEEvSW_.num_agpr, 0
	.set _ZN7rocprim17ROCPRIM_400000_NS6detail17trampoline_kernelINS0_14default_configENS1_27upper_bound_config_selectorIylEEZNS1_14transform_implILb0ES3_S5_N6thrust23THRUST_200600_302600_NS6detail15normal_iteratorINS8_7pointerIyNS8_11hip_rocprim5par_tENS8_11use_defaultESE_EEEENSA_INSB_IlSD_SE_SE_EEEEZNS1_13binary_searchIS3_S5_PySG_SI_NS1_21upper_bound_search_opENS9_16wrapped_functionINS8_6system6detail7generic6detail18binary_search_lessEbEEEE10hipError_tPvRmT1_T2_T3_mmT4_T5_P12ihipStream_tbEUlRKyE_EEST_SX_SY_mSZ_S12_bEUlT_E_NS1_11comp_targetILNS1_3genE10ELNS1_11target_archE1200ELNS1_3gpuE4ELNS1_3repE0EEENS1_30default_config_static_selectorELNS0_4arch9wavefront6targetE0EEEvSW_.numbered_sgpr, 0
	.set _ZN7rocprim17ROCPRIM_400000_NS6detail17trampoline_kernelINS0_14default_configENS1_27upper_bound_config_selectorIylEEZNS1_14transform_implILb0ES3_S5_N6thrust23THRUST_200600_302600_NS6detail15normal_iteratorINS8_7pointerIyNS8_11hip_rocprim5par_tENS8_11use_defaultESE_EEEENSA_INSB_IlSD_SE_SE_EEEEZNS1_13binary_searchIS3_S5_PySG_SI_NS1_21upper_bound_search_opENS9_16wrapped_functionINS8_6system6detail7generic6detail18binary_search_lessEbEEEE10hipError_tPvRmT1_T2_T3_mmT4_T5_P12ihipStream_tbEUlRKyE_EEST_SX_SY_mSZ_S12_bEUlT_E_NS1_11comp_targetILNS1_3genE10ELNS1_11target_archE1200ELNS1_3gpuE4ELNS1_3repE0EEENS1_30default_config_static_selectorELNS0_4arch9wavefront6targetE0EEEvSW_.num_named_barrier, 0
	.set _ZN7rocprim17ROCPRIM_400000_NS6detail17trampoline_kernelINS0_14default_configENS1_27upper_bound_config_selectorIylEEZNS1_14transform_implILb0ES3_S5_N6thrust23THRUST_200600_302600_NS6detail15normal_iteratorINS8_7pointerIyNS8_11hip_rocprim5par_tENS8_11use_defaultESE_EEEENSA_INSB_IlSD_SE_SE_EEEEZNS1_13binary_searchIS3_S5_PySG_SI_NS1_21upper_bound_search_opENS9_16wrapped_functionINS8_6system6detail7generic6detail18binary_search_lessEbEEEE10hipError_tPvRmT1_T2_T3_mmT4_T5_P12ihipStream_tbEUlRKyE_EEST_SX_SY_mSZ_S12_bEUlT_E_NS1_11comp_targetILNS1_3genE10ELNS1_11target_archE1200ELNS1_3gpuE4ELNS1_3repE0EEENS1_30default_config_static_selectorELNS0_4arch9wavefront6targetE0EEEvSW_.private_seg_size, 0
	.set _ZN7rocprim17ROCPRIM_400000_NS6detail17trampoline_kernelINS0_14default_configENS1_27upper_bound_config_selectorIylEEZNS1_14transform_implILb0ES3_S5_N6thrust23THRUST_200600_302600_NS6detail15normal_iteratorINS8_7pointerIyNS8_11hip_rocprim5par_tENS8_11use_defaultESE_EEEENSA_INSB_IlSD_SE_SE_EEEEZNS1_13binary_searchIS3_S5_PySG_SI_NS1_21upper_bound_search_opENS9_16wrapped_functionINS8_6system6detail7generic6detail18binary_search_lessEbEEEE10hipError_tPvRmT1_T2_T3_mmT4_T5_P12ihipStream_tbEUlRKyE_EEST_SX_SY_mSZ_S12_bEUlT_E_NS1_11comp_targetILNS1_3genE10ELNS1_11target_archE1200ELNS1_3gpuE4ELNS1_3repE0EEENS1_30default_config_static_selectorELNS0_4arch9wavefront6targetE0EEEvSW_.uses_vcc, 0
	.set _ZN7rocprim17ROCPRIM_400000_NS6detail17trampoline_kernelINS0_14default_configENS1_27upper_bound_config_selectorIylEEZNS1_14transform_implILb0ES3_S5_N6thrust23THRUST_200600_302600_NS6detail15normal_iteratorINS8_7pointerIyNS8_11hip_rocprim5par_tENS8_11use_defaultESE_EEEENSA_INSB_IlSD_SE_SE_EEEEZNS1_13binary_searchIS3_S5_PySG_SI_NS1_21upper_bound_search_opENS9_16wrapped_functionINS8_6system6detail7generic6detail18binary_search_lessEbEEEE10hipError_tPvRmT1_T2_T3_mmT4_T5_P12ihipStream_tbEUlRKyE_EEST_SX_SY_mSZ_S12_bEUlT_E_NS1_11comp_targetILNS1_3genE10ELNS1_11target_archE1200ELNS1_3gpuE4ELNS1_3repE0EEENS1_30default_config_static_selectorELNS0_4arch9wavefront6targetE0EEEvSW_.uses_flat_scratch, 0
	.set _ZN7rocprim17ROCPRIM_400000_NS6detail17trampoline_kernelINS0_14default_configENS1_27upper_bound_config_selectorIylEEZNS1_14transform_implILb0ES3_S5_N6thrust23THRUST_200600_302600_NS6detail15normal_iteratorINS8_7pointerIyNS8_11hip_rocprim5par_tENS8_11use_defaultESE_EEEENSA_INSB_IlSD_SE_SE_EEEEZNS1_13binary_searchIS3_S5_PySG_SI_NS1_21upper_bound_search_opENS9_16wrapped_functionINS8_6system6detail7generic6detail18binary_search_lessEbEEEE10hipError_tPvRmT1_T2_T3_mmT4_T5_P12ihipStream_tbEUlRKyE_EEST_SX_SY_mSZ_S12_bEUlT_E_NS1_11comp_targetILNS1_3genE10ELNS1_11target_archE1200ELNS1_3gpuE4ELNS1_3repE0EEENS1_30default_config_static_selectorELNS0_4arch9wavefront6targetE0EEEvSW_.has_dyn_sized_stack, 0
	.set _ZN7rocprim17ROCPRIM_400000_NS6detail17trampoline_kernelINS0_14default_configENS1_27upper_bound_config_selectorIylEEZNS1_14transform_implILb0ES3_S5_N6thrust23THRUST_200600_302600_NS6detail15normal_iteratorINS8_7pointerIyNS8_11hip_rocprim5par_tENS8_11use_defaultESE_EEEENSA_INSB_IlSD_SE_SE_EEEEZNS1_13binary_searchIS3_S5_PySG_SI_NS1_21upper_bound_search_opENS9_16wrapped_functionINS8_6system6detail7generic6detail18binary_search_lessEbEEEE10hipError_tPvRmT1_T2_T3_mmT4_T5_P12ihipStream_tbEUlRKyE_EEST_SX_SY_mSZ_S12_bEUlT_E_NS1_11comp_targetILNS1_3genE10ELNS1_11target_archE1200ELNS1_3gpuE4ELNS1_3repE0EEENS1_30default_config_static_selectorELNS0_4arch9wavefront6targetE0EEEvSW_.has_recursion, 0
	.set _ZN7rocprim17ROCPRIM_400000_NS6detail17trampoline_kernelINS0_14default_configENS1_27upper_bound_config_selectorIylEEZNS1_14transform_implILb0ES3_S5_N6thrust23THRUST_200600_302600_NS6detail15normal_iteratorINS8_7pointerIyNS8_11hip_rocprim5par_tENS8_11use_defaultESE_EEEENSA_INSB_IlSD_SE_SE_EEEEZNS1_13binary_searchIS3_S5_PySG_SI_NS1_21upper_bound_search_opENS9_16wrapped_functionINS8_6system6detail7generic6detail18binary_search_lessEbEEEE10hipError_tPvRmT1_T2_T3_mmT4_T5_P12ihipStream_tbEUlRKyE_EEST_SX_SY_mSZ_S12_bEUlT_E_NS1_11comp_targetILNS1_3genE10ELNS1_11target_archE1200ELNS1_3gpuE4ELNS1_3repE0EEENS1_30default_config_static_selectorELNS0_4arch9wavefront6targetE0EEEvSW_.has_indirect_call, 0
	.section	.AMDGPU.csdata,"",@progbits
; Kernel info:
; codeLenInByte = 0
; TotalNumSgprs: 0
; NumVgprs: 0
; ScratchSize: 0
; MemoryBound: 0
; FloatMode: 240
; IeeeMode: 1
; LDSByteSize: 0 bytes/workgroup (compile time only)
; SGPRBlocks: 0
; VGPRBlocks: 0
; NumSGPRsForWavesPerEU: 1
; NumVGPRsForWavesPerEU: 1
; Occupancy: 16
; WaveLimiterHint : 0
; COMPUTE_PGM_RSRC2:SCRATCH_EN: 0
; COMPUTE_PGM_RSRC2:USER_SGPR: 6
; COMPUTE_PGM_RSRC2:TRAP_HANDLER: 0
; COMPUTE_PGM_RSRC2:TGID_X_EN: 1
; COMPUTE_PGM_RSRC2:TGID_Y_EN: 0
; COMPUTE_PGM_RSRC2:TGID_Z_EN: 0
; COMPUTE_PGM_RSRC2:TIDIG_COMP_CNT: 0
	.section	.text._ZN7rocprim17ROCPRIM_400000_NS6detail17trampoline_kernelINS0_14default_configENS1_27upper_bound_config_selectorIylEEZNS1_14transform_implILb0ES3_S5_N6thrust23THRUST_200600_302600_NS6detail15normal_iteratorINS8_7pointerIyNS8_11hip_rocprim5par_tENS8_11use_defaultESE_EEEENSA_INSB_IlSD_SE_SE_EEEEZNS1_13binary_searchIS3_S5_PySG_SI_NS1_21upper_bound_search_opENS9_16wrapped_functionINS8_6system6detail7generic6detail18binary_search_lessEbEEEE10hipError_tPvRmT1_T2_T3_mmT4_T5_P12ihipStream_tbEUlRKyE_EEST_SX_SY_mSZ_S12_bEUlT_E_NS1_11comp_targetILNS1_3genE9ELNS1_11target_archE1100ELNS1_3gpuE3ELNS1_3repE0EEENS1_30default_config_static_selectorELNS0_4arch9wavefront6targetE0EEEvSW_,"axG",@progbits,_ZN7rocprim17ROCPRIM_400000_NS6detail17trampoline_kernelINS0_14default_configENS1_27upper_bound_config_selectorIylEEZNS1_14transform_implILb0ES3_S5_N6thrust23THRUST_200600_302600_NS6detail15normal_iteratorINS8_7pointerIyNS8_11hip_rocprim5par_tENS8_11use_defaultESE_EEEENSA_INSB_IlSD_SE_SE_EEEEZNS1_13binary_searchIS3_S5_PySG_SI_NS1_21upper_bound_search_opENS9_16wrapped_functionINS8_6system6detail7generic6detail18binary_search_lessEbEEEE10hipError_tPvRmT1_T2_T3_mmT4_T5_P12ihipStream_tbEUlRKyE_EEST_SX_SY_mSZ_S12_bEUlT_E_NS1_11comp_targetILNS1_3genE9ELNS1_11target_archE1100ELNS1_3gpuE3ELNS1_3repE0EEENS1_30default_config_static_selectorELNS0_4arch9wavefront6targetE0EEEvSW_,comdat
	.protected	_ZN7rocprim17ROCPRIM_400000_NS6detail17trampoline_kernelINS0_14default_configENS1_27upper_bound_config_selectorIylEEZNS1_14transform_implILb0ES3_S5_N6thrust23THRUST_200600_302600_NS6detail15normal_iteratorINS8_7pointerIyNS8_11hip_rocprim5par_tENS8_11use_defaultESE_EEEENSA_INSB_IlSD_SE_SE_EEEEZNS1_13binary_searchIS3_S5_PySG_SI_NS1_21upper_bound_search_opENS9_16wrapped_functionINS8_6system6detail7generic6detail18binary_search_lessEbEEEE10hipError_tPvRmT1_T2_T3_mmT4_T5_P12ihipStream_tbEUlRKyE_EEST_SX_SY_mSZ_S12_bEUlT_E_NS1_11comp_targetILNS1_3genE9ELNS1_11target_archE1100ELNS1_3gpuE3ELNS1_3repE0EEENS1_30default_config_static_selectorELNS0_4arch9wavefront6targetE0EEEvSW_ ; -- Begin function _ZN7rocprim17ROCPRIM_400000_NS6detail17trampoline_kernelINS0_14default_configENS1_27upper_bound_config_selectorIylEEZNS1_14transform_implILb0ES3_S5_N6thrust23THRUST_200600_302600_NS6detail15normal_iteratorINS8_7pointerIyNS8_11hip_rocprim5par_tENS8_11use_defaultESE_EEEENSA_INSB_IlSD_SE_SE_EEEEZNS1_13binary_searchIS3_S5_PySG_SI_NS1_21upper_bound_search_opENS9_16wrapped_functionINS8_6system6detail7generic6detail18binary_search_lessEbEEEE10hipError_tPvRmT1_T2_T3_mmT4_T5_P12ihipStream_tbEUlRKyE_EEST_SX_SY_mSZ_S12_bEUlT_E_NS1_11comp_targetILNS1_3genE9ELNS1_11target_archE1100ELNS1_3gpuE3ELNS1_3repE0EEENS1_30default_config_static_selectorELNS0_4arch9wavefront6targetE0EEEvSW_
	.globl	_ZN7rocprim17ROCPRIM_400000_NS6detail17trampoline_kernelINS0_14default_configENS1_27upper_bound_config_selectorIylEEZNS1_14transform_implILb0ES3_S5_N6thrust23THRUST_200600_302600_NS6detail15normal_iteratorINS8_7pointerIyNS8_11hip_rocprim5par_tENS8_11use_defaultESE_EEEENSA_INSB_IlSD_SE_SE_EEEEZNS1_13binary_searchIS3_S5_PySG_SI_NS1_21upper_bound_search_opENS9_16wrapped_functionINS8_6system6detail7generic6detail18binary_search_lessEbEEEE10hipError_tPvRmT1_T2_T3_mmT4_T5_P12ihipStream_tbEUlRKyE_EEST_SX_SY_mSZ_S12_bEUlT_E_NS1_11comp_targetILNS1_3genE9ELNS1_11target_archE1100ELNS1_3gpuE3ELNS1_3repE0EEENS1_30default_config_static_selectorELNS0_4arch9wavefront6targetE0EEEvSW_
	.p2align	8
	.type	_ZN7rocprim17ROCPRIM_400000_NS6detail17trampoline_kernelINS0_14default_configENS1_27upper_bound_config_selectorIylEEZNS1_14transform_implILb0ES3_S5_N6thrust23THRUST_200600_302600_NS6detail15normal_iteratorINS8_7pointerIyNS8_11hip_rocprim5par_tENS8_11use_defaultESE_EEEENSA_INSB_IlSD_SE_SE_EEEEZNS1_13binary_searchIS3_S5_PySG_SI_NS1_21upper_bound_search_opENS9_16wrapped_functionINS8_6system6detail7generic6detail18binary_search_lessEbEEEE10hipError_tPvRmT1_T2_T3_mmT4_T5_P12ihipStream_tbEUlRKyE_EEST_SX_SY_mSZ_S12_bEUlT_E_NS1_11comp_targetILNS1_3genE9ELNS1_11target_archE1100ELNS1_3gpuE3ELNS1_3repE0EEENS1_30default_config_static_selectorELNS0_4arch9wavefront6targetE0EEEvSW_,@function
_ZN7rocprim17ROCPRIM_400000_NS6detail17trampoline_kernelINS0_14default_configENS1_27upper_bound_config_selectorIylEEZNS1_14transform_implILb0ES3_S5_N6thrust23THRUST_200600_302600_NS6detail15normal_iteratorINS8_7pointerIyNS8_11hip_rocprim5par_tENS8_11use_defaultESE_EEEENSA_INSB_IlSD_SE_SE_EEEEZNS1_13binary_searchIS3_S5_PySG_SI_NS1_21upper_bound_search_opENS9_16wrapped_functionINS8_6system6detail7generic6detail18binary_search_lessEbEEEE10hipError_tPvRmT1_T2_T3_mmT4_T5_P12ihipStream_tbEUlRKyE_EEST_SX_SY_mSZ_S12_bEUlT_E_NS1_11comp_targetILNS1_3genE9ELNS1_11target_archE1100ELNS1_3gpuE3ELNS1_3repE0EEENS1_30default_config_static_selectorELNS0_4arch9wavefront6targetE0EEEvSW_: ; @_ZN7rocprim17ROCPRIM_400000_NS6detail17trampoline_kernelINS0_14default_configENS1_27upper_bound_config_selectorIylEEZNS1_14transform_implILb0ES3_S5_N6thrust23THRUST_200600_302600_NS6detail15normal_iteratorINS8_7pointerIyNS8_11hip_rocprim5par_tENS8_11use_defaultESE_EEEENSA_INSB_IlSD_SE_SE_EEEEZNS1_13binary_searchIS3_S5_PySG_SI_NS1_21upper_bound_search_opENS9_16wrapped_functionINS8_6system6detail7generic6detail18binary_search_lessEbEEEE10hipError_tPvRmT1_T2_T3_mmT4_T5_P12ihipStream_tbEUlRKyE_EEST_SX_SY_mSZ_S12_bEUlT_E_NS1_11comp_targetILNS1_3genE9ELNS1_11target_archE1100ELNS1_3gpuE3ELNS1_3repE0EEENS1_30default_config_static_selectorELNS0_4arch9wavefront6targetE0EEEvSW_
; %bb.0:
	.section	.rodata,"a",@progbits
	.p2align	6, 0x0
	.amdhsa_kernel _ZN7rocprim17ROCPRIM_400000_NS6detail17trampoline_kernelINS0_14default_configENS1_27upper_bound_config_selectorIylEEZNS1_14transform_implILb0ES3_S5_N6thrust23THRUST_200600_302600_NS6detail15normal_iteratorINS8_7pointerIyNS8_11hip_rocprim5par_tENS8_11use_defaultESE_EEEENSA_INSB_IlSD_SE_SE_EEEEZNS1_13binary_searchIS3_S5_PySG_SI_NS1_21upper_bound_search_opENS9_16wrapped_functionINS8_6system6detail7generic6detail18binary_search_lessEbEEEE10hipError_tPvRmT1_T2_T3_mmT4_T5_P12ihipStream_tbEUlRKyE_EEST_SX_SY_mSZ_S12_bEUlT_E_NS1_11comp_targetILNS1_3genE9ELNS1_11target_archE1100ELNS1_3gpuE3ELNS1_3repE0EEENS1_30default_config_static_selectorELNS0_4arch9wavefront6targetE0EEEvSW_
		.amdhsa_group_segment_fixed_size 0
		.amdhsa_private_segment_fixed_size 0
		.amdhsa_kernarg_size 56
		.amdhsa_user_sgpr_count 6
		.amdhsa_user_sgpr_private_segment_buffer 1
		.amdhsa_user_sgpr_dispatch_ptr 0
		.amdhsa_user_sgpr_queue_ptr 0
		.amdhsa_user_sgpr_kernarg_segment_ptr 1
		.amdhsa_user_sgpr_dispatch_id 0
		.amdhsa_user_sgpr_flat_scratch_init 0
		.amdhsa_user_sgpr_private_segment_size 0
		.amdhsa_wavefront_size32 1
		.amdhsa_uses_dynamic_stack 0
		.amdhsa_system_sgpr_private_segment_wavefront_offset 0
		.amdhsa_system_sgpr_workgroup_id_x 1
		.amdhsa_system_sgpr_workgroup_id_y 0
		.amdhsa_system_sgpr_workgroup_id_z 0
		.amdhsa_system_sgpr_workgroup_info 0
		.amdhsa_system_vgpr_workitem_id 0
		.amdhsa_next_free_vgpr 1
		.amdhsa_next_free_sgpr 1
		.amdhsa_reserve_vcc 0
		.amdhsa_reserve_flat_scratch 0
		.amdhsa_float_round_mode_32 0
		.amdhsa_float_round_mode_16_64 0
		.amdhsa_float_denorm_mode_32 3
		.amdhsa_float_denorm_mode_16_64 3
		.amdhsa_dx10_clamp 1
		.amdhsa_ieee_mode 1
		.amdhsa_fp16_overflow 0
		.amdhsa_workgroup_processor_mode 1
		.amdhsa_memory_ordered 1
		.amdhsa_forward_progress 1
		.amdhsa_shared_vgpr_count 0
		.amdhsa_exception_fp_ieee_invalid_op 0
		.amdhsa_exception_fp_denorm_src 0
		.amdhsa_exception_fp_ieee_div_zero 0
		.amdhsa_exception_fp_ieee_overflow 0
		.amdhsa_exception_fp_ieee_underflow 0
		.amdhsa_exception_fp_ieee_inexact 0
		.amdhsa_exception_int_div_zero 0
	.end_amdhsa_kernel
	.section	.text._ZN7rocprim17ROCPRIM_400000_NS6detail17trampoline_kernelINS0_14default_configENS1_27upper_bound_config_selectorIylEEZNS1_14transform_implILb0ES3_S5_N6thrust23THRUST_200600_302600_NS6detail15normal_iteratorINS8_7pointerIyNS8_11hip_rocprim5par_tENS8_11use_defaultESE_EEEENSA_INSB_IlSD_SE_SE_EEEEZNS1_13binary_searchIS3_S5_PySG_SI_NS1_21upper_bound_search_opENS9_16wrapped_functionINS8_6system6detail7generic6detail18binary_search_lessEbEEEE10hipError_tPvRmT1_T2_T3_mmT4_T5_P12ihipStream_tbEUlRKyE_EEST_SX_SY_mSZ_S12_bEUlT_E_NS1_11comp_targetILNS1_3genE9ELNS1_11target_archE1100ELNS1_3gpuE3ELNS1_3repE0EEENS1_30default_config_static_selectorELNS0_4arch9wavefront6targetE0EEEvSW_,"axG",@progbits,_ZN7rocprim17ROCPRIM_400000_NS6detail17trampoline_kernelINS0_14default_configENS1_27upper_bound_config_selectorIylEEZNS1_14transform_implILb0ES3_S5_N6thrust23THRUST_200600_302600_NS6detail15normal_iteratorINS8_7pointerIyNS8_11hip_rocprim5par_tENS8_11use_defaultESE_EEEENSA_INSB_IlSD_SE_SE_EEEEZNS1_13binary_searchIS3_S5_PySG_SI_NS1_21upper_bound_search_opENS9_16wrapped_functionINS8_6system6detail7generic6detail18binary_search_lessEbEEEE10hipError_tPvRmT1_T2_T3_mmT4_T5_P12ihipStream_tbEUlRKyE_EEST_SX_SY_mSZ_S12_bEUlT_E_NS1_11comp_targetILNS1_3genE9ELNS1_11target_archE1100ELNS1_3gpuE3ELNS1_3repE0EEENS1_30default_config_static_selectorELNS0_4arch9wavefront6targetE0EEEvSW_,comdat
.Lfunc_end189:
	.size	_ZN7rocprim17ROCPRIM_400000_NS6detail17trampoline_kernelINS0_14default_configENS1_27upper_bound_config_selectorIylEEZNS1_14transform_implILb0ES3_S5_N6thrust23THRUST_200600_302600_NS6detail15normal_iteratorINS8_7pointerIyNS8_11hip_rocprim5par_tENS8_11use_defaultESE_EEEENSA_INSB_IlSD_SE_SE_EEEEZNS1_13binary_searchIS3_S5_PySG_SI_NS1_21upper_bound_search_opENS9_16wrapped_functionINS8_6system6detail7generic6detail18binary_search_lessEbEEEE10hipError_tPvRmT1_T2_T3_mmT4_T5_P12ihipStream_tbEUlRKyE_EEST_SX_SY_mSZ_S12_bEUlT_E_NS1_11comp_targetILNS1_3genE9ELNS1_11target_archE1100ELNS1_3gpuE3ELNS1_3repE0EEENS1_30default_config_static_selectorELNS0_4arch9wavefront6targetE0EEEvSW_, .Lfunc_end189-_ZN7rocprim17ROCPRIM_400000_NS6detail17trampoline_kernelINS0_14default_configENS1_27upper_bound_config_selectorIylEEZNS1_14transform_implILb0ES3_S5_N6thrust23THRUST_200600_302600_NS6detail15normal_iteratorINS8_7pointerIyNS8_11hip_rocprim5par_tENS8_11use_defaultESE_EEEENSA_INSB_IlSD_SE_SE_EEEEZNS1_13binary_searchIS3_S5_PySG_SI_NS1_21upper_bound_search_opENS9_16wrapped_functionINS8_6system6detail7generic6detail18binary_search_lessEbEEEE10hipError_tPvRmT1_T2_T3_mmT4_T5_P12ihipStream_tbEUlRKyE_EEST_SX_SY_mSZ_S12_bEUlT_E_NS1_11comp_targetILNS1_3genE9ELNS1_11target_archE1100ELNS1_3gpuE3ELNS1_3repE0EEENS1_30default_config_static_selectorELNS0_4arch9wavefront6targetE0EEEvSW_
                                        ; -- End function
	.set _ZN7rocprim17ROCPRIM_400000_NS6detail17trampoline_kernelINS0_14default_configENS1_27upper_bound_config_selectorIylEEZNS1_14transform_implILb0ES3_S5_N6thrust23THRUST_200600_302600_NS6detail15normal_iteratorINS8_7pointerIyNS8_11hip_rocprim5par_tENS8_11use_defaultESE_EEEENSA_INSB_IlSD_SE_SE_EEEEZNS1_13binary_searchIS3_S5_PySG_SI_NS1_21upper_bound_search_opENS9_16wrapped_functionINS8_6system6detail7generic6detail18binary_search_lessEbEEEE10hipError_tPvRmT1_T2_T3_mmT4_T5_P12ihipStream_tbEUlRKyE_EEST_SX_SY_mSZ_S12_bEUlT_E_NS1_11comp_targetILNS1_3genE9ELNS1_11target_archE1100ELNS1_3gpuE3ELNS1_3repE0EEENS1_30default_config_static_selectorELNS0_4arch9wavefront6targetE0EEEvSW_.num_vgpr, 0
	.set _ZN7rocprim17ROCPRIM_400000_NS6detail17trampoline_kernelINS0_14default_configENS1_27upper_bound_config_selectorIylEEZNS1_14transform_implILb0ES3_S5_N6thrust23THRUST_200600_302600_NS6detail15normal_iteratorINS8_7pointerIyNS8_11hip_rocprim5par_tENS8_11use_defaultESE_EEEENSA_INSB_IlSD_SE_SE_EEEEZNS1_13binary_searchIS3_S5_PySG_SI_NS1_21upper_bound_search_opENS9_16wrapped_functionINS8_6system6detail7generic6detail18binary_search_lessEbEEEE10hipError_tPvRmT1_T2_T3_mmT4_T5_P12ihipStream_tbEUlRKyE_EEST_SX_SY_mSZ_S12_bEUlT_E_NS1_11comp_targetILNS1_3genE9ELNS1_11target_archE1100ELNS1_3gpuE3ELNS1_3repE0EEENS1_30default_config_static_selectorELNS0_4arch9wavefront6targetE0EEEvSW_.num_agpr, 0
	.set _ZN7rocprim17ROCPRIM_400000_NS6detail17trampoline_kernelINS0_14default_configENS1_27upper_bound_config_selectorIylEEZNS1_14transform_implILb0ES3_S5_N6thrust23THRUST_200600_302600_NS6detail15normal_iteratorINS8_7pointerIyNS8_11hip_rocprim5par_tENS8_11use_defaultESE_EEEENSA_INSB_IlSD_SE_SE_EEEEZNS1_13binary_searchIS3_S5_PySG_SI_NS1_21upper_bound_search_opENS9_16wrapped_functionINS8_6system6detail7generic6detail18binary_search_lessEbEEEE10hipError_tPvRmT1_T2_T3_mmT4_T5_P12ihipStream_tbEUlRKyE_EEST_SX_SY_mSZ_S12_bEUlT_E_NS1_11comp_targetILNS1_3genE9ELNS1_11target_archE1100ELNS1_3gpuE3ELNS1_3repE0EEENS1_30default_config_static_selectorELNS0_4arch9wavefront6targetE0EEEvSW_.numbered_sgpr, 0
	.set _ZN7rocprim17ROCPRIM_400000_NS6detail17trampoline_kernelINS0_14default_configENS1_27upper_bound_config_selectorIylEEZNS1_14transform_implILb0ES3_S5_N6thrust23THRUST_200600_302600_NS6detail15normal_iteratorINS8_7pointerIyNS8_11hip_rocprim5par_tENS8_11use_defaultESE_EEEENSA_INSB_IlSD_SE_SE_EEEEZNS1_13binary_searchIS3_S5_PySG_SI_NS1_21upper_bound_search_opENS9_16wrapped_functionINS8_6system6detail7generic6detail18binary_search_lessEbEEEE10hipError_tPvRmT1_T2_T3_mmT4_T5_P12ihipStream_tbEUlRKyE_EEST_SX_SY_mSZ_S12_bEUlT_E_NS1_11comp_targetILNS1_3genE9ELNS1_11target_archE1100ELNS1_3gpuE3ELNS1_3repE0EEENS1_30default_config_static_selectorELNS0_4arch9wavefront6targetE0EEEvSW_.num_named_barrier, 0
	.set _ZN7rocprim17ROCPRIM_400000_NS6detail17trampoline_kernelINS0_14default_configENS1_27upper_bound_config_selectorIylEEZNS1_14transform_implILb0ES3_S5_N6thrust23THRUST_200600_302600_NS6detail15normal_iteratorINS8_7pointerIyNS8_11hip_rocprim5par_tENS8_11use_defaultESE_EEEENSA_INSB_IlSD_SE_SE_EEEEZNS1_13binary_searchIS3_S5_PySG_SI_NS1_21upper_bound_search_opENS9_16wrapped_functionINS8_6system6detail7generic6detail18binary_search_lessEbEEEE10hipError_tPvRmT1_T2_T3_mmT4_T5_P12ihipStream_tbEUlRKyE_EEST_SX_SY_mSZ_S12_bEUlT_E_NS1_11comp_targetILNS1_3genE9ELNS1_11target_archE1100ELNS1_3gpuE3ELNS1_3repE0EEENS1_30default_config_static_selectorELNS0_4arch9wavefront6targetE0EEEvSW_.private_seg_size, 0
	.set _ZN7rocprim17ROCPRIM_400000_NS6detail17trampoline_kernelINS0_14default_configENS1_27upper_bound_config_selectorIylEEZNS1_14transform_implILb0ES3_S5_N6thrust23THRUST_200600_302600_NS6detail15normal_iteratorINS8_7pointerIyNS8_11hip_rocprim5par_tENS8_11use_defaultESE_EEEENSA_INSB_IlSD_SE_SE_EEEEZNS1_13binary_searchIS3_S5_PySG_SI_NS1_21upper_bound_search_opENS9_16wrapped_functionINS8_6system6detail7generic6detail18binary_search_lessEbEEEE10hipError_tPvRmT1_T2_T3_mmT4_T5_P12ihipStream_tbEUlRKyE_EEST_SX_SY_mSZ_S12_bEUlT_E_NS1_11comp_targetILNS1_3genE9ELNS1_11target_archE1100ELNS1_3gpuE3ELNS1_3repE0EEENS1_30default_config_static_selectorELNS0_4arch9wavefront6targetE0EEEvSW_.uses_vcc, 0
	.set _ZN7rocprim17ROCPRIM_400000_NS6detail17trampoline_kernelINS0_14default_configENS1_27upper_bound_config_selectorIylEEZNS1_14transform_implILb0ES3_S5_N6thrust23THRUST_200600_302600_NS6detail15normal_iteratorINS8_7pointerIyNS8_11hip_rocprim5par_tENS8_11use_defaultESE_EEEENSA_INSB_IlSD_SE_SE_EEEEZNS1_13binary_searchIS3_S5_PySG_SI_NS1_21upper_bound_search_opENS9_16wrapped_functionINS8_6system6detail7generic6detail18binary_search_lessEbEEEE10hipError_tPvRmT1_T2_T3_mmT4_T5_P12ihipStream_tbEUlRKyE_EEST_SX_SY_mSZ_S12_bEUlT_E_NS1_11comp_targetILNS1_3genE9ELNS1_11target_archE1100ELNS1_3gpuE3ELNS1_3repE0EEENS1_30default_config_static_selectorELNS0_4arch9wavefront6targetE0EEEvSW_.uses_flat_scratch, 0
	.set _ZN7rocprim17ROCPRIM_400000_NS6detail17trampoline_kernelINS0_14default_configENS1_27upper_bound_config_selectorIylEEZNS1_14transform_implILb0ES3_S5_N6thrust23THRUST_200600_302600_NS6detail15normal_iteratorINS8_7pointerIyNS8_11hip_rocprim5par_tENS8_11use_defaultESE_EEEENSA_INSB_IlSD_SE_SE_EEEEZNS1_13binary_searchIS3_S5_PySG_SI_NS1_21upper_bound_search_opENS9_16wrapped_functionINS8_6system6detail7generic6detail18binary_search_lessEbEEEE10hipError_tPvRmT1_T2_T3_mmT4_T5_P12ihipStream_tbEUlRKyE_EEST_SX_SY_mSZ_S12_bEUlT_E_NS1_11comp_targetILNS1_3genE9ELNS1_11target_archE1100ELNS1_3gpuE3ELNS1_3repE0EEENS1_30default_config_static_selectorELNS0_4arch9wavefront6targetE0EEEvSW_.has_dyn_sized_stack, 0
	.set _ZN7rocprim17ROCPRIM_400000_NS6detail17trampoline_kernelINS0_14default_configENS1_27upper_bound_config_selectorIylEEZNS1_14transform_implILb0ES3_S5_N6thrust23THRUST_200600_302600_NS6detail15normal_iteratorINS8_7pointerIyNS8_11hip_rocprim5par_tENS8_11use_defaultESE_EEEENSA_INSB_IlSD_SE_SE_EEEEZNS1_13binary_searchIS3_S5_PySG_SI_NS1_21upper_bound_search_opENS9_16wrapped_functionINS8_6system6detail7generic6detail18binary_search_lessEbEEEE10hipError_tPvRmT1_T2_T3_mmT4_T5_P12ihipStream_tbEUlRKyE_EEST_SX_SY_mSZ_S12_bEUlT_E_NS1_11comp_targetILNS1_3genE9ELNS1_11target_archE1100ELNS1_3gpuE3ELNS1_3repE0EEENS1_30default_config_static_selectorELNS0_4arch9wavefront6targetE0EEEvSW_.has_recursion, 0
	.set _ZN7rocprim17ROCPRIM_400000_NS6detail17trampoline_kernelINS0_14default_configENS1_27upper_bound_config_selectorIylEEZNS1_14transform_implILb0ES3_S5_N6thrust23THRUST_200600_302600_NS6detail15normal_iteratorINS8_7pointerIyNS8_11hip_rocprim5par_tENS8_11use_defaultESE_EEEENSA_INSB_IlSD_SE_SE_EEEEZNS1_13binary_searchIS3_S5_PySG_SI_NS1_21upper_bound_search_opENS9_16wrapped_functionINS8_6system6detail7generic6detail18binary_search_lessEbEEEE10hipError_tPvRmT1_T2_T3_mmT4_T5_P12ihipStream_tbEUlRKyE_EEST_SX_SY_mSZ_S12_bEUlT_E_NS1_11comp_targetILNS1_3genE9ELNS1_11target_archE1100ELNS1_3gpuE3ELNS1_3repE0EEENS1_30default_config_static_selectorELNS0_4arch9wavefront6targetE0EEEvSW_.has_indirect_call, 0
	.section	.AMDGPU.csdata,"",@progbits
; Kernel info:
; codeLenInByte = 0
; TotalNumSgprs: 0
; NumVgprs: 0
; ScratchSize: 0
; MemoryBound: 0
; FloatMode: 240
; IeeeMode: 1
; LDSByteSize: 0 bytes/workgroup (compile time only)
; SGPRBlocks: 0
; VGPRBlocks: 0
; NumSGPRsForWavesPerEU: 1
; NumVGPRsForWavesPerEU: 1
; Occupancy: 16
; WaveLimiterHint : 0
; COMPUTE_PGM_RSRC2:SCRATCH_EN: 0
; COMPUTE_PGM_RSRC2:USER_SGPR: 6
; COMPUTE_PGM_RSRC2:TRAP_HANDLER: 0
; COMPUTE_PGM_RSRC2:TGID_X_EN: 1
; COMPUTE_PGM_RSRC2:TGID_Y_EN: 0
; COMPUTE_PGM_RSRC2:TGID_Z_EN: 0
; COMPUTE_PGM_RSRC2:TIDIG_COMP_CNT: 0
	.section	.text._ZN7rocprim17ROCPRIM_400000_NS6detail17trampoline_kernelINS0_14default_configENS1_27upper_bound_config_selectorIylEEZNS1_14transform_implILb0ES3_S5_N6thrust23THRUST_200600_302600_NS6detail15normal_iteratorINS8_7pointerIyNS8_11hip_rocprim5par_tENS8_11use_defaultESE_EEEENSA_INSB_IlSD_SE_SE_EEEEZNS1_13binary_searchIS3_S5_PySG_SI_NS1_21upper_bound_search_opENS9_16wrapped_functionINS8_6system6detail7generic6detail18binary_search_lessEbEEEE10hipError_tPvRmT1_T2_T3_mmT4_T5_P12ihipStream_tbEUlRKyE_EEST_SX_SY_mSZ_S12_bEUlT_E_NS1_11comp_targetILNS1_3genE8ELNS1_11target_archE1030ELNS1_3gpuE2ELNS1_3repE0EEENS1_30default_config_static_selectorELNS0_4arch9wavefront6targetE0EEEvSW_,"axG",@progbits,_ZN7rocprim17ROCPRIM_400000_NS6detail17trampoline_kernelINS0_14default_configENS1_27upper_bound_config_selectorIylEEZNS1_14transform_implILb0ES3_S5_N6thrust23THRUST_200600_302600_NS6detail15normal_iteratorINS8_7pointerIyNS8_11hip_rocprim5par_tENS8_11use_defaultESE_EEEENSA_INSB_IlSD_SE_SE_EEEEZNS1_13binary_searchIS3_S5_PySG_SI_NS1_21upper_bound_search_opENS9_16wrapped_functionINS8_6system6detail7generic6detail18binary_search_lessEbEEEE10hipError_tPvRmT1_T2_T3_mmT4_T5_P12ihipStream_tbEUlRKyE_EEST_SX_SY_mSZ_S12_bEUlT_E_NS1_11comp_targetILNS1_3genE8ELNS1_11target_archE1030ELNS1_3gpuE2ELNS1_3repE0EEENS1_30default_config_static_selectorELNS0_4arch9wavefront6targetE0EEEvSW_,comdat
	.protected	_ZN7rocprim17ROCPRIM_400000_NS6detail17trampoline_kernelINS0_14default_configENS1_27upper_bound_config_selectorIylEEZNS1_14transform_implILb0ES3_S5_N6thrust23THRUST_200600_302600_NS6detail15normal_iteratorINS8_7pointerIyNS8_11hip_rocprim5par_tENS8_11use_defaultESE_EEEENSA_INSB_IlSD_SE_SE_EEEEZNS1_13binary_searchIS3_S5_PySG_SI_NS1_21upper_bound_search_opENS9_16wrapped_functionINS8_6system6detail7generic6detail18binary_search_lessEbEEEE10hipError_tPvRmT1_T2_T3_mmT4_T5_P12ihipStream_tbEUlRKyE_EEST_SX_SY_mSZ_S12_bEUlT_E_NS1_11comp_targetILNS1_3genE8ELNS1_11target_archE1030ELNS1_3gpuE2ELNS1_3repE0EEENS1_30default_config_static_selectorELNS0_4arch9wavefront6targetE0EEEvSW_ ; -- Begin function _ZN7rocprim17ROCPRIM_400000_NS6detail17trampoline_kernelINS0_14default_configENS1_27upper_bound_config_selectorIylEEZNS1_14transform_implILb0ES3_S5_N6thrust23THRUST_200600_302600_NS6detail15normal_iteratorINS8_7pointerIyNS8_11hip_rocprim5par_tENS8_11use_defaultESE_EEEENSA_INSB_IlSD_SE_SE_EEEEZNS1_13binary_searchIS3_S5_PySG_SI_NS1_21upper_bound_search_opENS9_16wrapped_functionINS8_6system6detail7generic6detail18binary_search_lessEbEEEE10hipError_tPvRmT1_T2_T3_mmT4_T5_P12ihipStream_tbEUlRKyE_EEST_SX_SY_mSZ_S12_bEUlT_E_NS1_11comp_targetILNS1_3genE8ELNS1_11target_archE1030ELNS1_3gpuE2ELNS1_3repE0EEENS1_30default_config_static_selectorELNS0_4arch9wavefront6targetE0EEEvSW_
	.globl	_ZN7rocprim17ROCPRIM_400000_NS6detail17trampoline_kernelINS0_14default_configENS1_27upper_bound_config_selectorIylEEZNS1_14transform_implILb0ES3_S5_N6thrust23THRUST_200600_302600_NS6detail15normal_iteratorINS8_7pointerIyNS8_11hip_rocprim5par_tENS8_11use_defaultESE_EEEENSA_INSB_IlSD_SE_SE_EEEEZNS1_13binary_searchIS3_S5_PySG_SI_NS1_21upper_bound_search_opENS9_16wrapped_functionINS8_6system6detail7generic6detail18binary_search_lessEbEEEE10hipError_tPvRmT1_T2_T3_mmT4_T5_P12ihipStream_tbEUlRKyE_EEST_SX_SY_mSZ_S12_bEUlT_E_NS1_11comp_targetILNS1_3genE8ELNS1_11target_archE1030ELNS1_3gpuE2ELNS1_3repE0EEENS1_30default_config_static_selectorELNS0_4arch9wavefront6targetE0EEEvSW_
	.p2align	8
	.type	_ZN7rocprim17ROCPRIM_400000_NS6detail17trampoline_kernelINS0_14default_configENS1_27upper_bound_config_selectorIylEEZNS1_14transform_implILb0ES3_S5_N6thrust23THRUST_200600_302600_NS6detail15normal_iteratorINS8_7pointerIyNS8_11hip_rocprim5par_tENS8_11use_defaultESE_EEEENSA_INSB_IlSD_SE_SE_EEEEZNS1_13binary_searchIS3_S5_PySG_SI_NS1_21upper_bound_search_opENS9_16wrapped_functionINS8_6system6detail7generic6detail18binary_search_lessEbEEEE10hipError_tPvRmT1_T2_T3_mmT4_T5_P12ihipStream_tbEUlRKyE_EEST_SX_SY_mSZ_S12_bEUlT_E_NS1_11comp_targetILNS1_3genE8ELNS1_11target_archE1030ELNS1_3gpuE2ELNS1_3repE0EEENS1_30default_config_static_selectorELNS0_4arch9wavefront6targetE0EEEvSW_,@function
_ZN7rocprim17ROCPRIM_400000_NS6detail17trampoline_kernelINS0_14default_configENS1_27upper_bound_config_selectorIylEEZNS1_14transform_implILb0ES3_S5_N6thrust23THRUST_200600_302600_NS6detail15normal_iteratorINS8_7pointerIyNS8_11hip_rocprim5par_tENS8_11use_defaultESE_EEEENSA_INSB_IlSD_SE_SE_EEEEZNS1_13binary_searchIS3_S5_PySG_SI_NS1_21upper_bound_search_opENS9_16wrapped_functionINS8_6system6detail7generic6detail18binary_search_lessEbEEEE10hipError_tPvRmT1_T2_T3_mmT4_T5_P12ihipStream_tbEUlRKyE_EEST_SX_SY_mSZ_S12_bEUlT_E_NS1_11comp_targetILNS1_3genE8ELNS1_11target_archE1030ELNS1_3gpuE2ELNS1_3repE0EEENS1_30default_config_static_selectorELNS0_4arch9wavefront6targetE0EEEvSW_: ; @_ZN7rocprim17ROCPRIM_400000_NS6detail17trampoline_kernelINS0_14default_configENS1_27upper_bound_config_selectorIylEEZNS1_14transform_implILb0ES3_S5_N6thrust23THRUST_200600_302600_NS6detail15normal_iteratorINS8_7pointerIyNS8_11hip_rocprim5par_tENS8_11use_defaultESE_EEEENSA_INSB_IlSD_SE_SE_EEEEZNS1_13binary_searchIS3_S5_PySG_SI_NS1_21upper_bound_search_opENS9_16wrapped_functionINS8_6system6detail7generic6detail18binary_search_lessEbEEEE10hipError_tPvRmT1_T2_T3_mmT4_T5_P12ihipStream_tbEUlRKyE_EEST_SX_SY_mSZ_S12_bEUlT_E_NS1_11comp_targetILNS1_3genE8ELNS1_11target_archE1030ELNS1_3gpuE2ELNS1_3repE0EEENS1_30default_config_static_selectorELNS0_4arch9wavefront6targetE0EEEvSW_
; %bb.0:
	s_clause 0x3
	s_load_dwordx4 s[16:19], s[4:5], 0x0
	s_load_dwordx4 s[0:3], s[4:5], 0x18
	s_load_dword s15, s[4:5], 0x38
	s_load_dwordx2 s[10:11], s[4:5], 0x28
	s_waitcnt lgkmcnt(0)
	s_lshl_b64 s[8:9], s[18:19], 3
	s_add_u32 s13, s16, s8
	s_addc_u32 s14, s17, s9
	s_add_u32 s7, s0, s8
	s_addc_u32 s12, s1, s9
	s_add_i32 s15, s15, -1
	s_lshl_b32 s8, s6, 8
	s_mov_b32 s9, 0
	s_cmp_lg_u32 s6, s15
	s_mov_b32 s0, -1
	s_cbranch_scc0 .LBB190_7
; %bb.1:
	s_cmp_eq_u64 s[10:11], 0
	s_cbranch_scc1 .LBB190_5
; %bb.2:
	v_lshlrev_b32_e32 v1, 3, v0
	s_lshl_b64 s[0:1], s[8:9], 3
	v_mov_b32_e32 v5, s10
	s_add_u32 s0, s13, s0
	s_addc_u32 s1, s14, s1
	v_add_co_u32 v1, s0, s0, v1
	v_add_co_ci_u32_e64 v2, null, s1, 0, s0
	v_mov_b32_e32 v6, s11
	s_mov_b32 s1, 0
	flat_load_dwordx2 v[3:4], v[1:2]
	v_mov_b32_e32 v1, 0
	v_mov_b32_e32 v2, 0
	s_inst_prefetch 0x1
	.p2align	6
.LBB190_3:                              ; =>This Inner Loop Header: Depth=1
	v_sub_co_u32 v7, vcc_lo, v5, v1
	v_sub_co_ci_u32_e64 v8, null, v6, v2, vcc_lo
	v_lshrrev_b64 v[9:10], 1, v[7:8]
	v_lshrrev_b64 v[7:8], 6, v[7:8]
	v_add_co_u32 v9, vcc_lo, v9, v1
	v_add_co_ci_u32_e64 v10, null, v10, v2, vcc_lo
	v_add_co_u32 v7, vcc_lo, v9, v7
	v_add_co_ci_u32_e64 v8, null, v10, v8, vcc_lo
	v_lshlrev_b64 v[9:10], 3, v[7:8]
	v_add_co_u32 v9, vcc_lo, s2, v9
	v_add_co_ci_u32_e64 v10, null, s3, v10, vcc_lo
	v_add_co_u32 v11, vcc_lo, v7, 1
	global_load_dwordx2 v[9:10], v[9:10], off
	s_waitcnt vmcnt(0) lgkmcnt(0)
	v_cmp_lt_u64_e64 s0, v[3:4], v[9:10]
	v_add_co_ci_u32_e64 v9, null, 0, v8, vcc_lo
	v_cndmask_b32_e64 v6, v6, v8, s0
	v_cndmask_b32_e64 v5, v5, v7, s0
	;; [unrolled: 1-line block ×4, first 2 shown]
	v_cmp_ge_u64_e32 vcc_lo, v[1:2], v[5:6]
	s_or_b32 s1, vcc_lo, s1
	s_andn2_b32 exec_lo, exec_lo, s1
	s_cbranch_execnz .LBB190_3
; %bb.4:
	s_inst_prefetch 0x2
	s_or_b32 exec_lo, exec_lo, s1
	s_branch .LBB190_6
.LBB190_5:
	v_mov_b32_e32 v1, 0
	v_mov_b32_e32 v2, 0
.LBB190_6:
	v_lshlrev_b32_e32 v3, 3, v0
	s_lshl_b64 s[0:1], s[8:9], 3
	s_add_u32 s0, s7, s0
	s_addc_u32 s1, s12, s1
	v_add_co_u32 v3, s0, s0, v3
	v_add_co_ci_u32_e64 v4, null, s1, 0, s0
	s_mov_b32 s0, 0
	flat_store_dwordx2 v[3:4], v[1:2]
.LBB190_7:
	s_and_b32 vcc_lo, exec_lo, s0
	s_cbranch_vccz .LBB190_16
; %bb.8:
	s_load_dword s0, s[4:5], 0x10
                                        ; implicit-def: $vgpr3_vgpr4
	s_waitcnt lgkmcnt(0)
	s_sub_i32 s1, s0, s8
	v_cmp_le_u32_e64 s0, s1, v0
	v_cmp_gt_u32_e32 vcc_lo, s1, v0
	s_and_saveexec_b32 s1, vcc_lo
	s_cbranch_execz .LBB190_10
; %bb.9:
	v_lshlrev_b32_e32 v1, 3, v0
	s_lshl_b64 s[4:5], s[8:9], 3
	s_add_u32 s4, s13, s4
	s_addc_u32 s5, s14, s5
	v_add_co_u32 v1, s4, s4, v1
	v_add_co_ci_u32_e64 v2, null, s5, 0, s4
	flat_load_dwordx2 v[3:4], v[1:2]
.LBB190_10:
	s_or_b32 exec_lo, exec_lo, s1
	s_cmp_lg_u64 s[10:11], 0
	v_mov_b32_e32 v1, 0
	v_mov_b32_e32 v2, 0
	s_cselect_b32 s1, -1, 0
	s_xor_b32 s0, s0, -1
	s_and_b32 s0, s0, s1
	s_and_saveexec_b32 s4, s0
	s_cbranch_execz .LBB190_14
; %bb.11:
	v_mov_b32_e32 v1, 0
	v_mov_b32_e32 v5, s10
	;; [unrolled: 1-line block ×4, first 2 shown]
	s_mov_b32 s5, 0
	s_inst_prefetch 0x1
	.p2align	6
.LBB190_12:                             ; =>This Inner Loop Header: Depth=1
	v_sub_co_u32 v7, s0, v5, v1
	v_sub_co_ci_u32_e64 v8, null, v6, v2, s0
	v_lshrrev_b64 v[9:10], 1, v[7:8]
	v_lshrrev_b64 v[7:8], 6, v[7:8]
	v_add_co_u32 v9, s0, v9, v1
	v_add_co_ci_u32_e64 v10, null, v10, v2, s0
	v_add_co_u32 v7, s0, v9, v7
	v_add_co_ci_u32_e64 v8, null, v10, v8, s0
	v_lshlrev_b64 v[9:10], 3, v[7:8]
	v_add_co_u32 v9, s0, s2, v9
	v_add_co_ci_u32_e64 v10, null, s3, v10, s0
	v_add_co_u32 v11, s0, v7, 1
	global_load_dwordx2 v[9:10], v[9:10], off
	s_waitcnt vmcnt(0) lgkmcnt(0)
	v_cmp_lt_u64_e64 s1, v[3:4], v[9:10]
	v_add_co_ci_u32_e64 v9, null, 0, v8, s0
	v_cndmask_b32_e64 v6, v6, v8, s1
	v_cndmask_b32_e64 v5, v5, v7, s1
	;; [unrolled: 1-line block ×4, first 2 shown]
	v_cmp_ge_u64_e64 s0, v[1:2], v[5:6]
	s_or_b32 s5, s0, s5
	s_andn2_b32 exec_lo, exec_lo, s5
	s_cbranch_execnz .LBB190_12
; %bb.13:
	s_inst_prefetch 0x2
	s_or_b32 exec_lo, exec_lo, s5
.LBB190_14:
	s_or_b32 exec_lo, exec_lo, s4
	s_and_saveexec_b32 s0, vcc_lo
	s_cbranch_execz .LBB190_16
; %bb.15:
	v_lshlrev_b32_e32 v0, 3, v0
	s_lshl_b64 s[0:1], s[8:9], 3
	s_add_u32 s0, s7, s0
	s_addc_u32 s1, s12, s1
	s_waitcnt vmcnt(0) lgkmcnt(0)
	v_add_co_u32 v3, s0, s0, v0
	v_add_co_ci_u32_e64 v4, null, s1, 0, s0
	flat_store_dwordx2 v[3:4], v[1:2]
.LBB190_16:
	s_endpgm
	.section	.rodata,"a",@progbits
	.p2align	6, 0x0
	.amdhsa_kernel _ZN7rocprim17ROCPRIM_400000_NS6detail17trampoline_kernelINS0_14default_configENS1_27upper_bound_config_selectorIylEEZNS1_14transform_implILb0ES3_S5_N6thrust23THRUST_200600_302600_NS6detail15normal_iteratorINS8_7pointerIyNS8_11hip_rocprim5par_tENS8_11use_defaultESE_EEEENSA_INSB_IlSD_SE_SE_EEEEZNS1_13binary_searchIS3_S5_PySG_SI_NS1_21upper_bound_search_opENS9_16wrapped_functionINS8_6system6detail7generic6detail18binary_search_lessEbEEEE10hipError_tPvRmT1_T2_T3_mmT4_T5_P12ihipStream_tbEUlRKyE_EEST_SX_SY_mSZ_S12_bEUlT_E_NS1_11comp_targetILNS1_3genE8ELNS1_11target_archE1030ELNS1_3gpuE2ELNS1_3repE0EEENS1_30default_config_static_selectorELNS0_4arch9wavefront6targetE0EEEvSW_
		.amdhsa_group_segment_fixed_size 0
		.amdhsa_private_segment_fixed_size 0
		.amdhsa_kernarg_size 312
		.amdhsa_user_sgpr_count 6
		.amdhsa_user_sgpr_private_segment_buffer 1
		.amdhsa_user_sgpr_dispatch_ptr 0
		.amdhsa_user_sgpr_queue_ptr 0
		.amdhsa_user_sgpr_kernarg_segment_ptr 1
		.amdhsa_user_sgpr_dispatch_id 0
		.amdhsa_user_sgpr_flat_scratch_init 0
		.amdhsa_user_sgpr_private_segment_size 0
		.amdhsa_wavefront_size32 1
		.amdhsa_uses_dynamic_stack 0
		.amdhsa_system_sgpr_private_segment_wavefront_offset 0
		.amdhsa_system_sgpr_workgroup_id_x 1
		.amdhsa_system_sgpr_workgroup_id_y 0
		.amdhsa_system_sgpr_workgroup_id_z 0
		.amdhsa_system_sgpr_workgroup_info 0
		.amdhsa_system_vgpr_workitem_id 0
		.amdhsa_next_free_vgpr 12
		.amdhsa_next_free_sgpr 20
		.amdhsa_reserve_vcc 1
		.amdhsa_reserve_flat_scratch 0
		.amdhsa_float_round_mode_32 0
		.amdhsa_float_round_mode_16_64 0
		.amdhsa_float_denorm_mode_32 3
		.amdhsa_float_denorm_mode_16_64 3
		.amdhsa_dx10_clamp 1
		.amdhsa_ieee_mode 1
		.amdhsa_fp16_overflow 0
		.amdhsa_workgroup_processor_mode 1
		.amdhsa_memory_ordered 1
		.amdhsa_forward_progress 1
		.amdhsa_shared_vgpr_count 0
		.amdhsa_exception_fp_ieee_invalid_op 0
		.amdhsa_exception_fp_denorm_src 0
		.amdhsa_exception_fp_ieee_div_zero 0
		.amdhsa_exception_fp_ieee_overflow 0
		.amdhsa_exception_fp_ieee_underflow 0
		.amdhsa_exception_fp_ieee_inexact 0
		.amdhsa_exception_int_div_zero 0
	.end_amdhsa_kernel
	.section	.text._ZN7rocprim17ROCPRIM_400000_NS6detail17trampoline_kernelINS0_14default_configENS1_27upper_bound_config_selectorIylEEZNS1_14transform_implILb0ES3_S5_N6thrust23THRUST_200600_302600_NS6detail15normal_iteratorINS8_7pointerIyNS8_11hip_rocprim5par_tENS8_11use_defaultESE_EEEENSA_INSB_IlSD_SE_SE_EEEEZNS1_13binary_searchIS3_S5_PySG_SI_NS1_21upper_bound_search_opENS9_16wrapped_functionINS8_6system6detail7generic6detail18binary_search_lessEbEEEE10hipError_tPvRmT1_T2_T3_mmT4_T5_P12ihipStream_tbEUlRKyE_EEST_SX_SY_mSZ_S12_bEUlT_E_NS1_11comp_targetILNS1_3genE8ELNS1_11target_archE1030ELNS1_3gpuE2ELNS1_3repE0EEENS1_30default_config_static_selectorELNS0_4arch9wavefront6targetE0EEEvSW_,"axG",@progbits,_ZN7rocprim17ROCPRIM_400000_NS6detail17trampoline_kernelINS0_14default_configENS1_27upper_bound_config_selectorIylEEZNS1_14transform_implILb0ES3_S5_N6thrust23THRUST_200600_302600_NS6detail15normal_iteratorINS8_7pointerIyNS8_11hip_rocprim5par_tENS8_11use_defaultESE_EEEENSA_INSB_IlSD_SE_SE_EEEEZNS1_13binary_searchIS3_S5_PySG_SI_NS1_21upper_bound_search_opENS9_16wrapped_functionINS8_6system6detail7generic6detail18binary_search_lessEbEEEE10hipError_tPvRmT1_T2_T3_mmT4_T5_P12ihipStream_tbEUlRKyE_EEST_SX_SY_mSZ_S12_bEUlT_E_NS1_11comp_targetILNS1_3genE8ELNS1_11target_archE1030ELNS1_3gpuE2ELNS1_3repE0EEENS1_30default_config_static_selectorELNS0_4arch9wavefront6targetE0EEEvSW_,comdat
.Lfunc_end190:
	.size	_ZN7rocprim17ROCPRIM_400000_NS6detail17trampoline_kernelINS0_14default_configENS1_27upper_bound_config_selectorIylEEZNS1_14transform_implILb0ES3_S5_N6thrust23THRUST_200600_302600_NS6detail15normal_iteratorINS8_7pointerIyNS8_11hip_rocprim5par_tENS8_11use_defaultESE_EEEENSA_INSB_IlSD_SE_SE_EEEEZNS1_13binary_searchIS3_S5_PySG_SI_NS1_21upper_bound_search_opENS9_16wrapped_functionINS8_6system6detail7generic6detail18binary_search_lessEbEEEE10hipError_tPvRmT1_T2_T3_mmT4_T5_P12ihipStream_tbEUlRKyE_EEST_SX_SY_mSZ_S12_bEUlT_E_NS1_11comp_targetILNS1_3genE8ELNS1_11target_archE1030ELNS1_3gpuE2ELNS1_3repE0EEENS1_30default_config_static_selectorELNS0_4arch9wavefront6targetE0EEEvSW_, .Lfunc_end190-_ZN7rocprim17ROCPRIM_400000_NS6detail17trampoline_kernelINS0_14default_configENS1_27upper_bound_config_selectorIylEEZNS1_14transform_implILb0ES3_S5_N6thrust23THRUST_200600_302600_NS6detail15normal_iteratorINS8_7pointerIyNS8_11hip_rocprim5par_tENS8_11use_defaultESE_EEEENSA_INSB_IlSD_SE_SE_EEEEZNS1_13binary_searchIS3_S5_PySG_SI_NS1_21upper_bound_search_opENS9_16wrapped_functionINS8_6system6detail7generic6detail18binary_search_lessEbEEEE10hipError_tPvRmT1_T2_T3_mmT4_T5_P12ihipStream_tbEUlRKyE_EEST_SX_SY_mSZ_S12_bEUlT_E_NS1_11comp_targetILNS1_3genE8ELNS1_11target_archE1030ELNS1_3gpuE2ELNS1_3repE0EEENS1_30default_config_static_selectorELNS0_4arch9wavefront6targetE0EEEvSW_
                                        ; -- End function
	.set _ZN7rocprim17ROCPRIM_400000_NS6detail17trampoline_kernelINS0_14default_configENS1_27upper_bound_config_selectorIylEEZNS1_14transform_implILb0ES3_S5_N6thrust23THRUST_200600_302600_NS6detail15normal_iteratorINS8_7pointerIyNS8_11hip_rocprim5par_tENS8_11use_defaultESE_EEEENSA_INSB_IlSD_SE_SE_EEEEZNS1_13binary_searchIS3_S5_PySG_SI_NS1_21upper_bound_search_opENS9_16wrapped_functionINS8_6system6detail7generic6detail18binary_search_lessEbEEEE10hipError_tPvRmT1_T2_T3_mmT4_T5_P12ihipStream_tbEUlRKyE_EEST_SX_SY_mSZ_S12_bEUlT_E_NS1_11comp_targetILNS1_3genE8ELNS1_11target_archE1030ELNS1_3gpuE2ELNS1_3repE0EEENS1_30default_config_static_selectorELNS0_4arch9wavefront6targetE0EEEvSW_.num_vgpr, 12
	.set _ZN7rocprim17ROCPRIM_400000_NS6detail17trampoline_kernelINS0_14default_configENS1_27upper_bound_config_selectorIylEEZNS1_14transform_implILb0ES3_S5_N6thrust23THRUST_200600_302600_NS6detail15normal_iteratorINS8_7pointerIyNS8_11hip_rocprim5par_tENS8_11use_defaultESE_EEEENSA_INSB_IlSD_SE_SE_EEEEZNS1_13binary_searchIS3_S5_PySG_SI_NS1_21upper_bound_search_opENS9_16wrapped_functionINS8_6system6detail7generic6detail18binary_search_lessEbEEEE10hipError_tPvRmT1_T2_T3_mmT4_T5_P12ihipStream_tbEUlRKyE_EEST_SX_SY_mSZ_S12_bEUlT_E_NS1_11comp_targetILNS1_3genE8ELNS1_11target_archE1030ELNS1_3gpuE2ELNS1_3repE0EEENS1_30default_config_static_selectorELNS0_4arch9wavefront6targetE0EEEvSW_.num_agpr, 0
	.set _ZN7rocprim17ROCPRIM_400000_NS6detail17trampoline_kernelINS0_14default_configENS1_27upper_bound_config_selectorIylEEZNS1_14transform_implILb0ES3_S5_N6thrust23THRUST_200600_302600_NS6detail15normal_iteratorINS8_7pointerIyNS8_11hip_rocprim5par_tENS8_11use_defaultESE_EEEENSA_INSB_IlSD_SE_SE_EEEEZNS1_13binary_searchIS3_S5_PySG_SI_NS1_21upper_bound_search_opENS9_16wrapped_functionINS8_6system6detail7generic6detail18binary_search_lessEbEEEE10hipError_tPvRmT1_T2_T3_mmT4_T5_P12ihipStream_tbEUlRKyE_EEST_SX_SY_mSZ_S12_bEUlT_E_NS1_11comp_targetILNS1_3genE8ELNS1_11target_archE1030ELNS1_3gpuE2ELNS1_3repE0EEENS1_30default_config_static_selectorELNS0_4arch9wavefront6targetE0EEEvSW_.numbered_sgpr, 20
	.set _ZN7rocprim17ROCPRIM_400000_NS6detail17trampoline_kernelINS0_14default_configENS1_27upper_bound_config_selectorIylEEZNS1_14transform_implILb0ES3_S5_N6thrust23THRUST_200600_302600_NS6detail15normal_iteratorINS8_7pointerIyNS8_11hip_rocprim5par_tENS8_11use_defaultESE_EEEENSA_INSB_IlSD_SE_SE_EEEEZNS1_13binary_searchIS3_S5_PySG_SI_NS1_21upper_bound_search_opENS9_16wrapped_functionINS8_6system6detail7generic6detail18binary_search_lessEbEEEE10hipError_tPvRmT1_T2_T3_mmT4_T5_P12ihipStream_tbEUlRKyE_EEST_SX_SY_mSZ_S12_bEUlT_E_NS1_11comp_targetILNS1_3genE8ELNS1_11target_archE1030ELNS1_3gpuE2ELNS1_3repE0EEENS1_30default_config_static_selectorELNS0_4arch9wavefront6targetE0EEEvSW_.num_named_barrier, 0
	.set _ZN7rocprim17ROCPRIM_400000_NS6detail17trampoline_kernelINS0_14default_configENS1_27upper_bound_config_selectorIylEEZNS1_14transform_implILb0ES3_S5_N6thrust23THRUST_200600_302600_NS6detail15normal_iteratorINS8_7pointerIyNS8_11hip_rocprim5par_tENS8_11use_defaultESE_EEEENSA_INSB_IlSD_SE_SE_EEEEZNS1_13binary_searchIS3_S5_PySG_SI_NS1_21upper_bound_search_opENS9_16wrapped_functionINS8_6system6detail7generic6detail18binary_search_lessEbEEEE10hipError_tPvRmT1_T2_T3_mmT4_T5_P12ihipStream_tbEUlRKyE_EEST_SX_SY_mSZ_S12_bEUlT_E_NS1_11comp_targetILNS1_3genE8ELNS1_11target_archE1030ELNS1_3gpuE2ELNS1_3repE0EEENS1_30default_config_static_selectorELNS0_4arch9wavefront6targetE0EEEvSW_.private_seg_size, 0
	.set _ZN7rocprim17ROCPRIM_400000_NS6detail17trampoline_kernelINS0_14default_configENS1_27upper_bound_config_selectorIylEEZNS1_14transform_implILb0ES3_S5_N6thrust23THRUST_200600_302600_NS6detail15normal_iteratorINS8_7pointerIyNS8_11hip_rocprim5par_tENS8_11use_defaultESE_EEEENSA_INSB_IlSD_SE_SE_EEEEZNS1_13binary_searchIS3_S5_PySG_SI_NS1_21upper_bound_search_opENS9_16wrapped_functionINS8_6system6detail7generic6detail18binary_search_lessEbEEEE10hipError_tPvRmT1_T2_T3_mmT4_T5_P12ihipStream_tbEUlRKyE_EEST_SX_SY_mSZ_S12_bEUlT_E_NS1_11comp_targetILNS1_3genE8ELNS1_11target_archE1030ELNS1_3gpuE2ELNS1_3repE0EEENS1_30default_config_static_selectorELNS0_4arch9wavefront6targetE0EEEvSW_.uses_vcc, 1
	.set _ZN7rocprim17ROCPRIM_400000_NS6detail17trampoline_kernelINS0_14default_configENS1_27upper_bound_config_selectorIylEEZNS1_14transform_implILb0ES3_S5_N6thrust23THRUST_200600_302600_NS6detail15normal_iteratorINS8_7pointerIyNS8_11hip_rocprim5par_tENS8_11use_defaultESE_EEEENSA_INSB_IlSD_SE_SE_EEEEZNS1_13binary_searchIS3_S5_PySG_SI_NS1_21upper_bound_search_opENS9_16wrapped_functionINS8_6system6detail7generic6detail18binary_search_lessEbEEEE10hipError_tPvRmT1_T2_T3_mmT4_T5_P12ihipStream_tbEUlRKyE_EEST_SX_SY_mSZ_S12_bEUlT_E_NS1_11comp_targetILNS1_3genE8ELNS1_11target_archE1030ELNS1_3gpuE2ELNS1_3repE0EEENS1_30default_config_static_selectorELNS0_4arch9wavefront6targetE0EEEvSW_.uses_flat_scratch, 0
	.set _ZN7rocprim17ROCPRIM_400000_NS6detail17trampoline_kernelINS0_14default_configENS1_27upper_bound_config_selectorIylEEZNS1_14transform_implILb0ES3_S5_N6thrust23THRUST_200600_302600_NS6detail15normal_iteratorINS8_7pointerIyNS8_11hip_rocprim5par_tENS8_11use_defaultESE_EEEENSA_INSB_IlSD_SE_SE_EEEEZNS1_13binary_searchIS3_S5_PySG_SI_NS1_21upper_bound_search_opENS9_16wrapped_functionINS8_6system6detail7generic6detail18binary_search_lessEbEEEE10hipError_tPvRmT1_T2_T3_mmT4_T5_P12ihipStream_tbEUlRKyE_EEST_SX_SY_mSZ_S12_bEUlT_E_NS1_11comp_targetILNS1_3genE8ELNS1_11target_archE1030ELNS1_3gpuE2ELNS1_3repE0EEENS1_30default_config_static_selectorELNS0_4arch9wavefront6targetE0EEEvSW_.has_dyn_sized_stack, 0
	.set _ZN7rocprim17ROCPRIM_400000_NS6detail17trampoline_kernelINS0_14default_configENS1_27upper_bound_config_selectorIylEEZNS1_14transform_implILb0ES3_S5_N6thrust23THRUST_200600_302600_NS6detail15normal_iteratorINS8_7pointerIyNS8_11hip_rocprim5par_tENS8_11use_defaultESE_EEEENSA_INSB_IlSD_SE_SE_EEEEZNS1_13binary_searchIS3_S5_PySG_SI_NS1_21upper_bound_search_opENS9_16wrapped_functionINS8_6system6detail7generic6detail18binary_search_lessEbEEEE10hipError_tPvRmT1_T2_T3_mmT4_T5_P12ihipStream_tbEUlRKyE_EEST_SX_SY_mSZ_S12_bEUlT_E_NS1_11comp_targetILNS1_3genE8ELNS1_11target_archE1030ELNS1_3gpuE2ELNS1_3repE0EEENS1_30default_config_static_selectorELNS0_4arch9wavefront6targetE0EEEvSW_.has_recursion, 0
	.set _ZN7rocprim17ROCPRIM_400000_NS6detail17trampoline_kernelINS0_14default_configENS1_27upper_bound_config_selectorIylEEZNS1_14transform_implILb0ES3_S5_N6thrust23THRUST_200600_302600_NS6detail15normal_iteratorINS8_7pointerIyNS8_11hip_rocprim5par_tENS8_11use_defaultESE_EEEENSA_INSB_IlSD_SE_SE_EEEEZNS1_13binary_searchIS3_S5_PySG_SI_NS1_21upper_bound_search_opENS9_16wrapped_functionINS8_6system6detail7generic6detail18binary_search_lessEbEEEE10hipError_tPvRmT1_T2_T3_mmT4_T5_P12ihipStream_tbEUlRKyE_EEST_SX_SY_mSZ_S12_bEUlT_E_NS1_11comp_targetILNS1_3genE8ELNS1_11target_archE1030ELNS1_3gpuE2ELNS1_3repE0EEENS1_30default_config_static_selectorELNS0_4arch9wavefront6targetE0EEEvSW_.has_indirect_call, 0
	.section	.AMDGPU.csdata,"",@progbits
; Kernel info:
; codeLenInByte = 820
; TotalNumSgprs: 22
; NumVgprs: 12
; ScratchSize: 0
; MemoryBound: 0
; FloatMode: 240
; IeeeMode: 1
; LDSByteSize: 0 bytes/workgroup (compile time only)
; SGPRBlocks: 0
; VGPRBlocks: 1
; NumSGPRsForWavesPerEU: 22
; NumVGPRsForWavesPerEU: 12
; Occupancy: 16
; WaveLimiterHint : 0
; COMPUTE_PGM_RSRC2:SCRATCH_EN: 0
; COMPUTE_PGM_RSRC2:USER_SGPR: 6
; COMPUTE_PGM_RSRC2:TRAP_HANDLER: 0
; COMPUTE_PGM_RSRC2:TGID_X_EN: 1
; COMPUTE_PGM_RSRC2:TGID_Y_EN: 0
; COMPUTE_PGM_RSRC2:TGID_Z_EN: 0
; COMPUTE_PGM_RSRC2:TIDIG_COMP_CNT: 0
	.section	.text._Z18upper_bound_kernelIjEvmPT_Pl,"axG",@progbits,_Z18upper_bound_kernelIjEvmPT_Pl,comdat
	.protected	_Z18upper_bound_kernelIjEvmPT_Pl ; -- Begin function _Z18upper_bound_kernelIjEvmPT_Pl
	.globl	_Z18upper_bound_kernelIjEvmPT_Pl
	.p2align	8
	.type	_Z18upper_bound_kernelIjEvmPT_Pl,@function
_Z18upper_bound_kernelIjEvmPT_Pl:       ; @_Z18upper_bound_kernelIjEvmPT_Pl
; %bb.0:
	s_clause 0x1
	s_load_dwordx4 s[0:3], s[4:5], 0x0
	s_load_dwordx2 s[4:5], s[4:5], 0x10
	s_waitcnt lgkmcnt(0)
	s_lshl_b64 s[0:1], s[0:1], 2
	s_add_u32 s0, s2, s0
	s_addc_u32 s1, s3, s1
	s_sub_u32 s0, s0, s2
	s_subb_u32 s1, s1, s3
	s_ashr_i64 s[6:7], s[0:1], 2
	s_mov_b32 s1, -1
	v_cmp_lt_i64_e64 s0, s[6:7], 1
	s_and_b32 s0, exec_lo, s0
	s_mov_b32 vcc_lo, s0
	s_cbranch_vccz .LBB191_2
; %bb.1:
	v_mov_b32_e32 v0, 0
	s_mov_b32 s1, 0
	v_mov_b32_e32 v1, v0
	global_store_dwordx2 v0, v[0:1], s[4:5]
.LBB191_2:
	s_andn2_b32 vcc_lo, exec_lo, s1
	s_mov_b64 s[8:9], 0
	s_cbranch_vccnz .LBB191_7
; %bb.3:
	s_mov_b64 s[10:11], s[6:7]
	.p2align	6
.LBB191_4:                              ; =>This Inner Loop Header: Depth=1
	s_sub_u32 s12, s10, s8
	s_subb_u32 s13, s11, s9
	s_lshr_b64 s[12:13], s[12:13], 1
	s_add_u32 s12, s12, s8
	s_addc_u32 s13, s13, s9
	s_lshl_b64 s[14:15], s[12:13], 2
	s_add_u32 s14, s2, s14
	s_addc_u32 s15, s3, s15
	s_load_dword s1, s[14:15], 0x0
	s_add_u32 s14, s12, 1
	s_addc_u32 s15, s13, 0
	s_waitcnt lgkmcnt(0)
	s_cmp_eq_u32 s1, 0
	s_cselect_b32 s9, s15, s9
	s_cselect_b32 s8, s14, s8
	;; [unrolled: 1-line block ×4, first 2 shown]
	v_cmp_lt_i64_e64 s1, s[8:9], s[10:11]
	s_and_b32 vcc_lo, exec_lo, s1
	s_cbranch_vccnz .LBB191_4
; %bb.5:
	s_lshl_b64 s[8:9], s[8:9], 2
	v_mov_b32_e32 v2, 0
	s_add_u32 s1, s2, s8
	s_addc_u32 s9, s3, s9
	s_sub_u32 s8, s1, s2
	s_subb_u32 s9, s9, s3
	s_mov_b64 s[10:11], s[6:7]
	s_ashr_i64 s[8:9], s[8:9], 2
	v_mov_b32_e32 v0, s8
	v_mov_b32_e32 v1, s9
	s_mov_b64 s[8:9], 0
	global_store_dwordx2 v2, v[0:1], s[4:5]
	.p2align	6
.LBB191_6:                              ; =>This Inner Loop Header: Depth=1
	s_sub_u32 s12, s10, s8
	s_subb_u32 s13, s11, s9
	s_lshr_b64 s[12:13], s[12:13], 1
	s_add_u32 s12, s12, s8
	s_addc_u32 s13, s13, s9
	s_lshl_b64 s[14:15], s[12:13], 2
	s_add_u32 s14, s2, s14
	s_addc_u32 s15, s3, s15
	s_load_dword s1, s[14:15], 0x0
	s_add_u32 s14, s12, 1
	s_addc_u32 s15, s13, 0
	s_waitcnt lgkmcnt(0)
	s_cmp_gt_u32 s1, 1
	s_cselect_b32 s9, s9, s15
	s_cselect_b32 s8, s8, s14
	;; [unrolled: 1-line block ×4, first 2 shown]
	v_cmp_ge_i64_e64 s1, s[8:9], s[10:11]
	s_and_b32 vcc_lo, exec_lo, s1
	s_cbranch_vccz .LBB191_6
.LBB191_7:
	s_lshl_b64 s[8:9], s[8:9], 2
	v_mov_b32_e32 v0, 0
	s_add_u32 s1, s2, s8
	s_addc_u32 s9, s3, s9
	s_sub_u32 s8, s1, s2
	s_subb_u32 s9, s9, s3
	s_mov_b32 s1, -1
	s_ashr_i64 s[8:9], s[8:9], 2
	s_mov_b32 vcc_lo, s0
	v_mov_b32_e32 v1, s8
	v_mov_b32_e32 v2, s9
	global_store_dwordx2 v0, v[1:2], s[4:5] offset:8
	s_cbranch_vccz .LBB191_9
; %bb.8:
	v_mov_b32_e32 v1, v0
	s_mov_b32 s1, 0
	global_store_dwordx2 v0, v[0:1], s[4:5] offset:16
.LBB191_9:
	s_andn2_b32 vcc_lo, exec_lo, s1
	s_mov_b64 s[8:9], 0
	s_cbranch_vccnz .LBB191_14
; %bb.10:
	s_mov_b64 s[10:11], s[6:7]
	.p2align	6
.LBB191_11:                             ; =>This Inner Loop Header: Depth=1
	s_sub_u32 s12, s10, s8
	s_subb_u32 s13, s11, s9
	s_lshr_b64 s[12:13], s[12:13], 1
	s_add_u32 s12, s12, s8
	s_addc_u32 s13, s13, s9
	s_lshl_b64 s[14:15], s[12:13], 2
	s_add_u32 s14, s2, s14
	s_addc_u32 s15, s3, s15
	s_load_dword s1, s[14:15], 0x0
	s_add_u32 s14, s12, 1
	s_addc_u32 s15, s13, 0
	s_waitcnt lgkmcnt(0)
	s_cmp_gt_u32 s1, 2
	s_cselect_b32 s9, s9, s15
	s_cselect_b32 s8, s8, s14
	;; [unrolled: 1-line block ×4, first 2 shown]
	v_cmp_lt_i64_e64 s1, s[8:9], s[10:11]
	s_and_b32 vcc_lo, exec_lo, s1
	s_cbranch_vccnz .LBB191_11
; %bb.12:
	s_lshl_b64 s[8:9], s[8:9], 2
	v_mov_b32_e32 v2, 0
	s_add_u32 s1, s2, s8
	s_addc_u32 s9, s3, s9
	s_sub_u32 s8, s1, s2
	s_subb_u32 s9, s9, s3
	s_mov_b64 s[10:11], s[6:7]
	s_ashr_i64 s[8:9], s[8:9], 2
	v_mov_b32_e32 v0, s8
	v_mov_b32_e32 v1, s9
	s_mov_b64 s[8:9], 0
	global_store_dwordx2 v2, v[0:1], s[4:5] offset:16
	.p2align	6
.LBB191_13:                             ; =>This Inner Loop Header: Depth=1
	s_sub_u32 s12, s10, s8
	s_subb_u32 s13, s11, s9
	s_lshr_b64 s[12:13], s[12:13], 1
	s_add_u32 s12, s12, s8
	s_addc_u32 s13, s13, s9
	s_lshl_b64 s[14:15], s[12:13], 2
	s_add_u32 s14, s2, s14
	s_addc_u32 s15, s3, s15
	s_load_dword s1, s[14:15], 0x0
	s_add_u32 s14, s12, 1
	s_addc_u32 s15, s13, 0
	s_waitcnt lgkmcnt(0)
	s_cmp_gt_u32 s1, 3
	s_cselect_b32 s9, s9, s15
	s_cselect_b32 s8, s8, s14
	;; [unrolled: 1-line block ×4, first 2 shown]
	v_cmp_ge_i64_e64 s1, s[8:9], s[10:11]
	s_and_b32 vcc_lo, exec_lo, s1
	s_cbranch_vccz .LBB191_13
.LBB191_14:
	s_lshl_b64 s[8:9], s[8:9], 2
	v_mov_b32_e32 v0, 0
	s_add_u32 s1, s2, s8
	s_addc_u32 s9, s3, s9
	s_sub_u32 s8, s1, s2
	s_subb_u32 s9, s9, s3
	s_mov_b32 s1, -1
	s_ashr_i64 s[8:9], s[8:9], 2
	s_mov_b32 vcc_lo, s0
	v_mov_b32_e32 v1, s8
	v_mov_b32_e32 v2, s9
	global_store_dwordx2 v0, v[1:2], s[4:5] offset:24
	s_cbranch_vccz .LBB191_16
; %bb.15:
	v_mov_b32_e32 v1, v0
	s_mov_b32 s1, 0
	global_store_dwordx2 v0, v[0:1], s[4:5] offset:32
.LBB191_16:
	s_andn2_b32 vcc_lo, exec_lo, s1
	s_mov_b64 s[8:9], 0
	s_cbranch_vccnz .LBB191_21
; %bb.17:
	s_mov_b64 s[10:11], s[6:7]
	.p2align	6
.LBB191_18:                             ; =>This Inner Loop Header: Depth=1
	s_sub_u32 s12, s10, s8
	s_subb_u32 s13, s11, s9
	s_lshr_b64 s[12:13], s[12:13], 1
	s_add_u32 s12, s12, s8
	s_addc_u32 s13, s13, s9
	s_lshl_b64 s[14:15], s[12:13], 2
	s_add_u32 s14, s2, s14
	s_addc_u32 s15, s3, s15
	s_load_dword s1, s[14:15], 0x0
	s_add_u32 s14, s12, 1
	s_addc_u32 s15, s13, 0
	s_waitcnt lgkmcnt(0)
	s_cmp_gt_u32 s1, 4
	s_cselect_b32 s9, s9, s15
	s_cselect_b32 s8, s8, s14
	;; [unrolled: 1-line block ×4, first 2 shown]
	v_cmp_lt_i64_e64 s1, s[8:9], s[10:11]
	s_and_b32 vcc_lo, exec_lo, s1
	s_cbranch_vccnz .LBB191_18
; %bb.19:
	s_lshl_b64 s[8:9], s[8:9], 2
	v_mov_b32_e32 v2, 0
	s_add_u32 s1, s2, s8
	s_addc_u32 s9, s3, s9
	s_sub_u32 s8, s1, s2
	s_subb_u32 s9, s9, s3
	s_mov_b64 s[10:11], s[6:7]
	s_ashr_i64 s[8:9], s[8:9], 2
	v_mov_b32_e32 v0, s8
	v_mov_b32_e32 v1, s9
	s_mov_b64 s[8:9], 0
	global_store_dwordx2 v2, v[0:1], s[4:5] offset:32
	.p2align	6
.LBB191_20:                             ; =>This Inner Loop Header: Depth=1
	s_sub_u32 s12, s10, s8
	s_subb_u32 s13, s11, s9
	s_lshr_b64 s[12:13], s[12:13], 1
	s_add_u32 s12, s12, s8
	s_addc_u32 s13, s13, s9
	s_lshl_b64 s[14:15], s[12:13], 2
	s_add_u32 s14, s2, s14
	s_addc_u32 s15, s3, s15
	s_load_dword s1, s[14:15], 0x0
	s_add_u32 s14, s12, 1
	s_addc_u32 s15, s13, 0
	s_waitcnt lgkmcnt(0)
	s_cmp_gt_u32 s1, 5
	s_cselect_b32 s9, s9, s15
	s_cselect_b32 s8, s8, s14
	;; [unrolled: 1-line block ×4, first 2 shown]
	v_cmp_ge_i64_e64 s1, s[8:9], s[10:11]
	s_and_b32 vcc_lo, exec_lo, s1
	s_cbranch_vccz .LBB191_20
.LBB191_21:
	s_lshl_b64 s[8:9], s[8:9], 2
	v_mov_b32_e32 v0, 0
	s_add_u32 s1, s2, s8
	s_addc_u32 s9, s3, s9
	s_sub_u32 s8, s1, s2
	s_subb_u32 s9, s9, s3
	s_mov_b32 s1, -1
	s_ashr_i64 s[8:9], s[8:9], 2
	s_mov_b32 vcc_lo, s0
	v_mov_b32_e32 v1, s8
	v_mov_b32_e32 v2, s9
	global_store_dwordx2 v0, v[1:2], s[4:5] offset:40
	s_cbranch_vccz .LBB191_23
; %bb.22:
	v_mov_b32_e32 v1, v0
	s_mov_b32 s1, 0
	global_store_dwordx2 v0, v[0:1], s[4:5] offset:48
.LBB191_23:
	s_andn2_b32 vcc_lo, exec_lo, s1
	s_mov_b64 s[8:9], 0
	s_cbranch_vccnz .LBB191_28
; %bb.24:
	s_mov_b64 s[10:11], s[6:7]
	.p2align	6
.LBB191_25:                             ; =>This Inner Loop Header: Depth=1
	s_sub_u32 s12, s10, s8
	s_subb_u32 s13, s11, s9
	s_lshr_b64 s[12:13], s[12:13], 1
	s_add_u32 s12, s12, s8
	s_addc_u32 s13, s13, s9
	s_lshl_b64 s[14:15], s[12:13], 2
	s_add_u32 s14, s2, s14
	s_addc_u32 s15, s3, s15
	s_load_dword s1, s[14:15], 0x0
	s_add_u32 s14, s12, 1
	s_addc_u32 s15, s13, 0
	s_waitcnt lgkmcnt(0)
	s_cmp_gt_u32 s1, 6
	s_cselect_b32 s9, s9, s15
	s_cselect_b32 s8, s8, s14
	;; [unrolled: 1-line block ×4, first 2 shown]
	v_cmp_lt_i64_e64 s1, s[8:9], s[10:11]
	s_and_b32 vcc_lo, exec_lo, s1
	s_cbranch_vccnz .LBB191_25
; %bb.26:
	s_lshl_b64 s[8:9], s[8:9], 2
	v_mov_b32_e32 v2, 0
	s_add_u32 s1, s2, s8
	s_addc_u32 s9, s3, s9
	s_sub_u32 s8, s1, s2
	s_subb_u32 s9, s9, s3
	s_mov_b64 s[10:11], s[6:7]
	s_ashr_i64 s[8:9], s[8:9], 2
	v_mov_b32_e32 v0, s8
	v_mov_b32_e32 v1, s9
	s_mov_b64 s[8:9], 0
	global_store_dwordx2 v2, v[0:1], s[4:5] offset:48
	.p2align	6
.LBB191_27:                             ; =>This Inner Loop Header: Depth=1
	s_sub_u32 s12, s10, s8
	s_subb_u32 s13, s11, s9
	s_lshr_b64 s[12:13], s[12:13], 1
	s_add_u32 s12, s12, s8
	s_addc_u32 s13, s13, s9
	s_lshl_b64 s[14:15], s[12:13], 2
	s_add_u32 s14, s2, s14
	s_addc_u32 s15, s3, s15
	s_load_dword s1, s[14:15], 0x0
	s_add_u32 s14, s12, 1
	s_addc_u32 s15, s13, 0
	s_waitcnt lgkmcnt(0)
	s_cmp_gt_u32 s1, 7
	s_cselect_b32 s9, s9, s15
	s_cselect_b32 s8, s8, s14
	;; [unrolled: 1-line block ×4, first 2 shown]
	v_cmp_ge_i64_e64 s1, s[8:9], s[10:11]
	s_and_b32 vcc_lo, exec_lo, s1
	s_cbranch_vccz .LBB191_27
.LBB191_28:
	s_lshl_b64 s[8:9], s[8:9], 2
	v_mov_b32_e32 v0, 0
	s_add_u32 s1, s2, s8
	s_addc_u32 s9, s3, s9
	s_sub_u32 s8, s1, s2
	s_subb_u32 s9, s9, s3
	s_mov_b32 s1, -1
	s_ashr_i64 s[8:9], s[8:9], 2
	s_mov_b32 vcc_lo, s0
	v_mov_b32_e32 v1, s8
	v_mov_b32_e32 v2, s9
	global_store_dwordx2 v0, v[1:2], s[4:5] offset:56
	s_cbranch_vccz .LBB191_30
; %bb.29:
	v_mov_b32_e32 v1, v0
	s_mov_b32 s1, 0
	global_store_dwordx2 v0, v[0:1], s[4:5] offset:64
.LBB191_30:
	s_andn2_b32 vcc_lo, exec_lo, s1
	s_mov_b64 s[0:1], 0
	s_cbranch_vccnz .LBB191_35
; %bb.31:
	s_mov_b64 s[8:9], s[6:7]
	.p2align	6
.LBB191_32:                             ; =>This Inner Loop Header: Depth=1
	s_sub_u32 s10, s8, s0
	s_subb_u32 s11, s9, s1
	s_lshr_b64 s[10:11], s[10:11], 1
	s_add_u32 s10, s10, s0
	s_addc_u32 s11, s11, s1
	s_lshl_b64 s[12:13], s[10:11], 2
	s_add_u32 s12, s2, s12
	s_addc_u32 s13, s3, s13
	s_load_dword s12, s[12:13], 0x0
	s_add_u32 s13, s10, 1
	s_addc_u32 s14, s11, 0
	s_waitcnt lgkmcnt(0)
	s_cmp_gt_u32 s12, 8
	s_cselect_b32 s1, s1, s14
	s_cselect_b32 s0, s0, s13
	;; [unrolled: 1-line block ×4, first 2 shown]
	v_cmp_lt_i64_e64 s10, s[0:1], s[8:9]
	s_and_b32 vcc_lo, exec_lo, s10
	s_cbranch_vccnz .LBB191_32
; %bb.33:
	s_lshl_b64 s[0:1], s[0:1], 2
	v_mov_b32_e32 v2, 0
	s_add_u32 s0, s2, s0
	s_addc_u32 s1, s3, s1
	s_sub_u32 s0, s0, s2
	s_subb_u32 s1, s1, s3
	s_ashr_i64 s[0:1], s[0:1], 2
	v_mov_b32_e32 v0, s0
	v_mov_b32_e32 v1, s1
	s_mov_b64 s[0:1], 0
	global_store_dwordx2 v2, v[0:1], s[4:5] offset:64
	.p2align	6
.LBB191_34:                             ; =>This Inner Loop Header: Depth=1
	s_sub_u32 s8, s6, s0
	s_subb_u32 s9, s7, s1
	s_lshr_b64 s[8:9], s[8:9], 1
	s_add_u32 s8, s8, s0
	s_addc_u32 s9, s9, s1
	s_lshl_b64 s[10:11], s[8:9], 2
	s_add_u32 s10, s2, s10
	s_addc_u32 s11, s3, s11
	s_load_dword s10, s[10:11], 0x0
	s_add_u32 s11, s8, 1
	s_addc_u32 s12, s9, 0
	s_waitcnt lgkmcnt(0)
	s_cmp_gt_u32 s10, 9
	s_cselect_b32 s1, s1, s12
	s_cselect_b32 s0, s0, s11
	;; [unrolled: 1-line block ×4, first 2 shown]
	v_cmp_ge_i64_e64 s8, s[0:1], s[6:7]
	s_and_b32 vcc_lo, exec_lo, s8
	s_cbranch_vccz .LBB191_34
.LBB191_35:
	s_lshl_b64 s[0:1], s[0:1], 2
	v_mov_b32_e32 v2, 0
	s_add_u32 s0, s2, s0
	s_addc_u32 s1, s3, s1
	s_sub_u32 s0, s0, s2
	s_subb_u32 s1, s1, s3
	s_ashr_i64 s[0:1], s[0:1], 2
	v_mov_b32_e32 v0, s0
	v_mov_b32_e32 v1, s1
	global_store_dwordx2 v2, v[0:1], s[4:5] offset:72
	s_endpgm
	.section	.rodata,"a",@progbits
	.p2align	6, 0x0
	.amdhsa_kernel _Z18upper_bound_kernelIjEvmPT_Pl
		.amdhsa_group_segment_fixed_size 0
		.amdhsa_private_segment_fixed_size 0
		.amdhsa_kernarg_size 24
		.amdhsa_user_sgpr_count 6
		.amdhsa_user_sgpr_private_segment_buffer 1
		.amdhsa_user_sgpr_dispatch_ptr 0
		.amdhsa_user_sgpr_queue_ptr 0
		.amdhsa_user_sgpr_kernarg_segment_ptr 1
		.amdhsa_user_sgpr_dispatch_id 0
		.amdhsa_user_sgpr_flat_scratch_init 0
		.amdhsa_user_sgpr_private_segment_size 0
		.amdhsa_wavefront_size32 1
		.amdhsa_uses_dynamic_stack 0
		.amdhsa_system_sgpr_private_segment_wavefront_offset 0
		.amdhsa_system_sgpr_workgroup_id_x 1
		.amdhsa_system_sgpr_workgroup_id_y 0
		.amdhsa_system_sgpr_workgroup_id_z 0
		.amdhsa_system_sgpr_workgroup_info 0
		.amdhsa_system_vgpr_workitem_id 0
		.amdhsa_next_free_vgpr 3
		.amdhsa_next_free_sgpr 16
		.amdhsa_reserve_vcc 1
		.amdhsa_reserve_flat_scratch 0
		.amdhsa_float_round_mode_32 0
		.amdhsa_float_round_mode_16_64 0
		.amdhsa_float_denorm_mode_32 3
		.amdhsa_float_denorm_mode_16_64 3
		.amdhsa_dx10_clamp 1
		.amdhsa_ieee_mode 1
		.amdhsa_fp16_overflow 0
		.amdhsa_workgroup_processor_mode 1
		.amdhsa_memory_ordered 1
		.amdhsa_forward_progress 1
		.amdhsa_shared_vgpr_count 0
		.amdhsa_exception_fp_ieee_invalid_op 0
		.amdhsa_exception_fp_denorm_src 0
		.amdhsa_exception_fp_ieee_div_zero 0
		.amdhsa_exception_fp_ieee_overflow 0
		.amdhsa_exception_fp_ieee_underflow 0
		.amdhsa_exception_fp_ieee_inexact 0
		.amdhsa_exception_int_div_zero 0
	.end_amdhsa_kernel
	.section	.text._Z18upper_bound_kernelIjEvmPT_Pl,"axG",@progbits,_Z18upper_bound_kernelIjEvmPT_Pl,comdat
.Lfunc_end191:
	.size	_Z18upper_bound_kernelIjEvmPT_Pl, .Lfunc_end191-_Z18upper_bound_kernelIjEvmPT_Pl
                                        ; -- End function
	.set _Z18upper_bound_kernelIjEvmPT_Pl.num_vgpr, 3
	.set _Z18upper_bound_kernelIjEvmPT_Pl.num_agpr, 0
	.set _Z18upper_bound_kernelIjEvmPT_Pl.numbered_sgpr, 16
	.set _Z18upper_bound_kernelIjEvmPT_Pl.num_named_barrier, 0
	.set _Z18upper_bound_kernelIjEvmPT_Pl.private_seg_size, 0
	.set _Z18upper_bound_kernelIjEvmPT_Pl.uses_vcc, 1
	.set _Z18upper_bound_kernelIjEvmPT_Pl.uses_flat_scratch, 0
	.set _Z18upper_bound_kernelIjEvmPT_Pl.has_dyn_sized_stack, 0
	.set _Z18upper_bound_kernelIjEvmPT_Pl.has_recursion, 0
	.set _Z18upper_bound_kernelIjEvmPT_Pl.has_indirect_call, 0
	.section	.AMDGPU.csdata,"",@progbits
; Kernel info:
; codeLenInByte = 1992
; TotalNumSgprs: 18
; NumVgprs: 3
; ScratchSize: 0
; MemoryBound: 0
; FloatMode: 240
; IeeeMode: 1
; LDSByteSize: 0 bytes/workgroup (compile time only)
; SGPRBlocks: 0
; VGPRBlocks: 0
; NumSGPRsForWavesPerEU: 18
; NumVGPRsForWavesPerEU: 3
; Occupancy: 16
; WaveLimiterHint : 0
; COMPUTE_PGM_RSRC2:SCRATCH_EN: 0
; COMPUTE_PGM_RSRC2:USER_SGPR: 6
; COMPUTE_PGM_RSRC2:TRAP_HANDLER: 0
; COMPUTE_PGM_RSRC2:TGID_X_EN: 1
; COMPUTE_PGM_RSRC2:TGID_Y_EN: 0
; COMPUTE_PGM_RSRC2:TGID_Z_EN: 0
; COMPUTE_PGM_RSRC2:TIDIG_COMP_CNT: 0
	.section	.text._ZN7rocprim17ROCPRIM_400000_NS6detail17trampoline_kernelINS0_14default_configENS1_27upper_bound_config_selectorIjlEEZNS1_14transform_implILb0ES3_S5_N6thrust23THRUST_200600_302600_NS6detail15normal_iteratorINS8_7pointerIjNS8_11hip_rocprim5par_tENS8_11use_defaultESE_EEEENSA_INSB_IlSD_SE_SE_EEEEZNS1_13binary_searchIS3_S5_PjSG_SI_NS1_21upper_bound_search_opENS9_16wrapped_functionINS8_6system6detail7generic6detail18binary_search_lessEbEEEE10hipError_tPvRmT1_T2_T3_mmT4_T5_P12ihipStream_tbEUlRKjE_EEST_SX_SY_mSZ_S12_bEUlT_E_NS1_11comp_targetILNS1_3genE0ELNS1_11target_archE4294967295ELNS1_3gpuE0ELNS1_3repE0EEENS1_30default_config_static_selectorELNS0_4arch9wavefront6targetE0EEEvSW_,"axG",@progbits,_ZN7rocprim17ROCPRIM_400000_NS6detail17trampoline_kernelINS0_14default_configENS1_27upper_bound_config_selectorIjlEEZNS1_14transform_implILb0ES3_S5_N6thrust23THRUST_200600_302600_NS6detail15normal_iteratorINS8_7pointerIjNS8_11hip_rocprim5par_tENS8_11use_defaultESE_EEEENSA_INSB_IlSD_SE_SE_EEEEZNS1_13binary_searchIS3_S5_PjSG_SI_NS1_21upper_bound_search_opENS9_16wrapped_functionINS8_6system6detail7generic6detail18binary_search_lessEbEEEE10hipError_tPvRmT1_T2_T3_mmT4_T5_P12ihipStream_tbEUlRKjE_EEST_SX_SY_mSZ_S12_bEUlT_E_NS1_11comp_targetILNS1_3genE0ELNS1_11target_archE4294967295ELNS1_3gpuE0ELNS1_3repE0EEENS1_30default_config_static_selectorELNS0_4arch9wavefront6targetE0EEEvSW_,comdat
	.protected	_ZN7rocprim17ROCPRIM_400000_NS6detail17trampoline_kernelINS0_14default_configENS1_27upper_bound_config_selectorIjlEEZNS1_14transform_implILb0ES3_S5_N6thrust23THRUST_200600_302600_NS6detail15normal_iteratorINS8_7pointerIjNS8_11hip_rocprim5par_tENS8_11use_defaultESE_EEEENSA_INSB_IlSD_SE_SE_EEEEZNS1_13binary_searchIS3_S5_PjSG_SI_NS1_21upper_bound_search_opENS9_16wrapped_functionINS8_6system6detail7generic6detail18binary_search_lessEbEEEE10hipError_tPvRmT1_T2_T3_mmT4_T5_P12ihipStream_tbEUlRKjE_EEST_SX_SY_mSZ_S12_bEUlT_E_NS1_11comp_targetILNS1_3genE0ELNS1_11target_archE4294967295ELNS1_3gpuE0ELNS1_3repE0EEENS1_30default_config_static_selectorELNS0_4arch9wavefront6targetE0EEEvSW_ ; -- Begin function _ZN7rocprim17ROCPRIM_400000_NS6detail17trampoline_kernelINS0_14default_configENS1_27upper_bound_config_selectorIjlEEZNS1_14transform_implILb0ES3_S5_N6thrust23THRUST_200600_302600_NS6detail15normal_iteratorINS8_7pointerIjNS8_11hip_rocprim5par_tENS8_11use_defaultESE_EEEENSA_INSB_IlSD_SE_SE_EEEEZNS1_13binary_searchIS3_S5_PjSG_SI_NS1_21upper_bound_search_opENS9_16wrapped_functionINS8_6system6detail7generic6detail18binary_search_lessEbEEEE10hipError_tPvRmT1_T2_T3_mmT4_T5_P12ihipStream_tbEUlRKjE_EEST_SX_SY_mSZ_S12_bEUlT_E_NS1_11comp_targetILNS1_3genE0ELNS1_11target_archE4294967295ELNS1_3gpuE0ELNS1_3repE0EEENS1_30default_config_static_selectorELNS0_4arch9wavefront6targetE0EEEvSW_
	.globl	_ZN7rocprim17ROCPRIM_400000_NS6detail17trampoline_kernelINS0_14default_configENS1_27upper_bound_config_selectorIjlEEZNS1_14transform_implILb0ES3_S5_N6thrust23THRUST_200600_302600_NS6detail15normal_iteratorINS8_7pointerIjNS8_11hip_rocprim5par_tENS8_11use_defaultESE_EEEENSA_INSB_IlSD_SE_SE_EEEEZNS1_13binary_searchIS3_S5_PjSG_SI_NS1_21upper_bound_search_opENS9_16wrapped_functionINS8_6system6detail7generic6detail18binary_search_lessEbEEEE10hipError_tPvRmT1_T2_T3_mmT4_T5_P12ihipStream_tbEUlRKjE_EEST_SX_SY_mSZ_S12_bEUlT_E_NS1_11comp_targetILNS1_3genE0ELNS1_11target_archE4294967295ELNS1_3gpuE0ELNS1_3repE0EEENS1_30default_config_static_selectorELNS0_4arch9wavefront6targetE0EEEvSW_
	.p2align	8
	.type	_ZN7rocprim17ROCPRIM_400000_NS6detail17trampoline_kernelINS0_14default_configENS1_27upper_bound_config_selectorIjlEEZNS1_14transform_implILb0ES3_S5_N6thrust23THRUST_200600_302600_NS6detail15normal_iteratorINS8_7pointerIjNS8_11hip_rocprim5par_tENS8_11use_defaultESE_EEEENSA_INSB_IlSD_SE_SE_EEEEZNS1_13binary_searchIS3_S5_PjSG_SI_NS1_21upper_bound_search_opENS9_16wrapped_functionINS8_6system6detail7generic6detail18binary_search_lessEbEEEE10hipError_tPvRmT1_T2_T3_mmT4_T5_P12ihipStream_tbEUlRKjE_EEST_SX_SY_mSZ_S12_bEUlT_E_NS1_11comp_targetILNS1_3genE0ELNS1_11target_archE4294967295ELNS1_3gpuE0ELNS1_3repE0EEENS1_30default_config_static_selectorELNS0_4arch9wavefront6targetE0EEEvSW_,@function
_ZN7rocprim17ROCPRIM_400000_NS6detail17trampoline_kernelINS0_14default_configENS1_27upper_bound_config_selectorIjlEEZNS1_14transform_implILb0ES3_S5_N6thrust23THRUST_200600_302600_NS6detail15normal_iteratorINS8_7pointerIjNS8_11hip_rocprim5par_tENS8_11use_defaultESE_EEEENSA_INSB_IlSD_SE_SE_EEEEZNS1_13binary_searchIS3_S5_PjSG_SI_NS1_21upper_bound_search_opENS9_16wrapped_functionINS8_6system6detail7generic6detail18binary_search_lessEbEEEE10hipError_tPvRmT1_T2_T3_mmT4_T5_P12ihipStream_tbEUlRKjE_EEST_SX_SY_mSZ_S12_bEUlT_E_NS1_11comp_targetILNS1_3genE0ELNS1_11target_archE4294967295ELNS1_3gpuE0ELNS1_3repE0EEENS1_30default_config_static_selectorELNS0_4arch9wavefront6targetE0EEEvSW_: ; @_ZN7rocprim17ROCPRIM_400000_NS6detail17trampoline_kernelINS0_14default_configENS1_27upper_bound_config_selectorIjlEEZNS1_14transform_implILb0ES3_S5_N6thrust23THRUST_200600_302600_NS6detail15normal_iteratorINS8_7pointerIjNS8_11hip_rocprim5par_tENS8_11use_defaultESE_EEEENSA_INSB_IlSD_SE_SE_EEEEZNS1_13binary_searchIS3_S5_PjSG_SI_NS1_21upper_bound_search_opENS9_16wrapped_functionINS8_6system6detail7generic6detail18binary_search_lessEbEEEE10hipError_tPvRmT1_T2_T3_mmT4_T5_P12ihipStream_tbEUlRKjE_EEST_SX_SY_mSZ_S12_bEUlT_E_NS1_11comp_targetILNS1_3genE0ELNS1_11target_archE4294967295ELNS1_3gpuE0ELNS1_3repE0EEENS1_30default_config_static_selectorELNS0_4arch9wavefront6targetE0EEEvSW_
; %bb.0:
	.section	.rodata,"a",@progbits
	.p2align	6, 0x0
	.amdhsa_kernel _ZN7rocprim17ROCPRIM_400000_NS6detail17trampoline_kernelINS0_14default_configENS1_27upper_bound_config_selectorIjlEEZNS1_14transform_implILb0ES3_S5_N6thrust23THRUST_200600_302600_NS6detail15normal_iteratorINS8_7pointerIjNS8_11hip_rocprim5par_tENS8_11use_defaultESE_EEEENSA_INSB_IlSD_SE_SE_EEEEZNS1_13binary_searchIS3_S5_PjSG_SI_NS1_21upper_bound_search_opENS9_16wrapped_functionINS8_6system6detail7generic6detail18binary_search_lessEbEEEE10hipError_tPvRmT1_T2_T3_mmT4_T5_P12ihipStream_tbEUlRKjE_EEST_SX_SY_mSZ_S12_bEUlT_E_NS1_11comp_targetILNS1_3genE0ELNS1_11target_archE4294967295ELNS1_3gpuE0ELNS1_3repE0EEENS1_30default_config_static_selectorELNS0_4arch9wavefront6targetE0EEEvSW_
		.amdhsa_group_segment_fixed_size 0
		.amdhsa_private_segment_fixed_size 0
		.amdhsa_kernarg_size 56
		.amdhsa_user_sgpr_count 6
		.amdhsa_user_sgpr_private_segment_buffer 1
		.amdhsa_user_sgpr_dispatch_ptr 0
		.amdhsa_user_sgpr_queue_ptr 0
		.amdhsa_user_sgpr_kernarg_segment_ptr 1
		.amdhsa_user_sgpr_dispatch_id 0
		.amdhsa_user_sgpr_flat_scratch_init 0
		.amdhsa_user_sgpr_private_segment_size 0
		.amdhsa_wavefront_size32 1
		.amdhsa_uses_dynamic_stack 0
		.amdhsa_system_sgpr_private_segment_wavefront_offset 0
		.amdhsa_system_sgpr_workgroup_id_x 1
		.amdhsa_system_sgpr_workgroup_id_y 0
		.amdhsa_system_sgpr_workgroup_id_z 0
		.amdhsa_system_sgpr_workgroup_info 0
		.amdhsa_system_vgpr_workitem_id 0
		.amdhsa_next_free_vgpr 1
		.amdhsa_next_free_sgpr 1
		.amdhsa_reserve_vcc 0
		.amdhsa_reserve_flat_scratch 0
		.amdhsa_float_round_mode_32 0
		.amdhsa_float_round_mode_16_64 0
		.amdhsa_float_denorm_mode_32 3
		.amdhsa_float_denorm_mode_16_64 3
		.amdhsa_dx10_clamp 1
		.amdhsa_ieee_mode 1
		.amdhsa_fp16_overflow 0
		.amdhsa_workgroup_processor_mode 1
		.amdhsa_memory_ordered 1
		.amdhsa_forward_progress 1
		.amdhsa_shared_vgpr_count 0
		.amdhsa_exception_fp_ieee_invalid_op 0
		.amdhsa_exception_fp_denorm_src 0
		.amdhsa_exception_fp_ieee_div_zero 0
		.amdhsa_exception_fp_ieee_overflow 0
		.amdhsa_exception_fp_ieee_underflow 0
		.amdhsa_exception_fp_ieee_inexact 0
		.amdhsa_exception_int_div_zero 0
	.end_amdhsa_kernel
	.section	.text._ZN7rocprim17ROCPRIM_400000_NS6detail17trampoline_kernelINS0_14default_configENS1_27upper_bound_config_selectorIjlEEZNS1_14transform_implILb0ES3_S5_N6thrust23THRUST_200600_302600_NS6detail15normal_iteratorINS8_7pointerIjNS8_11hip_rocprim5par_tENS8_11use_defaultESE_EEEENSA_INSB_IlSD_SE_SE_EEEEZNS1_13binary_searchIS3_S5_PjSG_SI_NS1_21upper_bound_search_opENS9_16wrapped_functionINS8_6system6detail7generic6detail18binary_search_lessEbEEEE10hipError_tPvRmT1_T2_T3_mmT4_T5_P12ihipStream_tbEUlRKjE_EEST_SX_SY_mSZ_S12_bEUlT_E_NS1_11comp_targetILNS1_3genE0ELNS1_11target_archE4294967295ELNS1_3gpuE0ELNS1_3repE0EEENS1_30default_config_static_selectorELNS0_4arch9wavefront6targetE0EEEvSW_,"axG",@progbits,_ZN7rocprim17ROCPRIM_400000_NS6detail17trampoline_kernelINS0_14default_configENS1_27upper_bound_config_selectorIjlEEZNS1_14transform_implILb0ES3_S5_N6thrust23THRUST_200600_302600_NS6detail15normal_iteratorINS8_7pointerIjNS8_11hip_rocprim5par_tENS8_11use_defaultESE_EEEENSA_INSB_IlSD_SE_SE_EEEEZNS1_13binary_searchIS3_S5_PjSG_SI_NS1_21upper_bound_search_opENS9_16wrapped_functionINS8_6system6detail7generic6detail18binary_search_lessEbEEEE10hipError_tPvRmT1_T2_T3_mmT4_T5_P12ihipStream_tbEUlRKjE_EEST_SX_SY_mSZ_S12_bEUlT_E_NS1_11comp_targetILNS1_3genE0ELNS1_11target_archE4294967295ELNS1_3gpuE0ELNS1_3repE0EEENS1_30default_config_static_selectorELNS0_4arch9wavefront6targetE0EEEvSW_,comdat
.Lfunc_end192:
	.size	_ZN7rocprim17ROCPRIM_400000_NS6detail17trampoline_kernelINS0_14default_configENS1_27upper_bound_config_selectorIjlEEZNS1_14transform_implILb0ES3_S5_N6thrust23THRUST_200600_302600_NS6detail15normal_iteratorINS8_7pointerIjNS8_11hip_rocprim5par_tENS8_11use_defaultESE_EEEENSA_INSB_IlSD_SE_SE_EEEEZNS1_13binary_searchIS3_S5_PjSG_SI_NS1_21upper_bound_search_opENS9_16wrapped_functionINS8_6system6detail7generic6detail18binary_search_lessEbEEEE10hipError_tPvRmT1_T2_T3_mmT4_T5_P12ihipStream_tbEUlRKjE_EEST_SX_SY_mSZ_S12_bEUlT_E_NS1_11comp_targetILNS1_3genE0ELNS1_11target_archE4294967295ELNS1_3gpuE0ELNS1_3repE0EEENS1_30default_config_static_selectorELNS0_4arch9wavefront6targetE0EEEvSW_, .Lfunc_end192-_ZN7rocprim17ROCPRIM_400000_NS6detail17trampoline_kernelINS0_14default_configENS1_27upper_bound_config_selectorIjlEEZNS1_14transform_implILb0ES3_S5_N6thrust23THRUST_200600_302600_NS6detail15normal_iteratorINS8_7pointerIjNS8_11hip_rocprim5par_tENS8_11use_defaultESE_EEEENSA_INSB_IlSD_SE_SE_EEEEZNS1_13binary_searchIS3_S5_PjSG_SI_NS1_21upper_bound_search_opENS9_16wrapped_functionINS8_6system6detail7generic6detail18binary_search_lessEbEEEE10hipError_tPvRmT1_T2_T3_mmT4_T5_P12ihipStream_tbEUlRKjE_EEST_SX_SY_mSZ_S12_bEUlT_E_NS1_11comp_targetILNS1_3genE0ELNS1_11target_archE4294967295ELNS1_3gpuE0ELNS1_3repE0EEENS1_30default_config_static_selectorELNS0_4arch9wavefront6targetE0EEEvSW_
                                        ; -- End function
	.set _ZN7rocprim17ROCPRIM_400000_NS6detail17trampoline_kernelINS0_14default_configENS1_27upper_bound_config_selectorIjlEEZNS1_14transform_implILb0ES3_S5_N6thrust23THRUST_200600_302600_NS6detail15normal_iteratorINS8_7pointerIjNS8_11hip_rocprim5par_tENS8_11use_defaultESE_EEEENSA_INSB_IlSD_SE_SE_EEEEZNS1_13binary_searchIS3_S5_PjSG_SI_NS1_21upper_bound_search_opENS9_16wrapped_functionINS8_6system6detail7generic6detail18binary_search_lessEbEEEE10hipError_tPvRmT1_T2_T3_mmT4_T5_P12ihipStream_tbEUlRKjE_EEST_SX_SY_mSZ_S12_bEUlT_E_NS1_11comp_targetILNS1_3genE0ELNS1_11target_archE4294967295ELNS1_3gpuE0ELNS1_3repE0EEENS1_30default_config_static_selectorELNS0_4arch9wavefront6targetE0EEEvSW_.num_vgpr, 0
	.set _ZN7rocprim17ROCPRIM_400000_NS6detail17trampoline_kernelINS0_14default_configENS1_27upper_bound_config_selectorIjlEEZNS1_14transform_implILb0ES3_S5_N6thrust23THRUST_200600_302600_NS6detail15normal_iteratorINS8_7pointerIjNS8_11hip_rocprim5par_tENS8_11use_defaultESE_EEEENSA_INSB_IlSD_SE_SE_EEEEZNS1_13binary_searchIS3_S5_PjSG_SI_NS1_21upper_bound_search_opENS9_16wrapped_functionINS8_6system6detail7generic6detail18binary_search_lessEbEEEE10hipError_tPvRmT1_T2_T3_mmT4_T5_P12ihipStream_tbEUlRKjE_EEST_SX_SY_mSZ_S12_bEUlT_E_NS1_11comp_targetILNS1_3genE0ELNS1_11target_archE4294967295ELNS1_3gpuE0ELNS1_3repE0EEENS1_30default_config_static_selectorELNS0_4arch9wavefront6targetE0EEEvSW_.num_agpr, 0
	.set _ZN7rocprim17ROCPRIM_400000_NS6detail17trampoline_kernelINS0_14default_configENS1_27upper_bound_config_selectorIjlEEZNS1_14transform_implILb0ES3_S5_N6thrust23THRUST_200600_302600_NS6detail15normal_iteratorINS8_7pointerIjNS8_11hip_rocprim5par_tENS8_11use_defaultESE_EEEENSA_INSB_IlSD_SE_SE_EEEEZNS1_13binary_searchIS3_S5_PjSG_SI_NS1_21upper_bound_search_opENS9_16wrapped_functionINS8_6system6detail7generic6detail18binary_search_lessEbEEEE10hipError_tPvRmT1_T2_T3_mmT4_T5_P12ihipStream_tbEUlRKjE_EEST_SX_SY_mSZ_S12_bEUlT_E_NS1_11comp_targetILNS1_3genE0ELNS1_11target_archE4294967295ELNS1_3gpuE0ELNS1_3repE0EEENS1_30default_config_static_selectorELNS0_4arch9wavefront6targetE0EEEvSW_.numbered_sgpr, 0
	.set _ZN7rocprim17ROCPRIM_400000_NS6detail17trampoline_kernelINS0_14default_configENS1_27upper_bound_config_selectorIjlEEZNS1_14transform_implILb0ES3_S5_N6thrust23THRUST_200600_302600_NS6detail15normal_iteratorINS8_7pointerIjNS8_11hip_rocprim5par_tENS8_11use_defaultESE_EEEENSA_INSB_IlSD_SE_SE_EEEEZNS1_13binary_searchIS3_S5_PjSG_SI_NS1_21upper_bound_search_opENS9_16wrapped_functionINS8_6system6detail7generic6detail18binary_search_lessEbEEEE10hipError_tPvRmT1_T2_T3_mmT4_T5_P12ihipStream_tbEUlRKjE_EEST_SX_SY_mSZ_S12_bEUlT_E_NS1_11comp_targetILNS1_3genE0ELNS1_11target_archE4294967295ELNS1_3gpuE0ELNS1_3repE0EEENS1_30default_config_static_selectorELNS0_4arch9wavefront6targetE0EEEvSW_.num_named_barrier, 0
	.set _ZN7rocprim17ROCPRIM_400000_NS6detail17trampoline_kernelINS0_14default_configENS1_27upper_bound_config_selectorIjlEEZNS1_14transform_implILb0ES3_S5_N6thrust23THRUST_200600_302600_NS6detail15normal_iteratorINS8_7pointerIjNS8_11hip_rocprim5par_tENS8_11use_defaultESE_EEEENSA_INSB_IlSD_SE_SE_EEEEZNS1_13binary_searchIS3_S5_PjSG_SI_NS1_21upper_bound_search_opENS9_16wrapped_functionINS8_6system6detail7generic6detail18binary_search_lessEbEEEE10hipError_tPvRmT1_T2_T3_mmT4_T5_P12ihipStream_tbEUlRKjE_EEST_SX_SY_mSZ_S12_bEUlT_E_NS1_11comp_targetILNS1_3genE0ELNS1_11target_archE4294967295ELNS1_3gpuE0ELNS1_3repE0EEENS1_30default_config_static_selectorELNS0_4arch9wavefront6targetE0EEEvSW_.private_seg_size, 0
	.set _ZN7rocprim17ROCPRIM_400000_NS6detail17trampoline_kernelINS0_14default_configENS1_27upper_bound_config_selectorIjlEEZNS1_14transform_implILb0ES3_S5_N6thrust23THRUST_200600_302600_NS6detail15normal_iteratorINS8_7pointerIjNS8_11hip_rocprim5par_tENS8_11use_defaultESE_EEEENSA_INSB_IlSD_SE_SE_EEEEZNS1_13binary_searchIS3_S5_PjSG_SI_NS1_21upper_bound_search_opENS9_16wrapped_functionINS8_6system6detail7generic6detail18binary_search_lessEbEEEE10hipError_tPvRmT1_T2_T3_mmT4_T5_P12ihipStream_tbEUlRKjE_EEST_SX_SY_mSZ_S12_bEUlT_E_NS1_11comp_targetILNS1_3genE0ELNS1_11target_archE4294967295ELNS1_3gpuE0ELNS1_3repE0EEENS1_30default_config_static_selectorELNS0_4arch9wavefront6targetE0EEEvSW_.uses_vcc, 0
	.set _ZN7rocprim17ROCPRIM_400000_NS6detail17trampoline_kernelINS0_14default_configENS1_27upper_bound_config_selectorIjlEEZNS1_14transform_implILb0ES3_S5_N6thrust23THRUST_200600_302600_NS6detail15normal_iteratorINS8_7pointerIjNS8_11hip_rocprim5par_tENS8_11use_defaultESE_EEEENSA_INSB_IlSD_SE_SE_EEEEZNS1_13binary_searchIS3_S5_PjSG_SI_NS1_21upper_bound_search_opENS9_16wrapped_functionINS8_6system6detail7generic6detail18binary_search_lessEbEEEE10hipError_tPvRmT1_T2_T3_mmT4_T5_P12ihipStream_tbEUlRKjE_EEST_SX_SY_mSZ_S12_bEUlT_E_NS1_11comp_targetILNS1_3genE0ELNS1_11target_archE4294967295ELNS1_3gpuE0ELNS1_3repE0EEENS1_30default_config_static_selectorELNS0_4arch9wavefront6targetE0EEEvSW_.uses_flat_scratch, 0
	.set _ZN7rocprim17ROCPRIM_400000_NS6detail17trampoline_kernelINS0_14default_configENS1_27upper_bound_config_selectorIjlEEZNS1_14transform_implILb0ES3_S5_N6thrust23THRUST_200600_302600_NS6detail15normal_iteratorINS8_7pointerIjNS8_11hip_rocprim5par_tENS8_11use_defaultESE_EEEENSA_INSB_IlSD_SE_SE_EEEEZNS1_13binary_searchIS3_S5_PjSG_SI_NS1_21upper_bound_search_opENS9_16wrapped_functionINS8_6system6detail7generic6detail18binary_search_lessEbEEEE10hipError_tPvRmT1_T2_T3_mmT4_T5_P12ihipStream_tbEUlRKjE_EEST_SX_SY_mSZ_S12_bEUlT_E_NS1_11comp_targetILNS1_3genE0ELNS1_11target_archE4294967295ELNS1_3gpuE0ELNS1_3repE0EEENS1_30default_config_static_selectorELNS0_4arch9wavefront6targetE0EEEvSW_.has_dyn_sized_stack, 0
	.set _ZN7rocprim17ROCPRIM_400000_NS6detail17trampoline_kernelINS0_14default_configENS1_27upper_bound_config_selectorIjlEEZNS1_14transform_implILb0ES3_S5_N6thrust23THRUST_200600_302600_NS6detail15normal_iteratorINS8_7pointerIjNS8_11hip_rocprim5par_tENS8_11use_defaultESE_EEEENSA_INSB_IlSD_SE_SE_EEEEZNS1_13binary_searchIS3_S5_PjSG_SI_NS1_21upper_bound_search_opENS9_16wrapped_functionINS8_6system6detail7generic6detail18binary_search_lessEbEEEE10hipError_tPvRmT1_T2_T3_mmT4_T5_P12ihipStream_tbEUlRKjE_EEST_SX_SY_mSZ_S12_bEUlT_E_NS1_11comp_targetILNS1_3genE0ELNS1_11target_archE4294967295ELNS1_3gpuE0ELNS1_3repE0EEENS1_30default_config_static_selectorELNS0_4arch9wavefront6targetE0EEEvSW_.has_recursion, 0
	.set _ZN7rocprim17ROCPRIM_400000_NS6detail17trampoline_kernelINS0_14default_configENS1_27upper_bound_config_selectorIjlEEZNS1_14transform_implILb0ES3_S5_N6thrust23THRUST_200600_302600_NS6detail15normal_iteratorINS8_7pointerIjNS8_11hip_rocprim5par_tENS8_11use_defaultESE_EEEENSA_INSB_IlSD_SE_SE_EEEEZNS1_13binary_searchIS3_S5_PjSG_SI_NS1_21upper_bound_search_opENS9_16wrapped_functionINS8_6system6detail7generic6detail18binary_search_lessEbEEEE10hipError_tPvRmT1_T2_T3_mmT4_T5_P12ihipStream_tbEUlRKjE_EEST_SX_SY_mSZ_S12_bEUlT_E_NS1_11comp_targetILNS1_3genE0ELNS1_11target_archE4294967295ELNS1_3gpuE0ELNS1_3repE0EEENS1_30default_config_static_selectorELNS0_4arch9wavefront6targetE0EEEvSW_.has_indirect_call, 0
	.section	.AMDGPU.csdata,"",@progbits
; Kernel info:
; codeLenInByte = 0
; TotalNumSgprs: 0
; NumVgprs: 0
; ScratchSize: 0
; MemoryBound: 0
; FloatMode: 240
; IeeeMode: 1
; LDSByteSize: 0 bytes/workgroup (compile time only)
; SGPRBlocks: 0
; VGPRBlocks: 0
; NumSGPRsForWavesPerEU: 1
; NumVGPRsForWavesPerEU: 1
; Occupancy: 16
; WaveLimiterHint : 0
; COMPUTE_PGM_RSRC2:SCRATCH_EN: 0
; COMPUTE_PGM_RSRC2:USER_SGPR: 6
; COMPUTE_PGM_RSRC2:TRAP_HANDLER: 0
; COMPUTE_PGM_RSRC2:TGID_X_EN: 1
; COMPUTE_PGM_RSRC2:TGID_Y_EN: 0
; COMPUTE_PGM_RSRC2:TGID_Z_EN: 0
; COMPUTE_PGM_RSRC2:TIDIG_COMP_CNT: 0
	.section	.text._ZN7rocprim17ROCPRIM_400000_NS6detail17trampoline_kernelINS0_14default_configENS1_27upper_bound_config_selectorIjlEEZNS1_14transform_implILb0ES3_S5_N6thrust23THRUST_200600_302600_NS6detail15normal_iteratorINS8_7pointerIjNS8_11hip_rocprim5par_tENS8_11use_defaultESE_EEEENSA_INSB_IlSD_SE_SE_EEEEZNS1_13binary_searchIS3_S5_PjSG_SI_NS1_21upper_bound_search_opENS9_16wrapped_functionINS8_6system6detail7generic6detail18binary_search_lessEbEEEE10hipError_tPvRmT1_T2_T3_mmT4_T5_P12ihipStream_tbEUlRKjE_EEST_SX_SY_mSZ_S12_bEUlT_E_NS1_11comp_targetILNS1_3genE5ELNS1_11target_archE942ELNS1_3gpuE9ELNS1_3repE0EEENS1_30default_config_static_selectorELNS0_4arch9wavefront6targetE0EEEvSW_,"axG",@progbits,_ZN7rocprim17ROCPRIM_400000_NS6detail17trampoline_kernelINS0_14default_configENS1_27upper_bound_config_selectorIjlEEZNS1_14transform_implILb0ES3_S5_N6thrust23THRUST_200600_302600_NS6detail15normal_iteratorINS8_7pointerIjNS8_11hip_rocprim5par_tENS8_11use_defaultESE_EEEENSA_INSB_IlSD_SE_SE_EEEEZNS1_13binary_searchIS3_S5_PjSG_SI_NS1_21upper_bound_search_opENS9_16wrapped_functionINS8_6system6detail7generic6detail18binary_search_lessEbEEEE10hipError_tPvRmT1_T2_T3_mmT4_T5_P12ihipStream_tbEUlRKjE_EEST_SX_SY_mSZ_S12_bEUlT_E_NS1_11comp_targetILNS1_3genE5ELNS1_11target_archE942ELNS1_3gpuE9ELNS1_3repE0EEENS1_30default_config_static_selectorELNS0_4arch9wavefront6targetE0EEEvSW_,comdat
	.protected	_ZN7rocprim17ROCPRIM_400000_NS6detail17trampoline_kernelINS0_14default_configENS1_27upper_bound_config_selectorIjlEEZNS1_14transform_implILb0ES3_S5_N6thrust23THRUST_200600_302600_NS6detail15normal_iteratorINS8_7pointerIjNS8_11hip_rocprim5par_tENS8_11use_defaultESE_EEEENSA_INSB_IlSD_SE_SE_EEEEZNS1_13binary_searchIS3_S5_PjSG_SI_NS1_21upper_bound_search_opENS9_16wrapped_functionINS8_6system6detail7generic6detail18binary_search_lessEbEEEE10hipError_tPvRmT1_T2_T3_mmT4_T5_P12ihipStream_tbEUlRKjE_EEST_SX_SY_mSZ_S12_bEUlT_E_NS1_11comp_targetILNS1_3genE5ELNS1_11target_archE942ELNS1_3gpuE9ELNS1_3repE0EEENS1_30default_config_static_selectorELNS0_4arch9wavefront6targetE0EEEvSW_ ; -- Begin function _ZN7rocprim17ROCPRIM_400000_NS6detail17trampoline_kernelINS0_14default_configENS1_27upper_bound_config_selectorIjlEEZNS1_14transform_implILb0ES3_S5_N6thrust23THRUST_200600_302600_NS6detail15normal_iteratorINS8_7pointerIjNS8_11hip_rocprim5par_tENS8_11use_defaultESE_EEEENSA_INSB_IlSD_SE_SE_EEEEZNS1_13binary_searchIS3_S5_PjSG_SI_NS1_21upper_bound_search_opENS9_16wrapped_functionINS8_6system6detail7generic6detail18binary_search_lessEbEEEE10hipError_tPvRmT1_T2_T3_mmT4_T5_P12ihipStream_tbEUlRKjE_EEST_SX_SY_mSZ_S12_bEUlT_E_NS1_11comp_targetILNS1_3genE5ELNS1_11target_archE942ELNS1_3gpuE9ELNS1_3repE0EEENS1_30default_config_static_selectorELNS0_4arch9wavefront6targetE0EEEvSW_
	.globl	_ZN7rocprim17ROCPRIM_400000_NS6detail17trampoline_kernelINS0_14default_configENS1_27upper_bound_config_selectorIjlEEZNS1_14transform_implILb0ES3_S5_N6thrust23THRUST_200600_302600_NS6detail15normal_iteratorINS8_7pointerIjNS8_11hip_rocprim5par_tENS8_11use_defaultESE_EEEENSA_INSB_IlSD_SE_SE_EEEEZNS1_13binary_searchIS3_S5_PjSG_SI_NS1_21upper_bound_search_opENS9_16wrapped_functionINS8_6system6detail7generic6detail18binary_search_lessEbEEEE10hipError_tPvRmT1_T2_T3_mmT4_T5_P12ihipStream_tbEUlRKjE_EEST_SX_SY_mSZ_S12_bEUlT_E_NS1_11comp_targetILNS1_3genE5ELNS1_11target_archE942ELNS1_3gpuE9ELNS1_3repE0EEENS1_30default_config_static_selectorELNS0_4arch9wavefront6targetE0EEEvSW_
	.p2align	8
	.type	_ZN7rocprim17ROCPRIM_400000_NS6detail17trampoline_kernelINS0_14default_configENS1_27upper_bound_config_selectorIjlEEZNS1_14transform_implILb0ES3_S5_N6thrust23THRUST_200600_302600_NS6detail15normal_iteratorINS8_7pointerIjNS8_11hip_rocprim5par_tENS8_11use_defaultESE_EEEENSA_INSB_IlSD_SE_SE_EEEEZNS1_13binary_searchIS3_S5_PjSG_SI_NS1_21upper_bound_search_opENS9_16wrapped_functionINS8_6system6detail7generic6detail18binary_search_lessEbEEEE10hipError_tPvRmT1_T2_T3_mmT4_T5_P12ihipStream_tbEUlRKjE_EEST_SX_SY_mSZ_S12_bEUlT_E_NS1_11comp_targetILNS1_3genE5ELNS1_11target_archE942ELNS1_3gpuE9ELNS1_3repE0EEENS1_30default_config_static_selectorELNS0_4arch9wavefront6targetE0EEEvSW_,@function
_ZN7rocprim17ROCPRIM_400000_NS6detail17trampoline_kernelINS0_14default_configENS1_27upper_bound_config_selectorIjlEEZNS1_14transform_implILb0ES3_S5_N6thrust23THRUST_200600_302600_NS6detail15normal_iteratorINS8_7pointerIjNS8_11hip_rocprim5par_tENS8_11use_defaultESE_EEEENSA_INSB_IlSD_SE_SE_EEEEZNS1_13binary_searchIS3_S5_PjSG_SI_NS1_21upper_bound_search_opENS9_16wrapped_functionINS8_6system6detail7generic6detail18binary_search_lessEbEEEE10hipError_tPvRmT1_T2_T3_mmT4_T5_P12ihipStream_tbEUlRKjE_EEST_SX_SY_mSZ_S12_bEUlT_E_NS1_11comp_targetILNS1_3genE5ELNS1_11target_archE942ELNS1_3gpuE9ELNS1_3repE0EEENS1_30default_config_static_selectorELNS0_4arch9wavefront6targetE0EEEvSW_: ; @_ZN7rocprim17ROCPRIM_400000_NS6detail17trampoline_kernelINS0_14default_configENS1_27upper_bound_config_selectorIjlEEZNS1_14transform_implILb0ES3_S5_N6thrust23THRUST_200600_302600_NS6detail15normal_iteratorINS8_7pointerIjNS8_11hip_rocprim5par_tENS8_11use_defaultESE_EEEENSA_INSB_IlSD_SE_SE_EEEEZNS1_13binary_searchIS3_S5_PjSG_SI_NS1_21upper_bound_search_opENS9_16wrapped_functionINS8_6system6detail7generic6detail18binary_search_lessEbEEEE10hipError_tPvRmT1_T2_T3_mmT4_T5_P12ihipStream_tbEUlRKjE_EEST_SX_SY_mSZ_S12_bEUlT_E_NS1_11comp_targetILNS1_3genE5ELNS1_11target_archE942ELNS1_3gpuE9ELNS1_3repE0EEENS1_30default_config_static_selectorELNS0_4arch9wavefront6targetE0EEEvSW_
; %bb.0:
	.section	.rodata,"a",@progbits
	.p2align	6, 0x0
	.amdhsa_kernel _ZN7rocprim17ROCPRIM_400000_NS6detail17trampoline_kernelINS0_14default_configENS1_27upper_bound_config_selectorIjlEEZNS1_14transform_implILb0ES3_S5_N6thrust23THRUST_200600_302600_NS6detail15normal_iteratorINS8_7pointerIjNS8_11hip_rocprim5par_tENS8_11use_defaultESE_EEEENSA_INSB_IlSD_SE_SE_EEEEZNS1_13binary_searchIS3_S5_PjSG_SI_NS1_21upper_bound_search_opENS9_16wrapped_functionINS8_6system6detail7generic6detail18binary_search_lessEbEEEE10hipError_tPvRmT1_T2_T3_mmT4_T5_P12ihipStream_tbEUlRKjE_EEST_SX_SY_mSZ_S12_bEUlT_E_NS1_11comp_targetILNS1_3genE5ELNS1_11target_archE942ELNS1_3gpuE9ELNS1_3repE0EEENS1_30default_config_static_selectorELNS0_4arch9wavefront6targetE0EEEvSW_
		.amdhsa_group_segment_fixed_size 0
		.amdhsa_private_segment_fixed_size 0
		.amdhsa_kernarg_size 56
		.amdhsa_user_sgpr_count 6
		.amdhsa_user_sgpr_private_segment_buffer 1
		.amdhsa_user_sgpr_dispatch_ptr 0
		.amdhsa_user_sgpr_queue_ptr 0
		.amdhsa_user_sgpr_kernarg_segment_ptr 1
		.amdhsa_user_sgpr_dispatch_id 0
		.amdhsa_user_sgpr_flat_scratch_init 0
		.amdhsa_user_sgpr_private_segment_size 0
		.amdhsa_wavefront_size32 1
		.amdhsa_uses_dynamic_stack 0
		.amdhsa_system_sgpr_private_segment_wavefront_offset 0
		.amdhsa_system_sgpr_workgroup_id_x 1
		.amdhsa_system_sgpr_workgroup_id_y 0
		.amdhsa_system_sgpr_workgroup_id_z 0
		.amdhsa_system_sgpr_workgroup_info 0
		.amdhsa_system_vgpr_workitem_id 0
		.amdhsa_next_free_vgpr 1
		.amdhsa_next_free_sgpr 1
		.amdhsa_reserve_vcc 0
		.amdhsa_reserve_flat_scratch 0
		.amdhsa_float_round_mode_32 0
		.amdhsa_float_round_mode_16_64 0
		.amdhsa_float_denorm_mode_32 3
		.amdhsa_float_denorm_mode_16_64 3
		.amdhsa_dx10_clamp 1
		.amdhsa_ieee_mode 1
		.amdhsa_fp16_overflow 0
		.amdhsa_workgroup_processor_mode 1
		.amdhsa_memory_ordered 1
		.amdhsa_forward_progress 1
		.amdhsa_shared_vgpr_count 0
		.amdhsa_exception_fp_ieee_invalid_op 0
		.amdhsa_exception_fp_denorm_src 0
		.amdhsa_exception_fp_ieee_div_zero 0
		.amdhsa_exception_fp_ieee_overflow 0
		.amdhsa_exception_fp_ieee_underflow 0
		.amdhsa_exception_fp_ieee_inexact 0
		.amdhsa_exception_int_div_zero 0
	.end_amdhsa_kernel
	.section	.text._ZN7rocprim17ROCPRIM_400000_NS6detail17trampoline_kernelINS0_14default_configENS1_27upper_bound_config_selectorIjlEEZNS1_14transform_implILb0ES3_S5_N6thrust23THRUST_200600_302600_NS6detail15normal_iteratorINS8_7pointerIjNS8_11hip_rocprim5par_tENS8_11use_defaultESE_EEEENSA_INSB_IlSD_SE_SE_EEEEZNS1_13binary_searchIS3_S5_PjSG_SI_NS1_21upper_bound_search_opENS9_16wrapped_functionINS8_6system6detail7generic6detail18binary_search_lessEbEEEE10hipError_tPvRmT1_T2_T3_mmT4_T5_P12ihipStream_tbEUlRKjE_EEST_SX_SY_mSZ_S12_bEUlT_E_NS1_11comp_targetILNS1_3genE5ELNS1_11target_archE942ELNS1_3gpuE9ELNS1_3repE0EEENS1_30default_config_static_selectorELNS0_4arch9wavefront6targetE0EEEvSW_,"axG",@progbits,_ZN7rocprim17ROCPRIM_400000_NS6detail17trampoline_kernelINS0_14default_configENS1_27upper_bound_config_selectorIjlEEZNS1_14transform_implILb0ES3_S5_N6thrust23THRUST_200600_302600_NS6detail15normal_iteratorINS8_7pointerIjNS8_11hip_rocprim5par_tENS8_11use_defaultESE_EEEENSA_INSB_IlSD_SE_SE_EEEEZNS1_13binary_searchIS3_S5_PjSG_SI_NS1_21upper_bound_search_opENS9_16wrapped_functionINS8_6system6detail7generic6detail18binary_search_lessEbEEEE10hipError_tPvRmT1_T2_T3_mmT4_T5_P12ihipStream_tbEUlRKjE_EEST_SX_SY_mSZ_S12_bEUlT_E_NS1_11comp_targetILNS1_3genE5ELNS1_11target_archE942ELNS1_3gpuE9ELNS1_3repE0EEENS1_30default_config_static_selectorELNS0_4arch9wavefront6targetE0EEEvSW_,comdat
.Lfunc_end193:
	.size	_ZN7rocprim17ROCPRIM_400000_NS6detail17trampoline_kernelINS0_14default_configENS1_27upper_bound_config_selectorIjlEEZNS1_14transform_implILb0ES3_S5_N6thrust23THRUST_200600_302600_NS6detail15normal_iteratorINS8_7pointerIjNS8_11hip_rocprim5par_tENS8_11use_defaultESE_EEEENSA_INSB_IlSD_SE_SE_EEEEZNS1_13binary_searchIS3_S5_PjSG_SI_NS1_21upper_bound_search_opENS9_16wrapped_functionINS8_6system6detail7generic6detail18binary_search_lessEbEEEE10hipError_tPvRmT1_T2_T3_mmT4_T5_P12ihipStream_tbEUlRKjE_EEST_SX_SY_mSZ_S12_bEUlT_E_NS1_11comp_targetILNS1_3genE5ELNS1_11target_archE942ELNS1_3gpuE9ELNS1_3repE0EEENS1_30default_config_static_selectorELNS0_4arch9wavefront6targetE0EEEvSW_, .Lfunc_end193-_ZN7rocprim17ROCPRIM_400000_NS6detail17trampoline_kernelINS0_14default_configENS1_27upper_bound_config_selectorIjlEEZNS1_14transform_implILb0ES3_S5_N6thrust23THRUST_200600_302600_NS6detail15normal_iteratorINS8_7pointerIjNS8_11hip_rocprim5par_tENS8_11use_defaultESE_EEEENSA_INSB_IlSD_SE_SE_EEEEZNS1_13binary_searchIS3_S5_PjSG_SI_NS1_21upper_bound_search_opENS9_16wrapped_functionINS8_6system6detail7generic6detail18binary_search_lessEbEEEE10hipError_tPvRmT1_T2_T3_mmT4_T5_P12ihipStream_tbEUlRKjE_EEST_SX_SY_mSZ_S12_bEUlT_E_NS1_11comp_targetILNS1_3genE5ELNS1_11target_archE942ELNS1_3gpuE9ELNS1_3repE0EEENS1_30default_config_static_selectorELNS0_4arch9wavefront6targetE0EEEvSW_
                                        ; -- End function
	.set _ZN7rocprim17ROCPRIM_400000_NS6detail17trampoline_kernelINS0_14default_configENS1_27upper_bound_config_selectorIjlEEZNS1_14transform_implILb0ES3_S5_N6thrust23THRUST_200600_302600_NS6detail15normal_iteratorINS8_7pointerIjNS8_11hip_rocprim5par_tENS8_11use_defaultESE_EEEENSA_INSB_IlSD_SE_SE_EEEEZNS1_13binary_searchIS3_S5_PjSG_SI_NS1_21upper_bound_search_opENS9_16wrapped_functionINS8_6system6detail7generic6detail18binary_search_lessEbEEEE10hipError_tPvRmT1_T2_T3_mmT4_T5_P12ihipStream_tbEUlRKjE_EEST_SX_SY_mSZ_S12_bEUlT_E_NS1_11comp_targetILNS1_3genE5ELNS1_11target_archE942ELNS1_3gpuE9ELNS1_3repE0EEENS1_30default_config_static_selectorELNS0_4arch9wavefront6targetE0EEEvSW_.num_vgpr, 0
	.set _ZN7rocprim17ROCPRIM_400000_NS6detail17trampoline_kernelINS0_14default_configENS1_27upper_bound_config_selectorIjlEEZNS1_14transform_implILb0ES3_S5_N6thrust23THRUST_200600_302600_NS6detail15normal_iteratorINS8_7pointerIjNS8_11hip_rocprim5par_tENS8_11use_defaultESE_EEEENSA_INSB_IlSD_SE_SE_EEEEZNS1_13binary_searchIS3_S5_PjSG_SI_NS1_21upper_bound_search_opENS9_16wrapped_functionINS8_6system6detail7generic6detail18binary_search_lessEbEEEE10hipError_tPvRmT1_T2_T3_mmT4_T5_P12ihipStream_tbEUlRKjE_EEST_SX_SY_mSZ_S12_bEUlT_E_NS1_11comp_targetILNS1_3genE5ELNS1_11target_archE942ELNS1_3gpuE9ELNS1_3repE0EEENS1_30default_config_static_selectorELNS0_4arch9wavefront6targetE0EEEvSW_.num_agpr, 0
	.set _ZN7rocprim17ROCPRIM_400000_NS6detail17trampoline_kernelINS0_14default_configENS1_27upper_bound_config_selectorIjlEEZNS1_14transform_implILb0ES3_S5_N6thrust23THRUST_200600_302600_NS6detail15normal_iteratorINS8_7pointerIjNS8_11hip_rocprim5par_tENS8_11use_defaultESE_EEEENSA_INSB_IlSD_SE_SE_EEEEZNS1_13binary_searchIS3_S5_PjSG_SI_NS1_21upper_bound_search_opENS9_16wrapped_functionINS8_6system6detail7generic6detail18binary_search_lessEbEEEE10hipError_tPvRmT1_T2_T3_mmT4_T5_P12ihipStream_tbEUlRKjE_EEST_SX_SY_mSZ_S12_bEUlT_E_NS1_11comp_targetILNS1_3genE5ELNS1_11target_archE942ELNS1_3gpuE9ELNS1_3repE0EEENS1_30default_config_static_selectorELNS0_4arch9wavefront6targetE0EEEvSW_.numbered_sgpr, 0
	.set _ZN7rocprim17ROCPRIM_400000_NS6detail17trampoline_kernelINS0_14default_configENS1_27upper_bound_config_selectorIjlEEZNS1_14transform_implILb0ES3_S5_N6thrust23THRUST_200600_302600_NS6detail15normal_iteratorINS8_7pointerIjNS8_11hip_rocprim5par_tENS8_11use_defaultESE_EEEENSA_INSB_IlSD_SE_SE_EEEEZNS1_13binary_searchIS3_S5_PjSG_SI_NS1_21upper_bound_search_opENS9_16wrapped_functionINS8_6system6detail7generic6detail18binary_search_lessEbEEEE10hipError_tPvRmT1_T2_T3_mmT4_T5_P12ihipStream_tbEUlRKjE_EEST_SX_SY_mSZ_S12_bEUlT_E_NS1_11comp_targetILNS1_3genE5ELNS1_11target_archE942ELNS1_3gpuE9ELNS1_3repE0EEENS1_30default_config_static_selectorELNS0_4arch9wavefront6targetE0EEEvSW_.num_named_barrier, 0
	.set _ZN7rocprim17ROCPRIM_400000_NS6detail17trampoline_kernelINS0_14default_configENS1_27upper_bound_config_selectorIjlEEZNS1_14transform_implILb0ES3_S5_N6thrust23THRUST_200600_302600_NS6detail15normal_iteratorINS8_7pointerIjNS8_11hip_rocprim5par_tENS8_11use_defaultESE_EEEENSA_INSB_IlSD_SE_SE_EEEEZNS1_13binary_searchIS3_S5_PjSG_SI_NS1_21upper_bound_search_opENS9_16wrapped_functionINS8_6system6detail7generic6detail18binary_search_lessEbEEEE10hipError_tPvRmT1_T2_T3_mmT4_T5_P12ihipStream_tbEUlRKjE_EEST_SX_SY_mSZ_S12_bEUlT_E_NS1_11comp_targetILNS1_3genE5ELNS1_11target_archE942ELNS1_3gpuE9ELNS1_3repE0EEENS1_30default_config_static_selectorELNS0_4arch9wavefront6targetE0EEEvSW_.private_seg_size, 0
	.set _ZN7rocprim17ROCPRIM_400000_NS6detail17trampoline_kernelINS0_14default_configENS1_27upper_bound_config_selectorIjlEEZNS1_14transform_implILb0ES3_S5_N6thrust23THRUST_200600_302600_NS6detail15normal_iteratorINS8_7pointerIjNS8_11hip_rocprim5par_tENS8_11use_defaultESE_EEEENSA_INSB_IlSD_SE_SE_EEEEZNS1_13binary_searchIS3_S5_PjSG_SI_NS1_21upper_bound_search_opENS9_16wrapped_functionINS8_6system6detail7generic6detail18binary_search_lessEbEEEE10hipError_tPvRmT1_T2_T3_mmT4_T5_P12ihipStream_tbEUlRKjE_EEST_SX_SY_mSZ_S12_bEUlT_E_NS1_11comp_targetILNS1_3genE5ELNS1_11target_archE942ELNS1_3gpuE9ELNS1_3repE0EEENS1_30default_config_static_selectorELNS0_4arch9wavefront6targetE0EEEvSW_.uses_vcc, 0
	.set _ZN7rocprim17ROCPRIM_400000_NS6detail17trampoline_kernelINS0_14default_configENS1_27upper_bound_config_selectorIjlEEZNS1_14transform_implILb0ES3_S5_N6thrust23THRUST_200600_302600_NS6detail15normal_iteratorINS8_7pointerIjNS8_11hip_rocprim5par_tENS8_11use_defaultESE_EEEENSA_INSB_IlSD_SE_SE_EEEEZNS1_13binary_searchIS3_S5_PjSG_SI_NS1_21upper_bound_search_opENS9_16wrapped_functionINS8_6system6detail7generic6detail18binary_search_lessEbEEEE10hipError_tPvRmT1_T2_T3_mmT4_T5_P12ihipStream_tbEUlRKjE_EEST_SX_SY_mSZ_S12_bEUlT_E_NS1_11comp_targetILNS1_3genE5ELNS1_11target_archE942ELNS1_3gpuE9ELNS1_3repE0EEENS1_30default_config_static_selectorELNS0_4arch9wavefront6targetE0EEEvSW_.uses_flat_scratch, 0
	.set _ZN7rocprim17ROCPRIM_400000_NS6detail17trampoline_kernelINS0_14default_configENS1_27upper_bound_config_selectorIjlEEZNS1_14transform_implILb0ES3_S5_N6thrust23THRUST_200600_302600_NS6detail15normal_iteratorINS8_7pointerIjNS8_11hip_rocprim5par_tENS8_11use_defaultESE_EEEENSA_INSB_IlSD_SE_SE_EEEEZNS1_13binary_searchIS3_S5_PjSG_SI_NS1_21upper_bound_search_opENS9_16wrapped_functionINS8_6system6detail7generic6detail18binary_search_lessEbEEEE10hipError_tPvRmT1_T2_T3_mmT4_T5_P12ihipStream_tbEUlRKjE_EEST_SX_SY_mSZ_S12_bEUlT_E_NS1_11comp_targetILNS1_3genE5ELNS1_11target_archE942ELNS1_3gpuE9ELNS1_3repE0EEENS1_30default_config_static_selectorELNS0_4arch9wavefront6targetE0EEEvSW_.has_dyn_sized_stack, 0
	.set _ZN7rocprim17ROCPRIM_400000_NS6detail17trampoline_kernelINS0_14default_configENS1_27upper_bound_config_selectorIjlEEZNS1_14transform_implILb0ES3_S5_N6thrust23THRUST_200600_302600_NS6detail15normal_iteratorINS8_7pointerIjNS8_11hip_rocprim5par_tENS8_11use_defaultESE_EEEENSA_INSB_IlSD_SE_SE_EEEEZNS1_13binary_searchIS3_S5_PjSG_SI_NS1_21upper_bound_search_opENS9_16wrapped_functionINS8_6system6detail7generic6detail18binary_search_lessEbEEEE10hipError_tPvRmT1_T2_T3_mmT4_T5_P12ihipStream_tbEUlRKjE_EEST_SX_SY_mSZ_S12_bEUlT_E_NS1_11comp_targetILNS1_3genE5ELNS1_11target_archE942ELNS1_3gpuE9ELNS1_3repE0EEENS1_30default_config_static_selectorELNS0_4arch9wavefront6targetE0EEEvSW_.has_recursion, 0
	.set _ZN7rocprim17ROCPRIM_400000_NS6detail17trampoline_kernelINS0_14default_configENS1_27upper_bound_config_selectorIjlEEZNS1_14transform_implILb0ES3_S5_N6thrust23THRUST_200600_302600_NS6detail15normal_iteratorINS8_7pointerIjNS8_11hip_rocprim5par_tENS8_11use_defaultESE_EEEENSA_INSB_IlSD_SE_SE_EEEEZNS1_13binary_searchIS3_S5_PjSG_SI_NS1_21upper_bound_search_opENS9_16wrapped_functionINS8_6system6detail7generic6detail18binary_search_lessEbEEEE10hipError_tPvRmT1_T2_T3_mmT4_T5_P12ihipStream_tbEUlRKjE_EEST_SX_SY_mSZ_S12_bEUlT_E_NS1_11comp_targetILNS1_3genE5ELNS1_11target_archE942ELNS1_3gpuE9ELNS1_3repE0EEENS1_30default_config_static_selectorELNS0_4arch9wavefront6targetE0EEEvSW_.has_indirect_call, 0
	.section	.AMDGPU.csdata,"",@progbits
; Kernel info:
; codeLenInByte = 0
; TotalNumSgprs: 0
; NumVgprs: 0
; ScratchSize: 0
; MemoryBound: 0
; FloatMode: 240
; IeeeMode: 1
; LDSByteSize: 0 bytes/workgroup (compile time only)
; SGPRBlocks: 0
; VGPRBlocks: 0
; NumSGPRsForWavesPerEU: 1
; NumVGPRsForWavesPerEU: 1
; Occupancy: 16
; WaveLimiterHint : 0
; COMPUTE_PGM_RSRC2:SCRATCH_EN: 0
; COMPUTE_PGM_RSRC2:USER_SGPR: 6
; COMPUTE_PGM_RSRC2:TRAP_HANDLER: 0
; COMPUTE_PGM_RSRC2:TGID_X_EN: 1
; COMPUTE_PGM_RSRC2:TGID_Y_EN: 0
; COMPUTE_PGM_RSRC2:TGID_Z_EN: 0
; COMPUTE_PGM_RSRC2:TIDIG_COMP_CNT: 0
	.section	.text._ZN7rocprim17ROCPRIM_400000_NS6detail17trampoline_kernelINS0_14default_configENS1_27upper_bound_config_selectorIjlEEZNS1_14transform_implILb0ES3_S5_N6thrust23THRUST_200600_302600_NS6detail15normal_iteratorINS8_7pointerIjNS8_11hip_rocprim5par_tENS8_11use_defaultESE_EEEENSA_INSB_IlSD_SE_SE_EEEEZNS1_13binary_searchIS3_S5_PjSG_SI_NS1_21upper_bound_search_opENS9_16wrapped_functionINS8_6system6detail7generic6detail18binary_search_lessEbEEEE10hipError_tPvRmT1_T2_T3_mmT4_T5_P12ihipStream_tbEUlRKjE_EEST_SX_SY_mSZ_S12_bEUlT_E_NS1_11comp_targetILNS1_3genE4ELNS1_11target_archE910ELNS1_3gpuE8ELNS1_3repE0EEENS1_30default_config_static_selectorELNS0_4arch9wavefront6targetE0EEEvSW_,"axG",@progbits,_ZN7rocprim17ROCPRIM_400000_NS6detail17trampoline_kernelINS0_14default_configENS1_27upper_bound_config_selectorIjlEEZNS1_14transform_implILb0ES3_S5_N6thrust23THRUST_200600_302600_NS6detail15normal_iteratorINS8_7pointerIjNS8_11hip_rocprim5par_tENS8_11use_defaultESE_EEEENSA_INSB_IlSD_SE_SE_EEEEZNS1_13binary_searchIS3_S5_PjSG_SI_NS1_21upper_bound_search_opENS9_16wrapped_functionINS8_6system6detail7generic6detail18binary_search_lessEbEEEE10hipError_tPvRmT1_T2_T3_mmT4_T5_P12ihipStream_tbEUlRKjE_EEST_SX_SY_mSZ_S12_bEUlT_E_NS1_11comp_targetILNS1_3genE4ELNS1_11target_archE910ELNS1_3gpuE8ELNS1_3repE0EEENS1_30default_config_static_selectorELNS0_4arch9wavefront6targetE0EEEvSW_,comdat
	.protected	_ZN7rocprim17ROCPRIM_400000_NS6detail17trampoline_kernelINS0_14default_configENS1_27upper_bound_config_selectorIjlEEZNS1_14transform_implILb0ES3_S5_N6thrust23THRUST_200600_302600_NS6detail15normal_iteratorINS8_7pointerIjNS8_11hip_rocprim5par_tENS8_11use_defaultESE_EEEENSA_INSB_IlSD_SE_SE_EEEEZNS1_13binary_searchIS3_S5_PjSG_SI_NS1_21upper_bound_search_opENS9_16wrapped_functionINS8_6system6detail7generic6detail18binary_search_lessEbEEEE10hipError_tPvRmT1_T2_T3_mmT4_T5_P12ihipStream_tbEUlRKjE_EEST_SX_SY_mSZ_S12_bEUlT_E_NS1_11comp_targetILNS1_3genE4ELNS1_11target_archE910ELNS1_3gpuE8ELNS1_3repE0EEENS1_30default_config_static_selectorELNS0_4arch9wavefront6targetE0EEEvSW_ ; -- Begin function _ZN7rocprim17ROCPRIM_400000_NS6detail17trampoline_kernelINS0_14default_configENS1_27upper_bound_config_selectorIjlEEZNS1_14transform_implILb0ES3_S5_N6thrust23THRUST_200600_302600_NS6detail15normal_iteratorINS8_7pointerIjNS8_11hip_rocprim5par_tENS8_11use_defaultESE_EEEENSA_INSB_IlSD_SE_SE_EEEEZNS1_13binary_searchIS3_S5_PjSG_SI_NS1_21upper_bound_search_opENS9_16wrapped_functionINS8_6system6detail7generic6detail18binary_search_lessEbEEEE10hipError_tPvRmT1_T2_T3_mmT4_T5_P12ihipStream_tbEUlRKjE_EEST_SX_SY_mSZ_S12_bEUlT_E_NS1_11comp_targetILNS1_3genE4ELNS1_11target_archE910ELNS1_3gpuE8ELNS1_3repE0EEENS1_30default_config_static_selectorELNS0_4arch9wavefront6targetE0EEEvSW_
	.globl	_ZN7rocprim17ROCPRIM_400000_NS6detail17trampoline_kernelINS0_14default_configENS1_27upper_bound_config_selectorIjlEEZNS1_14transform_implILb0ES3_S5_N6thrust23THRUST_200600_302600_NS6detail15normal_iteratorINS8_7pointerIjNS8_11hip_rocprim5par_tENS8_11use_defaultESE_EEEENSA_INSB_IlSD_SE_SE_EEEEZNS1_13binary_searchIS3_S5_PjSG_SI_NS1_21upper_bound_search_opENS9_16wrapped_functionINS8_6system6detail7generic6detail18binary_search_lessEbEEEE10hipError_tPvRmT1_T2_T3_mmT4_T5_P12ihipStream_tbEUlRKjE_EEST_SX_SY_mSZ_S12_bEUlT_E_NS1_11comp_targetILNS1_3genE4ELNS1_11target_archE910ELNS1_3gpuE8ELNS1_3repE0EEENS1_30default_config_static_selectorELNS0_4arch9wavefront6targetE0EEEvSW_
	.p2align	8
	.type	_ZN7rocprim17ROCPRIM_400000_NS6detail17trampoline_kernelINS0_14default_configENS1_27upper_bound_config_selectorIjlEEZNS1_14transform_implILb0ES3_S5_N6thrust23THRUST_200600_302600_NS6detail15normal_iteratorINS8_7pointerIjNS8_11hip_rocprim5par_tENS8_11use_defaultESE_EEEENSA_INSB_IlSD_SE_SE_EEEEZNS1_13binary_searchIS3_S5_PjSG_SI_NS1_21upper_bound_search_opENS9_16wrapped_functionINS8_6system6detail7generic6detail18binary_search_lessEbEEEE10hipError_tPvRmT1_T2_T3_mmT4_T5_P12ihipStream_tbEUlRKjE_EEST_SX_SY_mSZ_S12_bEUlT_E_NS1_11comp_targetILNS1_3genE4ELNS1_11target_archE910ELNS1_3gpuE8ELNS1_3repE0EEENS1_30default_config_static_selectorELNS0_4arch9wavefront6targetE0EEEvSW_,@function
_ZN7rocprim17ROCPRIM_400000_NS6detail17trampoline_kernelINS0_14default_configENS1_27upper_bound_config_selectorIjlEEZNS1_14transform_implILb0ES3_S5_N6thrust23THRUST_200600_302600_NS6detail15normal_iteratorINS8_7pointerIjNS8_11hip_rocprim5par_tENS8_11use_defaultESE_EEEENSA_INSB_IlSD_SE_SE_EEEEZNS1_13binary_searchIS3_S5_PjSG_SI_NS1_21upper_bound_search_opENS9_16wrapped_functionINS8_6system6detail7generic6detail18binary_search_lessEbEEEE10hipError_tPvRmT1_T2_T3_mmT4_T5_P12ihipStream_tbEUlRKjE_EEST_SX_SY_mSZ_S12_bEUlT_E_NS1_11comp_targetILNS1_3genE4ELNS1_11target_archE910ELNS1_3gpuE8ELNS1_3repE0EEENS1_30default_config_static_selectorELNS0_4arch9wavefront6targetE0EEEvSW_: ; @_ZN7rocprim17ROCPRIM_400000_NS6detail17trampoline_kernelINS0_14default_configENS1_27upper_bound_config_selectorIjlEEZNS1_14transform_implILb0ES3_S5_N6thrust23THRUST_200600_302600_NS6detail15normal_iteratorINS8_7pointerIjNS8_11hip_rocprim5par_tENS8_11use_defaultESE_EEEENSA_INSB_IlSD_SE_SE_EEEEZNS1_13binary_searchIS3_S5_PjSG_SI_NS1_21upper_bound_search_opENS9_16wrapped_functionINS8_6system6detail7generic6detail18binary_search_lessEbEEEE10hipError_tPvRmT1_T2_T3_mmT4_T5_P12ihipStream_tbEUlRKjE_EEST_SX_SY_mSZ_S12_bEUlT_E_NS1_11comp_targetILNS1_3genE4ELNS1_11target_archE910ELNS1_3gpuE8ELNS1_3repE0EEENS1_30default_config_static_selectorELNS0_4arch9wavefront6targetE0EEEvSW_
; %bb.0:
	.section	.rodata,"a",@progbits
	.p2align	6, 0x0
	.amdhsa_kernel _ZN7rocprim17ROCPRIM_400000_NS6detail17trampoline_kernelINS0_14default_configENS1_27upper_bound_config_selectorIjlEEZNS1_14transform_implILb0ES3_S5_N6thrust23THRUST_200600_302600_NS6detail15normal_iteratorINS8_7pointerIjNS8_11hip_rocprim5par_tENS8_11use_defaultESE_EEEENSA_INSB_IlSD_SE_SE_EEEEZNS1_13binary_searchIS3_S5_PjSG_SI_NS1_21upper_bound_search_opENS9_16wrapped_functionINS8_6system6detail7generic6detail18binary_search_lessEbEEEE10hipError_tPvRmT1_T2_T3_mmT4_T5_P12ihipStream_tbEUlRKjE_EEST_SX_SY_mSZ_S12_bEUlT_E_NS1_11comp_targetILNS1_3genE4ELNS1_11target_archE910ELNS1_3gpuE8ELNS1_3repE0EEENS1_30default_config_static_selectorELNS0_4arch9wavefront6targetE0EEEvSW_
		.amdhsa_group_segment_fixed_size 0
		.amdhsa_private_segment_fixed_size 0
		.amdhsa_kernarg_size 56
		.amdhsa_user_sgpr_count 6
		.amdhsa_user_sgpr_private_segment_buffer 1
		.amdhsa_user_sgpr_dispatch_ptr 0
		.amdhsa_user_sgpr_queue_ptr 0
		.amdhsa_user_sgpr_kernarg_segment_ptr 1
		.amdhsa_user_sgpr_dispatch_id 0
		.amdhsa_user_sgpr_flat_scratch_init 0
		.amdhsa_user_sgpr_private_segment_size 0
		.amdhsa_wavefront_size32 1
		.amdhsa_uses_dynamic_stack 0
		.amdhsa_system_sgpr_private_segment_wavefront_offset 0
		.amdhsa_system_sgpr_workgroup_id_x 1
		.amdhsa_system_sgpr_workgroup_id_y 0
		.amdhsa_system_sgpr_workgroup_id_z 0
		.amdhsa_system_sgpr_workgroup_info 0
		.amdhsa_system_vgpr_workitem_id 0
		.amdhsa_next_free_vgpr 1
		.amdhsa_next_free_sgpr 1
		.amdhsa_reserve_vcc 0
		.amdhsa_reserve_flat_scratch 0
		.amdhsa_float_round_mode_32 0
		.amdhsa_float_round_mode_16_64 0
		.amdhsa_float_denorm_mode_32 3
		.amdhsa_float_denorm_mode_16_64 3
		.amdhsa_dx10_clamp 1
		.amdhsa_ieee_mode 1
		.amdhsa_fp16_overflow 0
		.amdhsa_workgroup_processor_mode 1
		.amdhsa_memory_ordered 1
		.amdhsa_forward_progress 1
		.amdhsa_shared_vgpr_count 0
		.amdhsa_exception_fp_ieee_invalid_op 0
		.amdhsa_exception_fp_denorm_src 0
		.amdhsa_exception_fp_ieee_div_zero 0
		.amdhsa_exception_fp_ieee_overflow 0
		.amdhsa_exception_fp_ieee_underflow 0
		.amdhsa_exception_fp_ieee_inexact 0
		.amdhsa_exception_int_div_zero 0
	.end_amdhsa_kernel
	.section	.text._ZN7rocprim17ROCPRIM_400000_NS6detail17trampoline_kernelINS0_14default_configENS1_27upper_bound_config_selectorIjlEEZNS1_14transform_implILb0ES3_S5_N6thrust23THRUST_200600_302600_NS6detail15normal_iteratorINS8_7pointerIjNS8_11hip_rocprim5par_tENS8_11use_defaultESE_EEEENSA_INSB_IlSD_SE_SE_EEEEZNS1_13binary_searchIS3_S5_PjSG_SI_NS1_21upper_bound_search_opENS9_16wrapped_functionINS8_6system6detail7generic6detail18binary_search_lessEbEEEE10hipError_tPvRmT1_T2_T3_mmT4_T5_P12ihipStream_tbEUlRKjE_EEST_SX_SY_mSZ_S12_bEUlT_E_NS1_11comp_targetILNS1_3genE4ELNS1_11target_archE910ELNS1_3gpuE8ELNS1_3repE0EEENS1_30default_config_static_selectorELNS0_4arch9wavefront6targetE0EEEvSW_,"axG",@progbits,_ZN7rocprim17ROCPRIM_400000_NS6detail17trampoline_kernelINS0_14default_configENS1_27upper_bound_config_selectorIjlEEZNS1_14transform_implILb0ES3_S5_N6thrust23THRUST_200600_302600_NS6detail15normal_iteratorINS8_7pointerIjNS8_11hip_rocprim5par_tENS8_11use_defaultESE_EEEENSA_INSB_IlSD_SE_SE_EEEEZNS1_13binary_searchIS3_S5_PjSG_SI_NS1_21upper_bound_search_opENS9_16wrapped_functionINS8_6system6detail7generic6detail18binary_search_lessEbEEEE10hipError_tPvRmT1_T2_T3_mmT4_T5_P12ihipStream_tbEUlRKjE_EEST_SX_SY_mSZ_S12_bEUlT_E_NS1_11comp_targetILNS1_3genE4ELNS1_11target_archE910ELNS1_3gpuE8ELNS1_3repE0EEENS1_30default_config_static_selectorELNS0_4arch9wavefront6targetE0EEEvSW_,comdat
.Lfunc_end194:
	.size	_ZN7rocprim17ROCPRIM_400000_NS6detail17trampoline_kernelINS0_14default_configENS1_27upper_bound_config_selectorIjlEEZNS1_14transform_implILb0ES3_S5_N6thrust23THRUST_200600_302600_NS6detail15normal_iteratorINS8_7pointerIjNS8_11hip_rocprim5par_tENS8_11use_defaultESE_EEEENSA_INSB_IlSD_SE_SE_EEEEZNS1_13binary_searchIS3_S5_PjSG_SI_NS1_21upper_bound_search_opENS9_16wrapped_functionINS8_6system6detail7generic6detail18binary_search_lessEbEEEE10hipError_tPvRmT1_T2_T3_mmT4_T5_P12ihipStream_tbEUlRKjE_EEST_SX_SY_mSZ_S12_bEUlT_E_NS1_11comp_targetILNS1_3genE4ELNS1_11target_archE910ELNS1_3gpuE8ELNS1_3repE0EEENS1_30default_config_static_selectorELNS0_4arch9wavefront6targetE0EEEvSW_, .Lfunc_end194-_ZN7rocprim17ROCPRIM_400000_NS6detail17trampoline_kernelINS0_14default_configENS1_27upper_bound_config_selectorIjlEEZNS1_14transform_implILb0ES3_S5_N6thrust23THRUST_200600_302600_NS6detail15normal_iteratorINS8_7pointerIjNS8_11hip_rocprim5par_tENS8_11use_defaultESE_EEEENSA_INSB_IlSD_SE_SE_EEEEZNS1_13binary_searchIS3_S5_PjSG_SI_NS1_21upper_bound_search_opENS9_16wrapped_functionINS8_6system6detail7generic6detail18binary_search_lessEbEEEE10hipError_tPvRmT1_T2_T3_mmT4_T5_P12ihipStream_tbEUlRKjE_EEST_SX_SY_mSZ_S12_bEUlT_E_NS1_11comp_targetILNS1_3genE4ELNS1_11target_archE910ELNS1_3gpuE8ELNS1_3repE0EEENS1_30default_config_static_selectorELNS0_4arch9wavefront6targetE0EEEvSW_
                                        ; -- End function
	.set _ZN7rocprim17ROCPRIM_400000_NS6detail17trampoline_kernelINS0_14default_configENS1_27upper_bound_config_selectorIjlEEZNS1_14transform_implILb0ES3_S5_N6thrust23THRUST_200600_302600_NS6detail15normal_iteratorINS8_7pointerIjNS8_11hip_rocprim5par_tENS8_11use_defaultESE_EEEENSA_INSB_IlSD_SE_SE_EEEEZNS1_13binary_searchIS3_S5_PjSG_SI_NS1_21upper_bound_search_opENS9_16wrapped_functionINS8_6system6detail7generic6detail18binary_search_lessEbEEEE10hipError_tPvRmT1_T2_T3_mmT4_T5_P12ihipStream_tbEUlRKjE_EEST_SX_SY_mSZ_S12_bEUlT_E_NS1_11comp_targetILNS1_3genE4ELNS1_11target_archE910ELNS1_3gpuE8ELNS1_3repE0EEENS1_30default_config_static_selectorELNS0_4arch9wavefront6targetE0EEEvSW_.num_vgpr, 0
	.set _ZN7rocprim17ROCPRIM_400000_NS6detail17trampoline_kernelINS0_14default_configENS1_27upper_bound_config_selectorIjlEEZNS1_14transform_implILb0ES3_S5_N6thrust23THRUST_200600_302600_NS6detail15normal_iteratorINS8_7pointerIjNS8_11hip_rocprim5par_tENS8_11use_defaultESE_EEEENSA_INSB_IlSD_SE_SE_EEEEZNS1_13binary_searchIS3_S5_PjSG_SI_NS1_21upper_bound_search_opENS9_16wrapped_functionINS8_6system6detail7generic6detail18binary_search_lessEbEEEE10hipError_tPvRmT1_T2_T3_mmT4_T5_P12ihipStream_tbEUlRKjE_EEST_SX_SY_mSZ_S12_bEUlT_E_NS1_11comp_targetILNS1_3genE4ELNS1_11target_archE910ELNS1_3gpuE8ELNS1_3repE0EEENS1_30default_config_static_selectorELNS0_4arch9wavefront6targetE0EEEvSW_.num_agpr, 0
	.set _ZN7rocprim17ROCPRIM_400000_NS6detail17trampoline_kernelINS0_14default_configENS1_27upper_bound_config_selectorIjlEEZNS1_14transform_implILb0ES3_S5_N6thrust23THRUST_200600_302600_NS6detail15normal_iteratorINS8_7pointerIjNS8_11hip_rocprim5par_tENS8_11use_defaultESE_EEEENSA_INSB_IlSD_SE_SE_EEEEZNS1_13binary_searchIS3_S5_PjSG_SI_NS1_21upper_bound_search_opENS9_16wrapped_functionINS8_6system6detail7generic6detail18binary_search_lessEbEEEE10hipError_tPvRmT1_T2_T3_mmT4_T5_P12ihipStream_tbEUlRKjE_EEST_SX_SY_mSZ_S12_bEUlT_E_NS1_11comp_targetILNS1_3genE4ELNS1_11target_archE910ELNS1_3gpuE8ELNS1_3repE0EEENS1_30default_config_static_selectorELNS0_4arch9wavefront6targetE0EEEvSW_.numbered_sgpr, 0
	.set _ZN7rocprim17ROCPRIM_400000_NS6detail17trampoline_kernelINS0_14default_configENS1_27upper_bound_config_selectorIjlEEZNS1_14transform_implILb0ES3_S5_N6thrust23THRUST_200600_302600_NS6detail15normal_iteratorINS8_7pointerIjNS8_11hip_rocprim5par_tENS8_11use_defaultESE_EEEENSA_INSB_IlSD_SE_SE_EEEEZNS1_13binary_searchIS3_S5_PjSG_SI_NS1_21upper_bound_search_opENS9_16wrapped_functionINS8_6system6detail7generic6detail18binary_search_lessEbEEEE10hipError_tPvRmT1_T2_T3_mmT4_T5_P12ihipStream_tbEUlRKjE_EEST_SX_SY_mSZ_S12_bEUlT_E_NS1_11comp_targetILNS1_3genE4ELNS1_11target_archE910ELNS1_3gpuE8ELNS1_3repE0EEENS1_30default_config_static_selectorELNS0_4arch9wavefront6targetE0EEEvSW_.num_named_barrier, 0
	.set _ZN7rocprim17ROCPRIM_400000_NS6detail17trampoline_kernelINS0_14default_configENS1_27upper_bound_config_selectorIjlEEZNS1_14transform_implILb0ES3_S5_N6thrust23THRUST_200600_302600_NS6detail15normal_iteratorINS8_7pointerIjNS8_11hip_rocprim5par_tENS8_11use_defaultESE_EEEENSA_INSB_IlSD_SE_SE_EEEEZNS1_13binary_searchIS3_S5_PjSG_SI_NS1_21upper_bound_search_opENS9_16wrapped_functionINS8_6system6detail7generic6detail18binary_search_lessEbEEEE10hipError_tPvRmT1_T2_T3_mmT4_T5_P12ihipStream_tbEUlRKjE_EEST_SX_SY_mSZ_S12_bEUlT_E_NS1_11comp_targetILNS1_3genE4ELNS1_11target_archE910ELNS1_3gpuE8ELNS1_3repE0EEENS1_30default_config_static_selectorELNS0_4arch9wavefront6targetE0EEEvSW_.private_seg_size, 0
	.set _ZN7rocprim17ROCPRIM_400000_NS6detail17trampoline_kernelINS0_14default_configENS1_27upper_bound_config_selectorIjlEEZNS1_14transform_implILb0ES3_S5_N6thrust23THRUST_200600_302600_NS6detail15normal_iteratorINS8_7pointerIjNS8_11hip_rocprim5par_tENS8_11use_defaultESE_EEEENSA_INSB_IlSD_SE_SE_EEEEZNS1_13binary_searchIS3_S5_PjSG_SI_NS1_21upper_bound_search_opENS9_16wrapped_functionINS8_6system6detail7generic6detail18binary_search_lessEbEEEE10hipError_tPvRmT1_T2_T3_mmT4_T5_P12ihipStream_tbEUlRKjE_EEST_SX_SY_mSZ_S12_bEUlT_E_NS1_11comp_targetILNS1_3genE4ELNS1_11target_archE910ELNS1_3gpuE8ELNS1_3repE0EEENS1_30default_config_static_selectorELNS0_4arch9wavefront6targetE0EEEvSW_.uses_vcc, 0
	.set _ZN7rocprim17ROCPRIM_400000_NS6detail17trampoline_kernelINS0_14default_configENS1_27upper_bound_config_selectorIjlEEZNS1_14transform_implILb0ES3_S5_N6thrust23THRUST_200600_302600_NS6detail15normal_iteratorINS8_7pointerIjNS8_11hip_rocprim5par_tENS8_11use_defaultESE_EEEENSA_INSB_IlSD_SE_SE_EEEEZNS1_13binary_searchIS3_S5_PjSG_SI_NS1_21upper_bound_search_opENS9_16wrapped_functionINS8_6system6detail7generic6detail18binary_search_lessEbEEEE10hipError_tPvRmT1_T2_T3_mmT4_T5_P12ihipStream_tbEUlRKjE_EEST_SX_SY_mSZ_S12_bEUlT_E_NS1_11comp_targetILNS1_3genE4ELNS1_11target_archE910ELNS1_3gpuE8ELNS1_3repE0EEENS1_30default_config_static_selectorELNS0_4arch9wavefront6targetE0EEEvSW_.uses_flat_scratch, 0
	.set _ZN7rocprim17ROCPRIM_400000_NS6detail17trampoline_kernelINS0_14default_configENS1_27upper_bound_config_selectorIjlEEZNS1_14transform_implILb0ES3_S5_N6thrust23THRUST_200600_302600_NS6detail15normal_iteratorINS8_7pointerIjNS8_11hip_rocprim5par_tENS8_11use_defaultESE_EEEENSA_INSB_IlSD_SE_SE_EEEEZNS1_13binary_searchIS3_S5_PjSG_SI_NS1_21upper_bound_search_opENS9_16wrapped_functionINS8_6system6detail7generic6detail18binary_search_lessEbEEEE10hipError_tPvRmT1_T2_T3_mmT4_T5_P12ihipStream_tbEUlRKjE_EEST_SX_SY_mSZ_S12_bEUlT_E_NS1_11comp_targetILNS1_3genE4ELNS1_11target_archE910ELNS1_3gpuE8ELNS1_3repE0EEENS1_30default_config_static_selectorELNS0_4arch9wavefront6targetE0EEEvSW_.has_dyn_sized_stack, 0
	.set _ZN7rocprim17ROCPRIM_400000_NS6detail17trampoline_kernelINS0_14default_configENS1_27upper_bound_config_selectorIjlEEZNS1_14transform_implILb0ES3_S5_N6thrust23THRUST_200600_302600_NS6detail15normal_iteratorINS8_7pointerIjNS8_11hip_rocprim5par_tENS8_11use_defaultESE_EEEENSA_INSB_IlSD_SE_SE_EEEEZNS1_13binary_searchIS3_S5_PjSG_SI_NS1_21upper_bound_search_opENS9_16wrapped_functionINS8_6system6detail7generic6detail18binary_search_lessEbEEEE10hipError_tPvRmT1_T2_T3_mmT4_T5_P12ihipStream_tbEUlRKjE_EEST_SX_SY_mSZ_S12_bEUlT_E_NS1_11comp_targetILNS1_3genE4ELNS1_11target_archE910ELNS1_3gpuE8ELNS1_3repE0EEENS1_30default_config_static_selectorELNS0_4arch9wavefront6targetE0EEEvSW_.has_recursion, 0
	.set _ZN7rocprim17ROCPRIM_400000_NS6detail17trampoline_kernelINS0_14default_configENS1_27upper_bound_config_selectorIjlEEZNS1_14transform_implILb0ES3_S5_N6thrust23THRUST_200600_302600_NS6detail15normal_iteratorINS8_7pointerIjNS8_11hip_rocprim5par_tENS8_11use_defaultESE_EEEENSA_INSB_IlSD_SE_SE_EEEEZNS1_13binary_searchIS3_S5_PjSG_SI_NS1_21upper_bound_search_opENS9_16wrapped_functionINS8_6system6detail7generic6detail18binary_search_lessEbEEEE10hipError_tPvRmT1_T2_T3_mmT4_T5_P12ihipStream_tbEUlRKjE_EEST_SX_SY_mSZ_S12_bEUlT_E_NS1_11comp_targetILNS1_3genE4ELNS1_11target_archE910ELNS1_3gpuE8ELNS1_3repE0EEENS1_30default_config_static_selectorELNS0_4arch9wavefront6targetE0EEEvSW_.has_indirect_call, 0
	.section	.AMDGPU.csdata,"",@progbits
; Kernel info:
; codeLenInByte = 0
; TotalNumSgprs: 0
; NumVgprs: 0
; ScratchSize: 0
; MemoryBound: 0
; FloatMode: 240
; IeeeMode: 1
; LDSByteSize: 0 bytes/workgroup (compile time only)
; SGPRBlocks: 0
; VGPRBlocks: 0
; NumSGPRsForWavesPerEU: 1
; NumVGPRsForWavesPerEU: 1
; Occupancy: 16
; WaveLimiterHint : 0
; COMPUTE_PGM_RSRC2:SCRATCH_EN: 0
; COMPUTE_PGM_RSRC2:USER_SGPR: 6
; COMPUTE_PGM_RSRC2:TRAP_HANDLER: 0
; COMPUTE_PGM_RSRC2:TGID_X_EN: 1
; COMPUTE_PGM_RSRC2:TGID_Y_EN: 0
; COMPUTE_PGM_RSRC2:TGID_Z_EN: 0
; COMPUTE_PGM_RSRC2:TIDIG_COMP_CNT: 0
	.section	.text._ZN7rocprim17ROCPRIM_400000_NS6detail17trampoline_kernelINS0_14default_configENS1_27upper_bound_config_selectorIjlEEZNS1_14transform_implILb0ES3_S5_N6thrust23THRUST_200600_302600_NS6detail15normal_iteratorINS8_7pointerIjNS8_11hip_rocprim5par_tENS8_11use_defaultESE_EEEENSA_INSB_IlSD_SE_SE_EEEEZNS1_13binary_searchIS3_S5_PjSG_SI_NS1_21upper_bound_search_opENS9_16wrapped_functionINS8_6system6detail7generic6detail18binary_search_lessEbEEEE10hipError_tPvRmT1_T2_T3_mmT4_T5_P12ihipStream_tbEUlRKjE_EEST_SX_SY_mSZ_S12_bEUlT_E_NS1_11comp_targetILNS1_3genE3ELNS1_11target_archE908ELNS1_3gpuE7ELNS1_3repE0EEENS1_30default_config_static_selectorELNS0_4arch9wavefront6targetE0EEEvSW_,"axG",@progbits,_ZN7rocprim17ROCPRIM_400000_NS6detail17trampoline_kernelINS0_14default_configENS1_27upper_bound_config_selectorIjlEEZNS1_14transform_implILb0ES3_S5_N6thrust23THRUST_200600_302600_NS6detail15normal_iteratorINS8_7pointerIjNS8_11hip_rocprim5par_tENS8_11use_defaultESE_EEEENSA_INSB_IlSD_SE_SE_EEEEZNS1_13binary_searchIS3_S5_PjSG_SI_NS1_21upper_bound_search_opENS9_16wrapped_functionINS8_6system6detail7generic6detail18binary_search_lessEbEEEE10hipError_tPvRmT1_T2_T3_mmT4_T5_P12ihipStream_tbEUlRKjE_EEST_SX_SY_mSZ_S12_bEUlT_E_NS1_11comp_targetILNS1_3genE3ELNS1_11target_archE908ELNS1_3gpuE7ELNS1_3repE0EEENS1_30default_config_static_selectorELNS0_4arch9wavefront6targetE0EEEvSW_,comdat
	.protected	_ZN7rocprim17ROCPRIM_400000_NS6detail17trampoline_kernelINS0_14default_configENS1_27upper_bound_config_selectorIjlEEZNS1_14transform_implILb0ES3_S5_N6thrust23THRUST_200600_302600_NS6detail15normal_iteratorINS8_7pointerIjNS8_11hip_rocprim5par_tENS8_11use_defaultESE_EEEENSA_INSB_IlSD_SE_SE_EEEEZNS1_13binary_searchIS3_S5_PjSG_SI_NS1_21upper_bound_search_opENS9_16wrapped_functionINS8_6system6detail7generic6detail18binary_search_lessEbEEEE10hipError_tPvRmT1_T2_T3_mmT4_T5_P12ihipStream_tbEUlRKjE_EEST_SX_SY_mSZ_S12_bEUlT_E_NS1_11comp_targetILNS1_3genE3ELNS1_11target_archE908ELNS1_3gpuE7ELNS1_3repE0EEENS1_30default_config_static_selectorELNS0_4arch9wavefront6targetE0EEEvSW_ ; -- Begin function _ZN7rocprim17ROCPRIM_400000_NS6detail17trampoline_kernelINS0_14default_configENS1_27upper_bound_config_selectorIjlEEZNS1_14transform_implILb0ES3_S5_N6thrust23THRUST_200600_302600_NS6detail15normal_iteratorINS8_7pointerIjNS8_11hip_rocprim5par_tENS8_11use_defaultESE_EEEENSA_INSB_IlSD_SE_SE_EEEEZNS1_13binary_searchIS3_S5_PjSG_SI_NS1_21upper_bound_search_opENS9_16wrapped_functionINS8_6system6detail7generic6detail18binary_search_lessEbEEEE10hipError_tPvRmT1_T2_T3_mmT4_T5_P12ihipStream_tbEUlRKjE_EEST_SX_SY_mSZ_S12_bEUlT_E_NS1_11comp_targetILNS1_3genE3ELNS1_11target_archE908ELNS1_3gpuE7ELNS1_3repE0EEENS1_30default_config_static_selectorELNS0_4arch9wavefront6targetE0EEEvSW_
	.globl	_ZN7rocprim17ROCPRIM_400000_NS6detail17trampoline_kernelINS0_14default_configENS1_27upper_bound_config_selectorIjlEEZNS1_14transform_implILb0ES3_S5_N6thrust23THRUST_200600_302600_NS6detail15normal_iteratorINS8_7pointerIjNS8_11hip_rocprim5par_tENS8_11use_defaultESE_EEEENSA_INSB_IlSD_SE_SE_EEEEZNS1_13binary_searchIS3_S5_PjSG_SI_NS1_21upper_bound_search_opENS9_16wrapped_functionINS8_6system6detail7generic6detail18binary_search_lessEbEEEE10hipError_tPvRmT1_T2_T3_mmT4_T5_P12ihipStream_tbEUlRKjE_EEST_SX_SY_mSZ_S12_bEUlT_E_NS1_11comp_targetILNS1_3genE3ELNS1_11target_archE908ELNS1_3gpuE7ELNS1_3repE0EEENS1_30default_config_static_selectorELNS0_4arch9wavefront6targetE0EEEvSW_
	.p2align	8
	.type	_ZN7rocprim17ROCPRIM_400000_NS6detail17trampoline_kernelINS0_14default_configENS1_27upper_bound_config_selectorIjlEEZNS1_14transform_implILb0ES3_S5_N6thrust23THRUST_200600_302600_NS6detail15normal_iteratorINS8_7pointerIjNS8_11hip_rocprim5par_tENS8_11use_defaultESE_EEEENSA_INSB_IlSD_SE_SE_EEEEZNS1_13binary_searchIS3_S5_PjSG_SI_NS1_21upper_bound_search_opENS9_16wrapped_functionINS8_6system6detail7generic6detail18binary_search_lessEbEEEE10hipError_tPvRmT1_T2_T3_mmT4_T5_P12ihipStream_tbEUlRKjE_EEST_SX_SY_mSZ_S12_bEUlT_E_NS1_11comp_targetILNS1_3genE3ELNS1_11target_archE908ELNS1_3gpuE7ELNS1_3repE0EEENS1_30default_config_static_selectorELNS0_4arch9wavefront6targetE0EEEvSW_,@function
_ZN7rocprim17ROCPRIM_400000_NS6detail17trampoline_kernelINS0_14default_configENS1_27upper_bound_config_selectorIjlEEZNS1_14transform_implILb0ES3_S5_N6thrust23THRUST_200600_302600_NS6detail15normal_iteratorINS8_7pointerIjNS8_11hip_rocprim5par_tENS8_11use_defaultESE_EEEENSA_INSB_IlSD_SE_SE_EEEEZNS1_13binary_searchIS3_S5_PjSG_SI_NS1_21upper_bound_search_opENS9_16wrapped_functionINS8_6system6detail7generic6detail18binary_search_lessEbEEEE10hipError_tPvRmT1_T2_T3_mmT4_T5_P12ihipStream_tbEUlRKjE_EEST_SX_SY_mSZ_S12_bEUlT_E_NS1_11comp_targetILNS1_3genE3ELNS1_11target_archE908ELNS1_3gpuE7ELNS1_3repE0EEENS1_30default_config_static_selectorELNS0_4arch9wavefront6targetE0EEEvSW_: ; @_ZN7rocprim17ROCPRIM_400000_NS6detail17trampoline_kernelINS0_14default_configENS1_27upper_bound_config_selectorIjlEEZNS1_14transform_implILb0ES3_S5_N6thrust23THRUST_200600_302600_NS6detail15normal_iteratorINS8_7pointerIjNS8_11hip_rocprim5par_tENS8_11use_defaultESE_EEEENSA_INSB_IlSD_SE_SE_EEEEZNS1_13binary_searchIS3_S5_PjSG_SI_NS1_21upper_bound_search_opENS9_16wrapped_functionINS8_6system6detail7generic6detail18binary_search_lessEbEEEE10hipError_tPvRmT1_T2_T3_mmT4_T5_P12ihipStream_tbEUlRKjE_EEST_SX_SY_mSZ_S12_bEUlT_E_NS1_11comp_targetILNS1_3genE3ELNS1_11target_archE908ELNS1_3gpuE7ELNS1_3repE0EEENS1_30default_config_static_selectorELNS0_4arch9wavefront6targetE0EEEvSW_
; %bb.0:
	.section	.rodata,"a",@progbits
	.p2align	6, 0x0
	.amdhsa_kernel _ZN7rocprim17ROCPRIM_400000_NS6detail17trampoline_kernelINS0_14default_configENS1_27upper_bound_config_selectorIjlEEZNS1_14transform_implILb0ES3_S5_N6thrust23THRUST_200600_302600_NS6detail15normal_iteratorINS8_7pointerIjNS8_11hip_rocprim5par_tENS8_11use_defaultESE_EEEENSA_INSB_IlSD_SE_SE_EEEEZNS1_13binary_searchIS3_S5_PjSG_SI_NS1_21upper_bound_search_opENS9_16wrapped_functionINS8_6system6detail7generic6detail18binary_search_lessEbEEEE10hipError_tPvRmT1_T2_T3_mmT4_T5_P12ihipStream_tbEUlRKjE_EEST_SX_SY_mSZ_S12_bEUlT_E_NS1_11comp_targetILNS1_3genE3ELNS1_11target_archE908ELNS1_3gpuE7ELNS1_3repE0EEENS1_30default_config_static_selectorELNS0_4arch9wavefront6targetE0EEEvSW_
		.amdhsa_group_segment_fixed_size 0
		.amdhsa_private_segment_fixed_size 0
		.amdhsa_kernarg_size 56
		.amdhsa_user_sgpr_count 6
		.amdhsa_user_sgpr_private_segment_buffer 1
		.amdhsa_user_sgpr_dispatch_ptr 0
		.amdhsa_user_sgpr_queue_ptr 0
		.amdhsa_user_sgpr_kernarg_segment_ptr 1
		.amdhsa_user_sgpr_dispatch_id 0
		.amdhsa_user_sgpr_flat_scratch_init 0
		.amdhsa_user_sgpr_private_segment_size 0
		.amdhsa_wavefront_size32 1
		.amdhsa_uses_dynamic_stack 0
		.amdhsa_system_sgpr_private_segment_wavefront_offset 0
		.amdhsa_system_sgpr_workgroup_id_x 1
		.amdhsa_system_sgpr_workgroup_id_y 0
		.amdhsa_system_sgpr_workgroup_id_z 0
		.amdhsa_system_sgpr_workgroup_info 0
		.amdhsa_system_vgpr_workitem_id 0
		.amdhsa_next_free_vgpr 1
		.amdhsa_next_free_sgpr 1
		.amdhsa_reserve_vcc 0
		.amdhsa_reserve_flat_scratch 0
		.amdhsa_float_round_mode_32 0
		.amdhsa_float_round_mode_16_64 0
		.amdhsa_float_denorm_mode_32 3
		.amdhsa_float_denorm_mode_16_64 3
		.amdhsa_dx10_clamp 1
		.amdhsa_ieee_mode 1
		.amdhsa_fp16_overflow 0
		.amdhsa_workgroup_processor_mode 1
		.amdhsa_memory_ordered 1
		.amdhsa_forward_progress 1
		.amdhsa_shared_vgpr_count 0
		.amdhsa_exception_fp_ieee_invalid_op 0
		.amdhsa_exception_fp_denorm_src 0
		.amdhsa_exception_fp_ieee_div_zero 0
		.amdhsa_exception_fp_ieee_overflow 0
		.amdhsa_exception_fp_ieee_underflow 0
		.amdhsa_exception_fp_ieee_inexact 0
		.amdhsa_exception_int_div_zero 0
	.end_amdhsa_kernel
	.section	.text._ZN7rocprim17ROCPRIM_400000_NS6detail17trampoline_kernelINS0_14default_configENS1_27upper_bound_config_selectorIjlEEZNS1_14transform_implILb0ES3_S5_N6thrust23THRUST_200600_302600_NS6detail15normal_iteratorINS8_7pointerIjNS8_11hip_rocprim5par_tENS8_11use_defaultESE_EEEENSA_INSB_IlSD_SE_SE_EEEEZNS1_13binary_searchIS3_S5_PjSG_SI_NS1_21upper_bound_search_opENS9_16wrapped_functionINS8_6system6detail7generic6detail18binary_search_lessEbEEEE10hipError_tPvRmT1_T2_T3_mmT4_T5_P12ihipStream_tbEUlRKjE_EEST_SX_SY_mSZ_S12_bEUlT_E_NS1_11comp_targetILNS1_3genE3ELNS1_11target_archE908ELNS1_3gpuE7ELNS1_3repE0EEENS1_30default_config_static_selectorELNS0_4arch9wavefront6targetE0EEEvSW_,"axG",@progbits,_ZN7rocprim17ROCPRIM_400000_NS6detail17trampoline_kernelINS0_14default_configENS1_27upper_bound_config_selectorIjlEEZNS1_14transform_implILb0ES3_S5_N6thrust23THRUST_200600_302600_NS6detail15normal_iteratorINS8_7pointerIjNS8_11hip_rocprim5par_tENS8_11use_defaultESE_EEEENSA_INSB_IlSD_SE_SE_EEEEZNS1_13binary_searchIS3_S5_PjSG_SI_NS1_21upper_bound_search_opENS9_16wrapped_functionINS8_6system6detail7generic6detail18binary_search_lessEbEEEE10hipError_tPvRmT1_T2_T3_mmT4_T5_P12ihipStream_tbEUlRKjE_EEST_SX_SY_mSZ_S12_bEUlT_E_NS1_11comp_targetILNS1_3genE3ELNS1_11target_archE908ELNS1_3gpuE7ELNS1_3repE0EEENS1_30default_config_static_selectorELNS0_4arch9wavefront6targetE0EEEvSW_,comdat
.Lfunc_end195:
	.size	_ZN7rocprim17ROCPRIM_400000_NS6detail17trampoline_kernelINS0_14default_configENS1_27upper_bound_config_selectorIjlEEZNS1_14transform_implILb0ES3_S5_N6thrust23THRUST_200600_302600_NS6detail15normal_iteratorINS8_7pointerIjNS8_11hip_rocprim5par_tENS8_11use_defaultESE_EEEENSA_INSB_IlSD_SE_SE_EEEEZNS1_13binary_searchIS3_S5_PjSG_SI_NS1_21upper_bound_search_opENS9_16wrapped_functionINS8_6system6detail7generic6detail18binary_search_lessEbEEEE10hipError_tPvRmT1_T2_T3_mmT4_T5_P12ihipStream_tbEUlRKjE_EEST_SX_SY_mSZ_S12_bEUlT_E_NS1_11comp_targetILNS1_3genE3ELNS1_11target_archE908ELNS1_3gpuE7ELNS1_3repE0EEENS1_30default_config_static_selectorELNS0_4arch9wavefront6targetE0EEEvSW_, .Lfunc_end195-_ZN7rocprim17ROCPRIM_400000_NS6detail17trampoline_kernelINS0_14default_configENS1_27upper_bound_config_selectorIjlEEZNS1_14transform_implILb0ES3_S5_N6thrust23THRUST_200600_302600_NS6detail15normal_iteratorINS8_7pointerIjNS8_11hip_rocprim5par_tENS8_11use_defaultESE_EEEENSA_INSB_IlSD_SE_SE_EEEEZNS1_13binary_searchIS3_S5_PjSG_SI_NS1_21upper_bound_search_opENS9_16wrapped_functionINS8_6system6detail7generic6detail18binary_search_lessEbEEEE10hipError_tPvRmT1_T2_T3_mmT4_T5_P12ihipStream_tbEUlRKjE_EEST_SX_SY_mSZ_S12_bEUlT_E_NS1_11comp_targetILNS1_3genE3ELNS1_11target_archE908ELNS1_3gpuE7ELNS1_3repE0EEENS1_30default_config_static_selectorELNS0_4arch9wavefront6targetE0EEEvSW_
                                        ; -- End function
	.set _ZN7rocprim17ROCPRIM_400000_NS6detail17trampoline_kernelINS0_14default_configENS1_27upper_bound_config_selectorIjlEEZNS1_14transform_implILb0ES3_S5_N6thrust23THRUST_200600_302600_NS6detail15normal_iteratorINS8_7pointerIjNS8_11hip_rocprim5par_tENS8_11use_defaultESE_EEEENSA_INSB_IlSD_SE_SE_EEEEZNS1_13binary_searchIS3_S5_PjSG_SI_NS1_21upper_bound_search_opENS9_16wrapped_functionINS8_6system6detail7generic6detail18binary_search_lessEbEEEE10hipError_tPvRmT1_T2_T3_mmT4_T5_P12ihipStream_tbEUlRKjE_EEST_SX_SY_mSZ_S12_bEUlT_E_NS1_11comp_targetILNS1_3genE3ELNS1_11target_archE908ELNS1_3gpuE7ELNS1_3repE0EEENS1_30default_config_static_selectorELNS0_4arch9wavefront6targetE0EEEvSW_.num_vgpr, 0
	.set _ZN7rocprim17ROCPRIM_400000_NS6detail17trampoline_kernelINS0_14default_configENS1_27upper_bound_config_selectorIjlEEZNS1_14transform_implILb0ES3_S5_N6thrust23THRUST_200600_302600_NS6detail15normal_iteratorINS8_7pointerIjNS8_11hip_rocprim5par_tENS8_11use_defaultESE_EEEENSA_INSB_IlSD_SE_SE_EEEEZNS1_13binary_searchIS3_S5_PjSG_SI_NS1_21upper_bound_search_opENS9_16wrapped_functionINS8_6system6detail7generic6detail18binary_search_lessEbEEEE10hipError_tPvRmT1_T2_T3_mmT4_T5_P12ihipStream_tbEUlRKjE_EEST_SX_SY_mSZ_S12_bEUlT_E_NS1_11comp_targetILNS1_3genE3ELNS1_11target_archE908ELNS1_3gpuE7ELNS1_3repE0EEENS1_30default_config_static_selectorELNS0_4arch9wavefront6targetE0EEEvSW_.num_agpr, 0
	.set _ZN7rocprim17ROCPRIM_400000_NS6detail17trampoline_kernelINS0_14default_configENS1_27upper_bound_config_selectorIjlEEZNS1_14transform_implILb0ES3_S5_N6thrust23THRUST_200600_302600_NS6detail15normal_iteratorINS8_7pointerIjNS8_11hip_rocprim5par_tENS8_11use_defaultESE_EEEENSA_INSB_IlSD_SE_SE_EEEEZNS1_13binary_searchIS3_S5_PjSG_SI_NS1_21upper_bound_search_opENS9_16wrapped_functionINS8_6system6detail7generic6detail18binary_search_lessEbEEEE10hipError_tPvRmT1_T2_T3_mmT4_T5_P12ihipStream_tbEUlRKjE_EEST_SX_SY_mSZ_S12_bEUlT_E_NS1_11comp_targetILNS1_3genE3ELNS1_11target_archE908ELNS1_3gpuE7ELNS1_3repE0EEENS1_30default_config_static_selectorELNS0_4arch9wavefront6targetE0EEEvSW_.numbered_sgpr, 0
	.set _ZN7rocprim17ROCPRIM_400000_NS6detail17trampoline_kernelINS0_14default_configENS1_27upper_bound_config_selectorIjlEEZNS1_14transform_implILb0ES3_S5_N6thrust23THRUST_200600_302600_NS6detail15normal_iteratorINS8_7pointerIjNS8_11hip_rocprim5par_tENS8_11use_defaultESE_EEEENSA_INSB_IlSD_SE_SE_EEEEZNS1_13binary_searchIS3_S5_PjSG_SI_NS1_21upper_bound_search_opENS9_16wrapped_functionINS8_6system6detail7generic6detail18binary_search_lessEbEEEE10hipError_tPvRmT1_T2_T3_mmT4_T5_P12ihipStream_tbEUlRKjE_EEST_SX_SY_mSZ_S12_bEUlT_E_NS1_11comp_targetILNS1_3genE3ELNS1_11target_archE908ELNS1_3gpuE7ELNS1_3repE0EEENS1_30default_config_static_selectorELNS0_4arch9wavefront6targetE0EEEvSW_.num_named_barrier, 0
	.set _ZN7rocprim17ROCPRIM_400000_NS6detail17trampoline_kernelINS0_14default_configENS1_27upper_bound_config_selectorIjlEEZNS1_14transform_implILb0ES3_S5_N6thrust23THRUST_200600_302600_NS6detail15normal_iteratorINS8_7pointerIjNS8_11hip_rocprim5par_tENS8_11use_defaultESE_EEEENSA_INSB_IlSD_SE_SE_EEEEZNS1_13binary_searchIS3_S5_PjSG_SI_NS1_21upper_bound_search_opENS9_16wrapped_functionINS8_6system6detail7generic6detail18binary_search_lessEbEEEE10hipError_tPvRmT1_T2_T3_mmT4_T5_P12ihipStream_tbEUlRKjE_EEST_SX_SY_mSZ_S12_bEUlT_E_NS1_11comp_targetILNS1_3genE3ELNS1_11target_archE908ELNS1_3gpuE7ELNS1_3repE0EEENS1_30default_config_static_selectorELNS0_4arch9wavefront6targetE0EEEvSW_.private_seg_size, 0
	.set _ZN7rocprim17ROCPRIM_400000_NS6detail17trampoline_kernelINS0_14default_configENS1_27upper_bound_config_selectorIjlEEZNS1_14transform_implILb0ES3_S5_N6thrust23THRUST_200600_302600_NS6detail15normal_iteratorINS8_7pointerIjNS8_11hip_rocprim5par_tENS8_11use_defaultESE_EEEENSA_INSB_IlSD_SE_SE_EEEEZNS1_13binary_searchIS3_S5_PjSG_SI_NS1_21upper_bound_search_opENS9_16wrapped_functionINS8_6system6detail7generic6detail18binary_search_lessEbEEEE10hipError_tPvRmT1_T2_T3_mmT4_T5_P12ihipStream_tbEUlRKjE_EEST_SX_SY_mSZ_S12_bEUlT_E_NS1_11comp_targetILNS1_3genE3ELNS1_11target_archE908ELNS1_3gpuE7ELNS1_3repE0EEENS1_30default_config_static_selectorELNS0_4arch9wavefront6targetE0EEEvSW_.uses_vcc, 0
	.set _ZN7rocprim17ROCPRIM_400000_NS6detail17trampoline_kernelINS0_14default_configENS1_27upper_bound_config_selectorIjlEEZNS1_14transform_implILb0ES3_S5_N6thrust23THRUST_200600_302600_NS6detail15normal_iteratorINS8_7pointerIjNS8_11hip_rocprim5par_tENS8_11use_defaultESE_EEEENSA_INSB_IlSD_SE_SE_EEEEZNS1_13binary_searchIS3_S5_PjSG_SI_NS1_21upper_bound_search_opENS9_16wrapped_functionINS8_6system6detail7generic6detail18binary_search_lessEbEEEE10hipError_tPvRmT1_T2_T3_mmT4_T5_P12ihipStream_tbEUlRKjE_EEST_SX_SY_mSZ_S12_bEUlT_E_NS1_11comp_targetILNS1_3genE3ELNS1_11target_archE908ELNS1_3gpuE7ELNS1_3repE0EEENS1_30default_config_static_selectorELNS0_4arch9wavefront6targetE0EEEvSW_.uses_flat_scratch, 0
	.set _ZN7rocprim17ROCPRIM_400000_NS6detail17trampoline_kernelINS0_14default_configENS1_27upper_bound_config_selectorIjlEEZNS1_14transform_implILb0ES3_S5_N6thrust23THRUST_200600_302600_NS6detail15normal_iteratorINS8_7pointerIjNS8_11hip_rocprim5par_tENS8_11use_defaultESE_EEEENSA_INSB_IlSD_SE_SE_EEEEZNS1_13binary_searchIS3_S5_PjSG_SI_NS1_21upper_bound_search_opENS9_16wrapped_functionINS8_6system6detail7generic6detail18binary_search_lessEbEEEE10hipError_tPvRmT1_T2_T3_mmT4_T5_P12ihipStream_tbEUlRKjE_EEST_SX_SY_mSZ_S12_bEUlT_E_NS1_11comp_targetILNS1_3genE3ELNS1_11target_archE908ELNS1_3gpuE7ELNS1_3repE0EEENS1_30default_config_static_selectorELNS0_4arch9wavefront6targetE0EEEvSW_.has_dyn_sized_stack, 0
	.set _ZN7rocprim17ROCPRIM_400000_NS6detail17trampoline_kernelINS0_14default_configENS1_27upper_bound_config_selectorIjlEEZNS1_14transform_implILb0ES3_S5_N6thrust23THRUST_200600_302600_NS6detail15normal_iteratorINS8_7pointerIjNS8_11hip_rocprim5par_tENS8_11use_defaultESE_EEEENSA_INSB_IlSD_SE_SE_EEEEZNS1_13binary_searchIS3_S5_PjSG_SI_NS1_21upper_bound_search_opENS9_16wrapped_functionINS8_6system6detail7generic6detail18binary_search_lessEbEEEE10hipError_tPvRmT1_T2_T3_mmT4_T5_P12ihipStream_tbEUlRKjE_EEST_SX_SY_mSZ_S12_bEUlT_E_NS1_11comp_targetILNS1_3genE3ELNS1_11target_archE908ELNS1_3gpuE7ELNS1_3repE0EEENS1_30default_config_static_selectorELNS0_4arch9wavefront6targetE0EEEvSW_.has_recursion, 0
	.set _ZN7rocprim17ROCPRIM_400000_NS6detail17trampoline_kernelINS0_14default_configENS1_27upper_bound_config_selectorIjlEEZNS1_14transform_implILb0ES3_S5_N6thrust23THRUST_200600_302600_NS6detail15normal_iteratorINS8_7pointerIjNS8_11hip_rocprim5par_tENS8_11use_defaultESE_EEEENSA_INSB_IlSD_SE_SE_EEEEZNS1_13binary_searchIS3_S5_PjSG_SI_NS1_21upper_bound_search_opENS9_16wrapped_functionINS8_6system6detail7generic6detail18binary_search_lessEbEEEE10hipError_tPvRmT1_T2_T3_mmT4_T5_P12ihipStream_tbEUlRKjE_EEST_SX_SY_mSZ_S12_bEUlT_E_NS1_11comp_targetILNS1_3genE3ELNS1_11target_archE908ELNS1_3gpuE7ELNS1_3repE0EEENS1_30default_config_static_selectorELNS0_4arch9wavefront6targetE0EEEvSW_.has_indirect_call, 0
	.section	.AMDGPU.csdata,"",@progbits
; Kernel info:
; codeLenInByte = 0
; TotalNumSgprs: 0
; NumVgprs: 0
; ScratchSize: 0
; MemoryBound: 0
; FloatMode: 240
; IeeeMode: 1
; LDSByteSize: 0 bytes/workgroup (compile time only)
; SGPRBlocks: 0
; VGPRBlocks: 0
; NumSGPRsForWavesPerEU: 1
; NumVGPRsForWavesPerEU: 1
; Occupancy: 16
; WaveLimiterHint : 0
; COMPUTE_PGM_RSRC2:SCRATCH_EN: 0
; COMPUTE_PGM_RSRC2:USER_SGPR: 6
; COMPUTE_PGM_RSRC2:TRAP_HANDLER: 0
; COMPUTE_PGM_RSRC2:TGID_X_EN: 1
; COMPUTE_PGM_RSRC2:TGID_Y_EN: 0
; COMPUTE_PGM_RSRC2:TGID_Z_EN: 0
; COMPUTE_PGM_RSRC2:TIDIG_COMP_CNT: 0
	.section	.text._ZN7rocprim17ROCPRIM_400000_NS6detail17trampoline_kernelINS0_14default_configENS1_27upper_bound_config_selectorIjlEEZNS1_14transform_implILb0ES3_S5_N6thrust23THRUST_200600_302600_NS6detail15normal_iteratorINS8_7pointerIjNS8_11hip_rocprim5par_tENS8_11use_defaultESE_EEEENSA_INSB_IlSD_SE_SE_EEEEZNS1_13binary_searchIS3_S5_PjSG_SI_NS1_21upper_bound_search_opENS9_16wrapped_functionINS8_6system6detail7generic6detail18binary_search_lessEbEEEE10hipError_tPvRmT1_T2_T3_mmT4_T5_P12ihipStream_tbEUlRKjE_EEST_SX_SY_mSZ_S12_bEUlT_E_NS1_11comp_targetILNS1_3genE2ELNS1_11target_archE906ELNS1_3gpuE6ELNS1_3repE0EEENS1_30default_config_static_selectorELNS0_4arch9wavefront6targetE0EEEvSW_,"axG",@progbits,_ZN7rocprim17ROCPRIM_400000_NS6detail17trampoline_kernelINS0_14default_configENS1_27upper_bound_config_selectorIjlEEZNS1_14transform_implILb0ES3_S5_N6thrust23THRUST_200600_302600_NS6detail15normal_iteratorINS8_7pointerIjNS8_11hip_rocprim5par_tENS8_11use_defaultESE_EEEENSA_INSB_IlSD_SE_SE_EEEEZNS1_13binary_searchIS3_S5_PjSG_SI_NS1_21upper_bound_search_opENS9_16wrapped_functionINS8_6system6detail7generic6detail18binary_search_lessEbEEEE10hipError_tPvRmT1_T2_T3_mmT4_T5_P12ihipStream_tbEUlRKjE_EEST_SX_SY_mSZ_S12_bEUlT_E_NS1_11comp_targetILNS1_3genE2ELNS1_11target_archE906ELNS1_3gpuE6ELNS1_3repE0EEENS1_30default_config_static_selectorELNS0_4arch9wavefront6targetE0EEEvSW_,comdat
	.protected	_ZN7rocprim17ROCPRIM_400000_NS6detail17trampoline_kernelINS0_14default_configENS1_27upper_bound_config_selectorIjlEEZNS1_14transform_implILb0ES3_S5_N6thrust23THRUST_200600_302600_NS6detail15normal_iteratorINS8_7pointerIjNS8_11hip_rocprim5par_tENS8_11use_defaultESE_EEEENSA_INSB_IlSD_SE_SE_EEEEZNS1_13binary_searchIS3_S5_PjSG_SI_NS1_21upper_bound_search_opENS9_16wrapped_functionINS8_6system6detail7generic6detail18binary_search_lessEbEEEE10hipError_tPvRmT1_T2_T3_mmT4_T5_P12ihipStream_tbEUlRKjE_EEST_SX_SY_mSZ_S12_bEUlT_E_NS1_11comp_targetILNS1_3genE2ELNS1_11target_archE906ELNS1_3gpuE6ELNS1_3repE0EEENS1_30default_config_static_selectorELNS0_4arch9wavefront6targetE0EEEvSW_ ; -- Begin function _ZN7rocprim17ROCPRIM_400000_NS6detail17trampoline_kernelINS0_14default_configENS1_27upper_bound_config_selectorIjlEEZNS1_14transform_implILb0ES3_S5_N6thrust23THRUST_200600_302600_NS6detail15normal_iteratorINS8_7pointerIjNS8_11hip_rocprim5par_tENS8_11use_defaultESE_EEEENSA_INSB_IlSD_SE_SE_EEEEZNS1_13binary_searchIS3_S5_PjSG_SI_NS1_21upper_bound_search_opENS9_16wrapped_functionINS8_6system6detail7generic6detail18binary_search_lessEbEEEE10hipError_tPvRmT1_T2_T3_mmT4_T5_P12ihipStream_tbEUlRKjE_EEST_SX_SY_mSZ_S12_bEUlT_E_NS1_11comp_targetILNS1_3genE2ELNS1_11target_archE906ELNS1_3gpuE6ELNS1_3repE0EEENS1_30default_config_static_selectorELNS0_4arch9wavefront6targetE0EEEvSW_
	.globl	_ZN7rocprim17ROCPRIM_400000_NS6detail17trampoline_kernelINS0_14default_configENS1_27upper_bound_config_selectorIjlEEZNS1_14transform_implILb0ES3_S5_N6thrust23THRUST_200600_302600_NS6detail15normal_iteratorINS8_7pointerIjNS8_11hip_rocprim5par_tENS8_11use_defaultESE_EEEENSA_INSB_IlSD_SE_SE_EEEEZNS1_13binary_searchIS3_S5_PjSG_SI_NS1_21upper_bound_search_opENS9_16wrapped_functionINS8_6system6detail7generic6detail18binary_search_lessEbEEEE10hipError_tPvRmT1_T2_T3_mmT4_T5_P12ihipStream_tbEUlRKjE_EEST_SX_SY_mSZ_S12_bEUlT_E_NS1_11comp_targetILNS1_3genE2ELNS1_11target_archE906ELNS1_3gpuE6ELNS1_3repE0EEENS1_30default_config_static_selectorELNS0_4arch9wavefront6targetE0EEEvSW_
	.p2align	8
	.type	_ZN7rocprim17ROCPRIM_400000_NS6detail17trampoline_kernelINS0_14default_configENS1_27upper_bound_config_selectorIjlEEZNS1_14transform_implILb0ES3_S5_N6thrust23THRUST_200600_302600_NS6detail15normal_iteratorINS8_7pointerIjNS8_11hip_rocprim5par_tENS8_11use_defaultESE_EEEENSA_INSB_IlSD_SE_SE_EEEEZNS1_13binary_searchIS3_S5_PjSG_SI_NS1_21upper_bound_search_opENS9_16wrapped_functionINS8_6system6detail7generic6detail18binary_search_lessEbEEEE10hipError_tPvRmT1_T2_T3_mmT4_T5_P12ihipStream_tbEUlRKjE_EEST_SX_SY_mSZ_S12_bEUlT_E_NS1_11comp_targetILNS1_3genE2ELNS1_11target_archE906ELNS1_3gpuE6ELNS1_3repE0EEENS1_30default_config_static_selectorELNS0_4arch9wavefront6targetE0EEEvSW_,@function
_ZN7rocprim17ROCPRIM_400000_NS6detail17trampoline_kernelINS0_14default_configENS1_27upper_bound_config_selectorIjlEEZNS1_14transform_implILb0ES3_S5_N6thrust23THRUST_200600_302600_NS6detail15normal_iteratorINS8_7pointerIjNS8_11hip_rocprim5par_tENS8_11use_defaultESE_EEEENSA_INSB_IlSD_SE_SE_EEEEZNS1_13binary_searchIS3_S5_PjSG_SI_NS1_21upper_bound_search_opENS9_16wrapped_functionINS8_6system6detail7generic6detail18binary_search_lessEbEEEE10hipError_tPvRmT1_T2_T3_mmT4_T5_P12ihipStream_tbEUlRKjE_EEST_SX_SY_mSZ_S12_bEUlT_E_NS1_11comp_targetILNS1_3genE2ELNS1_11target_archE906ELNS1_3gpuE6ELNS1_3repE0EEENS1_30default_config_static_selectorELNS0_4arch9wavefront6targetE0EEEvSW_: ; @_ZN7rocprim17ROCPRIM_400000_NS6detail17trampoline_kernelINS0_14default_configENS1_27upper_bound_config_selectorIjlEEZNS1_14transform_implILb0ES3_S5_N6thrust23THRUST_200600_302600_NS6detail15normal_iteratorINS8_7pointerIjNS8_11hip_rocprim5par_tENS8_11use_defaultESE_EEEENSA_INSB_IlSD_SE_SE_EEEEZNS1_13binary_searchIS3_S5_PjSG_SI_NS1_21upper_bound_search_opENS9_16wrapped_functionINS8_6system6detail7generic6detail18binary_search_lessEbEEEE10hipError_tPvRmT1_T2_T3_mmT4_T5_P12ihipStream_tbEUlRKjE_EEST_SX_SY_mSZ_S12_bEUlT_E_NS1_11comp_targetILNS1_3genE2ELNS1_11target_archE906ELNS1_3gpuE6ELNS1_3repE0EEENS1_30default_config_static_selectorELNS0_4arch9wavefront6targetE0EEEvSW_
; %bb.0:
	.section	.rodata,"a",@progbits
	.p2align	6, 0x0
	.amdhsa_kernel _ZN7rocprim17ROCPRIM_400000_NS6detail17trampoline_kernelINS0_14default_configENS1_27upper_bound_config_selectorIjlEEZNS1_14transform_implILb0ES3_S5_N6thrust23THRUST_200600_302600_NS6detail15normal_iteratorINS8_7pointerIjNS8_11hip_rocprim5par_tENS8_11use_defaultESE_EEEENSA_INSB_IlSD_SE_SE_EEEEZNS1_13binary_searchIS3_S5_PjSG_SI_NS1_21upper_bound_search_opENS9_16wrapped_functionINS8_6system6detail7generic6detail18binary_search_lessEbEEEE10hipError_tPvRmT1_T2_T3_mmT4_T5_P12ihipStream_tbEUlRKjE_EEST_SX_SY_mSZ_S12_bEUlT_E_NS1_11comp_targetILNS1_3genE2ELNS1_11target_archE906ELNS1_3gpuE6ELNS1_3repE0EEENS1_30default_config_static_selectorELNS0_4arch9wavefront6targetE0EEEvSW_
		.amdhsa_group_segment_fixed_size 0
		.amdhsa_private_segment_fixed_size 0
		.amdhsa_kernarg_size 56
		.amdhsa_user_sgpr_count 6
		.amdhsa_user_sgpr_private_segment_buffer 1
		.amdhsa_user_sgpr_dispatch_ptr 0
		.amdhsa_user_sgpr_queue_ptr 0
		.amdhsa_user_sgpr_kernarg_segment_ptr 1
		.amdhsa_user_sgpr_dispatch_id 0
		.amdhsa_user_sgpr_flat_scratch_init 0
		.amdhsa_user_sgpr_private_segment_size 0
		.amdhsa_wavefront_size32 1
		.amdhsa_uses_dynamic_stack 0
		.amdhsa_system_sgpr_private_segment_wavefront_offset 0
		.amdhsa_system_sgpr_workgroup_id_x 1
		.amdhsa_system_sgpr_workgroup_id_y 0
		.amdhsa_system_sgpr_workgroup_id_z 0
		.amdhsa_system_sgpr_workgroup_info 0
		.amdhsa_system_vgpr_workitem_id 0
		.amdhsa_next_free_vgpr 1
		.amdhsa_next_free_sgpr 1
		.amdhsa_reserve_vcc 0
		.amdhsa_reserve_flat_scratch 0
		.amdhsa_float_round_mode_32 0
		.amdhsa_float_round_mode_16_64 0
		.amdhsa_float_denorm_mode_32 3
		.amdhsa_float_denorm_mode_16_64 3
		.amdhsa_dx10_clamp 1
		.amdhsa_ieee_mode 1
		.amdhsa_fp16_overflow 0
		.amdhsa_workgroup_processor_mode 1
		.amdhsa_memory_ordered 1
		.amdhsa_forward_progress 1
		.amdhsa_shared_vgpr_count 0
		.amdhsa_exception_fp_ieee_invalid_op 0
		.amdhsa_exception_fp_denorm_src 0
		.amdhsa_exception_fp_ieee_div_zero 0
		.amdhsa_exception_fp_ieee_overflow 0
		.amdhsa_exception_fp_ieee_underflow 0
		.amdhsa_exception_fp_ieee_inexact 0
		.amdhsa_exception_int_div_zero 0
	.end_amdhsa_kernel
	.section	.text._ZN7rocprim17ROCPRIM_400000_NS6detail17trampoline_kernelINS0_14default_configENS1_27upper_bound_config_selectorIjlEEZNS1_14transform_implILb0ES3_S5_N6thrust23THRUST_200600_302600_NS6detail15normal_iteratorINS8_7pointerIjNS8_11hip_rocprim5par_tENS8_11use_defaultESE_EEEENSA_INSB_IlSD_SE_SE_EEEEZNS1_13binary_searchIS3_S5_PjSG_SI_NS1_21upper_bound_search_opENS9_16wrapped_functionINS8_6system6detail7generic6detail18binary_search_lessEbEEEE10hipError_tPvRmT1_T2_T3_mmT4_T5_P12ihipStream_tbEUlRKjE_EEST_SX_SY_mSZ_S12_bEUlT_E_NS1_11comp_targetILNS1_3genE2ELNS1_11target_archE906ELNS1_3gpuE6ELNS1_3repE0EEENS1_30default_config_static_selectorELNS0_4arch9wavefront6targetE0EEEvSW_,"axG",@progbits,_ZN7rocprim17ROCPRIM_400000_NS6detail17trampoline_kernelINS0_14default_configENS1_27upper_bound_config_selectorIjlEEZNS1_14transform_implILb0ES3_S5_N6thrust23THRUST_200600_302600_NS6detail15normal_iteratorINS8_7pointerIjNS8_11hip_rocprim5par_tENS8_11use_defaultESE_EEEENSA_INSB_IlSD_SE_SE_EEEEZNS1_13binary_searchIS3_S5_PjSG_SI_NS1_21upper_bound_search_opENS9_16wrapped_functionINS8_6system6detail7generic6detail18binary_search_lessEbEEEE10hipError_tPvRmT1_T2_T3_mmT4_T5_P12ihipStream_tbEUlRKjE_EEST_SX_SY_mSZ_S12_bEUlT_E_NS1_11comp_targetILNS1_3genE2ELNS1_11target_archE906ELNS1_3gpuE6ELNS1_3repE0EEENS1_30default_config_static_selectorELNS0_4arch9wavefront6targetE0EEEvSW_,comdat
.Lfunc_end196:
	.size	_ZN7rocprim17ROCPRIM_400000_NS6detail17trampoline_kernelINS0_14default_configENS1_27upper_bound_config_selectorIjlEEZNS1_14transform_implILb0ES3_S5_N6thrust23THRUST_200600_302600_NS6detail15normal_iteratorINS8_7pointerIjNS8_11hip_rocprim5par_tENS8_11use_defaultESE_EEEENSA_INSB_IlSD_SE_SE_EEEEZNS1_13binary_searchIS3_S5_PjSG_SI_NS1_21upper_bound_search_opENS9_16wrapped_functionINS8_6system6detail7generic6detail18binary_search_lessEbEEEE10hipError_tPvRmT1_T2_T3_mmT4_T5_P12ihipStream_tbEUlRKjE_EEST_SX_SY_mSZ_S12_bEUlT_E_NS1_11comp_targetILNS1_3genE2ELNS1_11target_archE906ELNS1_3gpuE6ELNS1_3repE0EEENS1_30default_config_static_selectorELNS0_4arch9wavefront6targetE0EEEvSW_, .Lfunc_end196-_ZN7rocprim17ROCPRIM_400000_NS6detail17trampoline_kernelINS0_14default_configENS1_27upper_bound_config_selectorIjlEEZNS1_14transform_implILb0ES3_S5_N6thrust23THRUST_200600_302600_NS6detail15normal_iteratorINS8_7pointerIjNS8_11hip_rocprim5par_tENS8_11use_defaultESE_EEEENSA_INSB_IlSD_SE_SE_EEEEZNS1_13binary_searchIS3_S5_PjSG_SI_NS1_21upper_bound_search_opENS9_16wrapped_functionINS8_6system6detail7generic6detail18binary_search_lessEbEEEE10hipError_tPvRmT1_T2_T3_mmT4_T5_P12ihipStream_tbEUlRKjE_EEST_SX_SY_mSZ_S12_bEUlT_E_NS1_11comp_targetILNS1_3genE2ELNS1_11target_archE906ELNS1_3gpuE6ELNS1_3repE0EEENS1_30default_config_static_selectorELNS0_4arch9wavefront6targetE0EEEvSW_
                                        ; -- End function
	.set _ZN7rocprim17ROCPRIM_400000_NS6detail17trampoline_kernelINS0_14default_configENS1_27upper_bound_config_selectorIjlEEZNS1_14transform_implILb0ES3_S5_N6thrust23THRUST_200600_302600_NS6detail15normal_iteratorINS8_7pointerIjNS8_11hip_rocprim5par_tENS8_11use_defaultESE_EEEENSA_INSB_IlSD_SE_SE_EEEEZNS1_13binary_searchIS3_S5_PjSG_SI_NS1_21upper_bound_search_opENS9_16wrapped_functionINS8_6system6detail7generic6detail18binary_search_lessEbEEEE10hipError_tPvRmT1_T2_T3_mmT4_T5_P12ihipStream_tbEUlRKjE_EEST_SX_SY_mSZ_S12_bEUlT_E_NS1_11comp_targetILNS1_3genE2ELNS1_11target_archE906ELNS1_3gpuE6ELNS1_3repE0EEENS1_30default_config_static_selectorELNS0_4arch9wavefront6targetE0EEEvSW_.num_vgpr, 0
	.set _ZN7rocprim17ROCPRIM_400000_NS6detail17trampoline_kernelINS0_14default_configENS1_27upper_bound_config_selectorIjlEEZNS1_14transform_implILb0ES3_S5_N6thrust23THRUST_200600_302600_NS6detail15normal_iteratorINS8_7pointerIjNS8_11hip_rocprim5par_tENS8_11use_defaultESE_EEEENSA_INSB_IlSD_SE_SE_EEEEZNS1_13binary_searchIS3_S5_PjSG_SI_NS1_21upper_bound_search_opENS9_16wrapped_functionINS8_6system6detail7generic6detail18binary_search_lessEbEEEE10hipError_tPvRmT1_T2_T3_mmT4_T5_P12ihipStream_tbEUlRKjE_EEST_SX_SY_mSZ_S12_bEUlT_E_NS1_11comp_targetILNS1_3genE2ELNS1_11target_archE906ELNS1_3gpuE6ELNS1_3repE0EEENS1_30default_config_static_selectorELNS0_4arch9wavefront6targetE0EEEvSW_.num_agpr, 0
	.set _ZN7rocprim17ROCPRIM_400000_NS6detail17trampoline_kernelINS0_14default_configENS1_27upper_bound_config_selectorIjlEEZNS1_14transform_implILb0ES3_S5_N6thrust23THRUST_200600_302600_NS6detail15normal_iteratorINS8_7pointerIjNS8_11hip_rocprim5par_tENS8_11use_defaultESE_EEEENSA_INSB_IlSD_SE_SE_EEEEZNS1_13binary_searchIS3_S5_PjSG_SI_NS1_21upper_bound_search_opENS9_16wrapped_functionINS8_6system6detail7generic6detail18binary_search_lessEbEEEE10hipError_tPvRmT1_T2_T3_mmT4_T5_P12ihipStream_tbEUlRKjE_EEST_SX_SY_mSZ_S12_bEUlT_E_NS1_11comp_targetILNS1_3genE2ELNS1_11target_archE906ELNS1_3gpuE6ELNS1_3repE0EEENS1_30default_config_static_selectorELNS0_4arch9wavefront6targetE0EEEvSW_.numbered_sgpr, 0
	.set _ZN7rocprim17ROCPRIM_400000_NS6detail17trampoline_kernelINS0_14default_configENS1_27upper_bound_config_selectorIjlEEZNS1_14transform_implILb0ES3_S5_N6thrust23THRUST_200600_302600_NS6detail15normal_iteratorINS8_7pointerIjNS8_11hip_rocprim5par_tENS8_11use_defaultESE_EEEENSA_INSB_IlSD_SE_SE_EEEEZNS1_13binary_searchIS3_S5_PjSG_SI_NS1_21upper_bound_search_opENS9_16wrapped_functionINS8_6system6detail7generic6detail18binary_search_lessEbEEEE10hipError_tPvRmT1_T2_T3_mmT4_T5_P12ihipStream_tbEUlRKjE_EEST_SX_SY_mSZ_S12_bEUlT_E_NS1_11comp_targetILNS1_3genE2ELNS1_11target_archE906ELNS1_3gpuE6ELNS1_3repE0EEENS1_30default_config_static_selectorELNS0_4arch9wavefront6targetE0EEEvSW_.num_named_barrier, 0
	.set _ZN7rocprim17ROCPRIM_400000_NS6detail17trampoline_kernelINS0_14default_configENS1_27upper_bound_config_selectorIjlEEZNS1_14transform_implILb0ES3_S5_N6thrust23THRUST_200600_302600_NS6detail15normal_iteratorINS8_7pointerIjNS8_11hip_rocprim5par_tENS8_11use_defaultESE_EEEENSA_INSB_IlSD_SE_SE_EEEEZNS1_13binary_searchIS3_S5_PjSG_SI_NS1_21upper_bound_search_opENS9_16wrapped_functionINS8_6system6detail7generic6detail18binary_search_lessEbEEEE10hipError_tPvRmT1_T2_T3_mmT4_T5_P12ihipStream_tbEUlRKjE_EEST_SX_SY_mSZ_S12_bEUlT_E_NS1_11comp_targetILNS1_3genE2ELNS1_11target_archE906ELNS1_3gpuE6ELNS1_3repE0EEENS1_30default_config_static_selectorELNS0_4arch9wavefront6targetE0EEEvSW_.private_seg_size, 0
	.set _ZN7rocprim17ROCPRIM_400000_NS6detail17trampoline_kernelINS0_14default_configENS1_27upper_bound_config_selectorIjlEEZNS1_14transform_implILb0ES3_S5_N6thrust23THRUST_200600_302600_NS6detail15normal_iteratorINS8_7pointerIjNS8_11hip_rocprim5par_tENS8_11use_defaultESE_EEEENSA_INSB_IlSD_SE_SE_EEEEZNS1_13binary_searchIS3_S5_PjSG_SI_NS1_21upper_bound_search_opENS9_16wrapped_functionINS8_6system6detail7generic6detail18binary_search_lessEbEEEE10hipError_tPvRmT1_T2_T3_mmT4_T5_P12ihipStream_tbEUlRKjE_EEST_SX_SY_mSZ_S12_bEUlT_E_NS1_11comp_targetILNS1_3genE2ELNS1_11target_archE906ELNS1_3gpuE6ELNS1_3repE0EEENS1_30default_config_static_selectorELNS0_4arch9wavefront6targetE0EEEvSW_.uses_vcc, 0
	.set _ZN7rocprim17ROCPRIM_400000_NS6detail17trampoline_kernelINS0_14default_configENS1_27upper_bound_config_selectorIjlEEZNS1_14transform_implILb0ES3_S5_N6thrust23THRUST_200600_302600_NS6detail15normal_iteratorINS8_7pointerIjNS8_11hip_rocprim5par_tENS8_11use_defaultESE_EEEENSA_INSB_IlSD_SE_SE_EEEEZNS1_13binary_searchIS3_S5_PjSG_SI_NS1_21upper_bound_search_opENS9_16wrapped_functionINS8_6system6detail7generic6detail18binary_search_lessEbEEEE10hipError_tPvRmT1_T2_T3_mmT4_T5_P12ihipStream_tbEUlRKjE_EEST_SX_SY_mSZ_S12_bEUlT_E_NS1_11comp_targetILNS1_3genE2ELNS1_11target_archE906ELNS1_3gpuE6ELNS1_3repE0EEENS1_30default_config_static_selectorELNS0_4arch9wavefront6targetE0EEEvSW_.uses_flat_scratch, 0
	.set _ZN7rocprim17ROCPRIM_400000_NS6detail17trampoline_kernelINS0_14default_configENS1_27upper_bound_config_selectorIjlEEZNS1_14transform_implILb0ES3_S5_N6thrust23THRUST_200600_302600_NS6detail15normal_iteratorINS8_7pointerIjNS8_11hip_rocprim5par_tENS8_11use_defaultESE_EEEENSA_INSB_IlSD_SE_SE_EEEEZNS1_13binary_searchIS3_S5_PjSG_SI_NS1_21upper_bound_search_opENS9_16wrapped_functionINS8_6system6detail7generic6detail18binary_search_lessEbEEEE10hipError_tPvRmT1_T2_T3_mmT4_T5_P12ihipStream_tbEUlRKjE_EEST_SX_SY_mSZ_S12_bEUlT_E_NS1_11comp_targetILNS1_3genE2ELNS1_11target_archE906ELNS1_3gpuE6ELNS1_3repE0EEENS1_30default_config_static_selectorELNS0_4arch9wavefront6targetE0EEEvSW_.has_dyn_sized_stack, 0
	.set _ZN7rocprim17ROCPRIM_400000_NS6detail17trampoline_kernelINS0_14default_configENS1_27upper_bound_config_selectorIjlEEZNS1_14transform_implILb0ES3_S5_N6thrust23THRUST_200600_302600_NS6detail15normal_iteratorINS8_7pointerIjNS8_11hip_rocprim5par_tENS8_11use_defaultESE_EEEENSA_INSB_IlSD_SE_SE_EEEEZNS1_13binary_searchIS3_S5_PjSG_SI_NS1_21upper_bound_search_opENS9_16wrapped_functionINS8_6system6detail7generic6detail18binary_search_lessEbEEEE10hipError_tPvRmT1_T2_T3_mmT4_T5_P12ihipStream_tbEUlRKjE_EEST_SX_SY_mSZ_S12_bEUlT_E_NS1_11comp_targetILNS1_3genE2ELNS1_11target_archE906ELNS1_3gpuE6ELNS1_3repE0EEENS1_30default_config_static_selectorELNS0_4arch9wavefront6targetE0EEEvSW_.has_recursion, 0
	.set _ZN7rocprim17ROCPRIM_400000_NS6detail17trampoline_kernelINS0_14default_configENS1_27upper_bound_config_selectorIjlEEZNS1_14transform_implILb0ES3_S5_N6thrust23THRUST_200600_302600_NS6detail15normal_iteratorINS8_7pointerIjNS8_11hip_rocprim5par_tENS8_11use_defaultESE_EEEENSA_INSB_IlSD_SE_SE_EEEEZNS1_13binary_searchIS3_S5_PjSG_SI_NS1_21upper_bound_search_opENS9_16wrapped_functionINS8_6system6detail7generic6detail18binary_search_lessEbEEEE10hipError_tPvRmT1_T2_T3_mmT4_T5_P12ihipStream_tbEUlRKjE_EEST_SX_SY_mSZ_S12_bEUlT_E_NS1_11comp_targetILNS1_3genE2ELNS1_11target_archE906ELNS1_3gpuE6ELNS1_3repE0EEENS1_30default_config_static_selectorELNS0_4arch9wavefront6targetE0EEEvSW_.has_indirect_call, 0
	.section	.AMDGPU.csdata,"",@progbits
; Kernel info:
; codeLenInByte = 0
; TotalNumSgprs: 0
; NumVgprs: 0
; ScratchSize: 0
; MemoryBound: 0
; FloatMode: 240
; IeeeMode: 1
; LDSByteSize: 0 bytes/workgroup (compile time only)
; SGPRBlocks: 0
; VGPRBlocks: 0
; NumSGPRsForWavesPerEU: 1
; NumVGPRsForWavesPerEU: 1
; Occupancy: 16
; WaveLimiterHint : 0
; COMPUTE_PGM_RSRC2:SCRATCH_EN: 0
; COMPUTE_PGM_RSRC2:USER_SGPR: 6
; COMPUTE_PGM_RSRC2:TRAP_HANDLER: 0
; COMPUTE_PGM_RSRC2:TGID_X_EN: 1
; COMPUTE_PGM_RSRC2:TGID_Y_EN: 0
; COMPUTE_PGM_RSRC2:TGID_Z_EN: 0
; COMPUTE_PGM_RSRC2:TIDIG_COMP_CNT: 0
	.section	.text._ZN7rocprim17ROCPRIM_400000_NS6detail17trampoline_kernelINS0_14default_configENS1_27upper_bound_config_selectorIjlEEZNS1_14transform_implILb0ES3_S5_N6thrust23THRUST_200600_302600_NS6detail15normal_iteratorINS8_7pointerIjNS8_11hip_rocprim5par_tENS8_11use_defaultESE_EEEENSA_INSB_IlSD_SE_SE_EEEEZNS1_13binary_searchIS3_S5_PjSG_SI_NS1_21upper_bound_search_opENS9_16wrapped_functionINS8_6system6detail7generic6detail18binary_search_lessEbEEEE10hipError_tPvRmT1_T2_T3_mmT4_T5_P12ihipStream_tbEUlRKjE_EEST_SX_SY_mSZ_S12_bEUlT_E_NS1_11comp_targetILNS1_3genE10ELNS1_11target_archE1201ELNS1_3gpuE5ELNS1_3repE0EEENS1_30default_config_static_selectorELNS0_4arch9wavefront6targetE0EEEvSW_,"axG",@progbits,_ZN7rocprim17ROCPRIM_400000_NS6detail17trampoline_kernelINS0_14default_configENS1_27upper_bound_config_selectorIjlEEZNS1_14transform_implILb0ES3_S5_N6thrust23THRUST_200600_302600_NS6detail15normal_iteratorINS8_7pointerIjNS8_11hip_rocprim5par_tENS8_11use_defaultESE_EEEENSA_INSB_IlSD_SE_SE_EEEEZNS1_13binary_searchIS3_S5_PjSG_SI_NS1_21upper_bound_search_opENS9_16wrapped_functionINS8_6system6detail7generic6detail18binary_search_lessEbEEEE10hipError_tPvRmT1_T2_T3_mmT4_T5_P12ihipStream_tbEUlRKjE_EEST_SX_SY_mSZ_S12_bEUlT_E_NS1_11comp_targetILNS1_3genE10ELNS1_11target_archE1201ELNS1_3gpuE5ELNS1_3repE0EEENS1_30default_config_static_selectorELNS0_4arch9wavefront6targetE0EEEvSW_,comdat
	.protected	_ZN7rocprim17ROCPRIM_400000_NS6detail17trampoline_kernelINS0_14default_configENS1_27upper_bound_config_selectorIjlEEZNS1_14transform_implILb0ES3_S5_N6thrust23THRUST_200600_302600_NS6detail15normal_iteratorINS8_7pointerIjNS8_11hip_rocprim5par_tENS8_11use_defaultESE_EEEENSA_INSB_IlSD_SE_SE_EEEEZNS1_13binary_searchIS3_S5_PjSG_SI_NS1_21upper_bound_search_opENS9_16wrapped_functionINS8_6system6detail7generic6detail18binary_search_lessEbEEEE10hipError_tPvRmT1_T2_T3_mmT4_T5_P12ihipStream_tbEUlRKjE_EEST_SX_SY_mSZ_S12_bEUlT_E_NS1_11comp_targetILNS1_3genE10ELNS1_11target_archE1201ELNS1_3gpuE5ELNS1_3repE0EEENS1_30default_config_static_selectorELNS0_4arch9wavefront6targetE0EEEvSW_ ; -- Begin function _ZN7rocprim17ROCPRIM_400000_NS6detail17trampoline_kernelINS0_14default_configENS1_27upper_bound_config_selectorIjlEEZNS1_14transform_implILb0ES3_S5_N6thrust23THRUST_200600_302600_NS6detail15normal_iteratorINS8_7pointerIjNS8_11hip_rocprim5par_tENS8_11use_defaultESE_EEEENSA_INSB_IlSD_SE_SE_EEEEZNS1_13binary_searchIS3_S5_PjSG_SI_NS1_21upper_bound_search_opENS9_16wrapped_functionINS8_6system6detail7generic6detail18binary_search_lessEbEEEE10hipError_tPvRmT1_T2_T3_mmT4_T5_P12ihipStream_tbEUlRKjE_EEST_SX_SY_mSZ_S12_bEUlT_E_NS1_11comp_targetILNS1_3genE10ELNS1_11target_archE1201ELNS1_3gpuE5ELNS1_3repE0EEENS1_30default_config_static_selectorELNS0_4arch9wavefront6targetE0EEEvSW_
	.globl	_ZN7rocprim17ROCPRIM_400000_NS6detail17trampoline_kernelINS0_14default_configENS1_27upper_bound_config_selectorIjlEEZNS1_14transform_implILb0ES3_S5_N6thrust23THRUST_200600_302600_NS6detail15normal_iteratorINS8_7pointerIjNS8_11hip_rocprim5par_tENS8_11use_defaultESE_EEEENSA_INSB_IlSD_SE_SE_EEEEZNS1_13binary_searchIS3_S5_PjSG_SI_NS1_21upper_bound_search_opENS9_16wrapped_functionINS8_6system6detail7generic6detail18binary_search_lessEbEEEE10hipError_tPvRmT1_T2_T3_mmT4_T5_P12ihipStream_tbEUlRKjE_EEST_SX_SY_mSZ_S12_bEUlT_E_NS1_11comp_targetILNS1_3genE10ELNS1_11target_archE1201ELNS1_3gpuE5ELNS1_3repE0EEENS1_30default_config_static_selectorELNS0_4arch9wavefront6targetE0EEEvSW_
	.p2align	8
	.type	_ZN7rocprim17ROCPRIM_400000_NS6detail17trampoline_kernelINS0_14default_configENS1_27upper_bound_config_selectorIjlEEZNS1_14transform_implILb0ES3_S5_N6thrust23THRUST_200600_302600_NS6detail15normal_iteratorINS8_7pointerIjNS8_11hip_rocprim5par_tENS8_11use_defaultESE_EEEENSA_INSB_IlSD_SE_SE_EEEEZNS1_13binary_searchIS3_S5_PjSG_SI_NS1_21upper_bound_search_opENS9_16wrapped_functionINS8_6system6detail7generic6detail18binary_search_lessEbEEEE10hipError_tPvRmT1_T2_T3_mmT4_T5_P12ihipStream_tbEUlRKjE_EEST_SX_SY_mSZ_S12_bEUlT_E_NS1_11comp_targetILNS1_3genE10ELNS1_11target_archE1201ELNS1_3gpuE5ELNS1_3repE0EEENS1_30default_config_static_selectorELNS0_4arch9wavefront6targetE0EEEvSW_,@function
_ZN7rocprim17ROCPRIM_400000_NS6detail17trampoline_kernelINS0_14default_configENS1_27upper_bound_config_selectorIjlEEZNS1_14transform_implILb0ES3_S5_N6thrust23THRUST_200600_302600_NS6detail15normal_iteratorINS8_7pointerIjNS8_11hip_rocprim5par_tENS8_11use_defaultESE_EEEENSA_INSB_IlSD_SE_SE_EEEEZNS1_13binary_searchIS3_S5_PjSG_SI_NS1_21upper_bound_search_opENS9_16wrapped_functionINS8_6system6detail7generic6detail18binary_search_lessEbEEEE10hipError_tPvRmT1_T2_T3_mmT4_T5_P12ihipStream_tbEUlRKjE_EEST_SX_SY_mSZ_S12_bEUlT_E_NS1_11comp_targetILNS1_3genE10ELNS1_11target_archE1201ELNS1_3gpuE5ELNS1_3repE0EEENS1_30default_config_static_selectorELNS0_4arch9wavefront6targetE0EEEvSW_: ; @_ZN7rocprim17ROCPRIM_400000_NS6detail17trampoline_kernelINS0_14default_configENS1_27upper_bound_config_selectorIjlEEZNS1_14transform_implILb0ES3_S5_N6thrust23THRUST_200600_302600_NS6detail15normal_iteratorINS8_7pointerIjNS8_11hip_rocprim5par_tENS8_11use_defaultESE_EEEENSA_INSB_IlSD_SE_SE_EEEEZNS1_13binary_searchIS3_S5_PjSG_SI_NS1_21upper_bound_search_opENS9_16wrapped_functionINS8_6system6detail7generic6detail18binary_search_lessEbEEEE10hipError_tPvRmT1_T2_T3_mmT4_T5_P12ihipStream_tbEUlRKjE_EEST_SX_SY_mSZ_S12_bEUlT_E_NS1_11comp_targetILNS1_3genE10ELNS1_11target_archE1201ELNS1_3gpuE5ELNS1_3repE0EEENS1_30default_config_static_selectorELNS0_4arch9wavefront6targetE0EEEvSW_
; %bb.0:
	.section	.rodata,"a",@progbits
	.p2align	6, 0x0
	.amdhsa_kernel _ZN7rocprim17ROCPRIM_400000_NS6detail17trampoline_kernelINS0_14default_configENS1_27upper_bound_config_selectorIjlEEZNS1_14transform_implILb0ES3_S5_N6thrust23THRUST_200600_302600_NS6detail15normal_iteratorINS8_7pointerIjNS8_11hip_rocprim5par_tENS8_11use_defaultESE_EEEENSA_INSB_IlSD_SE_SE_EEEEZNS1_13binary_searchIS3_S5_PjSG_SI_NS1_21upper_bound_search_opENS9_16wrapped_functionINS8_6system6detail7generic6detail18binary_search_lessEbEEEE10hipError_tPvRmT1_T2_T3_mmT4_T5_P12ihipStream_tbEUlRKjE_EEST_SX_SY_mSZ_S12_bEUlT_E_NS1_11comp_targetILNS1_3genE10ELNS1_11target_archE1201ELNS1_3gpuE5ELNS1_3repE0EEENS1_30default_config_static_selectorELNS0_4arch9wavefront6targetE0EEEvSW_
		.amdhsa_group_segment_fixed_size 0
		.amdhsa_private_segment_fixed_size 0
		.amdhsa_kernarg_size 56
		.amdhsa_user_sgpr_count 6
		.amdhsa_user_sgpr_private_segment_buffer 1
		.amdhsa_user_sgpr_dispatch_ptr 0
		.amdhsa_user_sgpr_queue_ptr 0
		.amdhsa_user_sgpr_kernarg_segment_ptr 1
		.amdhsa_user_sgpr_dispatch_id 0
		.amdhsa_user_sgpr_flat_scratch_init 0
		.amdhsa_user_sgpr_private_segment_size 0
		.amdhsa_wavefront_size32 1
		.amdhsa_uses_dynamic_stack 0
		.amdhsa_system_sgpr_private_segment_wavefront_offset 0
		.amdhsa_system_sgpr_workgroup_id_x 1
		.amdhsa_system_sgpr_workgroup_id_y 0
		.amdhsa_system_sgpr_workgroup_id_z 0
		.amdhsa_system_sgpr_workgroup_info 0
		.amdhsa_system_vgpr_workitem_id 0
		.amdhsa_next_free_vgpr 1
		.amdhsa_next_free_sgpr 1
		.amdhsa_reserve_vcc 0
		.amdhsa_reserve_flat_scratch 0
		.amdhsa_float_round_mode_32 0
		.amdhsa_float_round_mode_16_64 0
		.amdhsa_float_denorm_mode_32 3
		.amdhsa_float_denorm_mode_16_64 3
		.amdhsa_dx10_clamp 1
		.amdhsa_ieee_mode 1
		.amdhsa_fp16_overflow 0
		.amdhsa_workgroup_processor_mode 1
		.amdhsa_memory_ordered 1
		.amdhsa_forward_progress 1
		.amdhsa_shared_vgpr_count 0
		.amdhsa_exception_fp_ieee_invalid_op 0
		.amdhsa_exception_fp_denorm_src 0
		.amdhsa_exception_fp_ieee_div_zero 0
		.amdhsa_exception_fp_ieee_overflow 0
		.amdhsa_exception_fp_ieee_underflow 0
		.amdhsa_exception_fp_ieee_inexact 0
		.amdhsa_exception_int_div_zero 0
	.end_amdhsa_kernel
	.section	.text._ZN7rocprim17ROCPRIM_400000_NS6detail17trampoline_kernelINS0_14default_configENS1_27upper_bound_config_selectorIjlEEZNS1_14transform_implILb0ES3_S5_N6thrust23THRUST_200600_302600_NS6detail15normal_iteratorINS8_7pointerIjNS8_11hip_rocprim5par_tENS8_11use_defaultESE_EEEENSA_INSB_IlSD_SE_SE_EEEEZNS1_13binary_searchIS3_S5_PjSG_SI_NS1_21upper_bound_search_opENS9_16wrapped_functionINS8_6system6detail7generic6detail18binary_search_lessEbEEEE10hipError_tPvRmT1_T2_T3_mmT4_T5_P12ihipStream_tbEUlRKjE_EEST_SX_SY_mSZ_S12_bEUlT_E_NS1_11comp_targetILNS1_3genE10ELNS1_11target_archE1201ELNS1_3gpuE5ELNS1_3repE0EEENS1_30default_config_static_selectorELNS0_4arch9wavefront6targetE0EEEvSW_,"axG",@progbits,_ZN7rocprim17ROCPRIM_400000_NS6detail17trampoline_kernelINS0_14default_configENS1_27upper_bound_config_selectorIjlEEZNS1_14transform_implILb0ES3_S5_N6thrust23THRUST_200600_302600_NS6detail15normal_iteratorINS8_7pointerIjNS8_11hip_rocprim5par_tENS8_11use_defaultESE_EEEENSA_INSB_IlSD_SE_SE_EEEEZNS1_13binary_searchIS3_S5_PjSG_SI_NS1_21upper_bound_search_opENS9_16wrapped_functionINS8_6system6detail7generic6detail18binary_search_lessEbEEEE10hipError_tPvRmT1_T2_T3_mmT4_T5_P12ihipStream_tbEUlRKjE_EEST_SX_SY_mSZ_S12_bEUlT_E_NS1_11comp_targetILNS1_3genE10ELNS1_11target_archE1201ELNS1_3gpuE5ELNS1_3repE0EEENS1_30default_config_static_selectorELNS0_4arch9wavefront6targetE0EEEvSW_,comdat
.Lfunc_end197:
	.size	_ZN7rocprim17ROCPRIM_400000_NS6detail17trampoline_kernelINS0_14default_configENS1_27upper_bound_config_selectorIjlEEZNS1_14transform_implILb0ES3_S5_N6thrust23THRUST_200600_302600_NS6detail15normal_iteratorINS8_7pointerIjNS8_11hip_rocprim5par_tENS8_11use_defaultESE_EEEENSA_INSB_IlSD_SE_SE_EEEEZNS1_13binary_searchIS3_S5_PjSG_SI_NS1_21upper_bound_search_opENS9_16wrapped_functionINS8_6system6detail7generic6detail18binary_search_lessEbEEEE10hipError_tPvRmT1_T2_T3_mmT4_T5_P12ihipStream_tbEUlRKjE_EEST_SX_SY_mSZ_S12_bEUlT_E_NS1_11comp_targetILNS1_3genE10ELNS1_11target_archE1201ELNS1_3gpuE5ELNS1_3repE0EEENS1_30default_config_static_selectorELNS0_4arch9wavefront6targetE0EEEvSW_, .Lfunc_end197-_ZN7rocprim17ROCPRIM_400000_NS6detail17trampoline_kernelINS0_14default_configENS1_27upper_bound_config_selectorIjlEEZNS1_14transform_implILb0ES3_S5_N6thrust23THRUST_200600_302600_NS6detail15normal_iteratorINS8_7pointerIjNS8_11hip_rocprim5par_tENS8_11use_defaultESE_EEEENSA_INSB_IlSD_SE_SE_EEEEZNS1_13binary_searchIS3_S5_PjSG_SI_NS1_21upper_bound_search_opENS9_16wrapped_functionINS8_6system6detail7generic6detail18binary_search_lessEbEEEE10hipError_tPvRmT1_T2_T3_mmT4_T5_P12ihipStream_tbEUlRKjE_EEST_SX_SY_mSZ_S12_bEUlT_E_NS1_11comp_targetILNS1_3genE10ELNS1_11target_archE1201ELNS1_3gpuE5ELNS1_3repE0EEENS1_30default_config_static_selectorELNS0_4arch9wavefront6targetE0EEEvSW_
                                        ; -- End function
	.set _ZN7rocprim17ROCPRIM_400000_NS6detail17trampoline_kernelINS0_14default_configENS1_27upper_bound_config_selectorIjlEEZNS1_14transform_implILb0ES3_S5_N6thrust23THRUST_200600_302600_NS6detail15normal_iteratorINS8_7pointerIjNS8_11hip_rocprim5par_tENS8_11use_defaultESE_EEEENSA_INSB_IlSD_SE_SE_EEEEZNS1_13binary_searchIS3_S5_PjSG_SI_NS1_21upper_bound_search_opENS9_16wrapped_functionINS8_6system6detail7generic6detail18binary_search_lessEbEEEE10hipError_tPvRmT1_T2_T3_mmT4_T5_P12ihipStream_tbEUlRKjE_EEST_SX_SY_mSZ_S12_bEUlT_E_NS1_11comp_targetILNS1_3genE10ELNS1_11target_archE1201ELNS1_3gpuE5ELNS1_3repE0EEENS1_30default_config_static_selectorELNS0_4arch9wavefront6targetE0EEEvSW_.num_vgpr, 0
	.set _ZN7rocprim17ROCPRIM_400000_NS6detail17trampoline_kernelINS0_14default_configENS1_27upper_bound_config_selectorIjlEEZNS1_14transform_implILb0ES3_S5_N6thrust23THRUST_200600_302600_NS6detail15normal_iteratorINS8_7pointerIjNS8_11hip_rocprim5par_tENS8_11use_defaultESE_EEEENSA_INSB_IlSD_SE_SE_EEEEZNS1_13binary_searchIS3_S5_PjSG_SI_NS1_21upper_bound_search_opENS9_16wrapped_functionINS8_6system6detail7generic6detail18binary_search_lessEbEEEE10hipError_tPvRmT1_T2_T3_mmT4_T5_P12ihipStream_tbEUlRKjE_EEST_SX_SY_mSZ_S12_bEUlT_E_NS1_11comp_targetILNS1_3genE10ELNS1_11target_archE1201ELNS1_3gpuE5ELNS1_3repE0EEENS1_30default_config_static_selectorELNS0_4arch9wavefront6targetE0EEEvSW_.num_agpr, 0
	.set _ZN7rocprim17ROCPRIM_400000_NS6detail17trampoline_kernelINS0_14default_configENS1_27upper_bound_config_selectorIjlEEZNS1_14transform_implILb0ES3_S5_N6thrust23THRUST_200600_302600_NS6detail15normal_iteratorINS8_7pointerIjNS8_11hip_rocprim5par_tENS8_11use_defaultESE_EEEENSA_INSB_IlSD_SE_SE_EEEEZNS1_13binary_searchIS3_S5_PjSG_SI_NS1_21upper_bound_search_opENS9_16wrapped_functionINS8_6system6detail7generic6detail18binary_search_lessEbEEEE10hipError_tPvRmT1_T2_T3_mmT4_T5_P12ihipStream_tbEUlRKjE_EEST_SX_SY_mSZ_S12_bEUlT_E_NS1_11comp_targetILNS1_3genE10ELNS1_11target_archE1201ELNS1_3gpuE5ELNS1_3repE0EEENS1_30default_config_static_selectorELNS0_4arch9wavefront6targetE0EEEvSW_.numbered_sgpr, 0
	.set _ZN7rocprim17ROCPRIM_400000_NS6detail17trampoline_kernelINS0_14default_configENS1_27upper_bound_config_selectorIjlEEZNS1_14transform_implILb0ES3_S5_N6thrust23THRUST_200600_302600_NS6detail15normal_iteratorINS8_7pointerIjNS8_11hip_rocprim5par_tENS8_11use_defaultESE_EEEENSA_INSB_IlSD_SE_SE_EEEEZNS1_13binary_searchIS3_S5_PjSG_SI_NS1_21upper_bound_search_opENS9_16wrapped_functionINS8_6system6detail7generic6detail18binary_search_lessEbEEEE10hipError_tPvRmT1_T2_T3_mmT4_T5_P12ihipStream_tbEUlRKjE_EEST_SX_SY_mSZ_S12_bEUlT_E_NS1_11comp_targetILNS1_3genE10ELNS1_11target_archE1201ELNS1_3gpuE5ELNS1_3repE0EEENS1_30default_config_static_selectorELNS0_4arch9wavefront6targetE0EEEvSW_.num_named_barrier, 0
	.set _ZN7rocprim17ROCPRIM_400000_NS6detail17trampoline_kernelINS0_14default_configENS1_27upper_bound_config_selectorIjlEEZNS1_14transform_implILb0ES3_S5_N6thrust23THRUST_200600_302600_NS6detail15normal_iteratorINS8_7pointerIjNS8_11hip_rocprim5par_tENS8_11use_defaultESE_EEEENSA_INSB_IlSD_SE_SE_EEEEZNS1_13binary_searchIS3_S5_PjSG_SI_NS1_21upper_bound_search_opENS9_16wrapped_functionINS8_6system6detail7generic6detail18binary_search_lessEbEEEE10hipError_tPvRmT1_T2_T3_mmT4_T5_P12ihipStream_tbEUlRKjE_EEST_SX_SY_mSZ_S12_bEUlT_E_NS1_11comp_targetILNS1_3genE10ELNS1_11target_archE1201ELNS1_3gpuE5ELNS1_3repE0EEENS1_30default_config_static_selectorELNS0_4arch9wavefront6targetE0EEEvSW_.private_seg_size, 0
	.set _ZN7rocprim17ROCPRIM_400000_NS6detail17trampoline_kernelINS0_14default_configENS1_27upper_bound_config_selectorIjlEEZNS1_14transform_implILb0ES3_S5_N6thrust23THRUST_200600_302600_NS6detail15normal_iteratorINS8_7pointerIjNS8_11hip_rocprim5par_tENS8_11use_defaultESE_EEEENSA_INSB_IlSD_SE_SE_EEEEZNS1_13binary_searchIS3_S5_PjSG_SI_NS1_21upper_bound_search_opENS9_16wrapped_functionINS8_6system6detail7generic6detail18binary_search_lessEbEEEE10hipError_tPvRmT1_T2_T3_mmT4_T5_P12ihipStream_tbEUlRKjE_EEST_SX_SY_mSZ_S12_bEUlT_E_NS1_11comp_targetILNS1_3genE10ELNS1_11target_archE1201ELNS1_3gpuE5ELNS1_3repE0EEENS1_30default_config_static_selectorELNS0_4arch9wavefront6targetE0EEEvSW_.uses_vcc, 0
	.set _ZN7rocprim17ROCPRIM_400000_NS6detail17trampoline_kernelINS0_14default_configENS1_27upper_bound_config_selectorIjlEEZNS1_14transform_implILb0ES3_S5_N6thrust23THRUST_200600_302600_NS6detail15normal_iteratorINS8_7pointerIjNS8_11hip_rocprim5par_tENS8_11use_defaultESE_EEEENSA_INSB_IlSD_SE_SE_EEEEZNS1_13binary_searchIS3_S5_PjSG_SI_NS1_21upper_bound_search_opENS9_16wrapped_functionINS8_6system6detail7generic6detail18binary_search_lessEbEEEE10hipError_tPvRmT1_T2_T3_mmT4_T5_P12ihipStream_tbEUlRKjE_EEST_SX_SY_mSZ_S12_bEUlT_E_NS1_11comp_targetILNS1_3genE10ELNS1_11target_archE1201ELNS1_3gpuE5ELNS1_3repE0EEENS1_30default_config_static_selectorELNS0_4arch9wavefront6targetE0EEEvSW_.uses_flat_scratch, 0
	.set _ZN7rocprim17ROCPRIM_400000_NS6detail17trampoline_kernelINS0_14default_configENS1_27upper_bound_config_selectorIjlEEZNS1_14transform_implILb0ES3_S5_N6thrust23THRUST_200600_302600_NS6detail15normal_iteratorINS8_7pointerIjNS8_11hip_rocprim5par_tENS8_11use_defaultESE_EEEENSA_INSB_IlSD_SE_SE_EEEEZNS1_13binary_searchIS3_S5_PjSG_SI_NS1_21upper_bound_search_opENS9_16wrapped_functionINS8_6system6detail7generic6detail18binary_search_lessEbEEEE10hipError_tPvRmT1_T2_T3_mmT4_T5_P12ihipStream_tbEUlRKjE_EEST_SX_SY_mSZ_S12_bEUlT_E_NS1_11comp_targetILNS1_3genE10ELNS1_11target_archE1201ELNS1_3gpuE5ELNS1_3repE0EEENS1_30default_config_static_selectorELNS0_4arch9wavefront6targetE0EEEvSW_.has_dyn_sized_stack, 0
	.set _ZN7rocprim17ROCPRIM_400000_NS6detail17trampoline_kernelINS0_14default_configENS1_27upper_bound_config_selectorIjlEEZNS1_14transform_implILb0ES3_S5_N6thrust23THRUST_200600_302600_NS6detail15normal_iteratorINS8_7pointerIjNS8_11hip_rocprim5par_tENS8_11use_defaultESE_EEEENSA_INSB_IlSD_SE_SE_EEEEZNS1_13binary_searchIS3_S5_PjSG_SI_NS1_21upper_bound_search_opENS9_16wrapped_functionINS8_6system6detail7generic6detail18binary_search_lessEbEEEE10hipError_tPvRmT1_T2_T3_mmT4_T5_P12ihipStream_tbEUlRKjE_EEST_SX_SY_mSZ_S12_bEUlT_E_NS1_11comp_targetILNS1_3genE10ELNS1_11target_archE1201ELNS1_3gpuE5ELNS1_3repE0EEENS1_30default_config_static_selectorELNS0_4arch9wavefront6targetE0EEEvSW_.has_recursion, 0
	.set _ZN7rocprim17ROCPRIM_400000_NS6detail17trampoline_kernelINS0_14default_configENS1_27upper_bound_config_selectorIjlEEZNS1_14transform_implILb0ES3_S5_N6thrust23THRUST_200600_302600_NS6detail15normal_iteratorINS8_7pointerIjNS8_11hip_rocprim5par_tENS8_11use_defaultESE_EEEENSA_INSB_IlSD_SE_SE_EEEEZNS1_13binary_searchIS3_S5_PjSG_SI_NS1_21upper_bound_search_opENS9_16wrapped_functionINS8_6system6detail7generic6detail18binary_search_lessEbEEEE10hipError_tPvRmT1_T2_T3_mmT4_T5_P12ihipStream_tbEUlRKjE_EEST_SX_SY_mSZ_S12_bEUlT_E_NS1_11comp_targetILNS1_3genE10ELNS1_11target_archE1201ELNS1_3gpuE5ELNS1_3repE0EEENS1_30default_config_static_selectorELNS0_4arch9wavefront6targetE0EEEvSW_.has_indirect_call, 0
	.section	.AMDGPU.csdata,"",@progbits
; Kernel info:
; codeLenInByte = 0
; TotalNumSgprs: 0
; NumVgprs: 0
; ScratchSize: 0
; MemoryBound: 0
; FloatMode: 240
; IeeeMode: 1
; LDSByteSize: 0 bytes/workgroup (compile time only)
; SGPRBlocks: 0
; VGPRBlocks: 0
; NumSGPRsForWavesPerEU: 1
; NumVGPRsForWavesPerEU: 1
; Occupancy: 16
; WaveLimiterHint : 0
; COMPUTE_PGM_RSRC2:SCRATCH_EN: 0
; COMPUTE_PGM_RSRC2:USER_SGPR: 6
; COMPUTE_PGM_RSRC2:TRAP_HANDLER: 0
; COMPUTE_PGM_RSRC2:TGID_X_EN: 1
; COMPUTE_PGM_RSRC2:TGID_Y_EN: 0
; COMPUTE_PGM_RSRC2:TGID_Z_EN: 0
; COMPUTE_PGM_RSRC2:TIDIG_COMP_CNT: 0
	.section	.text._ZN7rocprim17ROCPRIM_400000_NS6detail17trampoline_kernelINS0_14default_configENS1_27upper_bound_config_selectorIjlEEZNS1_14transform_implILb0ES3_S5_N6thrust23THRUST_200600_302600_NS6detail15normal_iteratorINS8_7pointerIjNS8_11hip_rocprim5par_tENS8_11use_defaultESE_EEEENSA_INSB_IlSD_SE_SE_EEEEZNS1_13binary_searchIS3_S5_PjSG_SI_NS1_21upper_bound_search_opENS9_16wrapped_functionINS8_6system6detail7generic6detail18binary_search_lessEbEEEE10hipError_tPvRmT1_T2_T3_mmT4_T5_P12ihipStream_tbEUlRKjE_EEST_SX_SY_mSZ_S12_bEUlT_E_NS1_11comp_targetILNS1_3genE10ELNS1_11target_archE1200ELNS1_3gpuE4ELNS1_3repE0EEENS1_30default_config_static_selectorELNS0_4arch9wavefront6targetE0EEEvSW_,"axG",@progbits,_ZN7rocprim17ROCPRIM_400000_NS6detail17trampoline_kernelINS0_14default_configENS1_27upper_bound_config_selectorIjlEEZNS1_14transform_implILb0ES3_S5_N6thrust23THRUST_200600_302600_NS6detail15normal_iteratorINS8_7pointerIjNS8_11hip_rocprim5par_tENS8_11use_defaultESE_EEEENSA_INSB_IlSD_SE_SE_EEEEZNS1_13binary_searchIS3_S5_PjSG_SI_NS1_21upper_bound_search_opENS9_16wrapped_functionINS8_6system6detail7generic6detail18binary_search_lessEbEEEE10hipError_tPvRmT1_T2_T3_mmT4_T5_P12ihipStream_tbEUlRKjE_EEST_SX_SY_mSZ_S12_bEUlT_E_NS1_11comp_targetILNS1_3genE10ELNS1_11target_archE1200ELNS1_3gpuE4ELNS1_3repE0EEENS1_30default_config_static_selectorELNS0_4arch9wavefront6targetE0EEEvSW_,comdat
	.protected	_ZN7rocprim17ROCPRIM_400000_NS6detail17trampoline_kernelINS0_14default_configENS1_27upper_bound_config_selectorIjlEEZNS1_14transform_implILb0ES3_S5_N6thrust23THRUST_200600_302600_NS6detail15normal_iteratorINS8_7pointerIjNS8_11hip_rocprim5par_tENS8_11use_defaultESE_EEEENSA_INSB_IlSD_SE_SE_EEEEZNS1_13binary_searchIS3_S5_PjSG_SI_NS1_21upper_bound_search_opENS9_16wrapped_functionINS8_6system6detail7generic6detail18binary_search_lessEbEEEE10hipError_tPvRmT1_T2_T3_mmT4_T5_P12ihipStream_tbEUlRKjE_EEST_SX_SY_mSZ_S12_bEUlT_E_NS1_11comp_targetILNS1_3genE10ELNS1_11target_archE1200ELNS1_3gpuE4ELNS1_3repE0EEENS1_30default_config_static_selectorELNS0_4arch9wavefront6targetE0EEEvSW_ ; -- Begin function _ZN7rocprim17ROCPRIM_400000_NS6detail17trampoline_kernelINS0_14default_configENS1_27upper_bound_config_selectorIjlEEZNS1_14transform_implILb0ES3_S5_N6thrust23THRUST_200600_302600_NS6detail15normal_iteratorINS8_7pointerIjNS8_11hip_rocprim5par_tENS8_11use_defaultESE_EEEENSA_INSB_IlSD_SE_SE_EEEEZNS1_13binary_searchIS3_S5_PjSG_SI_NS1_21upper_bound_search_opENS9_16wrapped_functionINS8_6system6detail7generic6detail18binary_search_lessEbEEEE10hipError_tPvRmT1_T2_T3_mmT4_T5_P12ihipStream_tbEUlRKjE_EEST_SX_SY_mSZ_S12_bEUlT_E_NS1_11comp_targetILNS1_3genE10ELNS1_11target_archE1200ELNS1_3gpuE4ELNS1_3repE0EEENS1_30default_config_static_selectorELNS0_4arch9wavefront6targetE0EEEvSW_
	.globl	_ZN7rocprim17ROCPRIM_400000_NS6detail17trampoline_kernelINS0_14default_configENS1_27upper_bound_config_selectorIjlEEZNS1_14transform_implILb0ES3_S5_N6thrust23THRUST_200600_302600_NS6detail15normal_iteratorINS8_7pointerIjNS8_11hip_rocprim5par_tENS8_11use_defaultESE_EEEENSA_INSB_IlSD_SE_SE_EEEEZNS1_13binary_searchIS3_S5_PjSG_SI_NS1_21upper_bound_search_opENS9_16wrapped_functionINS8_6system6detail7generic6detail18binary_search_lessEbEEEE10hipError_tPvRmT1_T2_T3_mmT4_T5_P12ihipStream_tbEUlRKjE_EEST_SX_SY_mSZ_S12_bEUlT_E_NS1_11comp_targetILNS1_3genE10ELNS1_11target_archE1200ELNS1_3gpuE4ELNS1_3repE0EEENS1_30default_config_static_selectorELNS0_4arch9wavefront6targetE0EEEvSW_
	.p2align	8
	.type	_ZN7rocprim17ROCPRIM_400000_NS6detail17trampoline_kernelINS0_14default_configENS1_27upper_bound_config_selectorIjlEEZNS1_14transform_implILb0ES3_S5_N6thrust23THRUST_200600_302600_NS6detail15normal_iteratorINS8_7pointerIjNS8_11hip_rocprim5par_tENS8_11use_defaultESE_EEEENSA_INSB_IlSD_SE_SE_EEEEZNS1_13binary_searchIS3_S5_PjSG_SI_NS1_21upper_bound_search_opENS9_16wrapped_functionINS8_6system6detail7generic6detail18binary_search_lessEbEEEE10hipError_tPvRmT1_T2_T3_mmT4_T5_P12ihipStream_tbEUlRKjE_EEST_SX_SY_mSZ_S12_bEUlT_E_NS1_11comp_targetILNS1_3genE10ELNS1_11target_archE1200ELNS1_3gpuE4ELNS1_3repE0EEENS1_30default_config_static_selectorELNS0_4arch9wavefront6targetE0EEEvSW_,@function
_ZN7rocprim17ROCPRIM_400000_NS6detail17trampoline_kernelINS0_14default_configENS1_27upper_bound_config_selectorIjlEEZNS1_14transform_implILb0ES3_S5_N6thrust23THRUST_200600_302600_NS6detail15normal_iteratorINS8_7pointerIjNS8_11hip_rocprim5par_tENS8_11use_defaultESE_EEEENSA_INSB_IlSD_SE_SE_EEEEZNS1_13binary_searchIS3_S5_PjSG_SI_NS1_21upper_bound_search_opENS9_16wrapped_functionINS8_6system6detail7generic6detail18binary_search_lessEbEEEE10hipError_tPvRmT1_T2_T3_mmT4_T5_P12ihipStream_tbEUlRKjE_EEST_SX_SY_mSZ_S12_bEUlT_E_NS1_11comp_targetILNS1_3genE10ELNS1_11target_archE1200ELNS1_3gpuE4ELNS1_3repE0EEENS1_30default_config_static_selectorELNS0_4arch9wavefront6targetE0EEEvSW_: ; @_ZN7rocprim17ROCPRIM_400000_NS6detail17trampoline_kernelINS0_14default_configENS1_27upper_bound_config_selectorIjlEEZNS1_14transform_implILb0ES3_S5_N6thrust23THRUST_200600_302600_NS6detail15normal_iteratorINS8_7pointerIjNS8_11hip_rocprim5par_tENS8_11use_defaultESE_EEEENSA_INSB_IlSD_SE_SE_EEEEZNS1_13binary_searchIS3_S5_PjSG_SI_NS1_21upper_bound_search_opENS9_16wrapped_functionINS8_6system6detail7generic6detail18binary_search_lessEbEEEE10hipError_tPvRmT1_T2_T3_mmT4_T5_P12ihipStream_tbEUlRKjE_EEST_SX_SY_mSZ_S12_bEUlT_E_NS1_11comp_targetILNS1_3genE10ELNS1_11target_archE1200ELNS1_3gpuE4ELNS1_3repE0EEENS1_30default_config_static_selectorELNS0_4arch9wavefront6targetE0EEEvSW_
; %bb.0:
	.section	.rodata,"a",@progbits
	.p2align	6, 0x0
	.amdhsa_kernel _ZN7rocprim17ROCPRIM_400000_NS6detail17trampoline_kernelINS0_14default_configENS1_27upper_bound_config_selectorIjlEEZNS1_14transform_implILb0ES3_S5_N6thrust23THRUST_200600_302600_NS6detail15normal_iteratorINS8_7pointerIjNS8_11hip_rocprim5par_tENS8_11use_defaultESE_EEEENSA_INSB_IlSD_SE_SE_EEEEZNS1_13binary_searchIS3_S5_PjSG_SI_NS1_21upper_bound_search_opENS9_16wrapped_functionINS8_6system6detail7generic6detail18binary_search_lessEbEEEE10hipError_tPvRmT1_T2_T3_mmT4_T5_P12ihipStream_tbEUlRKjE_EEST_SX_SY_mSZ_S12_bEUlT_E_NS1_11comp_targetILNS1_3genE10ELNS1_11target_archE1200ELNS1_3gpuE4ELNS1_3repE0EEENS1_30default_config_static_selectorELNS0_4arch9wavefront6targetE0EEEvSW_
		.amdhsa_group_segment_fixed_size 0
		.amdhsa_private_segment_fixed_size 0
		.amdhsa_kernarg_size 56
		.amdhsa_user_sgpr_count 6
		.amdhsa_user_sgpr_private_segment_buffer 1
		.amdhsa_user_sgpr_dispatch_ptr 0
		.amdhsa_user_sgpr_queue_ptr 0
		.amdhsa_user_sgpr_kernarg_segment_ptr 1
		.amdhsa_user_sgpr_dispatch_id 0
		.amdhsa_user_sgpr_flat_scratch_init 0
		.amdhsa_user_sgpr_private_segment_size 0
		.amdhsa_wavefront_size32 1
		.amdhsa_uses_dynamic_stack 0
		.amdhsa_system_sgpr_private_segment_wavefront_offset 0
		.amdhsa_system_sgpr_workgroup_id_x 1
		.amdhsa_system_sgpr_workgroup_id_y 0
		.amdhsa_system_sgpr_workgroup_id_z 0
		.amdhsa_system_sgpr_workgroup_info 0
		.amdhsa_system_vgpr_workitem_id 0
		.amdhsa_next_free_vgpr 1
		.amdhsa_next_free_sgpr 1
		.amdhsa_reserve_vcc 0
		.amdhsa_reserve_flat_scratch 0
		.amdhsa_float_round_mode_32 0
		.amdhsa_float_round_mode_16_64 0
		.amdhsa_float_denorm_mode_32 3
		.amdhsa_float_denorm_mode_16_64 3
		.amdhsa_dx10_clamp 1
		.amdhsa_ieee_mode 1
		.amdhsa_fp16_overflow 0
		.amdhsa_workgroup_processor_mode 1
		.amdhsa_memory_ordered 1
		.amdhsa_forward_progress 1
		.amdhsa_shared_vgpr_count 0
		.amdhsa_exception_fp_ieee_invalid_op 0
		.amdhsa_exception_fp_denorm_src 0
		.amdhsa_exception_fp_ieee_div_zero 0
		.amdhsa_exception_fp_ieee_overflow 0
		.amdhsa_exception_fp_ieee_underflow 0
		.amdhsa_exception_fp_ieee_inexact 0
		.amdhsa_exception_int_div_zero 0
	.end_amdhsa_kernel
	.section	.text._ZN7rocprim17ROCPRIM_400000_NS6detail17trampoline_kernelINS0_14default_configENS1_27upper_bound_config_selectorIjlEEZNS1_14transform_implILb0ES3_S5_N6thrust23THRUST_200600_302600_NS6detail15normal_iteratorINS8_7pointerIjNS8_11hip_rocprim5par_tENS8_11use_defaultESE_EEEENSA_INSB_IlSD_SE_SE_EEEEZNS1_13binary_searchIS3_S5_PjSG_SI_NS1_21upper_bound_search_opENS9_16wrapped_functionINS8_6system6detail7generic6detail18binary_search_lessEbEEEE10hipError_tPvRmT1_T2_T3_mmT4_T5_P12ihipStream_tbEUlRKjE_EEST_SX_SY_mSZ_S12_bEUlT_E_NS1_11comp_targetILNS1_3genE10ELNS1_11target_archE1200ELNS1_3gpuE4ELNS1_3repE0EEENS1_30default_config_static_selectorELNS0_4arch9wavefront6targetE0EEEvSW_,"axG",@progbits,_ZN7rocprim17ROCPRIM_400000_NS6detail17trampoline_kernelINS0_14default_configENS1_27upper_bound_config_selectorIjlEEZNS1_14transform_implILb0ES3_S5_N6thrust23THRUST_200600_302600_NS6detail15normal_iteratorINS8_7pointerIjNS8_11hip_rocprim5par_tENS8_11use_defaultESE_EEEENSA_INSB_IlSD_SE_SE_EEEEZNS1_13binary_searchIS3_S5_PjSG_SI_NS1_21upper_bound_search_opENS9_16wrapped_functionINS8_6system6detail7generic6detail18binary_search_lessEbEEEE10hipError_tPvRmT1_T2_T3_mmT4_T5_P12ihipStream_tbEUlRKjE_EEST_SX_SY_mSZ_S12_bEUlT_E_NS1_11comp_targetILNS1_3genE10ELNS1_11target_archE1200ELNS1_3gpuE4ELNS1_3repE0EEENS1_30default_config_static_selectorELNS0_4arch9wavefront6targetE0EEEvSW_,comdat
.Lfunc_end198:
	.size	_ZN7rocprim17ROCPRIM_400000_NS6detail17trampoline_kernelINS0_14default_configENS1_27upper_bound_config_selectorIjlEEZNS1_14transform_implILb0ES3_S5_N6thrust23THRUST_200600_302600_NS6detail15normal_iteratorINS8_7pointerIjNS8_11hip_rocprim5par_tENS8_11use_defaultESE_EEEENSA_INSB_IlSD_SE_SE_EEEEZNS1_13binary_searchIS3_S5_PjSG_SI_NS1_21upper_bound_search_opENS9_16wrapped_functionINS8_6system6detail7generic6detail18binary_search_lessEbEEEE10hipError_tPvRmT1_T2_T3_mmT4_T5_P12ihipStream_tbEUlRKjE_EEST_SX_SY_mSZ_S12_bEUlT_E_NS1_11comp_targetILNS1_3genE10ELNS1_11target_archE1200ELNS1_3gpuE4ELNS1_3repE0EEENS1_30default_config_static_selectorELNS0_4arch9wavefront6targetE0EEEvSW_, .Lfunc_end198-_ZN7rocprim17ROCPRIM_400000_NS6detail17trampoline_kernelINS0_14default_configENS1_27upper_bound_config_selectorIjlEEZNS1_14transform_implILb0ES3_S5_N6thrust23THRUST_200600_302600_NS6detail15normal_iteratorINS8_7pointerIjNS8_11hip_rocprim5par_tENS8_11use_defaultESE_EEEENSA_INSB_IlSD_SE_SE_EEEEZNS1_13binary_searchIS3_S5_PjSG_SI_NS1_21upper_bound_search_opENS9_16wrapped_functionINS8_6system6detail7generic6detail18binary_search_lessEbEEEE10hipError_tPvRmT1_T2_T3_mmT4_T5_P12ihipStream_tbEUlRKjE_EEST_SX_SY_mSZ_S12_bEUlT_E_NS1_11comp_targetILNS1_3genE10ELNS1_11target_archE1200ELNS1_3gpuE4ELNS1_3repE0EEENS1_30default_config_static_selectorELNS0_4arch9wavefront6targetE0EEEvSW_
                                        ; -- End function
	.set _ZN7rocprim17ROCPRIM_400000_NS6detail17trampoline_kernelINS0_14default_configENS1_27upper_bound_config_selectorIjlEEZNS1_14transform_implILb0ES3_S5_N6thrust23THRUST_200600_302600_NS6detail15normal_iteratorINS8_7pointerIjNS8_11hip_rocprim5par_tENS8_11use_defaultESE_EEEENSA_INSB_IlSD_SE_SE_EEEEZNS1_13binary_searchIS3_S5_PjSG_SI_NS1_21upper_bound_search_opENS9_16wrapped_functionINS8_6system6detail7generic6detail18binary_search_lessEbEEEE10hipError_tPvRmT1_T2_T3_mmT4_T5_P12ihipStream_tbEUlRKjE_EEST_SX_SY_mSZ_S12_bEUlT_E_NS1_11comp_targetILNS1_3genE10ELNS1_11target_archE1200ELNS1_3gpuE4ELNS1_3repE0EEENS1_30default_config_static_selectorELNS0_4arch9wavefront6targetE0EEEvSW_.num_vgpr, 0
	.set _ZN7rocprim17ROCPRIM_400000_NS6detail17trampoline_kernelINS0_14default_configENS1_27upper_bound_config_selectorIjlEEZNS1_14transform_implILb0ES3_S5_N6thrust23THRUST_200600_302600_NS6detail15normal_iteratorINS8_7pointerIjNS8_11hip_rocprim5par_tENS8_11use_defaultESE_EEEENSA_INSB_IlSD_SE_SE_EEEEZNS1_13binary_searchIS3_S5_PjSG_SI_NS1_21upper_bound_search_opENS9_16wrapped_functionINS8_6system6detail7generic6detail18binary_search_lessEbEEEE10hipError_tPvRmT1_T2_T3_mmT4_T5_P12ihipStream_tbEUlRKjE_EEST_SX_SY_mSZ_S12_bEUlT_E_NS1_11comp_targetILNS1_3genE10ELNS1_11target_archE1200ELNS1_3gpuE4ELNS1_3repE0EEENS1_30default_config_static_selectorELNS0_4arch9wavefront6targetE0EEEvSW_.num_agpr, 0
	.set _ZN7rocprim17ROCPRIM_400000_NS6detail17trampoline_kernelINS0_14default_configENS1_27upper_bound_config_selectorIjlEEZNS1_14transform_implILb0ES3_S5_N6thrust23THRUST_200600_302600_NS6detail15normal_iteratorINS8_7pointerIjNS8_11hip_rocprim5par_tENS8_11use_defaultESE_EEEENSA_INSB_IlSD_SE_SE_EEEEZNS1_13binary_searchIS3_S5_PjSG_SI_NS1_21upper_bound_search_opENS9_16wrapped_functionINS8_6system6detail7generic6detail18binary_search_lessEbEEEE10hipError_tPvRmT1_T2_T3_mmT4_T5_P12ihipStream_tbEUlRKjE_EEST_SX_SY_mSZ_S12_bEUlT_E_NS1_11comp_targetILNS1_3genE10ELNS1_11target_archE1200ELNS1_3gpuE4ELNS1_3repE0EEENS1_30default_config_static_selectorELNS0_4arch9wavefront6targetE0EEEvSW_.numbered_sgpr, 0
	.set _ZN7rocprim17ROCPRIM_400000_NS6detail17trampoline_kernelINS0_14default_configENS1_27upper_bound_config_selectorIjlEEZNS1_14transform_implILb0ES3_S5_N6thrust23THRUST_200600_302600_NS6detail15normal_iteratorINS8_7pointerIjNS8_11hip_rocprim5par_tENS8_11use_defaultESE_EEEENSA_INSB_IlSD_SE_SE_EEEEZNS1_13binary_searchIS3_S5_PjSG_SI_NS1_21upper_bound_search_opENS9_16wrapped_functionINS8_6system6detail7generic6detail18binary_search_lessEbEEEE10hipError_tPvRmT1_T2_T3_mmT4_T5_P12ihipStream_tbEUlRKjE_EEST_SX_SY_mSZ_S12_bEUlT_E_NS1_11comp_targetILNS1_3genE10ELNS1_11target_archE1200ELNS1_3gpuE4ELNS1_3repE0EEENS1_30default_config_static_selectorELNS0_4arch9wavefront6targetE0EEEvSW_.num_named_barrier, 0
	.set _ZN7rocprim17ROCPRIM_400000_NS6detail17trampoline_kernelINS0_14default_configENS1_27upper_bound_config_selectorIjlEEZNS1_14transform_implILb0ES3_S5_N6thrust23THRUST_200600_302600_NS6detail15normal_iteratorINS8_7pointerIjNS8_11hip_rocprim5par_tENS8_11use_defaultESE_EEEENSA_INSB_IlSD_SE_SE_EEEEZNS1_13binary_searchIS3_S5_PjSG_SI_NS1_21upper_bound_search_opENS9_16wrapped_functionINS8_6system6detail7generic6detail18binary_search_lessEbEEEE10hipError_tPvRmT1_T2_T3_mmT4_T5_P12ihipStream_tbEUlRKjE_EEST_SX_SY_mSZ_S12_bEUlT_E_NS1_11comp_targetILNS1_3genE10ELNS1_11target_archE1200ELNS1_3gpuE4ELNS1_3repE0EEENS1_30default_config_static_selectorELNS0_4arch9wavefront6targetE0EEEvSW_.private_seg_size, 0
	.set _ZN7rocprim17ROCPRIM_400000_NS6detail17trampoline_kernelINS0_14default_configENS1_27upper_bound_config_selectorIjlEEZNS1_14transform_implILb0ES3_S5_N6thrust23THRUST_200600_302600_NS6detail15normal_iteratorINS8_7pointerIjNS8_11hip_rocprim5par_tENS8_11use_defaultESE_EEEENSA_INSB_IlSD_SE_SE_EEEEZNS1_13binary_searchIS3_S5_PjSG_SI_NS1_21upper_bound_search_opENS9_16wrapped_functionINS8_6system6detail7generic6detail18binary_search_lessEbEEEE10hipError_tPvRmT1_T2_T3_mmT4_T5_P12ihipStream_tbEUlRKjE_EEST_SX_SY_mSZ_S12_bEUlT_E_NS1_11comp_targetILNS1_3genE10ELNS1_11target_archE1200ELNS1_3gpuE4ELNS1_3repE0EEENS1_30default_config_static_selectorELNS0_4arch9wavefront6targetE0EEEvSW_.uses_vcc, 0
	.set _ZN7rocprim17ROCPRIM_400000_NS6detail17trampoline_kernelINS0_14default_configENS1_27upper_bound_config_selectorIjlEEZNS1_14transform_implILb0ES3_S5_N6thrust23THRUST_200600_302600_NS6detail15normal_iteratorINS8_7pointerIjNS8_11hip_rocprim5par_tENS8_11use_defaultESE_EEEENSA_INSB_IlSD_SE_SE_EEEEZNS1_13binary_searchIS3_S5_PjSG_SI_NS1_21upper_bound_search_opENS9_16wrapped_functionINS8_6system6detail7generic6detail18binary_search_lessEbEEEE10hipError_tPvRmT1_T2_T3_mmT4_T5_P12ihipStream_tbEUlRKjE_EEST_SX_SY_mSZ_S12_bEUlT_E_NS1_11comp_targetILNS1_3genE10ELNS1_11target_archE1200ELNS1_3gpuE4ELNS1_3repE0EEENS1_30default_config_static_selectorELNS0_4arch9wavefront6targetE0EEEvSW_.uses_flat_scratch, 0
	.set _ZN7rocprim17ROCPRIM_400000_NS6detail17trampoline_kernelINS0_14default_configENS1_27upper_bound_config_selectorIjlEEZNS1_14transform_implILb0ES3_S5_N6thrust23THRUST_200600_302600_NS6detail15normal_iteratorINS8_7pointerIjNS8_11hip_rocprim5par_tENS8_11use_defaultESE_EEEENSA_INSB_IlSD_SE_SE_EEEEZNS1_13binary_searchIS3_S5_PjSG_SI_NS1_21upper_bound_search_opENS9_16wrapped_functionINS8_6system6detail7generic6detail18binary_search_lessEbEEEE10hipError_tPvRmT1_T2_T3_mmT4_T5_P12ihipStream_tbEUlRKjE_EEST_SX_SY_mSZ_S12_bEUlT_E_NS1_11comp_targetILNS1_3genE10ELNS1_11target_archE1200ELNS1_3gpuE4ELNS1_3repE0EEENS1_30default_config_static_selectorELNS0_4arch9wavefront6targetE0EEEvSW_.has_dyn_sized_stack, 0
	.set _ZN7rocprim17ROCPRIM_400000_NS6detail17trampoline_kernelINS0_14default_configENS1_27upper_bound_config_selectorIjlEEZNS1_14transform_implILb0ES3_S5_N6thrust23THRUST_200600_302600_NS6detail15normal_iteratorINS8_7pointerIjNS8_11hip_rocprim5par_tENS8_11use_defaultESE_EEEENSA_INSB_IlSD_SE_SE_EEEEZNS1_13binary_searchIS3_S5_PjSG_SI_NS1_21upper_bound_search_opENS9_16wrapped_functionINS8_6system6detail7generic6detail18binary_search_lessEbEEEE10hipError_tPvRmT1_T2_T3_mmT4_T5_P12ihipStream_tbEUlRKjE_EEST_SX_SY_mSZ_S12_bEUlT_E_NS1_11comp_targetILNS1_3genE10ELNS1_11target_archE1200ELNS1_3gpuE4ELNS1_3repE0EEENS1_30default_config_static_selectorELNS0_4arch9wavefront6targetE0EEEvSW_.has_recursion, 0
	.set _ZN7rocprim17ROCPRIM_400000_NS6detail17trampoline_kernelINS0_14default_configENS1_27upper_bound_config_selectorIjlEEZNS1_14transform_implILb0ES3_S5_N6thrust23THRUST_200600_302600_NS6detail15normal_iteratorINS8_7pointerIjNS8_11hip_rocprim5par_tENS8_11use_defaultESE_EEEENSA_INSB_IlSD_SE_SE_EEEEZNS1_13binary_searchIS3_S5_PjSG_SI_NS1_21upper_bound_search_opENS9_16wrapped_functionINS8_6system6detail7generic6detail18binary_search_lessEbEEEE10hipError_tPvRmT1_T2_T3_mmT4_T5_P12ihipStream_tbEUlRKjE_EEST_SX_SY_mSZ_S12_bEUlT_E_NS1_11comp_targetILNS1_3genE10ELNS1_11target_archE1200ELNS1_3gpuE4ELNS1_3repE0EEENS1_30default_config_static_selectorELNS0_4arch9wavefront6targetE0EEEvSW_.has_indirect_call, 0
	.section	.AMDGPU.csdata,"",@progbits
; Kernel info:
; codeLenInByte = 0
; TotalNumSgprs: 0
; NumVgprs: 0
; ScratchSize: 0
; MemoryBound: 0
; FloatMode: 240
; IeeeMode: 1
; LDSByteSize: 0 bytes/workgroup (compile time only)
; SGPRBlocks: 0
; VGPRBlocks: 0
; NumSGPRsForWavesPerEU: 1
; NumVGPRsForWavesPerEU: 1
; Occupancy: 16
; WaveLimiterHint : 0
; COMPUTE_PGM_RSRC2:SCRATCH_EN: 0
; COMPUTE_PGM_RSRC2:USER_SGPR: 6
; COMPUTE_PGM_RSRC2:TRAP_HANDLER: 0
; COMPUTE_PGM_RSRC2:TGID_X_EN: 1
; COMPUTE_PGM_RSRC2:TGID_Y_EN: 0
; COMPUTE_PGM_RSRC2:TGID_Z_EN: 0
; COMPUTE_PGM_RSRC2:TIDIG_COMP_CNT: 0
	.section	.text._ZN7rocprim17ROCPRIM_400000_NS6detail17trampoline_kernelINS0_14default_configENS1_27upper_bound_config_selectorIjlEEZNS1_14transform_implILb0ES3_S5_N6thrust23THRUST_200600_302600_NS6detail15normal_iteratorINS8_7pointerIjNS8_11hip_rocprim5par_tENS8_11use_defaultESE_EEEENSA_INSB_IlSD_SE_SE_EEEEZNS1_13binary_searchIS3_S5_PjSG_SI_NS1_21upper_bound_search_opENS9_16wrapped_functionINS8_6system6detail7generic6detail18binary_search_lessEbEEEE10hipError_tPvRmT1_T2_T3_mmT4_T5_P12ihipStream_tbEUlRKjE_EEST_SX_SY_mSZ_S12_bEUlT_E_NS1_11comp_targetILNS1_3genE9ELNS1_11target_archE1100ELNS1_3gpuE3ELNS1_3repE0EEENS1_30default_config_static_selectorELNS0_4arch9wavefront6targetE0EEEvSW_,"axG",@progbits,_ZN7rocprim17ROCPRIM_400000_NS6detail17trampoline_kernelINS0_14default_configENS1_27upper_bound_config_selectorIjlEEZNS1_14transform_implILb0ES3_S5_N6thrust23THRUST_200600_302600_NS6detail15normal_iteratorINS8_7pointerIjNS8_11hip_rocprim5par_tENS8_11use_defaultESE_EEEENSA_INSB_IlSD_SE_SE_EEEEZNS1_13binary_searchIS3_S5_PjSG_SI_NS1_21upper_bound_search_opENS9_16wrapped_functionINS8_6system6detail7generic6detail18binary_search_lessEbEEEE10hipError_tPvRmT1_T2_T3_mmT4_T5_P12ihipStream_tbEUlRKjE_EEST_SX_SY_mSZ_S12_bEUlT_E_NS1_11comp_targetILNS1_3genE9ELNS1_11target_archE1100ELNS1_3gpuE3ELNS1_3repE0EEENS1_30default_config_static_selectorELNS0_4arch9wavefront6targetE0EEEvSW_,comdat
	.protected	_ZN7rocprim17ROCPRIM_400000_NS6detail17trampoline_kernelINS0_14default_configENS1_27upper_bound_config_selectorIjlEEZNS1_14transform_implILb0ES3_S5_N6thrust23THRUST_200600_302600_NS6detail15normal_iteratorINS8_7pointerIjNS8_11hip_rocprim5par_tENS8_11use_defaultESE_EEEENSA_INSB_IlSD_SE_SE_EEEEZNS1_13binary_searchIS3_S5_PjSG_SI_NS1_21upper_bound_search_opENS9_16wrapped_functionINS8_6system6detail7generic6detail18binary_search_lessEbEEEE10hipError_tPvRmT1_T2_T3_mmT4_T5_P12ihipStream_tbEUlRKjE_EEST_SX_SY_mSZ_S12_bEUlT_E_NS1_11comp_targetILNS1_3genE9ELNS1_11target_archE1100ELNS1_3gpuE3ELNS1_3repE0EEENS1_30default_config_static_selectorELNS0_4arch9wavefront6targetE0EEEvSW_ ; -- Begin function _ZN7rocprim17ROCPRIM_400000_NS6detail17trampoline_kernelINS0_14default_configENS1_27upper_bound_config_selectorIjlEEZNS1_14transform_implILb0ES3_S5_N6thrust23THRUST_200600_302600_NS6detail15normal_iteratorINS8_7pointerIjNS8_11hip_rocprim5par_tENS8_11use_defaultESE_EEEENSA_INSB_IlSD_SE_SE_EEEEZNS1_13binary_searchIS3_S5_PjSG_SI_NS1_21upper_bound_search_opENS9_16wrapped_functionINS8_6system6detail7generic6detail18binary_search_lessEbEEEE10hipError_tPvRmT1_T2_T3_mmT4_T5_P12ihipStream_tbEUlRKjE_EEST_SX_SY_mSZ_S12_bEUlT_E_NS1_11comp_targetILNS1_3genE9ELNS1_11target_archE1100ELNS1_3gpuE3ELNS1_3repE0EEENS1_30default_config_static_selectorELNS0_4arch9wavefront6targetE0EEEvSW_
	.globl	_ZN7rocprim17ROCPRIM_400000_NS6detail17trampoline_kernelINS0_14default_configENS1_27upper_bound_config_selectorIjlEEZNS1_14transform_implILb0ES3_S5_N6thrust23THRUST_200600_302600_NS6detail15normal_iteratorINS8_7pointerIjNS8_11hip_rocprim5par_tENS8_11use_defaultESE_EEEENSA_INSB_IlSD_SE_SE_EEEEZNS1_13binary_searchIS3_S5_PjSG_SI_NS1_21upper_bound_search_opENS9_16wrapped_functionINS8_6system6detail7generic6detail18binary_search_lessEbEEEE10hipError_tPvRmT1_T2_T3_mmT4_T5_P12ihipStream_tbEUlRKjE_EEST_SX_SY_mSZ_S12_bEUlT_E_NS1_11comp_targetILNS1_3genE9ELNS1_11target_archE1100ELNS1_3gpuE3ELNS1_3repE0EEENS1_30default_config_static_selectorELNS0_4arch9wavefront6targetE0EEEvSW_
	.p2align	8
	.type	_ZN7rocprim17ROCPRIM_400000_NS6detail17trampoline_kernelINS0_14default_configENS1_27upper_bound_config_selectorIjlEEZNS1_14transform_implILb0ES3_S5_N6thrust23THRUST_200600_302600_NS6detail15normal_iteratorINS8_7pointerIjNS8_11hip_rocprim5par_tENS8_11use_defaultESE_EEEENSA_INSB_IlSD_SE_SE_EEEEZNS1_13binary_searchIS3_S5_PjSG_SI_NS1_21upper_bound_search_opENS9_16wrapped_functionINS8_6system6detail7generic6detail18binary_search_lessEbEEEE10hipError_tPvRmT1_T2_T3_mmT4_T5_P12ihipStream_tbEUlRKjE_EEST_SX_SY_mSZ_S12_bEUlT_E_NS1_11comp_targetILNS1_3genE9ELNS1_11target_archE1100ELNS1_3gpuE3ELNS1_3repE0EEENS1_30default_config_static_selectorELNS0_4arch9wavefront6targetE0EEEvSW_,@function
_ZN7rocprim17ROCPRIM_400000_NS6detail17trampoline_kernelINS0_14default_configENS1_27upper_bound_config_selectorIjlEEZNS1_14transform_implILb0ES3_S5_N6thrust23THRUST_200600_302600_NS6detail15normal_iteratorINS8_7pointerIjNS8_11hip_rocprim5par_tENS8_11use_defaultESE_EEEENSA_INSB_IlSD_SE_SE_EEEEZNS1_13binary_searchIS3_S5_PjSG_SI_NS1_21upper_bound_search_opENS9_16wrapped_functionINS8_6system6detail7generic6detail18binary_search_lessEbEEEE10hipError_tPvRmT1_T2_T3_mmT4_T5_P12ihipStream_tbEUlRKjE_EEST_SX_SY_mSZ_S12_bEUlT_E_NS1_11comp_targetILNS1_3genE9ELNS1_11target_archE1100ELNS1_3gpuE3ELNS1_3repE0EEENS1_30default_config_static_selectorELNS0_4arch9wavefront6targetE0EEEvSW_: ; @_ZN7rocprim17ROCPRIM_400000_NS6detail17trampoline_kernelINS0_14default_configENS1_27upper_bound_config_selectorIjlEEZNS1_14transform_implILb0ES3_S5_N6thrust23THRUST_200600_302600_NS6detail15normal_iteratorINS8_7pointerIjNS8_11hip_rocprim5par_tENS8_11use_defaultESE_EEEENSA_INSB_IlSD_SE_SE_EEEEZNS1_13binary_searchIS3_S5_PjSG_SI_NS1_21upper_bound_search_opENS9_16wrapped_functionINS8_6system6detail7generic6detail18binary_search_lessEbEEEE10hipError_tPvRmT1_T2_T3_mmT4_T5_P12ihipStream_tbEUlRKjE_EEST_SX_SY_mSZ_S12_bEUlT_E_NS1_11comp_targetILNS1_3genE9ELNS1_11target_archE1100ELNS1_3gpuE3ELNS1_3repE0EEENS1_30default_config_static_selectorELNS0_4arch9wavefront6targetE0EEEvSW_
; %bb.0:
	.section	.rodata,"a",@progbits
	.p2align	6, 0x0
	.amdhsa_kernel _ZN7rocprim17ROCPRIM_400000_NS6detail17trampoline_kernelINS0_14default_configENS1_27upper_bound_config_selectorIjlEEZNS1_14transform_implILb0ES3_S5_N6thrust23THRUST_200600_302600_NS6detail15normal_iteratorINS8_7pointerIjNS8_11hip_rocprim5par_tENS8_11use_defaultESE_EEEENSA_INSB_IlSD_SE_SE_EEEEZNS1_13binary_searchIS3_S5_PjSG_SI_NS1_21upper_bound_search_opENS9_16wrapped_functionINS8_6system6detail7generic6detail18binary_search_lessEbEEEE10hipError_tPvRmT1_T2_T3_mmT4_T5_P12ihipStream_tbEUlRKjE_EEST_SX_SY_mSZ_S12_bEUlT_E_NS1_11comp_targetILNS1_3genE9ELNS1_11target_archE1100ELNS1_3gpuE3ELNS1_3repE0EEENS1_30default_config_static_selectorELNS0_4arch9wavefront6targetE0EEEvSW_
		.amdhsa_group_segment_fixed_size 0
		.amdhsa_private_segment_fixed_size 0
		.amdhsa_kernarg_size 56
		.amdhsa_user_sgpr_count 6
		.amdhsa_user_sgpr_private_segment_buffer 1
		.amdhsa_user_sgpr_dispatch_ptr 0
		.amdhsa_user_sgpr_queue_ptr 0
		.amdhsa_user_sgpr_kernarg_segment_ptr 1
		.amdhsa_user_sgpr_dispatch_id 0
		.amdhsa_user_sgpr_flat_scratch_init 0
		.amdhsa_user_sgpr_private_segment_size 0
		.amdhsa_wavefront_size32 1
		.amdhsa_uses_dynamic_stack 0
		.amdhsa_system_sgpr_private_segment_wavefront_offset 0
		.amdhsa_system_sgpr_workgroup_id_x 1
		.amdhsa_system_sgpr_workgroup_id_y 0
		.amdhsa_system_sgpr_workgroup_id_z 0
		.amdhsa_system_sgpr_workgroup_info 0
		.amdhsa_system_vgpr_workitem_id 0
		.amdhsa_next_free_vgpr 1
		.amdhsa_next_free_sgpr 1
		.amdhsa_reserve_vcc 0
		.amdhsa_reserve_flat_scratch 0
		.amdhsa_float_round_mode_32 0
		.amdhsa_float_round_mode_16_64 0
		.amdhsa_float_denorm_mode_32 3
		.amdhsa_float_denorm_mode_16_64 3
		.amdhsa_dx10_clamp 1
		.amdhsa_ieee_mode 1
		.amdhsa_fp16_overflow 0
		.amdhsa_workgroup_processor_mode 1
		.amdhsa_memory_ordered 1
		.amdhsa_forward_progress 1
		.amdhsa_shared_vgpr_count 0
		.amdhsa_exception_fp_ieee_invalid_op 0
		.amdhsa_exception_fp_denorm_src 0
		.amdhsa_exception_fp_ieee_div_zero 0
		.amdhsa_exception_fp_ieee_overflow 0
		.amdhsa_exception_fp_ieee_underflow 0
		.amdhsa_exception_fp_ieee_inexact 0
		.amdhsa_exception_int_div_zero 0
	.end_amdhsa_kernel
	.section	.text._ZN7rocprim17ROCPRIM_400000_NS6detail17trampoline_kernelINS0_14default_configENS1_27upper_bound_config_selectorIjlEEZNS1_14transform_implILb0ES3_S5_N6thrust23THRUST_200600_302600_NS6detail15normal_iteratorINS8_7pointerIjNS8_11hip_rocprim5par_tENS8_11use_defaultESE_EEEENSA_INSB_IlSD_SE_SE_EEEEZNS1_13binary_searchIS3_S5_PjSG_SI_NS1_21upper_bound_search_opENS9_16wrapped_functionINS8_6system6detail7generic6detail18binary_search_lessEbEEEE10hipError_tPvRmT1_T2_T3_mmT4_T5_P12ihipStream_tbEUlRKjE_EEST_SX_SY_mSZ_S12_bEUlT_E_NS1_11comp_targetILNS1_3genE9ELNS1_11target_archE1100ELNS1_3gpuE3ELNS1_3repE0EEENS1_30default_config_static_selectorELNS0_4arch9wavefront6targetE0EEEvSW_,"axG",@progbits,_ZN7rocprim17ROCPRIM_400000_NS6detail17trampoline_kernelINS0_14default_configENS1_27upper_bound_config_selectorIjlEEZNS1_14transform_implILb0ES3_S5_N6thrust23THRUST_200600_302600_NS6detail15normal_iteratorINS8_7pointerIjNS8_11hip_rocprim5par_tENS8_11use_defaultESE_EEEENSA_INSB_IlSD_SE_SE_EEEEZNS1_13binary_searchIS3_S5_PjSG_SI_NS1_21upper_bound_search_opENS9_16wrapped_functionINS8_6system6detail7generic6detail18binary_search_lessEbEEEE10hipError_tPvRmT1_T2_T3_mmT4_T5_P12ihipStream_tbEUlRKjE_EEST_SX_SY_mSZ_S12_bEUlT_E_NS1_11comp_targetILNS1_3genE9ELNS1_11target_archE1100ELNS1_3gpuE3ELNS1_3repE0EEENS1_30default_config_static_selectorELNS0_4arch9wavefront6targetE0EEEvSW_,comdat
.Lfunc_end199:
	.size	_ZN7rocprim17ROCPRIM_400000_NS6detail17trampoline_kernelINS0_14default_configENS1_27upper_bound_config_selectorIjlEEZNS1_14transform_implILb0ES3_S5_N6thrust23THRUST_200600_302600_NS6detail15normal_iteratorINS8_7pointerIjNS8_11hip_rocprim5par_tENS8_11use_defaultESE_EEEENSA_INSB_IlSD_SE_SE_EEEEZNS1_13binary_searchIS3_S5_PjSG_SI_NS1_21upper_bound_search_opENS9_16wrapped_functionINS8_6system6detail7generic6detail18binary_search_lessEbEEEE10hipError_tPvRmT1_T2_T3_mmT4_T5_P12ihipStream_tbEUlRKjE_EEST_SX_SY_mSZ_S12_bEUlT_E_NS1_11comp_targetILNS1_3genE9ELNS1_11target_archE1100ELNS1_3gpuE3ELNS1_3repE0EEENS1_30default_config_static_selectorELNS0_4arch9wavefront6targetE0EEEvSW_, .Lfunc_end199-_ZN7rocprim17ROCPRIM_400000_NS6detail17trampoline_kernelINS0_14default_configENS1_27upper_bound_config_selectorIjlEEZNS1_14transform_implILb0ES3_S5_N6thrust23THRUST_200600_302600_NS6detail15normal_iteratorINS8_7pointerIjNS8_11hip_rocprim5par_tENS8_11use_defaultESE_EEEENSA_INSB_IlSD_SE_SE_EEEEZNS1_13binary_searchIS3_S5_PjSG_SI_NS1_21upper_bound_search_opENS9_16wrapped_functionINS8_6system6detail7generic6detail18binary_search_lessEbEEEE10hipError_tPvRmT1_T2_T3_mmT4_T5_P12ihipStream_tbEUlRKjE_EEST_SX_SY_mSZ_S12_bEUlT_E_NS1_11comp_targetILNS1_3genE9ELNS1_11target_archE1100ELNS1_3gpuE3ELNS1_3repE0EEENS1_30default_config_static_selectorELNS0_4arch9wavefront6targetE0EEEvSW_
                                        ; -- End function
	.set _ZN7rocprim17ROCPRIM_400000_NS6detail17trampoline_kernelINS0_14default_configENS1_27upper_bound_config_selectorIjlEEZNS1_14transform_implILb0ES3_S5_N6thrust23THRUST_200600_302600_NS6detail15normal_iteratorINS8_7pointerIjNS8_11hip_rocprim5par_tENS8_11use_defaultESE_EEEENSA_INSB_IlSD_SE_SE_EEEEZNS1_13binary_searchIS3_S5_PjSG_SI_NS1_21upper_bound_search_opENS9_16wrapped_functionINS8_6system6detail7generic6detail18binary_search_lessEbEEEE10hipError_tPvRmT1_T2_T3_mmT4_T5_P12ihipStream_tbEUlRKjE_EEST_SX_SY_mSZ_S12_bEUlT_E_NS1_11comp_targetILNS1_3genE9ELNS1_11target_archE1100ELNS1_3gpuE3ELNS1_3repE0EEENS1_30default_config_static_selectorELNS0_4arch9wavefront6targetE0EEEvSW_.num_vgpr, 0
	.set _ZN7rocprim17ROCPRIM_400000_NS6detail17trampoline_kernelINS0_14default_configENS1_27upper_bound_config_selectorIjlEEZNS1_14transform_implILb0ES3_S5_N6thrust23THRUST_200600_302600_NS6detail15normal_iteratorINS8_7pointerIjNS8_11hip_rocprim5par_tENS8_11use_defaultESE_EEEENSA_INSB_IlSD_SE_SE_EEEEZNS1_13binary_searchIS3_S5_PjSG_SI_NS1_21upper_bound_search_opENS9_16wrapped_functionINS8_6system6detail7generic6detail18binary_search_lessEbEEEE10hipError_tPvRmT1_T2_T3_mmT4_T5_P12ihipStream_tbEUlRKjE_EEST_SX_SY_mSZ_S12_bEUlT_E_NS1_11comp_targetILNS1_3genE9ELNS1_11target_archE1100ELNS1_3gpuE3ELNS1_3repE0EEENS1_30default_config_static_selectorELNS0_4arch9wavefront6targetE0EEEvSW_.num_agpr, 0
	.set _ZN7rocprim17ROCPRIM_400000_NS6detail17trampoline_kernelINS0_14default_configENS1_27upper_bound_config_selectorIjlEEZNS1_14transform_implILb0ES3_S5_N6thrust23THRUST_200600_302600_NS6detail15normal_iteratorINS8_7pointerIjNS8_11hip_rocprim5par_tENS8_11use_defaultESE_EEEENSA_INSB_IlSD_SE_SE_EEEEZNS1_13binary_searchIS3_S5_PjSG_SI_NS1_21upper_bound_search_opENS9_16wrapped_functionINS8_6system6detail7generic6detail18binary_search_lessEbEEEE10hipError_tPvRmT1_T2_T3_mmT4_T5_P12ihipStream_tbEUlRKjE_EEST_SX_SY_mSZ_S12_bEUlT_E_NS1_11comp_targetILNS1_3genE9ELNS1_11target_archE1100ELNS1_3gpuE3ELNS1_3repE0EEENS1_30default_config_static_selectorELNS0_4arch9wavefront6targetE0EEEvSW_.numbered_sgpr, 0
	.set _ZN7rocprim17ROCPRIM_400000_NS6detail17trampoline_kernelINS0_14default_configENS1_27upper_bound_config_selectorIjlEEZNS1_14transform_implILb0ES3_S5_N6thrust23THRUST_200600_302600_NS6detail15normal_iteratorINS8_7pointerIjNS8_11hip_rocprim5par_tENS8_11use_defaultESE_EEEENSA_INSB_IlSD_SE_SE_EEEEZNS1_13binary_searchIS3_S5_PjSG_SI_NS1_21upper_bound_search_opENS9_16wrapped_functionINS8_6system6detail7generic6detail18binary_search_lessEbEEEE10hipError_tPvRmT1_T2_T3_mmT4_T5_P12ihipStream_tbEUlRKjE_EEST_SX_SY_mSZ_S12_bEUlT_E_NS1_11comp_targetILNS1_3genE9ELNS1_11target_archE1100ELNS1_3gpuE3ELNS1_3repE0EEENS1_30default_config_static_selectorELNS0_4arch9wavefront6targetE0EEEvSW_.num_named_barrier, 0
	.set _ZN7rocprim17ROCPRIM_400000_NS6detail17trampoline_kernelINS0_14default_configENS1_27upper_bound_config_selectorIjlEEZNS1_14transform_implILb0ES3_S5_N6thrust23THRUST_200600_302600_NS6detail15normal_iteratorINS8_7pointerIjNS8_11hip_rocprim5par_tENS8_11use_defaultESE_EEEENSA_INSB_IlSD_SE_SE_EEEEZNS1_13binary_searchIS3_S5_PjSG_SI_NS1_21upper_bound_search_opENS9_16wrapped_functionINS8_6system6detail7generic6detail18binary_search_lessEbEEEE10hipError_tPvRmT1_T2_T3_mmT4_T5_P12ihipStream_tbEUlRKjE_EEST_SX_SY_mSZ_S12_bEUlT_E_NS1_11comp_targetILNS1_3genE9ELNS1_11target_archE1100ELNS1_3gpuE3ELNS1_3repE0EEENS1_30default_config_static_selectorELNS0_4arch9wavefront6targetE0EEEvSW_.private_seg_size, 0
	.set _ZN7rocprim17ROCPRIM_400000_NS6detail17trampoline_kernelINS0_14default_configENS1_27upper_bound_config_selectorIjlEEZNS1_14transform_implILb0ES3_S5_N6thrust23THRUST_200600_302600_NS6detail15normal_iteratorINS8_7pointerIjNS8_11hip_rocprim5par_tENS8_11use_defaultESE_EEEENSA_INSB_IlSD_SE_SE_EEEEZNS1_13binary_searchIS3_S5_PjSG_SI_NS1_21upper_bound_search_opENS9_16wrapped_functionINS8_6system6detail7generic6detail18binary_search_lessEbEEEE10hipError_tPvRmT1_T2_T3_mmT4_T5_P12ihipStream_tbEUlRKjE_EEST_SX_SY_mSZ_S12_bEUlT_E_NS1_11comp_targetILNS1_3genE9ELNS1_11target_archE1100ELNS1_3gpuE3ELNS1_3repE0EEENS1_30default_config_static_selectorELNS0_4arch9wavefront6targetE0EEEvSW_.uses_vcc, 0
	.set _ZN7rocprim17ROCPRIM_400000_NS6detail17trampoline_kernelINS0_14default_configENS1_27upper_bound_config_selectorIjlEEZNS1_14transform_implILb0ES3_S5_N6thrust23THRUST_200600_302600_NS6detail15normal_iteratorINS8_7pointerIjNS8_11hip_rocprim5par_tENS8_11use_defaultESE_EEEENSA_INSB_IlSD_SE_SE_EEEEZNS1_13binary_searchIS3_S5_PjSG_SI_NS1_21upper_bound_search_opENS9_16wrapped_functionINS8_6system6detail7generic6detail18binary_search_lessEbEEEE10hipError_tPvRmT1_T2_T3_mmT4_T5_P12ihipStream_tbEUlRKjE_EEST_SX_SY_mSZ_S12_bEUlT_E_NS1_11comp_targetILNS1_3genE9ELNS1_11target_archE1100ELNS1_3gpuE3ELNS1_3repE0EEENS1_30default_config_static_selectorELNS0_4arch9wavefront6targetE0EEEvSW_.uses_flat_scratch, 0
	.set _ZN7rocprim17ROCPRIM_400000_NS6detail17trampoline_kernelINS0_14default_configENS1_27upper_bound_config_selectorIjlEEZNS1_14transform_implILb0ES3_S5_N6thrust23THRUST_200600_302600_NS6detail15normal_iteratorINS8_7pointerIjNS8_11hip_rocprim5par_tENS8_11use_defaultESE_EEEENSA_INSB_IlSD_SE_SE_EEEEZNS1_13binary_searchIS3_S5_PjSG_SI_NS1_21upper_bound_search_opENS9_16wrapped_functionINS8_6system6detail7generic6detail18binary_search_lessEbEEEE10hipError_tPvRmT1_T2_T3_mmT4_T5_P12ihipStream_tbEUlRKjE_EEST_SX_SY_mSZ_S12_bEUlT_E_NS1_11comp_targetILNS1_3genE9ELNS1_11target_archE1100ELNS1_3gpuE3ELNS1_3repE0EEENS1_30default_config_static_selectorELNS0_4arch9wavefront6targetE0EEEvSW_.has_dyn_sized_stack, 0
	.set _ZN7rocprim17ROCPRIM_400000_NS6detail17trampoline_kernelINS0_14default_configENS1_27upper_bound_config_selectorIjlEEZNS1_14transform_implILb0ES3_S5_N6thrust23THRUST_200600_302600_NS6detail15normal_iteratorINS8_7pointerIjNS8_11hip_rocprim5par_tENS8_11use_defaultESE_EEEENSA_INSB_IlSD_SE_SE_EEEEZNS1_13binary_searchIS3_S5_PjSG_SI_NS1_21upper_bound_search_opENS9_16wrapped_functionINS8_6system6detail7generic6detail18binary_search_lessEbEEEE10hipError_tPvRmT1_T2_T3_mmT4_T5_P12ihipStream_tbEUlRKjE_EEST_SX_SY_mSZ_S12_bEUlT_E_NS1_11comp_targetILNS1_3genE9ELNS1_11target_archE1100ELNS1_3gpuE3ELNS1_3repE0EEENS1_30default_config_static_selectorELNS0_4arch9wavefront6targetE0EEEvSW_.has_recursion, 0
	.set _ZN7rocprim17ROCPRIM_400000_NS6detail17trampoline_kernelINS0_14default_configENS1_27upper_bound_config_selectorIjlEEZNS1_14transform_implILb0ES3_S5_N6thrust23THRUST_200600_302600_NS6detail15normal_iteratorINS8_7pointerIjNS8_11hip_rocprim5par_tENS8_11use_defaultESE_EEEENSA_INSB_IlSD_SE_SE_EEEEZNS1_13binary_searchIS3_S5_PjSG_SI_NS1_21upper_bound_search_opENS9_16wrapped_functionINS8_6system6detail7generic6detail18binary_search_lessEbEEEE10hipError_tPvRmT1_T2_T3_mmT4_T5_P12ihipStream_tbEUlRKjE_EEST_SX_SY_mSZ_S12_bEUlT_E_NS1_11comp_targetILNS1_3genE9ELNS1_11target_archE1100ELNS1_3gpuE3ELNS1_3repE0EEENS1_30default_config_static_selectorELNS0_4arch9wavefront6targetE0EEEvSW_.has_indirect_call, 0
	.section	.AMDGPU.csdata,"",@progbits
; Kernel info:
; codeLenInByte = 0
; TotalNumSgprs: 0
; NumVgprs: 0
; ScratchSize: 0
; MemoryBound: 0
; FloatMode: 240
; IeeeMode: 1
; LDSByteSize: 0 bytes/workgroup (compile time only)
; SGPRBlocks: 0
; VGPRBlocks: 0
; NumSGPRsForWavesPerEU: 1
; NumVGPRsForWavesPerEU: 1
; Occupancy: 16
; WaveLimiterHint : 0
; COMPUTE_PGM_RSRC2:SCRATCH_EN: 0
; COMPUTE_PGM_RSRC2:USER_SGPR: 6
; COMPUTE_PGM_RSRC2:TRAP_HANDLER: 0
; COMPUTE_PGM_RSRC2:TGID_X_EN: 1
; COMPUTE_PGM_RSRC2:TGID_Y_EN: 0
; COMPUTE_PGM_RSRC2:TGID_Z_EN: 0
; COMPUTE_PGM_RSRC2:TIDIG_COMP_CNT: 0
	.section	.text._ZN7rocprim17ROCPRIM_400000_NS6detail17trampoline_kernelINS0_14default_configENS1_27upper_bound_config_selectorIjlEEZNS1_14transform_implILb0ES3_S5_N6thrust23THRUST_200600_302600_NS6detail15normal_iteratorINS8_7pointerIjNS8_11hip_rocprim5par_tENS8_11use_defaultESE_EEEENSA_INSB_IlSD_SE_SE_EEEEZNS1_13binary_searchIS3_S5_PjSG_SI_NS1_21upper_bound_search_opENS9_16wrapped_functionINS8_6system6detail7generic6detail18binary_search_lessEbEEEE10hipError_tPvRmT1_T2_T3_mmT4_T5_P12ihipStream_tbEUlRKjE_EEST_SX_SY_mSZ_S12_bEUlT_E_NS1_11comp_targetILNS1_3genE8ELNS1_11target_archE1030ELNS1_3gpuE2ELNS1_3repE0EEENS1_30default_config_static_selectorELNS0_4arch9wavefront6targetE0EEEvSW_,"axG",@progbits,_ZN7rocprim17ROCPRIM_400000_NS6detail17trampoline_kernelINS0_14default_configENS1_27upper_bound_config_selectorIjlEEZNS1_14transform_implILb0ES3_S5_N6thrust23THRUST_200600_302600_NS6detail15normal_iteratorINS8_7pointerIjNS8_11hip_rocprim5par_tENS8_11use_defaultESE_EEEENSA_INSB_IlSD_SE_SE_EEEEZNS1_13binary_searchIS3_S5_PjSG_SI_NS1_21upper_bound_search_opENS9_16wrapped_functionINS8_6system6detail7generic6detail18binary_search_lessEbEEEE10hipError_tPvRmT1_T2_T3_mmT4_T5_P12ihipStream_tbEUlRKjE_EEST_SX_SY_mSZ_S12_bEUlT_E_NS1_11comp_targetILNS1_3genE8ELNS1_11target_archE1030ELNS1_3gpuE2ELNS1_3repE0EEENS1_30default_config_static_selectorELNS0_4arch9wavefront6targetE0EEEvSW_,comdat
	.protected	_ZN7rocprim17ROCPRIM_400000_NS6detail17trampoline_kernelINS0_14default_configENS1_27upper_bound_config_selectorIjlEEZNS1_14transform_implILb0ES3_S5_N6thrust23THRUST_200600_302600_NS6detail15normal_iteratorINS8_7pointerIjNS8_11hip_rocprim5par_tENS8_11use_defaultESE_EEEENSA_INSB_IlSD_SE_SE_EEEEZNS1_13binary_searchIS3_S5_PjSG_SI_NS1_21upper_bound_search_opENS9_16wrapped_functionINS8_6system6detail7generic6detail18binary_search_lessEbEEEE10hipError_tPvRmT1_T2_T3_mmT4_T5_P12ihipStream_tbEUlRKjE_EEST_SX_SY_mSZ_S12_bEUlT_E_NS1_11comp_targetILNS1_3genE8ELNS1_11target_archE1030ELNS1_3gpuE2ELNS1_3repE0EEENS1_30default_config_static_selectorELNS0_4arch9wavefront6targetE0EEEvSW_ ; -- Begin function _ZN7rocprim17ROCPRIM_400000_NS6detail17trampoline_kernelINS0_14default_configENS1_27upper_bound_config_selectorIjlEEZNS1_14transform_implILb0ES3_S5_N6thrust23THRUST_200600_302600_NS6detail15normal_iteratorINS8_7pointerIjNS8_11hip_rocprim5par_tENS8_11use_defaultESE_EEEENSA_INSB_IlSD_SE_SE_EEEEZNS1_13binary_searchIS3_S5_PjSG_SI_NS1_21upper_bound_search_opENS9_16wrapped_functionINS8_6system6detail7generic6detail18binary_search_lessEbEEEE10hipError_tPvRmT1_T2_T3_mmT4_T5_P12ihipStream_tbEUlRKjE_EEST_SX_SY_mSZ_S12_bEUlT_E_NS1_11comp_targetILNS1_3genE8ELNS1_11target_archE1030ELNS1_3gpuE2ELNS1_3repE0EEENS1_30default_config_static_selectorELNS0_4arch9wavefront6targetE0EEEvSW_
	.globl	_ZN7rocprim17ROCPRIM_400000_NS6detail17trampoline_kernelINS0_14default_configENS1_27upper_bound_config_selectorIjlEEZNS1_14transform_implILb0ES3_S5_N6thrust23THRUST_200600_302600_NS6detail15normal_iteratorINS8_7pointerIjNS8_11hip_rocprim5par_tENS8_11use_defaultESE_EEEENSA_INSB_IlSD_SE_SE_EEEEZNS1_13binary_searchIS3_S5_PjSG_SI_NS1_21upper_bound_search_opENS9_16wrapped_functionINS8_6system6detail7generic6detail18binary_search_lessEbEEEE10hipError_tPvRmT1_T2_T3_mmT4_T5_P12ihipStream_tbEUlRKjE_EEST_SX_SY_mSZ_S12_bEUlT_E_NS1_11comp_targetILNS1_3genE8ELNS1_11target_archE1030ELNS1_3gpuE2ELNS1_3repE0EEENS1_30default_config_static_selectorELNS0_4arch9wavefront6targetE0EEEvSW_
	.p2align	8
	.type	_ZN7rocprim17ROCPRIM_400000_NS6detail17trampoline_kernelINS0_14default_configENS1_27upper_bound_config_selectorIjlEEZNS1_14transform_implILb0ES3_S5_N6thrust23THRUST_200600_302600_NS6detail15normal_iteratorINS8_7pointerIjNS8_11hip_rocprim5par_tENS8_11use_defaultESE_EEEENSA_INSB_IlSD_SE_SE_EEEEZNS1_13binary_searchIS3_S5_PjSG_SI_NS1_21upper_bound_search_opENS9_16wrapped_functionINS8_6system6detail7generic6detail18binary_search_lessEbEEEE10hipError_tPvRmT1_T2_T3_mmT4_T5_P12ihipStream_tbEUlRKjE_EEST_SX_SY_mSZ_S12_bEUlT_E_NS1_11comp_targetILNS1_3genE8ELNS1_11target_archE1030ELNS1_3gpuE2ELNS1_3repE0EEENS1_30default_config_static_selectorELNS0_4arch9wavefront6targetE0EEEvSW_,@function
_ZN7rocprim17ROCPRIM_400000_NS6detail17trampoline_kernelINS0_14default_configENS1_27upper_bound_config_selectorIjlEEZNS1_14transform_implILb0ES3_S5_N6thrust23THRUST_200600_302600_NS6detail15normal_iteratorINS8_7pointerIjNS8_11hip_rocprim5par_tENS8_11use_defaultESE_EEEENSA_INSB_IlSD_SE_SE_EEEEZNS1_13binary_searchIS3_S5_PjSG_SI_NS1_21upper_bound_search_opENS9_16wrapped_functionINS8_6system6detail7generic6detail18binary_search_lessEbEEEE10hipError_tPvRmT1_T2_T3_mmT4_T5_P12ihipStream_tbEUlRKjE_EEST_SX_SY_mSZ_S12_bEUlT_E_NS1_11comp_targetILNS1_3genE8ELNS1_11target_archE1030ELNS1_3gpuE2ELNS1_3repE0EEENS1_30default_config_static_selectorELNS0_4arch9wavefront6targetE0EEEvSW_: ; @_ZN7rocprim17ROCPRIM_400000_NS6detail17trampoline_kernelINS0_14default_configENS1_27upper_bound_config_selectorIjlEEZNS1_14transform_implILb0ES3_S5_N6thrust23THRUST_200600_302600_NS6detail15normal_iteratorINS8_7pointerIjNS8_11hip_rocprim5par_tENS8_11use_defaultESE_EEEENSA_INSB_IlSD_SE_SE_EEEEZNS1_13binary_searchIS3_S5_PjSG_SI_NS1_21upper_bound_search_opENS9_16wrapped_functionINS8_6system6detail7generic6detail18binary_search_lessEbEEEE10hipError_tPvRmT1_T2_T3_mmT4_T5_P12ihipStream_tbEUlRKjE_EEST_SX_SY_mSZ_S12_bEUlT_E_NS1_11comp_targetILNS1_3genE8ELNS1_11target_archE1030ELNS1_3gpuE2ELNS1_3repE0EEENS1_30default_config_static_selectorELNS0_4arch9wavefront6targetE0EEEvSW_
; %bb.0:
	s_clause 0x3
	s_load_dwordx4 s[12:15], s[4:5], 0x0
	s_load_dwordx4 s[0:3], s[4:5], 0x18
	s_load_dword s16, s[4:5], 0x38
	s_load_dwordx2 s[10:11], s[4:5], 0x28
	s_waitcnt lgkmcnt(0)
	s_lshl_b64 s[8:9], s[14:15], 2
	s_add_u32 s12, s12, s8
	s_addc_u32 s13, s13, s9
	s_lshl_b64 s[8:9], s[14:15], 3
	s_add_u32 s7, s0, s8
	s_addc_u32 s1, s1, s9
	s_add_i32 s16, s16, -1
	s_lshl_b32 s8, s6, 8
	s_mov_b32 s9, 0
	s_cmp_lg_u32 s6, s16
	s_mov_b32 s0, -1
	s_cbranch_scc0 .LBB200_7
; %bb.1:
	s_cmp_eq_u64 s[10:11], 0
	s_cbranch_scc1 .LBB200_5
; %bb.2:
	v_lshlrev_b32_e32 v1, 2, v0
	s_lshl_b64 s[14:15], s[8:9], 2
	v_mov_b32_e32 v3, s10
	s_add_u32 s0, s12, s14
	s_addc_u32 s6, s13, s15
	v_add_co_u32 v1, s0, s0, v1
	v_add_co_ci_u32_e64 v2, null, s6, 0, s0
	v_mov_b32_e32 v4, s11
	s_mov_b32 s0, 0
	flat_load_dword v5, v[1:2]
	v_mov_b32_e32 v1, 0
	v_mov_b32_e32 v2, 0
	s_inst_prefetch 0x1
	.p2align	6
.LBB200_3:                              ; =>This Inner Loop Header: Depth=1
	v_sub_co_u32 v6, vcc_lo, v3, v1
	v_sub_co_ci_u32_e64 v7, null, v4, v2, vcc_lo
	v_lshrrev_b64 v[8:9], 1, v[6:7]
	v_lshrrev_b64 v[6:7], 6, v[6:7]
	v_add_co_u32 v8, vcc_lo, v8, v1
	v_add_co_ci_u32_e64 v9, null, v9, v2, vcc_lo
	v_add_co_u32 v6, vcc_lo, v8, v6
	v_add_co_ci_u32_e64 v7, null, v9, v7, vcc_lo
	v_lshlrev_b64 v[8:9], 2, v[6:7]
	v_add_co_u32 v8, vcc_lo, s2, v8
	v_add_co_ci_u32_e64 v9, null, s3, v9, vcc_lo
	global_load_dword v8, v[8:9], off
	v_add_co_u32 v9, vcc_lo, v6, 1
	v_add_co_ci_u32_e64 v10, null, 0, v7, vcc_lo
	s_waitcnt vmcnt(0) lgkmcnt(0)
	v_cmp_lt_u32_e32 vcc_lo, v5, v8
	v_cndmask_b32_e32 v4, v4, v7, vcc_lo
	v_cndmask_b32_e32 v3, v3, v6, vcc_lo
	;; [unrolled: 1-line block ×4, first 2 shown]
	v_cmp_ge_u64_e32 vcc_lo, v[1:2], v[3:4]
	s_or_b32 s0, vcc_lo, s0
	s_andn2_b32 exec_lo, exec_lo, s0
	s_cbranch_execnz .LBB200_3
; %bb.4:
	s_inst_prefetch 0x2
	s_or_b32 exec_lo, exec_lo, s0
	s_branch .LBB200_6
.LBB200_5:
	v_mov_b32_e32 v1, 0
	v_mov_b32_e32 v2, 0
.LBB200_6:
	v_lshlrev_b32_e32 v3, 3, v0
	s_lshl_b64 s[14:15], s[8:9], 3
	s_add_u32 s0, s7, s14
	s_addc_u32 s6, s1, s15
	v_add_co_u32 v3, s0, s0, v3
	v_add_co_ci_u32_e64 v4, null, s6, 0, s0
	s_mov_b32 s0, 0
	flat_store_dwordx2 v[3:4], v[1:2]
.LBB200_7:
	s_and_b32 vcc_lo, exec_lo, s0
	s_cbranch_vccz .LBB200_16
; %bb.8:
	s_load_dword s0, s[4:5], 0x10
                                        ; implicit-def: $vgpr5
	s_waitcnt lgkmcnt(0)
	s_sub_i32 s4, s0, s8
	v_cmp_le_u32_e64 s0, s4, v0
	v_cmp_gt_u32_e32 vcc_lo, s4, v0
	s_and_saveexec_b32 s4, vcc_lo
	s_cbranch_execz .LBB200_10
; %bb.9:
	v_lshlrev_b32_e32 v1, 2, v0
	s_lshl_b64 s[14:15], s[8:9], 2
	s_add_u32 s5, s12, s14
	s_addc_u32 s6, s13, s15
	v_add_co_u32 v1, s5, s5, v1
	v_add_co_ci_u32_e64 v2, null, s6, 0, s5
	flat_load_dword v5, v[1:2]
.LBB200_10:
	s_or_b32 exec_lo, exec_lo, s4
	s_cmp_lg_u64 s[10:11], 0
	v_mov_b32_e32 v1, 0
	v_mov_b32_e32 v2, 0
	s_cselect_b32 s4, -1, 0
	s_xor_b32 s0, s0, -1
	s_and_b32 s0, s0, s4
	s_and_saveexec_b32 s4, s0
	s_cbranch_execz .LBB200_14
; %bb.11:
	v_mov_b32_e32 v1, 0
	v_mov_b32_e32 v3, s10
	;; [unrolled: 1-line block ×4, first 2 shown]
	s_mov_b32 s5, 0
	s_inst_prefetch 0x1
	.p2align	6
.LBB200_12:                             ; =>This Inner Loop Header: Depth=1
	v_sub_co_u32 v6, s0, v3, v1
	v_sub_co_ci_u32_e64 v7, null, v4, v2, s0
	v_lshrrev_b64 v[8:9], 1, v[6:7]
	v_lshrrev_b64 v[6:7], 6, v[6:7]
	v_add_co_u32 v8, s0, v8, v1
	v_add_co_ci_u32_e64 v9, null, v9, v2, s0
	v_add_co_u32 v6, s0, v8, v6
	v_add_co_ci_u32_e64 v7, null, v9, v7, s0
	v_lshlrev_b64 v[8:9], 2, v[6:7]
	v_add_co_u32 v8, s0, s2, v8
	v_add_co_ci_u32_e64 v9, null, s3, v9, s0
	global_load_dword v8, v[8:9], off
	v_add_co_u32 v9, s0, v6, 1
	v_add_co_ci_u32_e64 v10, null, 0, v7, s0
	s_waitcnt vmcnt(0) lgkmcnt(0)
	v_cmp_lt_u32_e64 s0, v5, v8
	v_cndmask_b32_e64 v4, v4, v7, s0
	v_cndmask_b32_e64 v3, v3, v6, s0
	;; [unrolled: 1-line block ×4, first 2 shown]
	v_cmp_ge_u64_e64 s0, v[1:2], v[3:4]
	s_or_b32 s5, s0, s5
	s_andn2_b32 exec_lo, exec_lo, s5
	s_cbranch_execnz .LBB200_12
; %bb.13:
	s_inst_prefetch 0x2
	s_or_b32 exec_lo, exec_lo, s5
.LBB200_14:
	s_or_b32 exec_lo, exec_lo, s4
	s_and_saveexec_b32 s0, vcc_lo
	s_cbranch_execz .LBB200_16
; %bb.15:
	v_lshlrev_b32_e32 v0, 3, v0
	s_lshl_b64 s[2:3], s[8:9], 3
	s_add_u32 s0, s7, s2
	s_addc_u32 s1, s1, s3
	v_add_co_u32 v3, s0, s0, v0
	v_add_co_ci_u32_e64 v4, null, s1, 0, s0
	flat_store_dwordx2 v[3:4], v[1:2]
.LBB200_16:
	s_endpgm
	.section	.rodata,"a",@progbits
	.p2align	6, 0x0
	.amdhsa_kernel _ZN7rocprim17ROCPRIM_400000_NS6detail17trampoline_kernelINS0_14default_configENS1_27upper_bound_config_selectorIjlEEZNS1_14transform_implILb0ES3_S5_N6thrust23THRUST_200600_302600_NS6detail15normal_iteratorINS8_7pointerIjNS8_11hip_rocprim5par_tENS8_11use_defaultESE_EEEENSA_INSB_IlSD_SE_SE_EEEEZNS1_13binary_searchIS3_S5_PjSG_SI_NS1_21upper_bound_search_opENS9_16wrapped_functionINS8_6system6detail7generic6detail18binary_search_lessEbEEEE10hipError_tPvRmT1_T2_T3_mmT4_T5_P12ihipStream_tbEUlRKjE_EEST_SX_SY_mSZ_S12_bEUlT_E_NS1_11comp_targetILNS1_3genE8ELNS1_11target_archE1030ELNS1_3gpuE2ELNS1_3repE0EEENS1_30default_config_static_selectorELNS0_4arch9wavefront6targetE0EEEvSW_
		.amdhsa_group_segment_fixed_size 0
		.amdhsa_private_segment_fixed_size 0
		.amdhsa_kernarg_size 312
		.amdhsa_user_sgpr_count 6
		.amdhsa_user_sgpr_private_segment_buffer 1
		.amdhsa_user_sgpr_dispatch_ptr 0
		.amdhsa_user_sgpr_queue_ptr 0
		.amdhsa_user_sgpr_kernarg_segment_ptr 1
		.amdhsa_user_sgpr_dispatch_id 0
		.amdhsa_user_sgpr_flat_scratch_init 0
		.amdhsa_user_sgpr_private_segment_size 0
		.amdhsa_wavefront_size32 1
		.amdhsa_uses_dynamic_stack 0
		.amdhsa_system_sgpr_private_segment_wavefront_offset 0
		.amdhsa_system_sgpr_workgroup_id_x 1
		.amdhsa_system_sgpr_workgroup_id_y 0
		.amdhsa_system_sgpr_workgroup_id_z 0
		.amdhsa_system_sgpr_workgroup_info 0
		.amdhsa_system_vgpr_workitem_id 0
		.amdhsa_next_free_vgpr 11
		.amdhsa_next_free_sgpr 17
		.amdhsa_reserve_vcc 1
		.amdhsa_reserve_flat_scratch 0
		.amdhsa_float_round_mode_32 0
		.amdhsa_float_round_mode_16_64 0
		.amdhsa_float_denorm_mode_32 3
		.amdhsa_float_denorm_mode_16_64 3
		.amdhsa_dx10_clamp 1
		.amdhsa_ieee_mode 1
		.amdhsa_fp16_overflow 0
		.amdhsa_workgroup_processor_mode 1
		.amdhsa_memory_ordered 1
		.amdhsa_forward_progress 1
		.amdhsa_shared_vgpr_count 0
		.amdhsa_exception_fp_ieee_invalid_op 0
		.amdhsa_exception_fp_denorm_src 0
		.amdhsa_exception_fp_ieee_div_zero 0
		.amdhsa_exception_fp_ieee_overflow 0
		.amdhsa_exception_fp_ieee_underflow 0
		.amdhsa_exception_fp_ieee_inexact 0
		.amdhsa_exception_int_div_zero 0
	.end_amdhsa_kernel
	.section	.text._ZN7rocprim17ROCPRIM_400000_NS6detail17trampoline_kernelINS0_14default_configENS1_27upper_bound_config_selectorIjlEEZNS1_14transform_implILb0ES3_S5_N6thrust23THRUST_200600_302600_NS6detail15normal_iteratorINS8_7pointerIjNS8_11hip_rocprim5par_tENS8_11use_defaultESE_EEEENSA_INSB_IlSD_SE_SE_EEEEZNS1_13binary_searchIS3_S5_PjSG_SI_NS1_21upper_bound_search_opENS9_16wrapped_functionINS8_6system6detail7generic6detail18binary_search_lessEbEEEE10hipError_tPvRmT1_T2_T3_mmT4_T5_P12ihipStream_tbEUlRKjE_EEST_SX_SY_mSZ_S12_bEUlT_E_NS1_11comp_targetILNS1_3genE8ELNS1_11target_archE1030ELNS1_3gpuE2ELNS1_3repE0EEENS1_30default_config_static_selectorELNS0_4arch9wavefront6targetE0EEEvSW_,"axG",@progbits,_ZN7rocprim17ROCPRIM_400000_NS6detail17trampoline_kernelINS0_14default_configENS1_27upper_bound_config_selectorIjlEEZNS1_14transform_implILb0ES3_S5_N6thrust23THRUST_200600_302600_NS6detail15normal_iteratorINS8_7pointerIjNS8_11hip_rocprim5par_tENS8_11use_defaultESE_EEEENSA_INSB_IlSD_SE_SE_EEEEZNS1_13binary_searchIS3_S5_PjSG_SI_NS1_21upper_bound_search_opENS9_16wrapped_functionINS8_6system6detail7generic6detail18binary_search_lessEbEEEE10hipError_tPvRmT1_T2_T3_mmT4_T5_P12ihipStream_tbEUlRKjE_EEST_SX_SY_mSZ_S12_bEUlT_E_NS1_11comp_targetILNS1_3genE8ELNS1_11target_archE1030ELNS1_3gpuE2ELNS1_3repE0EEENS1_30default_config_static_selectorELNS0_4arch9wavefront6targetE0EEEvSW_,comdat
.Lfunc_end200:
	.size	_ZN7rocprim17ROCPRIM_400000_NS6detail17trampoline_kernelINS0_14default_configENS1_27upper_bound_config_selectorIjlEEZNS1_14transform_implILb0ES3_S5_N6thrust23THRUST_200600_302600_NS6detail15normal_iteratorINS8_7pointerIjNS8_11hip_rocprim5par_tENS8_11use_defaultESE_EEEENSA_INSB_IlSD_SE_SE_EEEEZNS1_13binary_searchIS3_S5_PjSG_SI_NS1_21upper_bound_search_opENS9_16wrapped_functionINS8_6system6detail7generic6detail18binary_search_lessEbEEEE10hipError_tPvRmT1_T2_T3_mmT4_T5_P12ihipStream_tbEUlRKjE_EEST_SX_SY_mSZ_S12_bEUlT_E_NS1_11comp_targetILNS1_3genE8ELNS1_11target_archE1030ELNS1_3gpuE2ELNS1_3repE0EEENS1_30default_config_static_selectorELNS0_4arch9wavefront6targetE0EEEvSW_, .Lfunc_end200-_ZN7rocprim17ROCPRIM_400000_NS6detail17trampoline_kernelINS0_14default_configENS1_27upper_bound_config_selectorIjlEEZNS1_14transform_implILb0ES3_S5_N6thrust23THRUST_200600_302600_NS6detail15normal_iteratorINS8_7pointerIjNS8_11hip_rocprim5par_tENS8_11use_defaultESE_EEEENSA_INSB_IlSD_SE_SE_EEEEZNS1_13binary_searchIS3_S5_PjSG_SI_NS1_21upper_bound_search_opENS9_16wrapped_functionINS8_6system6detail7generic6detail18binary_search_lessEbEEEE10hipError_tPvRmT1_T2_T3_mmT4_T5_P12ihipStream_tbEUlRKjE_EEST_SX_SY_mSZ_S12_bEUlT_E_NS1_11comp_targetILNS1_3genE8ELNS1_11target_archE1030ELNS1_3gpuE2ELNS1_3repE0EEENS1_30default_config_static_selectorELNS0_4arch9wavefront6targetE0EEEvSW_
                                        ; -- End function
	.set _ZN7rocprim17ROCPRIM_400000_NS6detail17trampoline_kernelINS0_14default_configENS1_27upper_bound_config_selectorIjlEEZNS1_14transform_implILb0ES3_S5_N6thrust23THRUST_200600_302600_NS6detail15normal_iteratorINS8_7pointerIjNS8_11hip_rocprim5par_tENS8_11use_defaultESE_EEEENSA_INSB_IlSD_SE_SE_EEEEZNS1_13binary_searchIS3_S5_PjSG_SI_NS1_21upper_bound_search_opENS9_16wrapped_functionINS8_6system6detail7generic6detail18binary_search_lessEbEEEE10hipError_tPvRmT1_T2_T3_mmT4_T5_P12ihipStream_tbEUlRKjE_EEST_SX_SY_mSZ_S12_bEUlT_E_NS1_11comp_targetILNS1_3genE8ELNS1_11target_archE1030ELNS1_3gpuE2ELNS1_3repE0EEENS1_30default_config_static_selectorELNS0_4arch9wavefront6targetE0EEEvSW_.num_vgpr, 11
	.set _ZN7rocprim17ROCPRIM_400000_NS6detail17trampoline_kernelINS0_14default_configENS1_27upper_bound_config_selectorIjlEEZNS1_14transform_implILb0ES3_S5_N6thrust23THRUST_200600_302600_NS6detail15normal_iteratorINS8_7pointerIjNS8_11hip_rocprim5par_tENS8_11use_defaultESE_EEEENSA_INSB_IlSD_SE_SE_EEEEZNS1_13binary_searchIS3_S5_PjSG_SI_NS1_21upper_bound_search_opENS9_16wrapped_functionINS8_6system6detail7generic6detail18binary_search_lessEbEEEE10hipError_tPvRmT1_T2_T3_mmT4_T5_P12ihipStream_tbEUlRKjE_EEST_SX_SY_mSZ_S12_bEUlT_E_NS1_11comp_targetILNS1_3genE8ELNS1_11target_archE1030ELNS1_3gpuE2ELNS1_3repE0EEENS1_30default_config_static_selectorELNS0_4arch9wavefront6targetE0EEEvSW_.num_agpr, 0
	.set _ZN7rocprim17ROCPRIM_400000_NS6detail17trampoline_kernelINS0_14default_configENS1_27upper_bound_config_selectorIjlEEZNS1_14transform_implILb0ES3_S5_N6thrust23THRUST_200600_302600_NS6detail15normal_iteratorINS8_7pointerIjNS8_11hip_rocprim5par_tENS8_11use_defaultESE_EEEENSA_INSB_IlSD_SE_SE_EEEEZNS1_13binary_searchIS3_S5_PjSG_SI_NS1_21upper_bound_search_opENS9_16wrapped_functionINS8_6system6detail7generic6detail18binary_search_lessEbEEEE10hipError_tPvRmT1_T2_T3_mmT4_T5_P12ihipStream_tbEUlRKjE_EEST_SX_SY_mSZ_S12_bEUlT_E_NS1_11comp_targetILNS1_3genE8ELNS1_11target_archE1030ELNS1_3gpuE2ELNS1_3repE0EEENS1_30default_config_static_selectorELNS0_4arch9wavefront6targetE0EEEvSW_.numbered_sgpr, 17
	.set _ZN7rocprim17ROCPRIM_400000_NS6detail17trampoline_kernelINS0_14default_configENS1_27upper_bound_config_selectorIjlEEZNS1_14transform_implILb0ES3_S5_N6thrust23THRUST_200600_302600_NS6detail15normal_iteratorINS8_7pointerIjNS8_11hip_rocprim5par_tENS8_11use_defaultESE_EEEENSA_INSB_IlSD_SE_SE_EEEEZNS1_13binary_searchIS3_S5_PjSG_SI_NS1_21upper_bound_search_opENS9_16wrapped_functionINS8_6system6detail7generic6detail18binary_search_lessEbEEEE10hipError_tPvRmT1_T2_T3_mmT4_T5_P12ihipStream_tbEUlRKjE_EEST_SX_SY_mSZ_S12_bEUlT_E_NS1_11comp_targetILNS1_3genE8ELNS1_11target_archE1030ELNS1_3gpuE2ELNS1_3repE0EEENS1_30default_config_static_selectorELNS0_4arch9wavefront6targetE0EEEvSW_.num_named_barrier, 0
	.set _ZN7rocprim17ROCPRIM_400000_NS6detail17trampoline_kernelINS0_14default_configENS1_27upper_bound_config_selectorIjlEEZNS1_14transform_implILb0ES3_S5_N6thrust23THRUST_200600_302600_NS6detail15normal_iteratorINS8_7pointerIjNS8_11hip_rocprim5par_tENS8_11use_defaultESE_EEEENSA_INSB_IlSD_SE_SE_EEEEZNS1_13binary_searchIS3_S5_PjSG_SI_NS1_21upper_bound_search_opENS9_16wrapped_functionINS8_6system6detail7generic6detail18binary_search_lessEbEEEE10hipError_tPvRmT1_T2_T3_mmT4_T5_P12ihipStream_tbEUlRKjE_EEST_SX_SY_mSZ_S12_bEUlT_E_NS1_11comp_targetILNS1_3genE8ELNS1_11target_archE1030ELNS1_3gpuE2ELNS1_3repE0EEENS1_30default_config_static_selectorELNS0_4arch9wavefront6targetE0EEEvSW_.private_seg_size, 0
	.set _ZN7rocprim17ROCPRIM_400000_NS6detail17trampoline_kernelINS0_14default_configENS1_27upper_bound_config_selectorIjlEEZNS1_14transform_implILb0ES3_S5_N6thrust23THRUST_200600_302600_NS6detail15normal_iteratorINS8_7pointerIjNS8_11hip_rocprim5par_tENS8_11use_defaultESE_EEEENSA_INSB_IlSD_SE_SE_EEEEZNS1_13binary_searchIS3_S5_PjSG_SI_NS1_21upper_bound_search_opENS9_16wrapped_functionINS8_6system6detail7generic6detail18binary_search_lessEbEEEE10hipError_tPvRmT1_T2_T3_mmT4_T5_P12ihipStream_tbEUlRKjE_EEST_SX_SY_mSZ_S12_bEUlT_E_NS1_11comp_targetILNS1_3genE8ELNS1_11target_archE1030ELNS1_3gpuE2ELNS1_3repE0EEENS1_30default_config_static_selectorELNS0_4arch9wavefront6targetE0EEEvSW_.uses_vcc, 1
	.set _ZN7rocprim17ROCPRIM_400000_NS6detail17trampoline_kernelINS0_14default_configENS1_27upper_bound_config_selectorIjlEEZNS1_14transform_implILb0ES3_S5_N6thrust23THRUST_200600_302600_NS6detail15normal_iteratorINS8_7pointerIjNS8_11hip_rocprim5par_tENS8_11use_defaultESE_EEEENSA_INSB_IlSD_SE_SE_EEEEZNS1_13binary_searchIS3_S5_PjSG_SI_NS1_21upper_bound_search_opENS9_16wrapped_functionINS8_6system6detail7generic6detail18binary_search_lessEbEEEE10hipError_tPvRmT1_T2_T3_mmT4_T5_P12ihipStream_tbEUlRKjE_EEST_SX_SY_mSZ_S12_bEUlT_E_NS1_11comp_targetILNS1_3genE8ELNS1_11target_archE1030ELNS1_3gpuE2ELNS1_3repE0EEENS1_30default_config_static_selectorELNS0_4arch9wavefront6targetE0EEEvSW_.uses_flat_scratch, 0
	.set _ZN7rocprim17ROCPRIM_400000_NS6detail17trampoline_kernelINS0_14default_configENS1_27upper_bound_config_selectorIjlEEZNS1_14transform_implILb0ES3_S5_N6thrust23THRUST_200600_302600_NS6detail15normal_iteratorINS8_7pointerIjNS8_11hip_rocprim5par_tENS8_11use_defaultESE_EEEENSA_INSB_IlSD_SE_SE_EEEEZNS1_13binary_searchIS3_S5_PjSG_SI_NS1_21upper_bound_search_opENS9_16wrapped_functionINS8_6system6detail7generic6detail18binary_search_lessEbEEEE10hipError_tPvRmT1_T2_T3_mmT4_T5_P12ihipStream_tbEUlRKjE_EEST_SX_SY_mSZ_S12_bEUlT_E_NS1_11comp_targetILNS1_3genE8ELNS1_11target_archE1030ELNS1_3gpuE2ELNS1_3repE0EEENS1_30default_config_static_selectorELNS0_4arch9wavefront6targetE0EEEvSW_.has_dyn_sized_stack, 0
	.set _ZN7rocprim17ROCPRIM_400000_NS6detail17trampoline_kernelINS0_14default_configENS1_27upper_bound_config_selectorIjlEEZNS1_14transform_implILb0ES3_S5_N6thrust23THRUST_200600_302600_NS6detail15normal_iteratorINS8_7pointerIjNS8_11hip_rocprim5par_tENS8_11use_defaultESE_EEEENSA_INSB_IlSD_SE_SE_EEEEZNS1_13binary_searchIS3_S5_PjSG_SI_NS1_21upper_bound_search_opENS9_16wrapped_functionINS8_6system6detail7generic6detail18binary_search_lessEbEEEE10hipError_tPvRmT1_T2_T3_mmT4_T5_P12ihipStream_tbEUlRKjE_EEST_SX_SY_mSZ_S12_bEUlT_E_NS1_11comp_targetILNS1_3genE8ELNS1_11target_archE1030ELNS1_3gpuE2ELNS1_3repE0EEENS1_30default_config_static_selectorELNS0_4arch9wavefront6targetE0EEEvSW_.has_recursion, 0
	.set _ZN7rocprim17ROCPRIM_400000_NS6detail17trampoline_kernelINS0_14default_configENS1_27upper_bound_config_selectorIjlEEZNS1_14transform_implILb0ES3_S5_N6thrust23THRUST_200600_302600_NS6detail15normal_iteratorINS8_7pointerIjNS8_11hip_rocprim5par_tENS8_11use_defaultESE_EEEENSA_INSB_IlSD_SE_SE_EEEEZNS1_13binary_searchIS3_S5_PjSG_SI_NS1_21upper_bound_search_opENS9_16wrapped_functionINS8_6system6detail7generic6detail18binary_search_lessEbEEEE10hipError_tPvRmT1_T2_T3_mmT4_T5_P12ihipStream_tbEUlRKjE_EEST_SX_SY_mSZ_S12_bEUlT_E_NS1_11comp_targetILNS1_3genE8ELNS1_11target_archE1030ELNS1_3gpuE2ELNS1_3repE0EEENS1_30default_config_static_selectorELNS0_4arch9wavefront6targetE0EEEvSW_.has_indirect_call, 0
	.section	.AMDGPU.csdata,"",@progbits
; Kernel info:
; codeLenInByte = 816
; TotalNumSgprs: 19
; NumVgprs: 11
; ScratchSize: 0
; MemoryBound: 0
; FloatMode: 240
; IeeeMode: 1
; LDSByteSize: 0 bytes/workgroup (compile time only)
; SGPRBlocks: 0
; VGPRBlocks: 1
; NumSGPRsForWavesPerEU: 19
; NumVGPRsForWavesPerEU: 11
; Occupancy: 16
; WaveLimiterHint : 0
; COMPUTE_PGM_RSRC2:SCRATCH_EN: 0
; COMPUTE_PGM_RSRC2:USER_SGPR: 6
; COMPUTE_PGM_RSRC2:TRAP_HANDLER: 0
; COMPUTE_PGM_RSRC2:TGID_X_EN: 1
; COMPUTE_PGM_RSRC2:TGID_Y_EN: 0
; COMPUTE_PGM_RSRC2:TGID_Z_EN: 0
; COMPUTE_PGM_RSRC2:TIDIG_COMP_CNT: 0
	.section	.text._Z18upper_bound_kernelItEvmPT_Pl,"axG",@progbits,_Z18upper_bound_kernelItEvmPT_Pl,comdat
	.protected	_Z18upper_bound_kernelItEvmPT_Pl ; -- Begin function _Z18upper_bound_kernelItEvmPT_Pl
	.globl	_Z18upper_bound_kernelItEvmPT_Pl
	.p2align	8
	.type	_Z18upper_bound_kernelItEvmPT_Pl,@function
_Z18upper_bound_kernelItEvmPT_Pl:       ; @_Z18upper_bound_kernelItEvmPT_Pl
; %bb.0:
	s_clause 0x1
	s_load_dwordx4 s[0:3], s[4:5], 0x0
	s_load_dwordx2 s[4:5], s[4:5], 0x10
	s_waitcnt lgkmcnt(0)
	s_lshl_b64 s[0:1], s[0:1], 1
	s_add_u32 s0, s2, s0
	s_addc_u32 s1, s3, s1
	s_sub_u32 s0, s0, s2
	s_subb_u32 s1, s1, s3
	s_ashr_i64 s[6:7], s[0:1], 1
	s_mov_b32 s1, -1
	v_cmp_lt_i64_e64 s0, s[6:7], 1
	s_and_b32 s0, exec_lo, s0
	s_mov_b32 vcc_lo, s0
	s_cbranch_vccz .LBB201_2
; %bb.1:
	v_mov_b32_e32 v0, 0
	s_mov_b32 s1, 0
	v_mov_b32_e32 v1, v0
	global_store_dwordx2 v0, v[0:1], s[4:5]
.LBB201_2:
	s_andn2_b32 vcc_lo, exec_lo, s1
	s_mov_b64 s[8:9], 0
	s_cbranch_vccnz .LBB201_7
; %bb.3:
	v_mov_b32_e32 v0, 0
	s_mov_b64 s[10:11], s[6:7]
	.p2align	6
.LBB201_4:                              ; =>This Inner Loop Header: Depth=1
	s_sub_u32 s12, s10, s8
	s_subb_u32 s13, s11, s9
	s_lshr_b64 s[12:13], s[12:13], 1
	s_add_u32 s12, s12, s8
	s_addc_u32 s13, s13, s9
	s_lshl_b64 s[14:15], s[12:13], 1
	s_add_u32 s14, s2, s14
	s_addc_u32 s15, s3, s15
	global_load_ushort v1, v0, s[14:15]
	s_waitcnt vmcnt(0)
	v_readfirstlane_b32 s1, v1
	s_and_b32 s1, 0xffff, s1
	s_add_u32 s14, s12, 1
	s_addc_u32 s15, s13, 0
	s_cmp_eq_u32 s1, 0
	s_cselect_b32 s9, s15, s9
	s_cselect_b32 s8, s14, s8
	;; [unrolled: 1-line block ×4, first 2 shown]
	v_cmp_lt_i64_e64 s1, s[8:9], s[10:11]
	s_and_b32 vcc_lo, exec_lo, s1
	s_cbranch_vccnz .LBB201_4
; %bb.5:
	s_lshl_b64 s[8:9], s[8:9], 1
	v_mov_b32_e32 v0, 0
	s_add_u32 s1, s2, s8
	s_addc_u32 s9, s3, s9
	s_sub_u32 s8, s1, s2
	s_subb_u32 s9, s9, s3
	s_mov_b64 s[10:11], s[6:7]
	s_ashr_i64 s[8:9], s[8:9], 1
	v_mov_b32_e32 v1, s8
	v_mov_b32_e32 v2, s9
	s_mov_b64 s[8:9], 0
	global_store_dwordx2 v0, v[1:2], s[4:5]
	.p2align	6
.LBB201_6:                              ; =>This Inner Loop Header: Depth=1
	s_sub_u32 s12, s10, s8
	s_subb_u32 s13, s11, s9
	s_lshr_b64 s[12:13], s[12:13], 1
	s_add_u32 s12, s12, s8
	s_addc_u32 s13, s13, s9
	s_lshl_b64 s[14:15], s[12:13], 1
	s_add_u32 s14, s2, s14
	s_addc_u32 s15, s3, s15
	global_load_ushort v1, v0, s[14:15]
	s_waitcnt vmcnt(0)
	v_readfirstlane_b32 s1, v1
	s_and_b32 s1, 0xffff, s1
	s_add_u32 s14, s12, 1
	s_addc_u32 s15, s13, 0
	s_cmp_gt_u32 s1, 1
	s_cselect_b32 s9, s9, s15
	s_cselect_b32 s8, s8, s14
	;; [unrolled: 1-line block ×4, first 2 shown]
	v_cmp_ge_i64_e64 s1, s[8:9], s[10:11]
	s_and_b32 vcc_lo, exec_lo, s1
	s_cbranch_vccz .LBB201_6
.LBB201_7:
	s_lshl_b64 s[8:9], s[8:9], 1
	v_mov_b32_e32 v0, 0
	s_add_u32 s1, s2, s8
	s_addc_u32 s9, s3, s9
	s_sub_u32 s8, s1, s2
	s_subb_u32 s9, s9, s3
	s_mov_b32 s1, -1
	s_ashr_i64 s[8:9], s[8:9], 1
	s_mov_b32 vcc_lo, s0
	v_mov_b32_e32 v1, s8
	v_mov_b32_e32 v2, s9
	global_store_dwordx2 v0, v[1:2], s[4:5] offset:8
	s_cbranch_vccz .LBB201_9
; %bb.8:
	v_mov_b32_e32 v1, v0
	s_mov_b32 s1, 0
	global_store_dwordx2 v0, v[0:1], s[4:5] offset:16
.LBB201_9:
	s_andn2_b32 vcc_lo, exec_lo, s1
	s_mov_b64 s[8:9], 0
	s_cbranch_vccnz .LBB201_14
; %bb.10:
	v_mov_b32_e32 v0, 0
	s_mov_b64 s[10:11], s[6:7]
	.p2align	6
.LBB201_11:                             ; =>This Inner Loop Header: Depth=1
	s_sub_u32 s12, s10, s8
	s_subb_u32 s13, s11, s9
	s_lshr_b64 s[12:13], s[12:13], 1
	s_add_u32 s12, s12, s8
	s_addc_u32 s13, s13, s9
	s_lshl_b64 s[14:15], s[12:13], 1
	s_add_u32 s14, s2, s14
	s_addc_u32 s15, s3, s15
	global_load_ushort v1, v0, s[14:15]
	s_waitcnt vmcnt(0)
	v_readfirstlane_b32 s1, v1
	s_and_b32 s1, 0xffff, s1
	s_add_u32 s14, s12, 1
	s_addc_u32 s15, s13, 0
	s_cmp_gt_u32 s1, 2
	s_cselect_b32 s9, s9, s15
	s_cselect_b32 s8, s8, s14
	s_cselect_b32 s11, s13, s11
	s_cselect_b32 s10, s12, s10
	v_cmp_lt_i64_e64 s1, s[8:9], s[10:11]
	s_and_b32 vcc_lo, exec_lo, s1
	s_cbranch_vccnz .LBB201_11
; %bb.12:
	s_lshl_b64 s[8:9], s[8:9], 1
	v_mov_b32_e32 v0, 0
	s_add_u32 s1, s2, s8
	s_addc_u32 s9, s3, s9
	s_sub_u32 s8, s1, s2
	s_subb_u32 s9, s9, s3
	s_mov_b64 s[10:11], s[6:7]
	s_ashr_i64 s[8:9], s[8:9], 1
	v_mov_b32_e32 v1, s8
	v_mov_b32_e32 v2, s9
	s_mov_b64 s[8:9], 0
	global_store_dwordx2 v0, v[1:2], s[4:5] offset:16
	.p2align	6
.LBB201_13:                             ; =>This Inner Loop Header: Depth=1
	s_sub_u32 s12, s10, s8
	s_subb_u32 s13, s11, s9
	s_lshr_b64 s[12:13], s[12:13], 1
	s_add_u32 s12, s12, s8
	s_addc_u32 s13, s13, s9
	s_lshl_b64 s[14:15], s[12:13], 1
	s_add_u32 s14, s2, s14
	s_addc_u32 s15, s3, s15
	global_load_ushort v1, v0, s[14:15]
	s_waitcnt vmcnt(0)
	v_readfirstlane_b32 s1, v1
	s_and_b32 s1, 0xffff, s1
	s_add_u32 s14, s12, 1
	s_addc_u32 s15, s13, 0
	s_cmp_gt_u32 s1, 3
	s_cselect_b32 s9, s9, s15
	s_cselect_b32 s8, s8, s14
	s_cselect_b32 s11, s13, s11
	s_cselect_b32 s10, s12, s10
	v_cmp_ge_i64_e64 s1, s[8:9], s[10:11]
	s_and_b32 vcc_lo, exec_lo, s1
	s_cbranch_vccz .LBB201_13
.LBB201_14:
	s_lshl_b64 s[8:9], s[8:9], 1
	v_mov_b32_e32 v0, 0
	s_add_u32 s1, s2, s8
	s_addc_u32 s9, s3, s9
	s_sub_u32 s8, s1, s2
	s_subb_u32 s9, s9, s3
	s_mov_b32 s1, -1
	s_ashr_i64 s[8:9], s[8:9], 1
	s_mov_b32 vcc_lo, s0
	v_mov_b32_e32 v1, s8
	v_mov_b32_e32 v2, s9
	global_store_dwordx2 v0, v[1:2], s[4:5] offset:24
	s_cbranch_vccz .LBB201_16
; %bb.15:
	v_mov_b32_e32 v1, v0
	s_mov_b32 s1, 0
	global_store_dwordx2 v0, v[0:1], s[4:5] offset:32
.LBB201_16:
	s_andn2_b32 vcc_lo, exec_lo, s1
	s_mov_b64 s[8:9], 0
	s_cbranch_vccnz .LBB201_21
; %bb.17:
	v_mov_b32_e32 v0, 0
	s_mov_b64 s[10:11], s[6:7]
	.p2align	6
.LBB201_18:                             ; =>This Inner Loop Header: Depth=1
	s_sub_u32 s12, s10, s8
	s_subb_u32 s13, s11, s9
	s_lshr_b64 s[12:13], s[12:13], 1
	s_add_u32 s12, s12, s8
	s_addc_u32 s13, s13, s9
	s_lshl_b64 s[14:15], s[12:13], 1
	s_add_u32 s14, s2, s14
	s_addc_u32 s15, s3, s15
	global_load_ushort v1, v0, s[14:15]
	s_waitcnt vmcnt(0)
	v_readfirstlane_b32 s1, v1
	s_and_b32 s1, 0xffff, s1
	s_add_u32 s14, s12, 1
	s_addc_u32 s15, s13, 0
	s_cmp_gt_u32 s1, 4
	s_cselect_b32 s9, s9, s15
	s_cselect_b32 s8, s8, s14
	s_cselect_b32 s11, s13, s11
	s_cselect_b32 s10, s12, s10
	v_cmp_lt_i64_e64 s1, s[8:9], s[10:11]
	s_and_b32 vcc_lo, exec_lo, s1
	s_cbranch_vccnz .LBB201_18
; %bb.19:
	s_lshl_b64 s[8:9], s[8:9], 1
	v_mov_b32_e32 v0, 0
	s_add_u32 s1, s2, s8
	s_addc_u32 s9, s3, s9
	s_sub_u32 s8, s1, s2
	s_subb_u32 s9, s9, s3
	s_mov_b64 s[10:11], s[6:7]
	s_ashr_i64 s[8:9], s[8:9], 1
	v_mov_b32_e32 v1, s8
	v_mov_b32_e32 v2, s9
	s_mov_b64 s[8:9], 0
	global_store_dwordx2 v0, v[1:2], s[4:5] offset:32
	.p2align	6
.LBB201_20:                             ; =>This Inner Loop Header: Depth=1
	s_sub_u32 s12, s10, s8
	s_subb_u32 s13, s11, s9
	s_lshr_b64 s[12:13], s[12:13], 1
	s_add_u32 s12, s12, s8
	s_addc_u32 s13, s13, s9
	s_lshl_b64 s[14:15], s[12:13], 1
	s_add_u32 s14, s2, s14
	s_addc_u32 s15, s3, s15
	global_load_ushort v1, v0, s[14:15]
	s_waitcnt vmcnt(0)
	v_readfirstlane_b32 s1, v1
	s_and_b32 s1, 0xffff, s1
	s_add_u32 s14, s12, 1
	s_addc_u32 s15, s13, 0
	s_cmp_gt_u32 s1, 5
	s_cselect_b32 s9, s9, s15
	s_cselect_b32 s8, s8, s14
	;; [unrolled: 1-line block ×4, first 2 shown]
	v_cmp_ge_i64_e64 s1, s[8:9], s[10:11]
	s_and_b32 vcc_lo, exec_lo, s1
	s_cbranch_vccz .LBB201_20
.LBB201_21:
	s_lshl_b64 s[8:9], s[8:9], 1
	v_mov_b32_e32 v0, 0
	s_add_u32 s1, s2, s8
	s_addc_u32 s9, s3, s9
	s_sub_u32 s8, s1, s2
	s_subb_u32 s9, s9, s3
	s_mov_b32 s1, -1
	s_ashr_i64 s[8:9], s[8:9], 1
	s_mov_b32 vcc_lo, s0
	v_mov_b32_e32 v1, s8
	v_mov_b32_e32 v2, s9
	global_store_dwordx2 v0, v[1:2], s[4:5] offset:40
	s_cbranch_vccz .LBB201_23
; %bb.22:
	v_mov_b32_e32 v1, v0
	s_mov_b32 s1, 0
	global_store_dwordx2 v0, v[0:1], s[4:5] offset:48
.LBB201_23:
	s_andn2_b32 vcc_lo, exec_lo, s1
	s_mov_b64 s[8:9], 0
	s_cbranch_vccnz .LBB201_28
; %bb.24:
	v_mov_b32_e32 v0, 0
	s_mov_b64 s[10:11], s[6:7]
	.p2align	6
.LBB201_25:                             ; =>This Inner Loop Header: Depth=1
	s_sub_u32 s12, s10, s8
	s_subb_u32 s13, s11, s9
	s_lshr_b64 s[12:13], s[12:13], 1
	s_add_u32 s12, s12, s8
	s_addc_u32 s13, s13, s9
	s_lshl_b64 s[14:15], s[12:13], 1
	s_add_u32 s14, s2, s14
	s_addc_u32 s15, s3, s15
	global_load_ushort v1, v0, s[14:15]
	s_waitcnt vmcnt(0)
	v_readfirstlane_b32 s1, v1
	s_and_b32 s1, 0xffff, s1
	s_add_u32 s14, s12, 1
	s_addc_u32 s15, s13, 0
	s_cmp_gt_u32 s1, 6
	s_cselect_b32 s9, s9, s15
	s_cselect_b32 s8, s8, s14
	;; [unrolled: 1-line block ×4, first 2 shown]
	v_cmp_lt_i64_e64 s1, s[8:9], s[10:11]
	s_and_b32 vcc_lo, exec_lo, s1
	s_cbranch_vccnz .LBB201_25
; %bb.26:
	s_lshl_b64 s[8:9], s[8:9], 1
	v_mov_b32_e32 v0, 0
	s_add_u32 s1, s2, s8
	s_addc_u32 s9, s3, s9
	s_sub_u32 s8, s1, s2
	s_subb_u32 s9, s9, s3
	s_mov_b64 s[10:11], s[6:7]
	s_ashr_i64 s[8:9], s[8:9], 1
	v_mov_b32_e32 v1, s8
	v_mov_b32_e32 v2, s9
	s_mov_b64 s[8:9], 0
	global_store_dwordx2 v0, v[1:2], s[4:5] offset:48
	.p2align	6
.LBB201_27:                             ; =>This Inner Loop Header: Depth=1
	s_sub_u32 s12, s10, s8
	s_subb_u32 s13, s11, s9
	s_lshr_b64 s[12:13], s[12:13], 1
	s_add_u32 s12, s12, s8
	s_addc_u32 s13, s13, s9
	s_lshl_b64 s[14:15], s[12:13], 1
	s_add_u32 s14, s2, s14
	s_addc_u32 s15, s3, s15
	global_load_ushort v1, v0, s[14:15]
	s_waitcnt vmcnt(0)
	v_readfirstlane_b32 s1, v1
	s_and_b32 s1, 0xffff, s1
	s_add_u32 s14, s12, 1
	s_addc_u32 s15, s13, 0
	s_cmp_gt_u32 s1, 7
	s_cselect_b32 s9, s9, s15
	s_cselect_b32 s8, s8, s14
	s_cselect_b32 s11, s13, s11
	s_cselect_b32 s10, s12, s10
	v_cmp_ge_i64_e64 s1, s[8:9], s[10:11]
	s_and_b32 vcc_lo, exec_lo, s1
	s_cbranch_vccz .LBB201_27
.LBB201_28:
	s_lshl_b64 s[8:9], s[8:9], 1
	v_mov_b32_e32 v0, 0
	s_add_u32 s1, s2, s8
	s_addc_u32 s9, s3, s9
	s_sub_u32 s8, s1, s2
	s_subb_u32 s9, s9, s3
	s_mov_b32 s1, -1
	s_ashr_i64 s[8:9], s[8:9], 1
	s_mov_b32 vcc_lo, s0
	v_mov_b32_e32 v1, s8
	v_mov_b32_e32 v2, s9
	global_store_dwordx2 v0, v[1:2], s[4:5] offset:56
	s_cbranch_vccz .LBB201_30
; %bb.29:
	v_mov_b32_e32 v1, v0
	s_mov_b32 s1, 0
	global_store_dwordx2 v0, v[0:1], s[4:5] offset:64
.LBB201_30:
	s_andn2_b32 vcc_lo, exec_lo, s1
	s_mov_b64 s[0:1], 0
	s_cbranch_vccnz .LBB201_35
; %bb.31:
	v_mov_b32_e32 v0, 0
	s_mov_b64 s[8:9], s[6:7]
	.p2align	6
.LBB201_32:                             ; =>This Inner Loop Header: Depth=1
	s_sub_u32 s10, s8, s0
	s_subb_u32 s11, s9, s1
	s_lshr_b64 s[10:11], s[10:11], 1
	s_add_u32 s10, s10, s0
	s_addc_u32 s11, s11, s1
	s_lshl_b64 s[12:13], s[10:11], 1
	s_add_u32 s12, s2, s12
	s_addc_u32 s13, s3, s13
	global_load_ushort v1, v0, s[12:13]
	s_waitcnt vmcnt(0)
	v_readfirstlane_b32 s12, v1
	s_and_b32 s12, 0xffff, s12
	s_add_u32 s13, s10, 1
	s_addc_u32 s14, s11, 0
	s_cmp_gt_u32 s12, 8
	s_cselect_b32 s1, s1, s14
	s_cselect_b32 s0, s0, s13
	;; [unrolled: 1-line block ×4, first 2 shown]
	v_cmp_lt_i64_e64 s10, s[0:1], s[8:9]
	s_and_b32 vcc_lo, exec_lo, s10
	s_cbranch_vccnz .LBB201_32
; %bb.33:
	s_lshl_b64 s[0:1], s[0:1], 1
	v_mov_b32_e32 v0, 0
	s_add_u32 s0, s2, s0
	s_addc_u32 s1, s3, s1
	s_sub_u32 s0, s0, s2
	s_subb_u32 s1, s1, s3
	s_ashr_i64 s[0:1], s[0:1], 1
	v_mov_b32_e32 v2, s1
	v_mov_b32_e32 v1, s0
	s_mov_b64 s[0:1], 0
	global_store_dwordx2 v0, v[1:2], s[4:5] offset:64
	.p2align	6
.LBB201_34:                             ; =>This Inner Loop Header: Depth=1
	s_sub_u32 s8, s6, s0
	s_subb_u32 s9, s7, s1
	s_lshr_b64 s[8:9], s[8:9], 1
	s_add_u32 s8, s8, s0
	s_addc_u32 s9, s9, s1
	s_lshl_b64 s[10:11], s[8:9], 1
	s_add_u32 s10, s2, s10
	s_addc_u32 s11, s3, s11
	global_load_ushort v1, v0, s[10:11]
	s_waitcnt vmcnt(0)
	v_readfirstlane_b32 s10, v1
	s_and_b32 s10, 0xffff, s10
	s_add_u32 s11, s8, 1
	s_addc_u32 s12, s9, 0
	s_cmp_gt_u32 s10, 9
	s_cselect_b32 s1, s1, s12
	s_cselect_b32 s0, s0, s11
	;; [unrolled: 1-line block ×4, first 2 shown]
	v_cmp_ge_i64_e64 s8, s[0:1], s[6:7]
	s_and_b32 vcc_lo, exec_lo, s8
	s_cbranch_vccz .LBB201_34
.LBB201_35:
	s_lshl_b64 s[0:1], s[0:1], 1
	v_mov_b32_e32 v2, 0
	s_add_u32 s0, s2, s0
	s_addc_u32 s1, s3, s1
	s_sub_u32 s0, s0, s2
	s_subb_u32 s1, s1, s3
	s_ashr_i64 s[0:1], s[0:1], 1
	v_mov_b32_e32 v0, s0
	v_mov_b32_e32 v1, s1
	global_store_dwordx2 v2, v[0:1], s[4:5] offset:72
	s_endpgm
	.section	.rodata,"a",@progbits
	.p2align	6, 0x0
	.amdhsa_kernel _Z18upper_bound_kernelItEvmPT_Pl
		.amdhsa_group_segment_fixed_size 0
		.amdhsa_private_segment_fixed_size 0
		.amdhsa_kernarg_size 24
		.amdhsa_user_sgpr_count 6
		.amdhsa_user_sgpr_private_segment_buffer 1
		.amdhsa_user_sgpr_dispatch_ptr 0
		.amdhsa_user_sgpr_queue_ptr 0
		.amdhsa_user_sgpr_kernarg_segment_ptr 1
		.amdhsa_user_sgpr_dispatch_id 0
		.amdhsa_user_sgpr_flat_scratch_init 0
		.amdhsa_user_sgpr_private_segment_size 0
		.amdhsa_wavefront_size32 1
		.amdhsa_uses_dynamic_stack 0
		.amdhsa_system_sgpr_private_segment_wavefront_offset 0
		.amdhsa_system_sgpr_workgroup_id_x 1
		.amdhsa_system_sgpr_workgroup_id_y 0
		.amdhsa_system_sgpr_workgroup_id_z 0
		.amdhsa_system_sgpr_workgroup_info 0
		.amdhsa_system_vgpr_workitem_id 0
		.amdhsa_next_free_vgpr 3
		.amdhsa_next_free_sgpr 16
		.amdhsa_reserve_vcc 1
		.amdhsa_reserve_flat_scratch 0
		.amdhsa_float_round_mode_32 0
		.amdhsa_float_round_mode_16_64 0
		.amdhsa_float_denorm_mode_32 3
		.amdhsa_float_denorm_mode_16_64 3
		.amdhsa_dx10_clamp 1
		.amdhsa_ieee_mode 1
		.amdhsa_fp16_overflow 0
		.amdhsa_workgroup_processor_mode 1
		.amdhsa_memory_ordered 1
		.amdhsa_forward_progress 1
		.amdhsa_shared_vgpr_count 0
		.amdhsa_exception_fp_ieee_invalid_op 0
		.amdhsa_exception_fp_denorm_src 0
		.amdhsa_exception_fp_ieee_div_zero 0
		.amdhsa_exception_fp_ieee_overflow 0
		.amdhsa_exception_fp_ieee_underflow 0
		.amdhsa_exception_fp_ieee_inexact 0
		.amdhsa_exception_int_div_zero 0
	.end_amdhsa_kernel
	.section	.text._Z18upper_bound_kernelItEvmPT_Pl,"axG",@progbits,_Z18upper_bound_kernelItEvmPT_Pl,comdat
.Lfunc_end201:
	.size	_Z18upper_bound_kernelItEvmPT_Pl, .Lfunc_end201-_Z18upper_bound_kernelItEvmPT_Pl
                                        ; -- End function
	.set _Z18upper_bound_kernelItEvmPT_Pl.num_vgpr, 3
	.set _Z18upper_bound_kernelItEvmPT_Pl.num_agpr, 0
	.set _Z18upper_bound_kernelItEvmPT_Pl.numbered_sgpr, 16
	.set _Z18upper_bound_kernelItEvmPT_Pl.num_named_barrier, 0
	.set _Z18upper_bound_kernelItEvmPT_Pl.private_seg_size, 0
	.set _Z18upper_bound_kernelItEvmPT_Pl.uses_vcc, 1
	.set _Z18upper_bound_kernelItEvmPT_Pl.uses_flat_scratch, 0
	.set _Z18upper_bound_kernelItEvmPT_Pl.has_dyn_sized_stack, 0
	.set _Z18upper_bound_kernelItEvmPT_Pl.has_recursion, 0
	.set _Z18upper_bound_kernelItEvmPT_Pl.has_indirect_call, 0
	.section	.AMDGPU.csdata,"",@progbits
; Kernel info:
; codeLenInByte = 2004
; TotalNumSgprs: 18
; NumVgprs: 3
; ScratchSize: 0
; MemoryBound: 0
; FloatMode: 240
; IeeeMode: 1
; LDSByteSize: 0 bytes/workgroup (compile time only)
; SGPRBlocks: 0
; VGPRBlocks: 0
; NumSGPRsForWavesPerEU: 18
; NumVGPRsForWavesPerEU: 3
; Occupancy: 16
; WaveLimiterHint : 0
; COMPUTE_PGM_RSRC2:SCRATCH_EN: 0
; COMPUTE_PGM_RSRC2:USER_SGPR: 6
; COMPUTE_PGM_RSRC2:TRAP_HANDLER: 0
; COMPUTE_PGM_RSRC2:TGID_X_EN: 1
; COMPUTE_PGM_RSRC2:TGID_Y_EN: 0
; COMPUTE_PGM_RSRC2:TGID_Z_EN: 0
; COMPUTE_PGM_RSRC2:TIDIG_COMP_CNT: 0
	.section	.text._ZN7rocprim17ROCPRIM_400000_NS6detail17trampoline_kernelINS0_14default_configENS1_27upper_bound_config_selectorItlEEZNS1_14transform_implILb0ES3_S5_N6thrust23THRUST_200600_302600_NS6detail15normal_iteratorINS8_7pointerItNS8_11hip_rocprim5par_tENS8_11use_defaultESE_EEEENSA_INSB_IlSD_SE_SE_EEEEZNS1_13binary_searchIS3_S5_PtSG_SI_NS1_21upper_bound_search_opENS9_16wrapped_functionINS8_6system6detail7generic6detail18binary_search_lessEbEEEE10hipError_tPvRmT1_T2_T3_mmT4_T5_P12ihipStream_tbEUlRKtE_EEST_SX_SY_mSZ_S12_bEUlT_E_NS1_11comp_targetILNS1_3genE0ELNS1_11target_archE4294967295ELNS1_3gpuE0ELNS1_3repE0EEENS1_30default_config_static_selectorELNS0_4arch9wavefront6targetE0EEEvSW_,"axG",@progbits,_ZN7rocprim17ROCPRIM_400000_NS6detail17trampoline_kernelINS0_14default_configENS1_27upper_bound_config_selectorItlEEZNS1_14transform_implILb0ES3_S5_N6thrust23THRUST_200600_302600_NS6detail15normal_iteratorINS8_7pointerItNS8_11hip_rocprim5par_tENS8_11use_defaultESE_EEEENSA_INSB_IlSD_SE_SE_EEEEZNS1_13binary_searchIS3_S5_PtSG_SI_NS1_21upper_bound_search_opENS9_16wrapped_functionINS8_6system6detail7generic6detail18binary_search_lessEbEEEE10hipError_tPvRmT1_T2_T3_mmT4_T5_P12ihipStream_tbEUlRKtE_EEST_SX_SY_mSZ_S12_bEUlT_E_NS1_11comp_targetILNS1_3genE0ELNS1_11target_archE4294967295ELNS1_3gpuE0ELNS1_3repE0EEENS1_30default_config_static_selectorELNS0_4arch9wavefront6targetE0EEEvSW_,comdat
	.protected	_ZN7rocprim17ROCPRIM_400000_NS6detail17trampoline_kernelINS0_14default_configENS1_27upper_bound_config_selectorItlEEZNS1_14transform_implILb0ES3_S5_N6thrust23THRUST_200600_302600_NS6detail15normal_iteratorINS8_7pointerItNS8_11hip_rocprim5par_tENS8_11use_defaultESE_EEEENSA_INSB_IlSD_SE_SE_EEEEZNS1_13binary_searchIS3_S5_PtSG_SI_NS1_21upper_bound_search_opENS9_16wrapped_functionINS8_6system6detail7generic6detail18binary_search_lessEbEEEE10hipError_tPvRmT1_T2_T3_mmT4_T5_P12ihipStream_tbEUlRKtE_EEST_SX_SY_mSZ_S12_bEUlT_E_NS1_11comp_targetILNS1_3genE0ELNS1_11target_archE4294967295ELNS1_3gpuE0ELNS1_3repE0EEENS1_30default_config_static_selectorELNS0_4arch9wavefront6targetE0EEEvSW_ ; -- Begin function _ZN7rocprim17ROCPRIM_400000_NS6detail17trampoline_kernelINS0_14default_configENS1_27upper_bound_config_selectorItlEEZNS1_14transform_implILb0ES3_S5_N6thrust23THRUST_200600_302600_NS6detail15normal_iteratorINS8_7pointerItNS8_11hip_rocprim5par_tENS8_11use_defaultESE_EEEENSA_INSB_IlSD_SE_SE_EEEEZNS1_13binary_searchIS3_S5_PtSG_SI_NS1_21upper_bound_search_opENS9_16wrapped_functionINS8_6system6detail7generic6detail18binary_search_lessEbEEEE10hipError_tPvRmT1_T2_T3_mmT4_T5_P12ihipStream_tbEUlRKtE_EEST_SX_SY_mSZ_S12_bEUlT_E_NS1_11comp_targetILNS1_3genE0ELNS1_11target_archE4294967295ELNS1_3gpuE0ELNS1_3repE0EEENS1_30default_config_static_selectorELNS0_4arch9wavefront6targetE0EEEvSW_
	.globl	_ZN7rocprim17ROCPRIM_400000_NS6detail17trampoline_kernelINS0_14default_configENS1_27upper_bound_config_selectorItlEEZNS1_14transform_implILb0ES3_S5_N6thrust23THRUST_200600_302600_NS6detail15normal_iteratorINS8_7pointerItNS8_11hip_rocprim5par_tENS8_11use_defaultESE_EEEENSA_INSB_IlSD_SE_SE_EEEEZNS1_13binary_searchIS3_S5_PtSG_SI_NS1_21upper_bound_search_opENS9_16wrapped_functionINS8_6system6detail7generic6detail18binary_search_lessEbEEEE10hipError_tPvRmT1_T2_T3_mmT4_T5_P12ihipStream_tbEUlRKtE_EEST_SX_SY_mSZ_S12_bEUlT_E_NS1_11comp_targetILNS1_3genE0ELNS1_11target_archE4294967295ELNS1_3gpuE0ELNS1_3repE0EEENS1_30default_config_static_selectorELNS0_4arch9wavefront6targetE0EEEvSW_
	.p2align	8
	.type	_ZN7rocprim17ROCPRIM_400000_NS6detail17trampoline_kernelINS0_14default_configENS1_27upper_bound_config_selectorItlEEZNS1_14transform_implILb0ES3_S5_N6thrust23THRUST_200600_302600_NS6detail15normal_iteratorINS8_7pointerItNS8_11hip_rocprim5par_tENS8_11use_defaultESE_EEEENSA_INSB_IlSD_SE_SE_EEEEZNS1_13binary_searchIS3_S5_PtSG_SI_NS1_21upper_bound_search_opENS9_16wrapped_functionINS8_6system6detail7generic6detail18binary_search_lessEbEEEE10hipError_tPvRmT1_T2_T3_mmT4_T5_P12ihipStream_tbEUlRKtE_EEST_SX_SY_mSZ_S12_bEUlT_E_NS1_11comp_targetILNS1_3genE0ELNS1_11target_archE4294967295ELNS1_3gpuE0ELNS1_3repE0EEENS1_30default_config_static_selectorELNS0_4arch9wavefront6targetE0EEEvSW_,@function
_ZN7rocprim17ROCPRIM_400000_NS6detail17trampoline_kernelINS0_14default_configENS1_27upper_bound_config_selectorItlEEZNS1_14transform_implILb0ES3_S5_N6thrust23THRUST_200600_302600_NS6detail15normal_iteratorINS8_7pointerItNS8_11hip_rocprim5par_tENS8_11use_defaultESE_EEEENSA_INSB_IlSD_SE_SE_EEEEZNS1_13binary_searchIS3_S5_PtSG_SI_NS1_21upper_bound_search_opENS9_16wrapped_functionINS8_6system6detail7generic6detail18binary_search_lessEbEEEE10hipError_tPvRmT1_T2_T3_mmT4_T5_P12ihipStream_tbEUlRKtE_EEST_SX_SY_mSZ_S12_bEUlT_E_NS1_11comp_targetILNS1_3genE0ELNS1_11target_archE4294967295ELNS1_3gpuE0ELNS1_3repE0EEENS1_30default_config_static_selectorELNS0_4arch9wavefront6targetE0EEEvSW_: ; @_ZN7rocprim17ROCPRIM_400000_NS6detail17trampoline_kernelINS0_14default_configENS1_27upper_bound_config_selectorItlEEZNS1_14transform_implILb0ES3_S5_N6thrust23THRUST_200600_302600_NS6detail15normal_iteratorINS8_7pointerItNS8_11hip_rocprim5par_tENS8_11use_defaultESE_EEEENSA_INSB_IlSD_SE_SE_EEEEZNS1_13binary_searchIS3_S5_PtSG_SI_NS1_21upper_bound_search_opENS9_16wrapped_functionINS8_6system6detail7generic6detail18binary_search_lessEbEEEE10hipError_tPvRmT1_T2_T3_mmT4_T5_P12ihipStream_tbEUlRKtE_EEST_SX_SY_mSZ_S12_bEUlT_E_NS1_11comp_targetILNS1_3genE0ELNS1_11target_archE4294967295ELNS1_3gpuE0ELNS1_3repE0EEENS1_30default_config_static_selectorELNS0_4arch9wavefront6targetE0EEEvSW_
; %bb.0:
	.section	.rodata,"a",@progbits
	.p2align	6, 0x0
	.amdhsa_kernel _ZN7rocprim17ROCPRIM_400000_NS6detail17trampoline_kernelINS0_14default_configENS1_27upper_bound_config_selectorItlEEZNS1_14transform_implILb0ES3_S5_N6thrust23THRUST_200600_302600_NS6detail15normal_iteratorINS8_7pointerItNS8_11hip_rocprim5par_tENS8_11use_defaultESE_EEEENSA_INSB_IlSD_SE_SE_EEEEZNS1_13binary_searchIS3_S5_PtSG_SI_NS1_21upper_bound_search_opENS9_16wrapped_functionINS8_6system6detail7generic6detail18binary_search_lessEbEEEE10hipError_tPvRmT1_T2_T3_mmT4_T5_P12ihipStream_tbEUlRKtE_EEST_SX_SY_mSZ_S12_bEUlT_E_NS1_11comp_targetILNS1_3genE0ELNS1_11target_archE4294967295ELNS1_3gpuE0ELNS1_3repE0EEENS1_30default_config_static_selectorELNS0_4arch9wavefront6targetE0EEEvSW_
		.amdhsa_group_segment_fixed_size 0
		.amdhsa_private_segment_fixed_size 0
		.amdhsa_kernarg_size 56
		.amdhsa_user_sgpr_count 6
		.amdhsa_user_sgpr_private_segment_buffer 1
		.amdhsa_user_sgpr_dispatch_ptr 0
		.amdhsa_user_sgpr_queue_ptr 0
		.amdhsa_user_sgpr_kernarg_segment_ptr 1
		.amdhsa_user_sgpr_dispatch_id 0
		.amdhsa_user_sgpr_flat_scratch_init 0
		.amdhsa_user_sgpr_private_segment_size 0
		.amdhsa_wavefront_size32 1
		.amdhsa_uses_dynamic_stack 0
		.amdhsa_system_sgpr_private_segment_wavefront_offset 0
		.amdhsa_system_sgpr_workgroup_id_x 1
		.amdhsa_system_sgpr_workgroup_id_y 0
		.amdhsa_system_sgpr_workgroup_id_z 0
		.amdhsa_system_sgpr_workgroup_info 0
		.amdhsa_system_vgpr_workitem_id 0
		.amdhsa_next_free_vgpr 1
		.amdhsa_next_free_sgpr 1
		.amdhsa_reserve_vcc 0
		.amdhsa_reserve_flat_scratch 0
		.amdhsa_float_round_mode_32 0
		.amdhsa_float_round_mode_16_64 0
		.amdhsa_float_denorm_mode_32 3
		.amdhsa_float_denorm_mode_16_64 3
		.amdhsa_dx10_clamp 1
		.amdhsa_ieee_mode 1
		.amdhsa_fp16_overflow 0
		.amdhsa_workgroup_processor_mode 1
		.amdhsa_memory_ordered 1
		.amdhsa_forward_progress 1
		.amdhsa_shared_vgpr_count 0
		.amdhsa_exception_fp_ieee_invalid_op 0
		.amdhsa_exception_fp_denorm_src 0
		.amdhsa_exception_fp_ieee_div_zero 0
		.amdhsa_exception_fp_ieee_overflow 0
		.amdhsa_exception_fp_ieee_underflow 0
		.amdhsa_exception_fp_ieee_inexact 0
		.amdhsa_exception_int_div_zero 0
	.end_amdhsa_kernel
	.section	.text._ZN7rocprim17ROCPRIM_400000_NS6detail17trampoline_kernelINS0_14default_configENS1_27upper_bound_config_selectorItlEEZNS1_14transform_implILb0ES3_S5_N6thrust23THRUST_200600_302600_NS6detail15normal_iteratorINS8_7pointerItNS8_11hip_rocprim5par_tENS8_11use_defaultESE_EEEENSA_INSB_IlSD_SE_SE_EEEEZNS1_13binary_searchIS3_S5_PtSG_SI_NS1_21upper_bound_search_opENS9_16wrapped_functionINS8_6system6detail7generic6detail18binary_search_lessEbEEEE10hipError_tPvRmT1_T2_T3_mmT4_T5_P12ihipStream_tbEUlRKtE_EEST_SX_SY_mSZ_S12_bEUlT_E_NS1_11comp_targetILNS1_3genE0ELNS1_11target_archE4294967295ELNS1_3gpuE0ELNS1_3repE0EEENS1_30default_config_static_selectorELNS0_4arch9wavefront6targetE0EEEvSW_,"axG",@progbits,_ZN7rocprim17ROCPRIM_400000_NS6detail17trampoline_kernelINS0_14default_configENS1_27upper_bound_config_selectorItlEEZNS1_14transform_implILb0ES3_S5_N6thrust23THRUST_200600_302600_NS6detail15normal_iteratorINS8_7pointerItNS8_11hip_rocprim5par_tENS8_11use_defaultESE_EEEENSA_INSB_IlSD_SE_SE_EEEEZNS1_13binary_searchIS3_S5_PtSG_SI_NS1_21upper_bound_search_opENS9_16wrapped_functionINS8_6system6detail7generic6detail18binary_search_lessEbEEEE10hipError_tPvRmT1_T2_T3_mmT4_T5_P12ihipStream_tbEUlRKtE_EEST_SX_SY_mSZ_S12_bEUlT_E_NS1_11comp_targetILNS1_3genE0ELNS1_11target_archE4294967295ELNS1_3gpuE0ELNS1_3repE0EEENS1_30default_config_static_selectorELNS0_4arch9wavefront6targetE0EEEvSW_,comdat
.Lfunc_end202:
	.size	_ZN7rocprim17ROCPRIM_400000_NS6detail17trampoline_kernelINS0_14default_configENS1_27upper_bound_config_selectorItlEEZNS1_14transform_implILb0ES3_S5_N6thrust23THRUST_200600_302600_NS6detail15normal_iteratorINS8_7pointerItNS8_11hip_rocprim5par_tENS8_11use_defaultESE_EEEENSA_INSB_IlSD_SE_SE_EEEEZNS1_13binary_searchIS3_S5_PtSG_SI_NS1_21upper_bound_search_opENS9_16wrapped_functionINS8_6system6detail7generic6detail18binary_search_lessEbEEEE10hipError_tPvRmT1_T2_T3_mmT4_T5_P12ihipStream_tbEUlRKtE_EEST_SX_SY_mSZ_S12_bEUlT_E_NS1_11comp_targetILNS1_3genE0ELNS1_11target_archE4294967295ELNS1_3gpuE0ELNS1_3repE0EEENS1_30default_config_static_selectorELNS0_4arch9wavefront6targetE0EEEvSW_, .Lfunc_end202-_ZN7rocprim17ROCPRIM_400000_NS6detail17trampoline_kernelINS0_14default_configENS1_27upper_bound_config_selectorItlEEZNS1_14transform_implILb0ES3_S5_N6thrust23THRUST_200600_302600_NS6detail15normal_iteratorINS8_7pointerItNS8_11hip_rocprim5par_tENS8_11use_defaultESE_EEEENSA_INSB_IlSD_SE_SE_EEEEZNS1_13binary_searchIS3_S5_PtSG_SI_NS1_21upper_bound_search_opENS9_16wrapped_functionINS8_6system6detail7generic6detail18binary_search_lessEbEEEE10hipError_tPvRmT1_T2_T3_mmT4_T5_P12ihipStream_tbEUlRKtE_EEST_SX_SY_mSZ_S12_bEUlT_E_NS1_11comp_targetILNS1_3genE0ELNS1_11target_archE4294967295ELNS1_3gpuE0ELNS1_3repE0EEENS1_30default_config_static_selectorELNS0_4arch9wavefront6targetE0EEEvSW_
                                        ; -- End function
	.set _ZN7rocprim17ROCPRIM_400000_NS6detail17trampoline_kernelINS0_14default_configENS1_27upper_bound_config_selectorItlEEZNS1_14transform_implILb0ES3_S5_N6thrust23THRUST_200600_302600_NS6detail15normal_iteratorINS8_7pointerItNS8_11hip_rocprim5par_tENS8_11use_defaultESE_EEEENSA_INSB_IlSD_SE_SE_EEEEZNS1_13binary_searchIS3_S5_PtSG_SI_NS1_21upper_bound_search_opENS9_16wrapped_functionINS8_6system6detail7generic6detail18binary_search_lessEbEEEE10hipError_tPvRmT1_T2_T3_mmT4_T5_P12ihipStream_tbEUlRKtE_EEST_SX_SY_mSZ_S12_bEUlT_E_NS1_11comp_targetILNS1_3genE0ELNS1_11target_archE4294967295ELNS1_3gpuE0ELNS1_3repE0EEENS1_30default_config_static_selectorELNS0_4arch9wavefront6targetE0EEEvSW_.num_vgpr, 0
	.set _ZN7rocprim17ROCPRIM_400000_NS6detail17trampoline_kernelINS0_14default_configENS1_27upper_bound_config_selectorItlEEZNS1_14transform_implILb0ES3_S5_N6thrust23THRUST_200600_302600_NS6detail15normal_iteratorINS8_7pointerItNS8_11hip_rocprim5par_tENS8_11use_defaultESE_EEEENSA_INSB_IlSD_SE_SE_EEEEZNS1_13binary_searchIS3_S5_PtSG_SI_NS1_21upper_bound_search_opENS9_16wrapped_functionINS8_6system6detail7generic6detail18binary_search_lessEbEEEE10hipError_tPvRmT1_T2_T3_mmT4_T5_P12ihipStream_tbEUlRKtE_EEST_SX_SY_mSZ_S12_bEUlT_E_NS1_11comp_targetILNS1_3genE0ELNS1_11target_archE4294967295ELNS1_3gpuE0ELNS1_3repE0EEENS1_30default_config_static_selectorELNS0_4arch9wavefront6targetE0EEEvSW_.num_agpr, 0
	.set _ZN7rocprim17ROCPRIM_400000_NS6detail17trampoline_kernelINS0_14default_configENS1_27upper_bound_config_selectorItlEEZNS1_14transform_implILb0ES3_S5_N6thrust23THRUST_200600_302600_NS6detail15normal_iteratorINS8_7pointerItNS8_11hip_rocprim5par_tENS8_11use_defaultESE_EEEENSA_INSB_IlSD_SE_SE_EEEEZNS1_13binary_searchIS3_S5_PtSG_SI_NS1_21upper_bound_search_opENS9_16wrapped_functionINS8_6system6detail7generic6detail18binary_search_lessEbEEEE10hipError_tPvRmT1_T2_T3_mmT4_T5_P12ihipStream_tbEUlRKtE_EEST_SX_SY_mSZ_S12_bEUlT_E_NS1_11comp_targetILNS1_3genE0ELNS1_11target_archE4294967295ELNS1_3gpuE0ELNS1_3repE0EEENS1_30default_config_static_selectorELNS0_4arch9wavefront6targetE0EEEvSW_.numbered_sgpr, 0
	.set _ZN7rocprim17ROCPRIM_400000_NS6detail17trampoline_kernelINS0_14default_configENS1_27upper_bound_config_selectorItlEEZNS1_14transform_implILb0ES3_S5_N6thrust23THRUST_200600_302600_NS6detail15normal_iteratorINS8_7pointerItNS8_11hip_rocprim5par_tENS8_11use_defaultESE_EEEENSA_INSB_IlSD_SE_SE_EEEEZNS1_13binary_searchIS3_S5_PtSG_SI_NS1_21upper_bound_search_opENS9_16wrapped_functionINS8_6system6detail7generic6detail18binary_search_lessEbEEEE10hipError_tPvRmT1_T2_T3_mmT4_T5_P12ihipStream_tbEUlRKtE_EEST_SX_SY_mSZ_S12_bEUlT_E_NS1_11comp_targetILNS1_3genE0ELNS1_11target_archE4294967295ELNS1_3gpuE0ELNS1_3repE0EEENS1_30default_config_static_selectorELNS0_4arch9wavefront6targetE0EEEvSW_.num_named_barrier, 0
	.set _ZN7rocprim17ROCPRIM_400000_NS6detail17trampoline_kernelINS0_14default_configENS1_27upper_bound_config_selectorItlEEZNS1_14transform_implILb0ES3_S5_N6thrust23THRUST_200600_302600_NS6detail15normal_iteratorINS8_7pointerItNS8_11hip_rocprim5par_tENS8_11use_defaultESE_EEEENSA_INSB_IlSD_SE_SE_EEEEZNS1_13binary_searchIS3_S5_PtSG_SI_NS1_21upper_bound_search_opENS9_16wrapped_functionINS8_6system6detail7generic6detail18binary_search_lessEbEEEE10hipError_tPvRmT1_T2_T3_mmT4_T5_P12ihipStream_tbEUlRKtE_EEST_SX_SY_mSZ_S12_bEUlT_E_NS1_11comp_targetILNS1_3genE0ELNS1_11target_archE4294967295ELNS1_3gpuE0ELNS1_3repE0EEENS1_30default_config_static_selectorELNS0_4arch9wavefront6targetE0EEEvSW_.private_seg_size, 0
	.set _ZN7rocprim17ROCPRIM_400000_NS6detail17trampoline_kernelINS0_14default_configENS1_27upper_bound_config_selectorItlEEZNS1_14transform_implILb0ES3_S5_N6thrust23THRUST_200600_302600_NS6detail15normal_iteratorINS8_7pointerItNS8_11hip_rocprim5par_tENS8_11use_defaultESE_EEEENSA_INSB_IlSD_SE_SE_EEEEZNS1_13binary_searchIS3_S5_PtSG_SI_NS1_21upper_bound_search_opENS9_16wrapped_functionINS8_6system6detail7generic6detail18binary_search_lessEbEEEE10hipError_tPvRmT1_T2_T3_mmT4_T5_P12ihipStream_tbEUlRKtE_EEST_SX_SY_mSZ_S12_bEUlT_E_NS1_11comp_targetILNS1_3genE0ELNS1_11target_archE4294967295ELNS1_3gpuE0ELNS1_3repE0EEENS1_30default_config_static_selectorELNS0_4arch9wavefront6targetE0EEEvSW_.uses_vcc, 0
	.set _ZN7rocprim17ROCPRIM_400000_NS6detail17trampoline_kernelINS0_14default_configENS1_27upper_bound_config_selectorItlEEZNS1_14transform_implILb0ES3_S5_N6thrust23THRUST_200600_302600_NS6detail15normal_iteratorINS8_7pointerItNS8_11hip_rocprim5par_tENS8_11use_defaultESE_EEEENSA_INSB_IlSD_SE_SE_EEEEZNS1_13binary_searchIS3_S5_PtSG_SI_NS1_21upper_bound_search_opENS9_16wrapped_functionINS8_6system6detail7generic6detail18binary_search_lessEbEEEE10hipError_tPvRmT1_T2_T3_mmT4_T5_P12ihipStream_tbEUlRKtE_EEST_SX_SY_mSZ_S12_bEUlT_E_NS1_11comp_targetILNS1_3genE0ELNS1_11target_archE4294967295ELNS1_3gpuE0ELNS1_3repE0EEENS1_30default_config_static_selectorELNS0_4arch9wavefront6targetE0EEEvSW_.uses_flat_scratch, 0
	.set _ZN7rocprim17ROCPRIM_400000_NS6detail17trampoline_kernelINS0_14default_configENS1_27upper_bound_config_selectorItlEEZNS1_14transform_implILb0ES3_S5_N6thrust23THRUST_200600_302600_NS6detail15normal_iteratorINS8_7pointerItNS8_11hip_rocprim5par_tENS8_11use_defaultESE_EEEENSA_INSB_IlSD_SE_SE_EEEEZNS1_13binary_searchIS3_S5_PtSG_SI_NS1_21upper_bound_search_opENS9_16wrapped_functionINS8_6system6detail7generic6detail18binary_search_lessEbEEEE10hipError_tPvRmT1_T2_T3_mmT4_T5_P12ihipStream_tbEUlRKtE_EEST_SX_SY_mSZ_S12_bEUlT_E_NS1_11comp_targetILNS1_3genE0ELNS1_11target_archE4294967295ELNS1_3gpuE0ELNS1_3repE0EEENS1_30default_config_static_selectorELNS0_4arch9wavefront6targetE0EEEvSW_.has_dyn_sized_stack, 0
	.set _ZN7rocprim17ROCPRIM_400000_NS6detail17trampoline_kernelINS0_14default_configENS1_27upper_bound_config_selectorItlEEZNS1_14transform_implILb0ES3_S5_N6thrust23THRUST_200600_302600_NS6detail15normal_iteratorINS8_7pointerItNS8_11hip_rocprim5par_tENS8_11use_defaultESE_EEEENSA_INSB_IlSD_SE_SE_EEEEZNS1_13binary_searchIS3_S5_PtSG_SI_NS1_21upper_bound_search_opENS9_16wrapped_functionINS8_6system6detail7generic6detail18binary_search_lessEbEEEE10hipError_tPvRmT1_T2_T3_mmT4_T5_P12ihipStream_tbEUlRKtE_EEST_SX_SY_mSZ_S12_bEUlT_E_NS1_11comp_targetILNS1_3genE0ELNS1_11target_archE4294967295ELNS1_3gpuE0ELNS1_3repE0EEENS1_30default_config_static_selectorELNS0_4arch9wavefront6targetE0EEEvSW_.has_recursion, 0
	.set _ZN7rocprim17ROCPRIM_400000_NS6detail17trampoline_kernelINS0_14default_configENS1_27upper_bound_config_selectorItlEEZNS1_14transform_implILb0ES3_S5_N6thrust23THRUST_200600_302600_NS6detail15normal_iteratorINS8_7pointerItNS8_11hip_rocprim5par_tENS8_11use_defaultESE_EEEENSA_INSB_IlSD_SE_SE_EEEEZNS1_13binary_searchIS3_S5_PtSG_SI_NS1_21upper_bound_search_opENS9_16wrapped_functionINS8_6system6detail7generic6detail18binary_search_lessEbEEEE10hipError_tPvRmT1_T2_T3_mmT4_T5_P12ihipStream_tbEUlRKtE_EEST_SX_SY_mSZ_S12_bEUlT_E_NS1_11comp_targetILNS1_3genE0ELNS1_11target_archE4294967295ELNS1_3gpuE0ELNS1_3repE0EEENS1_30default_config_static_selectorELNS0_4arch9wavefront6targetE0EEEvSW_.has_indirect_call, 0
	.section	.AMDGPU.csdata,"",@progbits
; Kernel info:
; codeLenInByte = 0
; TotalNumSgprs: 0
; NumVgprs: 0
; ScratchSize: 0
; MemoryBound: 0
; FloatMode: 240
; IeeeMode: 1
; LDSByteSize: 0 bytes/workgroup (compile time only)
; SGPRBlocks: 0
; VGPRBlocks: 0
; NumSGPRsForWavesPerEU: 1
; NumVGPRsForWavesPerEU: 1
; Occupancy: 16
; WaveLimiterHint : 0
; COMPUTE_PGM_RSRC2:SCRATCH_EN: 0
; COMPUTE_PGM_RSRC2:USER_SGPR: 6
; COMPUTE_PGM_RSRC2:TRAP_HANDLER: 0
; COMPUTE_PGM_RSRC2:TGID_X_EN: 1
; COMPUTE_PGM_RSRC2:TGID_Y_EN: 0
; COMPUTE_PGM_RSRC2:TGID_Z_EN: 0
; COMPUTE_PGM_RSRC2:TIDIG_COMP_CNT: 0
	.section	.text._ZN7rocprim17ROCPRIM_400000_NS6detail17trampoline_kernelINS0_14default_configENS1_27upper_bound_config_selectorItlEEZNS1_14transform_implILb0ES3_S5_N6thrust23THRUST_200600_302600_NS6detail15normal_iteratorINS8_7pointerItNS8_11hip_rocprim5par_tENS8_11use_defaultESE_EEEENSA_INSB_IlSD_SE_SE_EEEEZNS1_13binary_searchIS3_S5_PtSG_SI_NS1_21upper_bound_search_opENS9_16wrapped_functionINS8_6system6detail7generic6detail18binary_search_lessEbEEEE10hipError_tPvRmT1_T2_T3_mmT4_T5_P12ihipStream_tbEUlRKtE_EEST_SX_SY_mSZ_S12_bEUlT_E_NS1_11comp_targetILNS1_3genE5ELNS1_11target_archE942ELNS1_3gpuE9ELNS1_3repE0EEENS1_30default_config_static_selectorELNS0_4arch9wavefront6targetE0EEEvSW_,"axG",@progbits,_ZN7rocprim17ROCPRIM_400000_NS6detail17trampoline_kernelINS0_14default_configENS1_27upper_bound_config_selectorItlEEZNS1_14transform_implILb0ES3_S5_N6thrust23THRUST_200600_302600_NS6detail15normal_iteratorINS8_7pointerItNS8_11hip_rocprim5par_tENS8_11use_defaultESE_EEEENSA_INSB_IlSD_SE_SE_EEEEZNS1_13binary_searchIS3_S5_PtSG_SI_NS1_21upper_bound_search_opENS9_16wrapped_functionINS8_6system6detail7generic6detail18binary_search_lessEbEEEE10hipError_tPvRmT1_T2_T3_mmT4_T5_P12ihipStream_tbEUlRKtE_EEST_SX_SY_mSZ_S12_bEUlT_E_NS1_11comp_targetILNS1_3genE5ELNS1_11target_archE942ELNS1_3gpuE9ELNS1_3repE0EEENS1_30default_config_static_selectorELNS0_4arch9wavefront6targetE0EEEvSW_,comdat
	.protected	_ZN7rocprim17ROCPRIM_400000_NS6detail17trampoline_kernelINS0_14default_configENS1_27upper_bound_config_selectorItlEEZNS1_14transform_implILb0ES3_S5_N6thrust23THRUST_200600_302600_NS6detail15normal_iteratorINS8_7pointerItNS8_11hip_rocprim5par_tENS8_11use_defaultESE_EEEENSA_INSB_IlSD_SE_SE_EEEEZNS1_13binary_searchIS3_S5_PtSG_SI_NS1_21upper_bound_search_opENS9_16wrapped_functionINS8_6system6detail7generic6detail18binary_search_lessEbEEEE10hipError_tPvRmT1_T2_T3_mmT4_T5_P12ihipStream_tbEUlRKtE_EEST_SX_SY_mSZ_S12_bEUlT_E_NS1_11comp_targetILNS1_3genE5ELNS1_11target_archE942ELNS1_3gpuE9ELNS1_3repE0EEENS1_30default_config_static_selectorELNS0_4arch9wavefront6targetE0EEEvSW_ ; -- Begin function _ZN7rocprim17ROCPRIM_400000_NS6detail17trampoline_kernelINS0_14default_configENS1_27upper_bound_config_selectorItlEEZNS1_14transform_implILb0ES3_S5_N6thrust23THRUST_200600_302600_NS6detail15normal_iteratorINS8_7pointerItNS8_11hip_rocprim5par_tENS8_11use_defaultESE_EEEENSA_INSB_IlSD_SE_SE_EEEEZNS1_13binary_searchIS3_S5_PtSG_SI_NS1_21upper_bound_search_opENS9_16wrapped_functionINS8_6system6detail7generic6detail18binary_search_lessEbEEEE10hipError_tPvRmT1_T2_T3_mmT4_T5_P12ihipStream_tbEUlRKtE_EEST_SX_SY_mSZ_S12_bEUlT_E_NS1_11comp_targetILNS1_3genE5ELNS1_11target_archE942ELNS1_3gpuE9ELNS1_3repE0EEENS1_30default_config_static_selectorELNS0_4arch9wavefront6targetE0EEEvSW_
	.globl	_ZN7rocprim17ROCPRIM_400000_NS6detail17trampoline_kernelINS0_14default_configENS1_27upper_bound_config_selectorItlEEZNS1_14transform_implILb0ES3_S5_N6thrust23THRUST_200600_302600_NS6detail15normal_iteratorINS8_7pointerItNS8_11hip_rocprim5par_tENS8_11use_defaultESE_EEEENSA_INSB_IlSD_SE_SE_EEEEZNS1_13binary_searchIS3_S5_PtSG_SI_NS1_21upper_bound_search_opENS9_16wrapped_functionINS8_6system6detail7generic6detail18binary_search_lessEbEEEE10hipError_tPvRmT1_T2_T3_mmT4_T5_P12ihipStream_tbEUlRKtE_EEST_SX_SY_mSZ_S12_bEUlT_E_NS1_11comp_targetILNS1_3genE5ELNS1_11target_archE942ELNS1_3gpuE9ELNS1_3repE0EEENS1_30default_config_static_selectorELNS0_4arch9wavefront6targetE0EEEvSW_
	.p2align	8
	.type	_ZN7rocprim17ROCPRIM_400000_NS6detail17trampoline_kernelINS0_14default_configENS1_27upper_bound_config_selectorItlEEZNS1_14transform_implILb0ES3_S5_N6thrust23THRUST_200600_302600_NS6detail15normal_iteratorINS8_7pointerItNS8_11hip_rocprim5par_tENS8_11use_defaultESE_EEEENSA_INSB_IlSD_SE_SE_EEEEZNS1_13binary_searchIS3_S5_PtSG_SI_NS1_21upper_bound_search_opENS9_16wrapped_functionINS8_6system6detail7generic6detail18binary_search_lessEbEEEE10hipError_tPvRmT1_T2_T3_mmT4_T5_P12ihipStream_tbEUlRKtE_EEST_SX_SY_mSZ_S12_bEUlT_E_NS1_11comp_targetILNS1_3genE5ELNS1_11target_archE942ELNS1_3gpuE9ELNS1_3repE0EEENS1_30default_config_static_selectorELNS0_4arch9wavefront6targetE0EEEvSW_,@function
_ZN7rocprim17ROCPRIM_400000_NS6detail17trampoline_kernelINS0_14default_configENS1_27upper_bound_config_selectorItlEEZNS1_14transform_implILb0ES3_S5_N6thrust23THRUST_200600_302600_NS6detail15normal_iteratorINS8_7pointerItNS8_11hip_rocprim5par_tENS8_11use_defaultESE_EEEENSA_INSB_IlSD_SE_SE_EEEEZNS1_13binary_searchIS3_S5_PtSG_SI_NS1_21upper_bound_search_opENS9_16wrapped_functionINS8_6system6detail7generic6detail18binary_search_lessEbEEEE10hipError_tPvRmT1_T2_T3_mmT4_T5_P12ihipStream_tbEUlRKtE_EEST_SX_SY_mSZ_S12_bEUlT_E_NS1_11comp_targetILNS1_3genE5ELNS1_11target_archE942ELNS1_3gpuE9ELNS1_3repE0EEENS1_30default_config_static_selectorELNS0_4arch9wavefront6targetE0EEEvSW_: ; @_ZN7rocprim17ROCPRIM_400000_NS6detail17trampoline_kernelINS0_14default_configENS1_27upper_bound_config_selectorItlEEZNS1_14transform_implILb0ES3_S5_N6thrust23THRUST_200600_302600_NS6detail15normal_iteratorINS8_7pointerItNS8_11hip_rocprim5par_tENS8_11use_defaultESE_EEEENSA_INSB_IlSD_SE_SE_EEEEZNS1_13binary_searchIS3_S5_PtSG_SI_NS1_21upper_bound_search_opENS9_16wrapped_functionINS8_6system6detail7generic6detail18binary_search_lessEbEEEE10hipError_tPvRmT1_T2_T3_mmT4_T5_P12ihipStream_tbEUlRKtE_EEST_SX_SY_mSZ_S12_bEUlT_E_NS1_11comp_targetILNS1_3genE5ELNS1_11target_archE942ELNS1_3gpuE9ELNS1_3repE0EEENS1_30default_config_static_selectorELNS0_4arch9wavefront6targetE0EEEvSW_
; %bb.0:
	.section	.rodata,"a",@progbits
	.p2align	6, 0x0
	.amdhsa_kernel _ZN7rocprim17ROCPRIM_400000_NS6detail17trampoline_kernelINS0_14default_configENS1_27upper_bound_config_selectorItlEEZNS1_14transform_implILb0ES3_S5_N6thrust23THRUST_200600_302600_NS6detail15normal_iteratorINS8_7pointerItNS8_11hip_rocprim5par_tENS8_11use_defaultESE_EEEENSA_INSB_IlSD_SE_SE_EEEEZNS1_13binary_searchIS3_S5_PtSG_SI_NS1_21upper_bound_search_opENS9_16wrapped_functionINS8_6system6detail7generic6detail18binary_search_lessEbEEEE10hipError_tPvRmT1_T2_T3_mmT4_T5_P12ihipStream_tbEUlRKtE_EEST_SX_SY_mSZ_S12_bEUlT_E_NS1_11comp_targetILNS1_3genE5ELNS1_11target_archE942ELNS1_3gpuE9ELNS1_3repE0EEENS1_30default_config_static_selectorELNS0_4arch9wavefront6targetE0EEEvSW_
		.amdhsa_group_segment_fixed_size 0
		.amdhsa_private_segment_fixed_size 0
		.amdhsa_kernarg_size 56
		.amdhsa_user_sgpr_count 6
		.amdhsa_user_sgpr_private_segment_buffer 1
		.amdhsa_user_sgpr_dispatch_ptr 0
		.amdhsa_user_sgpr_queue_ptr 0
		.amdhsa_user_sgpr_kernarg_segment_ptr 1
		.amdhsa_user_sgpr_dispatch_id 0
		.amdhsa_user_sgpr_flat_scratch_init 0
		.amdhsa_user_sgpr_private_segment_size 0
		.amdhsa_wavefront_size32 1
		.amdhsa_uses_dynamic_stack 0
		.amdhsa_system_sgpr_private_segment_wavefront_offset 0
		.amdhsa_system_sgpr_workgroup_id_x 1
		.amdhsa_system_sgpr_workgroup_id_y 0
		.amdhsa_system_sgpr_workgroup_id_z 0
		.amdhsa_system_sgpr_workgroup_info 0
		.amdhsa_system_vgpr_workitem_id 0
		.amdhsa_next_free_vgpr 1
		.amdhsa_next_free_sgpr 1
		.amdhsa_reserve_vcc 0
		.amdhsa_reserve_flat_scratch 0
		.amdhsa_float_round_mode_32 0
		.amdhsa_float_round_mode_16_64 0
		.amdhsa_float_denorm_mode_32 3
		.amdhsa_float_denorm_mode_16_64 3
		.amdhsa_dx10_clamp 1
		.amdhsa_ieee_mode 1
		.amdhsa_fp16_overflow 0
		.amdhsa_workgroup_processor_mode 1
		.amdhsa_memory_ordered 1
		.amdhsa_forward_progress 1
		.amdhsa_shared_vgpr_count 0
		.amdhsa_exception_fp_ieee_invalid_op 0
		.amdhsa_exception_fp_denorm_src 0
		.amdhsa_exception_fp_ieee_div_zero 0
		.amdhsa_exception_fp_ieee_overflow 0
		.amdhsa_exception_fp_ieee_underflow 0
		.amdhsa_exception_fp_ieee_inexact 0
		.amdhsa_exception_int_div_zero 0
	.end_amdhsa_kernel
	.section	.text._ZN7rocprim17ROCPRIM_400000_NS6detail17trampoline_kernelINS0_14default_configENS1_27upper_bound_config_selectorItlEEZNS1_14transform_implILb0ES3_S5_N6thrust23THRUST_200600_302600_NS6detail15normal_iteratorINS8_7pointerItNS8_11hip_rocprim5par_tENS8_11use_defaultESE_EEEENSA_INSB_IlSD_SE_SE_EEEEZNS1_13binary_searchIS3_S5_PtSG_SI_NS1_21upper_bound_search_opENS9_16wrapped_functionINS8_6system6detail7generic6detail18binary_search_lessEbEEEE10hipError_tPvRmT1_T2_T3_mmT4_T5_P12ihipStream_tbEUlRKtE_EEST_SX_SY_mSZ_S12_bEUlT_E_NS1_11comp_targetILNS1_3genE5ELNS1_11target_archE942ELNS1_3gpuE9ELNS1_3repE0EEENS1_30default_config_static_selectorELNS0_4arch9wavefront6targetE0EEEvSW_,"axG",@progbits,_ZN7rocprim17ROCPRIM_400000_NS6detail17trampoline_kernelINS0_14default_configENS1_27upper_bound_config_selectorItlEEZNS1_14transform_implILb0ES3_S5_N6thrust23THRUST_200600_302600_NS6detail15normal_iteratorINS8_7pointerItNS8_11hip_rocprim5par_tENS8_11use_defaultESE_EEEENSA_INSB_IlSD_SE_SE_EEEEZNS1_13binary_searchIS3_S5_PtSG_SI_NS1_21upper_bound_search_opENS9_16wrapped_functionINS8_6system6detail7generic6detail18binary_search_lessEbEEEE10hipError_tPvRmT1_T2_T3_mmT4_T5_P12ihipStream_tbEUlRKtE_EEST_SX_SY_mSZ_S12_bEUlT_E_NS1_11comp_targetILNS1_3genE5ELNS1_11target_archE942ELNS1_3gpuE9ELNS1_3repE0EEENS1_30default_config_static_selectorELNS0_4arch9wavefront6targetE0EEEvSW_,comdat
.Lfunc_end203:
	.size	_ZN7rocprim17ROCPRIM_400000_NS6detail17trampoline_kernelINS0_14default_configENS1_27upper_bound_config_selectorItlEEZNS1_14transform_implILb0ES3_S5_N6thrust23THRUST_200600_302600_NS6detail15normal_iteratorINS8_7pointerItNS8_11hip_rocprim5par_tENS8_11use_defaultESE_EEEENSA_INSB_IlSD_SE_SE_EEEEZNS1_13binary_searchIS3_S5_PtSG_SI_NS1_21upper_bound_search_opENS9_16wrapped_functionINS8_6system6detail7generic6detail18binary_search_lessEbEEEE10hipError_tPvRmT1_T2_T3_mmT4_T5_P12ihipStream_tbEUlRKtE_EEST_SX_SY_mSZ_S12_bEUlT_E_NS1_11comp_targetILNS1_3genE5ELNS1_11target_archE942ELNS1_3gpuE9ELNS1_3repE0EEENS1_30default_config_static_selectorELNS0_4arch9wavefront6targetE0EEEvSW_, .Lfunc_end203-_ZN7rocprim17ROCPRIM_400000_NS6detail17trampoline_kernelINS0_14default_configENS1_27upper_bound_config_selectorItlEEZNS1_14transform_implILb0ES3_S5_N6thrust23THRUST_200600_302600_NS6detail15normal_iteratorINS8_7pointerItNS8_11hip_rocprim5par_tENS8_11use_defaultESE_EEEENSA_INSB_IlSD_SE_SE_EEEEZNS1_13binary_searchIS3_S5_PtSG_SI_NS1_21upper_bound_search_opENS9_16wrapped_functionINS8_6system6detail7generic6detail18binary_search_lessEbEEEE10hipError_tPvRmT1_T2_T3_mmT4_T5_P12ihipStream_tbEUlRKtE_EEST_SX_SY_mSZ_S12_bEUlT_E_NS1_11comp_targetILNS1_3genE5ELNS1_11target_archE942ELNS1_3gpuE9ELNS1_3repE0EEENS1_30default_config_static_selectorELNS0_4arch9wavefront6targetE0EEEvSW_
                                        ; -- End function
	.set _ZN7rocprim17ROCPRIM_400000_NS6detail17trampoline_kernelINS0_14default_configENS1_27upper_bound_config_selectorItlEEZNS1_14transform_implILb0ES3_S5_N6thrust23THRUST_200600_302600_NS6detail15normal_iteratorINS8_7pointerItNS8_11hip_rocprim5par_tENS8_11use_defaultESE_EEEENSA_INSB_IlSD_SE_SE_EEEEZNS1_13binary_searchIS3_S5_PtSG_SI_NS1_21upper_bound_search_opENS9_16wrapped_functionINS8_6system6detail7generic6detail18binary_search_lessEbEEEE10hipError_tPvRmT1_T2_T3_mmT4_T5_P12ihipStream_tbEUlRKtE_EEST_SX_SY_mSZ_S12_bEUlT_E_NS1_11comp_targetILNS1_3genE5ELNS1_11target_archE942ELNS1_3gpuE9ELNS1_3repE0EEENS1_30default_config_static_selectorELNS0_4arch9wavefront6targetE0EEEvSW_.num_vgpr, 0
	.set _ZN7rocprim17ROCPRIM_400000_NS6detail17trampoline_kernelINS0_14default_configENS1_27upper_bound_config_selectorItlEEZNS1_14transform_implILb0ES3_S5_N6thrust23THRUST_200600_302600_NS6detail15normal_iteratorINS8_7pointerItNS8_11hip_rocprim5par_tENS8_11use_defaultESE_EEEENSA_INSB_IlSD_SE_SE_EEEEZNS1_13binary_searchIS3_S5_PtSG_SI_NS1_21upper_bound_search_opENS9_16wrapped_functionINS8_6system6detail7generic6detail18binary_search_lessEbEEEE10hipError_tPvRmT1_T2_T3_mmT4_T5_P12ihipStream_tbEUlRKtE_EEST_SX_SY_mSZ_S12_bEUlT_E_NS1_11comp_targetILNS1_3genE5ELNS1_11target_archE942ELNS1_3gpuE9ELNS1_3repE0EEENS1_30default_config_static_selectorELNS0_4arch9wavefront6targetE0EEEvSW_.num_agpr, 0
	.set _ZN7rocprim17ROCPRIM_400000_NS6detail17trampoline_kernelINS0_14default_configENS1_27upper_bound_config_selectorItlEEZNS1_14transform_implILb0ES3_S5_N6thrust23THRUST_200600_302600_NS6detail15normal_iteratorINS8_7pointerItNS8_11hip_rocprim5par_tENS8_11use_defaultESE_EEEENSA_INSB_IlSD_SE_SE_EEEEZNS1_13binary_searchIS3_S5_PtSG_SI_NS1_21upper_bound_search_opENS9_16wrapped_functionINS8_6system6detail7generic6detail18binary_search_lessEbEEEE10hipError_tPvRmT1_T2_T3_mmT4_T5_P12ihipStream_tbEUlRKtE_EEST_SX_SY_mSZ_S12_bEUlT_E_NS1_11comp_targetILNS1_3genE5ELNS1_11target_archE942ELNS1_3gpuE9ELNS1_3repE0EEENS1_30default_config_static_selectorELNS0_4arch9wavefront6targetE0EEEvSW_.numbered_sgpr, 0
	.set _ZN7rocprim17ROCPRIM_400000_NS6detail17trampoline_kernelINS0_14default_configENS1_27upper_bound_config_selectorItlEEZNS1_14transform_implILb0ES3_S5_N6thrust23THRUST_200600_302600_NS6detail15normal_iteratorINS8_7pointerItNS8_11hip_rocprim5par_tENS8_11use_defaultESE_EEEENSA_INSB_IlSD_SE_SE_EEEEZNS1_13binary_searchIS3_S5_PtSG_SI_NS1_21upper_bound_search_opENS9_16wrapped_functionINS8_6system6detail7generic6detail18binary_search_lessEbEEEE10hipError_tPvRmT1_T2_T3_mmT4_T5_P12ihipStream_tbEUlRKtE_EEST_SX_SY_mSZ_S12_bEUlT_E_NS1_11comp_targetILNS1_3genE5ELNS1_11target_archE942ELNS1_3gpuE9ELNS1_3repE0EEENS1_30default_config_static_selectorELNS0_4arch9wavefront6targetE0EEEvSW_.num_named_barrier, 0
	.set _ZN7rocprim17ROCPRIM_400000_NS6detail17trampoline_kernelINS0_14default_configENS1_27upper_bound_config_selectorItlEEZNS1_14transform_implILb0ES3_S5_N6thrust23THRUST_200600_302600_NS6detail15normal_iteratorINS8_7pointerItNS8_11hip_rocprim5par_tENS8_11use_defaultESE_EEEENSA_INSB_IlSD_SE_SE_EEEEZNS1_13binary_searchIS3_S5_PtSG_SI_NS1_21upper_bound_search_opENS9_16wrapped_functionINS8_6system6detail7generic6detail18binary_search_lessEbEEEE10hipError_tPvRmT1_T2_T3_mmT4_T5_P12ihipStream_tbEUlRKtE_EEST_SX_SY_mSZ_S12_bEUlT_E_NS1_11comp_targetILNS1_3genE5ELNS1_11target_archE942ELNS1_3gpuE9ELNS1_3repE0EEENS1_30default_config_static_selectorELNS0_4arch9wavefront6targetE0EEEvSW_.private_seg_size, 0
	.set _ZN7rocprim17ROCPRIM_400000_NS6detail17trampoline_kernelINS0_14default_configENS1_27upper_bound_config_selectorItlEEZNS1_14transform_implILb0ES3_S5_N6thrust23THRUST_200600_302600_NS6detail15normal_iteratorINS8_7pointerItNS8_11hip_rocprim5par_tENS8_11use_defaultESE_EEEENSA_INSB_IlSD_SE_SE_EEEEZNS1_13binary_searchIS3_S5_PtSG_SI_NS1_21upper_bound_search_opENS9_16wrapped_functionINS8_6system6detail7generic6detail18binary_search_lessEbEEEE10hipError_tPvRmT1_T2_T3_mmT4_T5_P12ihipStream_tbEUlRKtE_EEST_SX_SY_mSZ_S12_bEUlT_E_NS1_11comp_targetILNS1_3genE5ELNS1_11target_archE942ELNS1_3gpuE9ELNS1_3repE0EEENS1_30default_config_static_selectorELNS0_4arch9wavefront6targetE0EEEvSW_.uses_vcc, 0
	.set _ZN7rocprim17ROCPRIM_400000_NS6detail17trampoline_kernelINS0_14default_configENS1_27upper_bound_config_selectorItlEEZNS1_14transform_implILb0ES3_S5_N6thrust23THRUST_200600_302600_NS6detail15normal_iteratorINS8_7pointerItNS8_11hip_rocprim5par_tENS8_11use_defaultESE_EEEENSA_INSB_IlSD_SE_SE_EEEEZNS1_13binary_searchIS3_S5_PtSG_SI_NS1_21upper_bound_search_opENS9_16wrapped_functionINS8_6system6detail7generic6detail18binary_search_lessEbEEEE10hipError_tPvRmT1_T2_T3_mmT4_T5_P12ihipStream_tbEUlRKtE_EEST_SX_SY_mSZ_S12_bEUlT_E_NS1_11comp_targetILNS1_3genE5ELNS1_11target_archE942ELNS1_3gpuE9ELNS1_3repE0EEENS1_30default_config_static_selectorELNS0_4arch9wavefront6targetE0EEEvSW_.uses_flat_scratch, 0
	.set _ZN7rocprim17ROCPRIM_400000_NS6detail17trampoline_kernelINS0_14default_configENS1_27upper_bound_config_selectorItlEEZNS1_14transform_implILb0ES3_S5_N6thrust23THRUST_200600_302600_NS6detail15normal_iteratorINS8_7pointerItNS8_11hip_rocprim5par_tENS8_11use_defaultESE_EEEENSA_INSB_IlSD_SE_SE_EEEEZNS1_13binary_searchIS3_S5_PtSG_SI_NS1_21upper_bound_search_opENS9_16wrapped_functionINS8_6system6detail7generic6detail18binary_search_lessEbEEEE10hipError_tPvRmT1_T2_T3_mmT4_T5_P12ihipStream_tbEUlRKtE_EEST_SX_SY_mSZ_S12_bEUlT_E_NS1_11comp_targetILNS1_3genE5ELNS1_11target_archE942ELNS1_3gpuE9ELNS1_3repE0EEENS1_30default_config_static_selectorELNS0_4arch9wavefront6targetE0EEEvSW_.has_dyn_sized_stack, 0
	.set _ZN7rocprim17ROCPRIM_400000_NS6detail17trampoline_kernelINS0_14default_configENS1_27upper_bound_config_selectorItlEEZNS1_14transform_implILb0ES3_S5_N6thrust23THRUST_200600_302600_NS6detail15normal_iteratorINS8_7pointerItNS8_11hip_rocprim5par_tENS8_11use_defaultESE_EEEENSA_INSB_IlSD_SE_SE_EEEEZNS1_13binary_searchIS3_S5_PtSG_SI_NS1_21upper_bound_search_opENS9_16wrapped_functionINS8_6system6detail7generic6detail18binary_search_lessEbEEEE10hipError_tPvRmT1_T2_T3_mmT4_T5_P12ihipStream_tbEUlRKtE_EEST_SX_SY_mSZ_S12_bEUlT_E_NS1_11comp_targetILNS1_3genE5ELNS1_11target_archE942ELNS1_3gpuE9ELNS1_3repE0EEENS1_30default_config_static_selectorELNS0_4arch9wavefront6targetE0EEEvSW_.has_recursion, 0
	.set _ZN7rocprim17ROCPRIM_400000_NS6detail17trampoline_kernelINS0_14default_configENS1_27upper_bound_config_selectorItlEEZNS1_14transform_implILb0ES3_S5_N6thrust23THRUST_200600_302600_NS6detail15normal_iteratorINS8_7pointerItNS8_11hip_rocprim5par_tENS8_11use_defaultESE_EEEENSA_INSB_IlSD_SE_SE_EEEEZNS1_13binary_searchIS3_S5_PtSG_SI_NS1_21upper_bound_search_opENS9_16wrapped_functionINS8_6system6detail7generic6detail18binary_search_lessEbEEEE10hipError_tPvRmT1_T2_T3_mmT4_T5_P12ihipStream_tbEUlRKtE_EEST_SX_SY_mSZ_S12_bEUlT_E_NS1_11comp_targetILNS1_3genE5ELNS1_11target_archE942ELNS1_3gpuE9ELNS1_3repE0EEENS1_30default_config_static_selectorELNS0_4arch9wavefront6targetE0EEEvSW_.has_indirect_call, 0
	.section	.AMDGPU.csdata,"",@progbits
; Kernel info:
; codeLenInByte = 0
; TotalNumSgprs: 0
; NumVgprs: 0
; ScratchSize: 0
; MemoryBound: 0
; FloatMode: 240
; IeeeMode: 1
; LDSByteSize: 0 bytes/workgroup (compile time only)
; SGPRBlocks: 0
; VGPRBlocks: 0
; NumSGPRsForWavesPerEU: 1
; NumVGPRsForWavesPerEU: 1
; Occupancy: 16
; WaveLimiterHint : 0
; COMPUTE_PGM_RSRC2:SCRATCH_EN: 0
; COMPUTE_PGM_RSRC2:USER_SGPR: 6
; COMPUTE_PGM_RSRC2:TRAP_HANDLER: 0
; COMPUTE_PGM_RSRC2:TGID_X_EN: 1
; COMPUTE_PGM_RSRC2:TGID_Y_EN: 0
; COMPUTE_PGM_RSRC2:TGID_Z_EN: 0
; COMPUTE_PGM_RSRC2:TIDIG_COMP_CNT: 0
	.section	.text._ZN7rocprim17ROCPRIM_400000_NS6detail17trampoline_kernelINS0_14default_configENS1_27upper_bound_config_selectorItlEEZNS1_14transform_implILb0ES3_S5_N6thrust23THRUST_200600_302600_NS6detail15normal_iteratorINS8_7pointerItNS8_11hip_rocprim5par_tENS8_11use_defaultESE_EEEENSA_INSB_IlSD_SE_SE_EEEEZNS1_13binary_searchIS3_S5_PtSG_SI_NS1_21upper_bound_search_opENS9_16wrapped_functionINS8_6system6detail7generic6detail18binary_search_lessEbEEEE10hipError_tPvRmT1_T2_T3_mmT4_T5_P12ihipStream_tbEUlRKtE_EEST_SX_SY_mSZ_S12_bEUlT_E_NS1_11comp_targetILNS1_3genE4ELNS1_11target_archE910ELNS1_3gpuE8ELNS1_3repE0EEENS1_30default_config_static_selectorELNS0_4arch9wavefront6targetE0EEEvSW_,"axG",@progbits,_ZN7rocprim17ROCPRIM_400000_NS6detail17trampoline_kernelINS0_14default_configENS1_27upper_bound_config_selectorItlEEZNS1_14transform_implILb0ES3_S5_N6thrust23THRUST_200600_302600_NS6detail15normal_iteratorINS8_7pointerItNS8_11hip_rocprim5par_tENS8_11use_defaultESE_EEEENSA_INSB_IlSD_SE_SE_EEEEZNS1_13binary_searchIS3_S5_PtSG_SI_NS1_21upper_bound_search_opENS9_16wrapped_functionINS8_6system6detail7generic6detail18binary_search_lessEbEEEE10hipError_tPvRmT1_T2_T3_mmT4_T5_P12ihipStream_tbEUlRKtE_EEST_SX_SY_mSZ_S12_bEUlT_E_NS1_11comp_targetILNS1_3genE4ELNS1_11target_archE910ELNS1_3gpuE8ELNS1_3repE0EEENS1_30default_config_static_selectorELNS0_4arch9wavefront6targetE0EEEvSW_,comdat
	.protected	_ZN7rocprim17ROCPRIM_400000_NS6detail17trampoline_kernelINS0_14default_configENS1_27upper_bound_config_selectorItlEEZNS1_14transform_implILb0ES3_S5_N6thrust23THRUST_200600_302600_NS6detail15normal_iteratorINS8_7pointerItNS8_11hip_rocprim5par_tENS8_11use_defaultESE_EEEENSA_INSB_IlSD_SE_SE_EEEEZNS1_13binary_searchIS3_S5_PtSG_SI_NS1_21upper_bound_search_opENS9_16wrapped_functionINS8_6system6detail7generic6detail18binary_search_lessEbEEEE10hipError_tPvRmT1_T2_T3_mmT4_T5_P12ihipStream_tbEUlRKtE_EEST_SX_SY_mSZ_S12_bEUlT_E_NS1_11comp_targetILNS1_3genE4ELNS1_11target_archE910ELNS1_3gpuE8ELNS1_3repE0EEENS1_30default_config_static_selectorELNS0_4arch9wavefront6targetE0EEEvSW_ ; -- Begin function _ZN7rocprim17ROCPRIM_400000_NS6detail17trampoline_kernelINS0_14default_configENS1_27upper_bound_config_selectorItlEEZNS1_14transform_implILb0ES3_S5_N6thrust23THRUST_200600_302600_NS6detail15normal_iteratorINS8_7pointerItNS8_11hip_rocprim5par_tENS8_11use_defaultESE_EEEENSA_INSB_IlSD_SE_SE_EEEEZNS1_13binary_searchIS3_S5_PtSG_SI_NS1_21upper_bound_search_opENS9_16wrapped_functionINS8_6system6detail7generic6detail18binary_search_lessEbEEEE10hipError_tPvRmT1_T2_T3_mmT4_T5_P12ihipStream_tbEUlRKtE_EEST_SX_SY_mSZ_S12_bEUlT_E_NS1_11comp_targetILNS1_3genE4ELNS1_11target_archE910ELNS1_3gpuE8ELNS1_3repE0EEENS1_30default_config_static_selectorELNS0_4arch9wavefront6targetE0EEEvSW_
	.globl	_ZN7rocprim17ROCPRIM_400000_NS6detail17trampoline_kernelINS0_14default_configENS1_27upper_bound_config_selectorItlEEZNS1_14transform_implILb0ES3_S5_N6thrust23THRUST_200600_302600_NS6detail15normal_iteratorINS8_7pointerItNS8_11hip_rocprim5par_tENS8_11use_defaultESE_EEEENSA_INSB_IlSD_SE_SE_EEEEZNS1_13binary_searchIS3_S5_PtSG_SI_NS1_21upper_bound_search_opENS9_16wrapped_functionINS8_6system6detail7generic6detail18binary_search_lessEbEEEE10hipError_tPvRmT1_T2_T3_mmT4_T5_P12ihipStream_tbEUlRKtE_EEST_SX_SY_mSZ_S12_bEUlT_E_NS1_11comp_targetILNS1_3genE4ELNS1_11target_archE910ELNS1_3gpuE8ELNS1_3repE0EEENS1_30default_config_static_selectorELNS0_4arch9wavefront6targetE0EEEvSW_
	.p2align	8
	.type	_ZN7rocprim17ROCPRIM_400000_NS6detail17trampoline_kernelINS0_14default_configENS1_27upper_bound_config_selectorItlEEZNS1_14transform_implILb0ES3_S5_N6thrust23THRUST_200600_302600_NS6detail15normal_iteratorINS8_7pointerItNS8_11hip_rocprim5par_tENS8_11use_defaultESE_EEEENSA_INSB_IlSD_SE_SE_EEEEZNS1_13binary_searchIS3_S5_PtSG_SI_NS1_21upper_bound_search_opENS9_16wrapped_functionINS8_6system6detail7generic6detail18binary_search_lessEbEEEE10hipError_tPvRmT1_T2_T3_mmT4_T5_P12ihipStream_tbEUlRKtE_EEST_SX_SY_mSZ_S12_bEUlT_E_NS1_11comp_targetILNS1_3genE4ELNS1_11target_archE910ELNS1_3gpuE8ELNS1_3repE0EEENS1_30default_config_static_selectorELNS0_4arch9wavefront6targetE0EEEvSW_,@function
_ZN7rocprim17ROCPRIM_400000_NS6detail17trampoline_kernelINS0_14default_configENS1_27upper_bound_config_selectorItlEEZNS1_14transform_implILb0ES3_S5_N6thrust23THRUST_200600_302600_NS6detail15normal_iteratorINS8_7pointerItNS8_11hip_rocprim5par_tENS8_11use_defaultESE_EEEENSA_INSB_IlSD_SE_SE_EEEEZNS1_13binary_searchIS3_S5_PtSG_SI_NS1_21upper_bound_search_opENS9_16wrapped_functionINS8_6system6detail7generic6detail18binary_search_lessEbEEEE10hipError_tPvRmT1_T2_T3_mmT4_T5_P12ihipStream_tbEUlRKtE_EEST_SX_SY_mSZ_S12_bEUlT_E_NS1_11comp_targetILNS1_3genE4ELNS1_11target_archE910ELNS1_3gpuE8ELNS1_3repE0EEENS1_30default_config_static_selectorELNS0_4arch9wavefront6targetE0EEEvSW_: ; @_ZN7rocprim17ROCPRIM_400000_NS6detail17trampoline_kernelINS0_14default_configENS1_27upper_bound_config_selectorItlEEZNS1_14transform_implILb0ES3_S5_N6thrust23THRUST_200600_302600_NS6detail15normal_iteratorINS8_7pointerItNS8_11hip_rocprim5par_tENS8_11use_defaultESE_EEEENSA_INSB_IlSD_SE_SE_EEEEZNS1_13binary_searchIS3_S5_PtSG_SI_NS1_21upper_bound_search_opENS9_16wrapped_functionINS8_6system6detail7generic6detail18binary_search_lessEbEEEE10hipError_tPvRmT1_T2_T3_mmT4_T5_P12ihipStream_tbEUlRKtE_EEST_SX_SY_mSZ_S12_bEUlT_E_NS1_11comp_targetILNS1_3genE4ELNS1_11target_archE910ELNS1_3gpuE8ELNS1_3repE0EEENS1_30default_config_static_selectorELNS0_4arch9wavefront6targetE0EEEvSW_
; %bb.0:
	.section	.rodata,"a",@progbits
	.p2align	6, 0x0
	.amdhsa_kernel _ZN7rocprim17ROCPRIM_400000_NS6detail17trampoline_kernelINS0_14default_configENS1_27upper_bound_config_selectorItlEEZNS1_14transform_implILb0ES3_S5_N6thrust23THRUST_200600_302600_NS6detail15normal_iteratorINS8_7pointerItNS8_11hip_rocprim5par_tENS8_11use_defaultESE_EEEENSA_INSB_IlSD_SE_SE_EEEEZNS1_13binary_searchIS3_S5_PtSG_SI_NS1_21upper_bound_search_opENS9_16wrapped_functionINS8_6system6detail7generic6detail18binary_search_lessEbEEEE10hipError_tPvRmT1_T2_T3_mmT4_T5_P12ihipStream_tbEUlRKtE_EEST_SX_SY_mSZ_S12_bEUlT_E_NS1_11comp_targetILNS1_3genE4ELNS1_11target_archE910ELNS1_3gpuE8ELNS1_3repE0EEENS1_30default_config_static_selectorELNS0_4arch9wavefront6targetE0EEEvSW_
		.amdhsa_group_segment_fixed_size 0
		.amdhsa_private_segment_fixed_size 0
		.amdhsa_kernarg_size 56
		.amdhsa_user_sgpr_count 6
		.amdhsa_user_sgpr_private_segment_buffer 1
		.amdhsa_user_sgpr_dispatch_ptr 0
		.amdhsa_user_sgpr_queue_ptr 0
		.amdhsa_user_sgpr_kernarg_segment_ptr 1
		.amdhsa_user_sgpr_dispatch_id 0
		.amdhsa_user_sgpr_flat_scratch_init 0
		.amdhsa_user_sgpr_private_segment_size 0
		.amdhsa_wavefront_size32 1
		.amdhsa_uses_dynamic_stack 0
		.amdhsa_system_sgpr_private_segment_wavefront_offset 0
		.amdhsa_system_sgpr_workgroup_id_x 1
		.amdhsa_system_sgpr_workgroup_id_y 0
		.amdhsa_system_sgpr_workgroup_id_z 0
		.amdhsa_system_sgpr_workgroup_info 0
		.amdhsa_system_vgpr_workitem_id 0
		.amdhsa_next_free_vgpr 1
		.amdhsa_next_free_sgpr 1
		.amdhsa_reserve_vcc 0
		.amdhsa_reserve_flat_scratch 0
		.amdhsa_float_round_mode_32 0
		.amdhsa_float_round_mode_16_64 0
		.amdhsa_float_denorm_mode_32 3
		.amdhsa_float_denorm_mode_16_64 3
		.amdhsa_dx10_clamp 1
		.amdhsa_ieee_mode 1
		.amdhsa_fp16_overflow 0
		.amdhsa_workgroup_processor_mode 1
		.amdhsa_memory_ordered 1
		.amdhsa_forward_progress 1
		.amdhsa_shared_vgpr_count 0
		.amdhsa_exception_fp_ieee_invalid_op 0
		.amdhsa_exception_fp_denorm_src 0
		.amdhsa_exception_fp_ieee_div_zero 0
		.amdhsa_exception_fp_ieee_overflow 0
		.amdhsa_exception_fp_ieee_underflow 0
		.amdhsa_exception_fp_ieee_inexact 0
		.amdhsa_exception_int_div_zero 0
	.end_amdhsa_kernel
	.section	.text._ZN7rocprim17ROCPRIM_400000_NS6detail17trampoline_kernelINS0_14default_configENS1_27upper_bound_config_selectorItlEEZNS1_14transform_implILb0ES3_S5_N6thrust23THRUST_200600_302600_NS6detail15normal_iteratorINS8_7pointerItNS8_11hip_rocprim5par_tENS8_11use_defaultESE_EEEENSA_INSB_IlSD_SE_SE_EEEEZNS1_13binary_searchIS3_S5_PtSG_SI_NS1_21upper_bound_search_opENS9_16wrapped_functionINS8_6system6detail7generic6detail18binary_search_lessEbEEEE10hipError_tPvRmT1_T2_T3_mmT4_T5_P12ihipStream_tbEUlRKtE_EEST_SX_SY_mSZ_S12_bEUlT_E_NS1_11comp_targetILNS1_3genE4ELNS1_11target_archE910ELNS1_3gpuE8ELNS1_3repE0EEENS1_30default_config_static_selectorELNS0_4arch9wavefront6targetE0EEEvSW_,"axG",@progbits,_ZN7rocprim17ROCPRIM_400000_NS6detail17trampoline_kernelINS0_14default_configENS1_27upper_bound_config_selectorItlEEZNS1_14transform_implILb0ES3_S5_N6thrust23THRUST_200600_302600_NS6detail15normal_iteratorINS8_7pointerItNS8_11hip_rocprim5par_tENS8_11use_defaultESE_EEEENSA_INSB_IlSD_SE_SE_EEEEZNS1_13binary_searchIS3_S5_PtSG_SI_NS1_21upper_bound_search_opENS9_16wrapped_functionINS8_6system6detail7generic6detail18binary_search_lessEbEEEE10hipError_tPvRmT1_T2_T3_mmT4_T5_P12ihipStream_tbEUlRKtE_EEST_SX_SY_mSZ_S12_bEUlT_E_NS1_11comp_targetILNS1_3genE4ELNS1_11target_archE910ELNS1_3gpuE8ELNS1_3repE0EEENS1_30default_config_static_selectorELNS0_4arch9wavefront6targetE0EEEvSW_,comdat
.Lfunc_end204:
	.size	_ZN7rocprim17ROCPRIM_400000_NS6detail17trampoline_kernelINS0_14default_configENS1_27upper_bound_config_selectorItlEEZNS1_14transform_implILb0ES3_S5_N6thrust23THRUST_200600_302600_NS6detail15normal_iteratorINS8_7pointerItNS8_11hip_rocprim5par_tENS8_11use_defaultESE_EEEENSA_INSB_IlSD_SE_SE_EEEEZNS1_13binary_searchIS3_S5_PtSG_SI_NS1_21upper_bound_search_opENS9_16wrapped_functionINS8_6system6detail7generic6detail18binary_search_lessEbEEEE10hipError_tPvRmT1_T2_T3_mmT4_T5_P12ihipStream_tbEUlRKtE_EEST_SX_SY_mSZ_S12_bEUlT_E_NS1_11comp_targetILNS1_3genE4ELNS1_11target_archE910ELNS1_3gpuE8ELNS1_3repE0EEENS1_30default_config_static_selectorELNS0_4arch9wavefront6targetE0EEEvSW_, .Lfunc_end204-_ZN7rocprim17ROCPRIM_400000_NS6detail17trampoline_kernelINS0_14default_configENS1_27upper_bound_config_selectorItlEEZNS1_14transform_implILb0ES3_S5_N6thrust23THRUST_200600_302600_NS6detail15normal_iteratorINS8_7pointerItNS8_11hip_rocprim5par_tENS8_11use_defaultESE_EEEENSA_INSB_IlSD_SE_SE_EEEEZNS1_13binary_searchIS3_S5_PtSG_SI_NS1_21upper_bound_search_opENS9_16wrapped_functionINS8_6system6detail7generic6detail18binary_search_lessEbEEEE10hipError_tPvRmT1_T2_T3_mmT4_T5_P12ihipStream_tbEUlRKtE_EEST_SX_SY_mSZ_S12_bEUlT_E_NS1_11comp_targetILNS1_3genE4ELNS1_11target_archE910ELNS1_3gpuE8ELNS1_3repE0EEENS1_30default_config_static_selectorELNS0_4arch9wavefront6targetE0EEEvSW_
                                        ; -- End function
	.set _ZN7rocprim17ROCPRIM_400000_NS6detail17trampoline_kernelINS0_14default_configENS1_27upper_bound_config_selectorItlEEZNS1_14transform_implILb0ES3_S5_N6thrust23THRUST_200600_302600_NS6detail15normal_iteratorINS8_7pointerItNS8_11hip_rocprim5par_tENS8_11use_defaultESE_EEEENSA_INSB_IlSD_SE_SE_EEEEZNS1_13binary_searchIS3_S5_PtSG_SI_NS1_21upper_bound_search_opENS9_16wrapped_functionINS8_6system6detail7generic6detail18binary_search_lessEbEEEE10hipError_tPvRmT1_T2_T3_mmT4_T5_P12ihipStream_tbEUlRKtE_EEST_SX_SY_mSZ_S12_bEUlT_E_NS1_11comp_targetILNS1_3genE4ELNS1_11target_archE910ELNS1_3gpuE8ELNS1_3repE0EEENS1_30default_config_static_selectorELNS0_4arch9wavefront6targetE0EEEvSW_.num_vgpr, 0
	.set _ZN7rocprim17ROCPRIM_400000_NS6detail17trampoline_kernelINS0_14default_configENS1_27upper_bound_config_selectorItlEEZNS1_14transform_implILb0ES3_S5_N6thrust23THRUST_200600_302600_NS6detail15normal_iteratorINS8_7pointerItNS8_11hip_rocprim5par_tENS8_11use_defaultESE_EEEENSA_INSB_IlSD_SE_SE_EEEEZNS1_13binary_searchIS3_S5_PtSG_SI_NS1_21upper_bound_search_opENS9_16wrapped_functionINS8_6system6detail7generic6detail18binary_search_lessEbEEEE10hipError_tPvRmT1_T2_T3_mmT4_T5_P12ihipStream_tbEUlRKtE_EEST_SX_SY_mSZ_S12_bEUlT_E_NS1_11comp_targetILNS1_3genE4ELNS1_11target_archE910ELNS1_3gpuE8ELNS1_3repE0EEENS1_30default_config_static_selectorELNS0_4arch9wavefront6targetE0EEEvSW_.num_agpr, 0
	.set _ZN7rocprim17ROCPRIM_400000_NS6detail17trampoline_kernelINS0_14default_configENS1_27upper_bound_config_selectorItlEEZNS1_14transform_implILb0ES3_S5_N6thrust23THRUST_200600_302600_NS6detail15normal_iteratorINS8_7pointerItNS8_11hip_rocprim5par_tENS8_11use_defaultESE_EEEENSA_INSB_IlSD_SE_SE_EEEEZNS1_13binary_searchIS3_S5_PtSG_SI_NS1_21upper_bound_search_opENS9_16wrapped_functionINS8_6system6detail7generic6detail18binary_search_lessEbEEEE10hipError_tPvRmT1_T2_T3_mmT4_T5_P12ihipStream_tbEUlRKtE_EEST_SX_SY_mSZ_S12_bEUlT_E_NS1_11comp_targetILNS1_3genE4ELNS1_11target_archE910ELNS1_3gpuE8ELNS1_3repE0EEENS1_30default_config_static_selectorELNS0_4arch9wavefront6targetE0EEEvSW_.numbered_sgpr, 0
	.set _ZN7rocprim17ROCPRIM_400000_NS6detail17trampoline_kernelINS0_14default_configENS1_27upper_bound_config_selectorItlEEZNS1_14transform_implILb0ES3_S5_N6thrust23THRUST_200600_302600_NS6detail15normal_iteratorINS8_7pointerItNS8_11hip_rocprim5par_tENS8_11use_defaultESE_EEEENSA_INSB_IlSD_SE_SE_EEEEZNS1_13binary_searchIS3_S5_PtSG_SI_NS1_21upper_bound_search_opENS9_16wrapped_functionINS8_6system6detail7generic6detail18binary_search_lessEbEEEE10hipError_tPvRmT1_T2_T3_mmT4_T5_P12ihipStream_tbEUlRKtE_EEST_SX_SY_mSZ_S12_bEUlT_E_NS1_11comp_targetILNS1_3genE4ELNS1_11target_archE910ELNS1_3gpuE8ELNS1_3repE0EEENS1_30default_config_static_selectorELNS0_4arch9wavefront6targetE0EEEvSW_.num_named_barrier, 0
	.set _ZN7rocprim17ROCPRIM_400000_NS6detail17trampoline_kernelINS0_14default_configENS1_27upper_bound_config_selectorItlEEZNS1_14transform_implILb0ES3_S5_N6thrust23THRUST_200600_302600_NS6detail15normal_iteratorINS8_7pointerItNS8_11hip_rocprim5par_tENS8_11use_defaultESE_EEEENSA_INSB_IlSD_SE_SE_EEEEZNS1_13binary_searchIS3_S5_PtSG_SI_NS1_21upper_bound_search_opENS9_16wrapped_functionINS8_6system6detail7generic6detail18binary_search_lessEbEEEE10hipError_tPvRmT1_T2_T3_mmT4_T5_P12ihipStream_tbEUlRKtE_EEST_SX_SY_mSZ_S12_bEUlT_E_NS1_11comp_targetILNS1_3genE4ELNS1_11target_archE910ELNS1_3gpuE8ELNS1_3repE0EEENS1_30default_config_static_selectorELNS0_4arch9wavefront6targetE0EEEvSW_.private_seg_size, 0
	.set _ZN7rocprim17ROCPRIM_400000_NS6detail17trampoline_kernelINS0_14default_configENS1_27upper_bound_config_selectorItlEEZNS1_14transform_implILb0ES3_S5_N6thrust23THRUST_200600_302600_NS6detail15normal_iteratorINS8_7pointerItNS8_11hip_rocprim5par_tENS8_11use_defaultESE_EEEENSA_INSB_IlSD_SE_SE_EEEEZNS1_13binary_searchIS3_S5_PtSG_SI_NS1_21upper_bound_search_opENS9_16wrapped_functionINS8_6system6detail7generic6detail18binary_search_lessEbEEEE10hipError_tPvRmT1_T2_T3_mmT4_T5_P12ihipStream_tbEUlRKtE_EEST_SX_SY_mSZ_S12_bEUlT_E_NS1_11comp_targetILNS1_3genE4ELNS1_11target_archE910ELNS1_3gpuE8ELNS1_3repE0EEENS1_30default_config_static_selectorELNS0_4arch9wavefront6targetE0EEEvSW_.uses_vcc, 0
	.set _ZN7rocprim17ROCPRIM_400000_NS6detail17trampoline_kernelINS0_14default_configENS1_27upper_bound_config_selectorItlEEZNS1_14transform_implILb0ES3_S5_N6thrust23THRUST_200600_302600_NS6detail15normal_iteratorINS8_7pointerItNS8_11hip_rocprim5par_tENS8_11use_defaultESE_EEEENSA_INSB_IlSD_SE_SE_EEEEZNS1_13binary_searchIS3_S5_PtSG_SI_NS1_21upper_bound_search_opENS9_16wrapped_functionINS8_6system6detail7generic6detail18binary_search_lessEbEEEE10hipError_tPvRmT1_T2_T3_mmT4_T5_P12ihipStream_tbEUlRKtE_EEST_SX_SY_mSZ_S12_bEUlT_E_NS1_11comp_targetILNS1_3genE4ELNS1_11target_archE910ELNS1_3gpuE8ELNS1_3repE0EEENS1_30default_config_static_selectorELNS0_4arch9wavefront6targetE0EEEvSW_.uses_flat_scratch, 0
	.set _ZN7rocprim17ROCPRIM_400000_NS6detail17trampoline_kernelINS0_14default_configENS1_27upper_bound_config_selectorItlEEZNS1_14transform_implILb0ES3_S5_N6thrust23THRUST_200600_302600_NS6detail15normal_iteratorINS8_7pointerItNS8_11hip_rocprim5par_tENS8_11use_defaultESE_EEEENSA_INSB_IlSD_SE_SE_EEEEZNS1_13binary_searchIS3_S5_PtSG_SI_NS1_21upper_bound_search_opENS9_16wrapped_functionINS8_6system6detail7generic6detail18binary_search_lessEbEEEE10hipError_tPvRmT1_T2_T3_mmT4_T5_P12ihipStream_tbEUlRKtE_EEST_SX_SY_mSZ_S12_bEUlT_E_NS1_11comp_targetILNS1_3genE4ELNS1_11target_archE910ELNS1_3gpuE8ELNS1_3repE0EEENS1_30default_config_static_selectorELNS0_4arch9wavefront6targetE0EEEvSW_.has_dyn_sized_stack, 0
	.set _ZN7rocprim17ROCPRIM_400000_NS6detail17trampoline_kernelINS0_14default_configENS1_27upper_bound_config_selectorItlEEZNS1_14transform_implILb0ES3_S5_N6thrust23THRUST_200600_302600_NS6detail15normal_iteratorINS8_7pointerItNS8_11hip_rocprim5par_tENS8_11use_defaultESE_EEEENSA_INSB_IlSD_SE_SE_EEEEZNS1_13binary_searchIS3_S5_PtSG_SI_NS1_21upper_bound_search_opENS9_16wrapped_functionINS8_6system6detail7generic6detail18binary_search_lessEbEEEE10hipError_tPvRmT1_T2_T3_mmT4_T5_P12ihipStream_tbEUlRKtE_EEST_SX_SY_mSZ_S12_bEUlT_E_NS1_11comp_targetILNS1_3genE4ELNS1_11target_archE910ELNS1_3gpuE8ELNS1_3repE0EEENS1_30default_config_static_selectorELNS0_4arch9wavefront6targetE0EEEvSW_.has_recursion, 0
	.set _ZN7rocprim17ROCPRIM_400000_NS6detail17trampoline_kernelINS0_14default_configENS1_27upper_bound_config_selectorItlEEZNS1_14transform_implILb0ES3_S5_N6thrust23THRUST_200600_302600_NS6detail15normal_iteratorINS8_7pointerItNS8_11hip_rocprim5par_tENS8_11use_defaultESE_EEEENSA_INSB_IlSD_SE_SE_EEEEZNS1_13binary_searchIS3_S5_PtSG_SI_NS1_21upper_bound_search_opENS9_16wrapped_functionINS8_6system6detail7generic6detail18binary_search_lessEbEEEE10hipError_tPvRmT1_T2_T3_mmT4_T5_P12ihipStream_tbEUlRKtE_EEST_SX_SY_mSZ_S12_bEUlT_E_NS1_11comp_targetILNS1_3genE4ELNS1_11target_archE910ELNS1_3gpuE8ELNS1_3repE0EEENS1_30default_config_static_selectorELNS0_4arch9wavefront6targetE0EEEvSW_.has_indirect_call, 0
	.section	.AMDGPU.csdata,"",@progbits
; Kernel info:
; codeLenInByte = 0
; TotalNumSgprs: 0
; NumVgprs: 0
; ScratchSize: 0
; MemoryBound: 0
; FloatMode: 240
; IeeeMode: 1
; LDSByteSize: 0 bytes/workgroup (compile time only)
; SGPRBlocks: 0
; VGPRBlocks: 0
; NumSGPRsForWavesPerEU: 1
; NumVGPRsForWavesPerEU: 1
; Occupancy: 16
; WaveLimiterHint : 0
; COMPUTE_PGM_RSRC2:SCRATCH_EN: 0
; COMPUTE_PGM_RSRC2:USER_SGPR: 6
; COMPUTE_PGM_RSRC2:TRAP_HANDLER: 0
; COMPUTE_PGM_RSRC2:TGID_X_EN: 1
; COMPUTE_PGM_RSRC2:TGID_Y_EN: 0
; COMPUTE_PGM_RSRC2:TGID_Z_EN: 0
; COMPUTE_PGM_RSRC2:TIDIG_COMP_CNT: 0
	.section	.text._ZN7rocprim17ROCPRIM_400000_NS6detail17trampoline_kernelINS0_14default_configENS1_27upper_bound_config_selectorItlEEZNS1_14transform_implILb0ES3_S5_N6thrust23THRUST_200600_302600_NS6detail15normal_iteratorINS8_7pointerItNS8_11hip_rocprim5par_tENS8_11use_defaultESE_EEEENSA_INSB_IlSD_SE_SE_EEEEZNS1_13binary_searchIS3_S5_PtSG_SI_NS1_21upper_bound_search_opENS9_16wrapped_functionINS8_6system6detail7generic6detail18binary_search_lessEbEEEE10hipError_tPvRmT1_T2_T3_mmT4_T5_P12ihipStream_tbEUlRKtE_EEST_SX_SY_mSZ_S12_bEUlT_E_NS1_11comp_targetILNS1_3genE3ELNS1_11target_archE908ELNS1_3gpuE7ELNS1_3repE0EEENS1_30default_config_static_selectorELNS0_4arch9wavefront6targetE0EEEvSW_,"axG",@progbits,_ZN7rocprim17ROCPRIM_400000_NS6detail17trampoline_kernelINS0_14default_configENS1_27upper_bound_config_selectorItlEEZNS1_14transform_implILb0ES3_S5_N6thrust23THRUST_200600_302600_NS6detail15normal_iteratorINS8_7pointerItNS8_11hip_rocprim5par_tENS8_11use_defaultESE_EEEENSA_INSB_IlSD_SE_SE_EEEEZNS1_13binary_searchIS3_S5_PtSG_SI_NS1_21upper_bound_search_opENS9_16wrapped_functionINS8_6system6detail7generic6detail18binary_search_lessEbEEEE10hipError_tPvRmT1_T2_T3_mmT4_T5_P12ihipStream_tbEUlRKtE_EEST_SX_SY_mSZ_S12_bEUlT_E_NS1_11comp_targetILNS1_3genE3ELNS1_11target_archE908ELNS1_3gpuE7ELNS1_3repE0EEENS1_30default_config_static_selectorELNS0_4arch9wavefront6targetE0EEEvSW_,comdat
	.protected	_ZN7rocprim17ROCPRIM_400000_NS6detail17trampoline_kernelINS0_14default_configENS1_27upper_bound_config_selectorItlEEZNS1_14transform_implILb0ES3_S5_N6thrust23THRUST_200600_302600_NS6detail15normal_iteratorINS8_7pointerItNS8_11hip_rocprim5par_tENS8_11use_defaultESE_EEEENSA_INSB_IlSD_SE_SE_EEEEZNS1_13binary_searchIS3_S5_PtSG_SI_NS1_21upper_bound_search_opENS9_16wrapped_functionINS8_6system6detail7generic6detail18binary_search_lessEbEEEE10hipError_tPvRmT1_T2_T3_mmT4_T5_P12ihipStream_tbEUlRKtE_EEST_SX_SY_mSZ_S12_bEUlT_E_NS1_11comp_targetILNS1_3genE3ELNS1_11target_archE908ELNS1_3gpuE7ELNS1_3repE0EEENS1_30default_config_static_selectorELNS0_4arch9wavefront6targetE0EEEvSW_ ; -- Begin function _ZN7rocprim17ROCPRIM_400000_NS6detail17trampoline_kernelINS0_14default_configENS1_27upper_bound_config_selectorItlEEZNS1_14transform_implILb0ES3_S5_N6thrust23THRUST_200600_302600_NS6detail15normal_iteratorINS8_7pointerItNS8_11hip_rocprim5par_tENS8_11use_defaultESE_EEEENSA_INSB_IlSD_SE_SE_EEEEZNS1_13binary_searchIS3_S5_PtSG_SI_NS1_21upper_bound_search_opENS9_16wrapped_functionINS8_6system6detail7generic6detail18binary_search_lessEbEEEE10hipError_tPvRmT1_T2_T3_mmT4_T5_P12ihipStream_tbEUlRKtE_EEST_SX_SY_mSZ_S12_bEUlT_E_NS1_11comp_targetILNS1_3genE3ELNS1_11target_archE908ELNS1_3gpuE7ELNS1_3repE0EEENS1_30default_config_static_selectorELNS0_4arch9wavefront6targetE0EEEvSW_
	.globl	_ZN7rocprim17ROCPRIM_400000_NS6detail17trampoline_kernelINS0_14default_configENS1_27upper_bound_config_selectorItlEEZNS1_14transform_implILb0ES3_S5_N6thrust23THRUST_200600_302600_NS6detail15normal_iteratorINS8_7pointerItNS8_11hip_rocprim5par_tENS8_11use_defaultESE_EEEENSA_INSB_IlSD_SE_SE_EEEEZNS1_13binary_searchIS3_S5_PtSG_SI_NS1_21upper_bound_search_opENS9_16wrapped_functionINS8_6system6detail7generic6detail18binary_search_lessEbEEEE10hipError_tPvRmT1_T2_T3_mmT4_T5_P12ihipStream_tbEUlRKtE_EEST_SX_SY_mSZ_S12_bEUlT_E_NS1_11comp_targetILNS1_3genE3ELNS1_11target_archE908ELNS1_3gpuE7ELNS1_3repE0EEENS1_30default_config_static_selectorELNS0_4arch9wavefront6targetE0EEEvSW_
	.p2align	8
	.type	_ZN7rocprim17ROCPRIM_400000_NS6detail17trampoline_kernelINS0_14default_configENS1_27upper_bound_config_selectorItlEEZNS1_14transform_implILb0ES3_S5_N6thrust23THRUST_200600_302600_NS6detail15normal_iteratorINS8_7pointerItNS8_11hip_rocprim5par_tENS8_11use_defaultESE_EEEENSA_INSB_IlSD_SE_SE_EEEEZNS1_13binary_searchIS3_S5_PtSG_SI_NS1_21upper_bound_search_opENS9_16wrapped_functionINS8_6system6detail7generic6detail18binary_search_lessEbEEEE10hipError_tPvRmT1_T2_T3_mmT4_T5_P12ihipStream_tbEUlRKtE_EEST_SX_SY_mSZ_S12_bEUlT_E_NS1_11comp_targetILNS1_3genE3ELNS1_11target_archE908ELNS1_3gpuE7ELNS1_3repE0EEENS1_30default_config_static_selectorELNS0_4arch9wavefront6targetE0EEEvSW_,@function
_ZN7rocprim17ROCPRIM_400000_NS6detail17trampoline_kernelINS0_14default_configENS1_27upper_bound_config_selectorItlEEZNS1_14transform_implILb0ES3_S5_N6thrust23THRUST_200600_302600_NS6detail15normal_iteratorINS8_7pointerItNS8_11hip_rocprim5par_tENS8_11use_defaultESE_EEEENSA_INSB_IlSD_SE_SE_EEEEZNS1_13binary_searchIS3_S5_PtSG_SI_NS1_21upper_bound_search_opENS9_16wrapped_functionINS8_6system6detail7generic6detail18binary_search_lessEbEEEE10hipError_tPvRmT1_T2_T3_mmT4_T5_P12ihipStream_tbEUlRKtE_EEST_SX_SY_mSZ_S12_bEUlT_E_NS1_11comp_targetILNS1_3genE3ELNS1_11target_archE908ELNS1_3gpuE7ELNS1_3repE0EEENS1_30default_config_static_selectorELNS0_4arch9wavefront6targetE0EEEvSW_: ; @_ZN7rocprim17ROCPRIM_400000_NS6detail17trampoline_kernelINS0_14default_configENS1_27upper_bound_config_selectorItlEEZNS1_14transform_implILb0ES3_S5_N6thrust23THRUST_200600_302600_NS6detail15normal_iteratorINS8_7pointerItNS8_11hip_rocprim5par_tENS8_11use_defaultESE_EEEENSA_INSB_IlSD_SE_SE_EEEEZNS1_13binary_searchIS3_S5_PtSG_SI_NS1_21upper_bound_search_opENS9_16wrapped_functionINS8_6system6detail7generic6detail18binary_search_lessEbEEEE10hipError_tPvRmT1_T2_T3_mmT4_T5_P12ihipStream_tbEUlRKtE_EEST_SX_SY_mSZ_S12_bEUlT_E_NS1_11comp_targetILNS1_3genE3ELNS1_11target_archE908ELNS1_3gpuE7ELNS1_3repE0EEENS1_30default_config_static_selectorELNS0_4arch9wavefront6targetE0EEEvSW_
; %bb.0:
	.section	.rodata,"a",@progbits
	.p2align	6, 0x0
	.amdhsa_kernel _ZN7rocprim17ROCPRIM_400000_NS6detail17trampoline_kernelINS0_14default_configENS1_27upper_bound_config_selectorItlEEZNS1_14transform_implILb0ES3_S5_N6thrust23THRUST_200600_302600_NS6detail15normal_iteratorINS8_7pointerItNS8_11hip_rocprim5par_tENS8_11use_defaultESE_EEEENSA_INSB_IlSD_SE_SE_EEEEZNS1_13binary_searchIS3_S5_PtSG_SI_NS1_21upper_bound_search_opENS9_16wrapped_functionINS8_6system6detail7generic6detail18binary_search_lessEbEEEE10hipError_tPvRmT1_T2_T3_mmT4_T5_P12ihipStream_tbEUlRKtE_EEST_SX_SY_mSZ_S12_bEUlT_E_NS1_11comp_targetILNS1_3genE3ELNS1_11target_archE908ELNS1_3gpuE7ELNS1_3repE0EEENS1_30default_config_static_selectorELNS0_4arch9wavefront6targetE0EEEvSW_
		.amdhsa_group_segment_fixed_size 0
		.amdhsa_private_segment_fixed_size 0
		.amdhsa_kernarg_size 56
		.amdhsa_user_sgpr_count 6
		.amdhsa_user_sgpr_private_segment_buffer 1
		.amdhsa_user_sgpr_dispatch_ptr 0
		.amdhsa_user_sgpr_queue_ptr 0
		.amdhsa_user_sgpr_kernarg_segment_ptr 1
		.amdhsa_user_sgpr_dispatch_id 0
		.amdhsa_user_sgpr_flat_scratch_init 0
		.amdhsa_user_sgpr_private_segment_size 0
		.amdhsa_wavefront_size32 1
		.amdhsa_uses_dynamic_stack 0
		.amdhsa_system_sgpr_private_segment_wavefront_offset 0
		.amdhsa_system_sgpr_workgroup_id_x 1
		.amdhsa_system_sgpr_workgroup_id_y 0
		.amdhsa_system_sgpr_workgroup_id_z 0
		.amdhsa_system_sgpr_workgroup_info 0
		.amdhsa_system_vgpr_workitem_id 0
		.amdhsa_next_free_vgpr 1
		.amdhsa_next_free_sgpr 1
		.amdhsa_reserve_vcc 0
		.amdhsa_reserve_flat_scratch 0
		.amdhsa_float_round_mode_32 0
		.amdhsa_float_round_mode_16_64 0
		.amdhsa_float_denorm_mode_32 3
		.amdhsa_float_denorm_mode_16_64 3
		.amdhsa_dx10_clamp 1
		.amdhsa_ieee_mode 1
		.amdhsa_fp16_overflow 0
		.amdhsa_workgroup_processor_mode 1
		.amdhsa_memory_ordered 1
		.amdhsa_forward_progress 1
		.amdhsa_shared_vgpr_count 0
		.amdhsa_exception_fp_ieee_invalid_op 0
		.amdhsa_exception_fp_denorm_src 0
		.amdhsa_exception_fp_ieee_div_zero 0
		.amdhsa_exception_fp_ieee_overflow 0
		.amdhsa_exception_fp_ieee_underflow 0
		.amdhsa_exception_fp_ieee_inexact 0
		.amdhsa_exception_int_div_zero 0
	.end_amdhsa_kernel
	.section	.text._ZN7rocprim17ROCPRIM_400000_NS6detail17trampoline_kernelINS0_14default_configENS1_27upper_bound_config_selectorItlEEZNS1_14transform_implILb0ES3_S5_N6thrust23THRUST_200600_302600_NS6detail15normal_iteratorINS8_7pointerItNS8_11hip_rocprim5par_tENS8_11use_defaultESE_EEEENSA_INSB_IlSD_SE_SE_EEEEZNS1_13binary_searchIS3_S5_PtSG_SI_NS1_21upper_bound_search_opENS9_16wrapped_functionINS8_6system6detail7generic6detail18binary_search_lessEbEEEE10hipError_tPvRmT1_T2_T3_mmT4_T5_P12ihipStream_tbEUlRKtE_EEST_SX_SY_mSZ_S12_bEUlT_E_NS1_11comp_targetILNS1_3genE3ELNS1_11target_archE908ELNS1_3gpuE7ELNS1_3repE0EEENS1_30default_config_static_selectorELNS0_4arch9wavefront6targetE0EEEvSW_,"axG",@progbits,_ZN7rocprim17ROCPRIM_400000_NS6detail17trampoline_kernelINS0_14default_configENS1_27upper_bound_config_selectorItlEEZNS1_14transform_implILb0ES3_S5_N6thrust23THRUST_200600_302600_NS6detail15normal_iteratorINS8_7pointerItNS8_11hip_rocprim5par_tENS8_11use_defaultESE_EEEENSA_INSB_IlSD_SE_SE_EEEEZNS1_13binary_searchIS3_S5_PtSG_SI_NS1_21upper_bound_search_opENS9_16wrapped_functionINS8_6system6detail7generic6detail18binary_search_lessEbEEEE10hipError_tPvRmT1_T2_T3_mmT4_T5_P12ihipStream_tbEUlRKtE_EEST_SX_SY_mSZ_S12_bEUlT_E_NS1_11comp_targetILNS1_3genE3ELNS1_11target_archE908ELNS1_3gpuE7ELNS1_3repE0EEENS1_30default_config_static_selectorELNS0_4arch9wavefront6targetE0EEEvSW_,comdat
.Lfunc_end205:
	.size	_ZN7rocprim17ROCPRIM_400000_NS6detail17trampoline_kernelINS0_14default_configENS1_27upper_bound_config_selectorItlEEZNS1_14transform_implILb0ES3_S5_N6thrust23THRUST_200600_302600_NS6detail15normal_iteratorINS8_7pointerItNS8_11hip_rocprim5par_tENS8_11use_defaultESE_EEEENSA_INSB_IlSD_SE_SE_EEEEZNS1_13binary_searchIS3_S5_PtSG_SI_NS1_21upper_bound_search_opENS9_16wrapped_functionINS8_6system6detail7generic6detail18binary_search_lessEbEEEE10hipError_tPvRmT1_T2_T3_mmT4_T5_P12ihipStream_tbEUlRKtE_EEST_SX_SY_mSZ_S12_bEUlT_E_NS1_11comp_targetILNS1_3genE3ELNS1_11target_archE908ELNS1_3gpuE7ELNS1_3repE0EEENS1_30default_config_static_selectorELNS0_4arch9wavefront6targetE0EEEvSW_, .Lfunc_end205-_ZN7rocprim17ROCPRIM_400000_NS6detail17trampoline_kernelINS0_14default_configENS1_27upper_bound_config_selectorItlEEZNS1_14transform_implILb0ES3_S5_N6thrust23THRUST_200600_302600_NS6detail15normal_iteratorINS8_7pointerItNS8_11hip_rocprim5par_tENS8_11use_defaultESE_EEEENSA_INSB_IlSD_SE_SE_EEEEZNS1_13binary_searchIS3_S5_PtSG_SI_NS1_21upper_bound_search_opENS9_16wrapped_functionINS8_6system6detail7generic6detail18binary_search_lessEbEEEE10hipError_tPvRmT1_T2_T3_mmT4_T5_P12ihipStream_tbEUlRKtE_EEST_SX_SY_mSZ_S12_bEUlT_E_NS1_11comp_targetILNS1_3genE3ELNS1_11target_archE908ELNS1_3gpuE7ELNS1_3repE0EEENS1_30default_config_static_selectorELNS0_4arch9wavefront6targetE0EEEvSW_
                                        ; -- End function
	.set _ZN7rocprim17ROCPRIM_400000_NS6detail17trampoline_kernelINS0_14default_configENS1_27upper_bound_config_selectorItlEEZNS1_14transform_implILb0ES3_S5_N6thrust23THRUST_200600_302600_NS6detail15normal_iteratorINS8_7pointerItNS8_11hip_rocprim5par_tENS8_11use_defaultESE_EEEENSA_INSB_IlSD_SE_SE_EEEEZNS1_13binary_searchIS3_S5_PtSG_SI_NS1_21upper_bound_search_opENS9_16wrapped_functionINS8_6system6detail7generic6detail18binary_search_lessEbEEEE10hipError_tPvRmT1_T2_T3_mmT4_T5_P12ihipStream_tbEUlRKtE_EEST_SX_SY_mSZ_S12_bEUlT_E_NS1_11comp_targetILNS1_3genE3ELNS1_11target_archE908ELNS1_3gpuE7ELNS1_3repE0EEENS1_30default_config_static_selectorELNS0_4arch9wavefront6targetE0EEEvSW_.num_vgpr, 0
	.set _ZN7rocprim17ROCPRIM_400000_NS6detail17trampoline_kernelINS0_14default_configENS1_27upper_bound_config_selectorItlEEZNS1_14transform_implILb0ES3_S5_N6thrust23THRUST_200600_302600_NS6detail15normal_iteratorINS8_7pointerItNS8_11hip_rocprim5par_tENS8_11use_defaultESE_EEEENSA_INSB_IlSD_SE_SE_EEEEZNS1_13binary_searchIS3_S5_PtSG_SI_NS1_21upper_bound_search_opENS9_16wrapped_functionINS8_6system6detail7generic6detail18binary_search_lessEbEEEE10hipError_tPvRmT1_T2_T3_mmT4_T5_P12ihipStream_tbEUlRKtE_EEST_SX_SY_mSZ_S12_bEUlT_E_NS1_11comp_targetILNS1_3genE3ELNS1_11target_archE908ELNS1_3gpuE7ELNS1_3repE0EEENS1_30default_config_static_selectorELNS0_4arch9wavefront6targetE0EEEvSW_.num_agpr, 0
	.set _ZN7rocprim17ROCPRIM_400000_NS6detail17trampoline_kernelINS0_14default_configENS1_27upper_bound_config_selectorItlEEZNS1_14transform_implILb0ES3_S5_N6thrust23THRUST_200600_302600_NS6detail15normal_iteratorINS8_7pointerItNS8_11hip_rocprim5par_tENS8_11use_defaultESE_EEEENSA_INSB_IlSD_SE_SE_EEEEZNS1_13binary_searchIS3_S5_PtSG_SI_NS1_21upper_bound_search_opENS9_16wrapped_functionINS8_6system6detail7generic6detail18binary_search_lessEbEEEE10hipError_tPvRmT1_T2_T3_mmT4_T5_P12ihipStream_tbEUlRKtE_EEST_SX_SY_mSZ_S12_bEUlT_E_NS1_11comp_targetILNS1_3genE3ELNS1_11target_archE908ELNS1_3gpuE7ELNS1_3repE0EEENS1_30default_config_static_selectorELNS0_4arch9wavefront6targetE0EEEvSW_.numbered_sgpr, 0
	.set _ZN7rocprim17ROCPRIM_400000_NS6detail17trampoline_kernelINS0_14default_configENS1_27upper_bound_config_selectorItlEEZNS1_14transform_implILb0ES3_S5_N6thrust23THRUST_200600_302600_NS6detail15normal_iteratorINS8_7pointerItNS8_11hip_rocprim5par_tENS8_11use_defaultESE_EEEENSA_INSB_IlSD_SE_SE_EEEEZNS1_13binary_searchIS3_S5_PtSG_SI_NS1_21upper_bound_search_opENS9_16wrapped_functionINS8_6system6detail7generic6detail18binary_search_lessEbEEEE10hipError_tPvRmT1_T2_T3_mmT4_T5_P12ihipStream_tbEUlRKtE_EEST_SX_SY_mSZ_S12_bEUlT_E_NS1_11comp_targetILNS1_3genE3ELNS1_11target_archE908ELNS1_3gpuE7ELNS1_3repE0EEENS1_30default_config_static_selectorELNS0_4arch9wavefront6targetE0EEEvSW_.num_named_barrier, 0
	.set _ZN7rocprim17ROCPRIM_400000_NS6detail17trampoline_kernelINS0_14default_configENS1_27upper_bound_config_selectorItlEEZNS1_14transform_implILb0ES3_S5_N6thrust23THRUST_200600_302600_NS6detail15normal_iteratorINS8_7pointerItNS8_11hip_rocprim5par_tENS8_11use_defaultESE_EEEENSA_INSB_IlSD_SE_SE_EEEEZNS1_13binary_searchIS3_S5_PtSG_SI_NS1_21upper_bound_search_opENS9_16wrapped_functionINS8_6system6detail7generic6detail18binary_search_lessEbEEEE10hipError_tPvRmT1_T2_T3_mmT4_T5_P12ihipStream_tbEUlRKtE_EEST_SX_SY_mSZ_S12_bEUlT_E_NS1_11comp_targetILNS1_3genE3ELNS1_11target_archE908ELNS1_3gpuE7ELNS1_3repE0EEENS1_30default_config_static_selectorELNS0_4arch9wavefront6targetE0EEEvSW_.private_seg_size, 0
	.set _ZN7rocprim17ROCPRIM_400000_NS6detail17trampoline_kernelINS0_14default_configENS1_27upper_bound_config_selectorItlEEZNS1_14transform_implILb0ES3_S5_N6thrust23THRUST_200600_302600_NS6detail15normal_iteratorINS8_7pointerItNS8_11hip_rocprim5par_tENS8_11use_defaultESE_EEEENSA_INSB_IlSD_SE_SE_EEEEZNS1_13binary_searchIS3_S5_PtSG_SI_NS1_21upper_bound_search_opENS9_16wrapped_functionINS8_6system6detail7generic6detail18binary_search_lessEbEEEE10hipError_tPvRmT1_T2_T3_mmT4_T5_P12ihipStream_tbEUlRKtE_EEST_SX_SY_mSZ_S12_bEUlT_E_NS1_11comp_targetILNS1_3genE3ELNS1_11target_archE908ELNS1_3gpuE7ELNS1_3repE0EEENS1_30default_config_static_selectorELNS0_4arch9wavefront6targetE0EEEvSW_.uses_vcc, 0
	.set _ZN7rocprim17ROCPRIM_400000_NS6detail17trampoline_kernelINS0_14default_configENS1_27upper_bound_config_selectorItlEEZNS1_14transform_implILb0ES3_S5_N6thrust23THRUST_200600_302600_NS6detail15normal_iteratorINS8_7pointerItNS8_11hip_rocprim5par_tENS8_11use_defaultESE_EEEENSA_INSB_IlSD_SE_SE_EEEEZNS1_13binary_searchIS3_S5_PtSG_SI_NS1_21upper_bound_search_opENS9_16wrapped_functionINS8_6system6detail7generic6detail18binary_search_lessEbEEEE10hipError_tPvRmT1_T2_T3_mmT4_T5_P12ihipStream_tbEUlRKtE_EEST_SX_SY_mSZ_S12_bEUlT_E_NS1_11comp_targetILNS1_3genE3ELNS1_11target_archE908ELNS1_3gpuE7ELNS1_3repE0EEENS1_30default_config_static_selectorELNS0_4arch9wavefront6targetE0EEEvSW_.uses_flat_scratch, 0
	.set _ZN7rocprim17ROCPRIM_400000_NS6detail17trampoline_kernelINS0_14default_configENS1_27upper_bound_config_selectorItlEEZNS1_14transform_implILb0ES3_S5_N6thrust23THRUST_200600_302600_NS6detail15normal_iteratorINS8_7pointerItNS8_11hip_rocprim5par_tENS8_11use_defaultESE_EEEENSA_INSB_IlSD_SE_SE_EEEEZNS1_13binary_searchIS3_S5_PtSG_SI_NS1_21upper_bound_search_opENS9_16wrapped_functionINS8_6system6detail7generic6detail18binary_search_lessEbEEEE10hipError_tPvRmT1_T2_T3_mmT4_T5_P12ihipStream_tbEUlRKtE_EEST_SX_SY_mSZ_S12_bEUlT_E_NS1_11comp_targetILNS1_3genE3ELNS1_11target_archE908ELNS1_3gpuE7ELNS1_3repE0EEENS1_30default_config_static_selectorELNS0_4arch9wavefront6targetE0EEEvSW_.has_dyn_sized_stack, 0
	.set _ZN7rocprim17ROCPRIM_400000_NS6detail17trampoline_kernelINS0_14default_configENS1_27upper_bound_config_selectorItlEEZNS1_14transform_implILb0ES3_S5_N6thrust23THRUST_200600_302600_NS6detail15normal_iteratorINS8_7pointerItNS8_11hip_rocprim5par_tENS8_11use_defaultESE_EEEENSA_INSB_IlSD_SE_SE_EEEEZNS1_13binary_searchIS3_S5_PtSG_SI_NS1_21upper_bound_search_opENS9_16wrapped_functionINS8_6system6detail7generic6detail18binary_search_lessEbEEEE10hipError_tPvRmT1_T2_T3_mmT4_T5_P12ihipStream_tbEUlRKtE_EEST_SX_SY_mSZ_S12_bEUlT_E_NS1_11comp_targetILNS1_3genE3ELNS1_11target_archE908ELNS1_3gpuE7ELNS1_3repE0EEENS1_30default_config_static_selectorELNS0_4arch9wavefront6targetE0EEEvSW_.has_recursion, 0
	.set _ZN7rocprim17ROCPRIM_400000_NS6detail17trampoline_kernelINS0_14default_configENS1_27upper_bound_config_selectorItlEEZNS1_14transform_implILb0ES3_S5_N6thrust23THRUST_200600_302600_NS6detail15normal_iteratorINS8_7pointerItNS8_11hip_rocprim5par_tENS8_11use_defaultESE_EEEENSA_INSB_IlSD_SE_SE_EEEEZNS1_13binary_searchIS3_S5_PtSG_SI_NS1_21upper_bound_search_opENS9_16wrapped_functionINS8_6system6detail7generic6detail18binary_search_lessEbEEEE10hipError_tPvRmT1_T2_T3_mmT4_T5_P12ihipStream_tbEUlRKtE_EEST_SX_SY_mSZ_S12_bEUlT_E_NS1_11comp_targetILNS1_3genE3ELNS1_11target_archE908ELNS1_3gpuE7ELNS1_3repE0EEENS1_30default_config_static_selectorELNS0_4arch9wavefront6targetE0EEEvSW_.has_indirect_call, 0
	.section	.AMDGPU.csdata,"",@progbits
; Kernel info:
; codeLenInByte = 0
; TotalNumSgprs: 0
; NumVgprs: 0
; ScratchSize: 0
; MemoryBound: 0
; FloatMode: 240
; IeeeMode: 1
; LDSByteSize: 0 bytes/workgroup (compile time only)
; SGPRBlocks: 0
; VGPRBlocks: 0
; NumSGPRsForWavesPerEU: 1
; NumVGPRsForWavesPerEU: 1
; Occupancy: 16
; WaveLimiterHint : 0
; COMPUTE_PGM_RSRC2:SCRATCH_EN: 0
; COMPUTE_PGM_RSRC2:USER_SGPR: 6
; COMPUTE_PGM_RSRC2:TRAP_HANDLER: 0
; COMPUTE_PGM_RSRC2:TGID_X_EN: 1
; COMPUTE_PGM_RSRC2:TGID_Y_EN: 0
; COMPUTE_PGM_RSRC2:TGID_Z_EN: 0
; COMPUTE_PGM_RSRC2:TIDIG_COMP_CNT: 0
	.section	.text._ZN7rocprim17ROCPRIM_400000_NS6detail17trampoline_kernelINS0_14default_configENS1_27upper_bound_config_selectorItlEEZNS1_14transform_implILb0ES3_S5_N6thrust23THRUST_200600_302600_NS6detail15normal_iteratorINS8_7pointerItNS8_11hip_rocprim5par_tENS8_11use_defaultESE_EEEENSA_INSB_IlSD_SE_SE_EEEEZNS1_13binary_searchIS3_S5_PtSG_SI_NS1_21upper_bound_search_opENS9_16wrapped_functionINS8_6system6detail7generic6detail18binary_search_lessEbEEEE10hipError_tPvRmT1_T2_T3_mmT4_T5_P12ihipStream_tbEUlRKtE_EEST_SX_SY_mSZ_S12_bEUlT_E_NS1_11comp_targetILNS1_3genE2ELNS1_11target_archE906ELNS1_3gpuE6ELNS1_3repE0EEENS1_30default_config_static_selectorELNS0_4arch9wavefront6targetE0EEEvSW_,"axG",@progbits,_ZN7rocprim17ROCPRIM_400000_NS6detail17trampoline_kernelINS0_14default_configENS1_27upper_bound_config_selectorItlEEZNS1_14transform_implILb0ES3_S5_N6thrust23THRUST_200600_302600_NS6detail15normal_iteratorINS8_7pointerItNS8_11hip_rocprim5par_tENS8_11use_defaultESE_EEEENSA_INSB_IlSD_SE_SE_EEEEZNS1_13binary_searchIS3_S5_PtSG_SI_NS1_21upper_bound_search_opENS9_16wrapped_functionINS8_6system6detail7generic6detail18binary_search_lessEbEEEE10hipError_tPvRmT1_T2_T3_mmT4_T5_P12ihipStream_tbEUlRKtE_EEST_SX_SY_mSZ_S12_bEUlT_E_NS1_11comp_targetILNS1_3genE2ELNS1_11target_archE906ELNS1_3gpuE6ELNS1_3repE0EEENS1_30default_config_static_selectorELNS0_4arch9wavefront6targetE0EEEvSW_,comdat
	.protected	_ZN7rocprim17ROCPRIM_400000_NS6detail17trampoline_kernelINS0_14default_configENS1_27upper_bound_config_selectorItlEEZNS1_14transform_implILb0ES3_S5_N6thrust23THRUST_200600_302600_NS6detail15normal_iteratorINS8_7pointerItNS8_11hip_rocprim5par_tENS8_11use_defaultESE_EEEENSA_INSB_IlSD_SE_SE_EEEEZNS1_13binary_searchIS3_S5_PtSG_SI_NS1_21upper_bound_search_opENS9_16wrapped_functionINS8_6system6detail7generic6detail18binary_search_lessEbEEEE10hipError_tPvRmT1_T2_T3_mmT4_T5_P12ihipStream_tbEUlRKtE_EEST_SX_SY_mSZ_S12_bEUlT_E_NS1_11comp_targetILNS1_3genE2ELNS1_11target_archE906ELNS1_3gpuE6ELNS1_3repE0EEENS1_30default_config_static_selectorELNS0_4arch9wavefront6targetE0EEEvSW_ ; -- Begin function _ZN7rocprim17ROCPRIM_400000_NS6detail17trampoline_kernelINS0_14default_configENS1_27upper_bound_config_selectorItlEEZNS1_14transform_implILb0ES3_S5_N6thrust23THRUST_200600_302600_NS6detail15normal_iteratorINS8_7pointerItNS8_11hip_rocprim5par_tENS8_11use_defaultESE_EEEENSA_INSB_IlSD_SE_SE_EEEEZNS1_13binary_searchIS3_S5_PtSG_SI_NS1_21upper_bound_search_opENS9_16wrapped_functionINS8_6system6detail7generic6detail18binary_search_lessEbEEEE10hipError_tPvRmT1_T2_T3_mmT4_T5_P12ihipStream_tbEUlRKtE_EEST_SX_SY_mSZ_S12_bEUlT_E_NS1_11comp_targetILNS1_3genE2ELNS1_11target_archE906ELNS1_3gpuE6ELNS1_3repE0EEENS1_30default_config_static_selectorELNS0_4arch9wavefront6targetE0EEEvSW_
	.globl	_ZN7rocprim17ROCPRIM_400000_NS6detail17trampoline_kernelINS0_14default_configENS1_27upper_bound_config_selectorItlEEZNS1_14transform_implILb0ES3_S5_N6thrust23THRUST_200600_302600_NS6detail15normal_iteratorINS8_7pointerItNS8_11hip_rocprim5par_tENS8_11use_defaultESE_EEEENSA_INSB_IlSD_SE_SE_EEEEZNS1_13binary_searchIS3_S5_PtSG_SI_NS1_21upper_bound_search_opENS9_16wrapped_functionINS8_6system6detail7generic6detail18binary_search_lessEbEEEE10hipError_tPvRmT1_T2_T3_mmT4_T5_P12ihipStream_tbEUlRKtE_EEST_SX_SY_mSZ_S12_bEUlT_E_NS1_11comp_targetILNS1_3genE2ELNS1_11target_archE906ELNS1_3gpuE6ELNS1_3repE0EEENS1_30default_config_static_selectorELNS0_4arch9wavefront6targetE0EEEvSW_
	.p2align	8
	.type	_ZN7rocprim17ROCPRIM_400000_NS6detail17trampoline_kernelINS0_14default_configENS1_27upper_bound_config_selectorItlEEZNS1_14transform_implILb0ES3_S5_N6thrust23THRUST_200600_302600_NS6detail15normal_iteratorINS8_7pointerItNS8_11hip_rocprim5par_tENS8_11use_defaultESE_EEEENSA_INSB_IlSD_SE_SE_EEEEZNS1_13binary_searchIS3_S5_PtSG_SI_NS1_21upper_bound_search_opENS9_16wrapped_functionINS8_6system6detail7generic6detail18binary_search_lessEbEEEE10hipError_tPvRmT1_T2_T3_mmT4_T5_P12ihipStream_tbEUlRKtE_EEST_SX_SY_mSZ_S12_bEUlT_E_NS1_11comp_targetILNS1_3genE2ELNS1_11target_archE906ELNS1_3gpuE6ELNS1_3repE0EEENS1_30default_config_static_selectorELNS0_4arch9wavefront6targetE0EEEvSW_,@function
_ZN7rocprim17ROCPRIM_400000_NS6detail17trampoline_kernelINS0_14default_configENS1_27upper_bound_config_selectorItlEEZNS1_14transform_implILb0ES3_S5_N6thrust23THRUST_200600_302600_NS6detail15normal_iteratorINS8_7pointerItNS8_11hip_rocprim5par_tENS8_11use_defaultESE_EEEENSA_INSB_IlSD_SE_SE_EEEEZNS1_13binary_searchIS3_S5_PtSG_SI_NS1_21upper_bound_search_opENS9_16wrapped_functionINS8_6system6detail7generic6detail18binary_search_lessEbEEEE10hipError_tPvRmT1_T2_T3_mmT4_T5_P12ihipStream_tbEUlRKtE_EEST_SX_SY_mSZ_S12_bEUlT_E_NS1_11comp_targetILNS1_3genE2ELNS1_11target_archE906ELNS1_3gpuE6ELNS1_3repE0EEENS1_30default_config_static_selectorELNS0_4arch9wavefront6targetE0EEEvSW_: ; @_ZN7rocprim17ROCPRIM_400000_NS6detail17trampoline_kernelINS0_14default_configENS1_27upper_bound_config_selectorItlEEZNS1_14transform_implILb0ES3_S5_N6thrust23THRUST_200600_302600_NS6detail15normal_iteratorINS8_7pointerItNS8_11hip_rocprim5par_tENS8_11use_defaultESE_EEEENSA_INSB_IlSD_SE_SE_EEEEZNS1_13binary_searchIS3_S5_PtSG_SI_NS1_21upper_bound_search_opENS9_16wrapped_functionINS8_6system6detail7generic6detail18binary_search_lessEbEEEE10hipError_tPvRmT1_T2_T3_mmT4_T5_P12ihipStream_tbEUlRKtE_EEST_SX_SY_mSZ_S12_bEUlT_E_NS1_11comp_targetILNS1_3genE2ELNS1_11target_archE906ELNS1_3gpuE6ELNS1_3repE0EEENS1_30default_config_static_selectorELNS0_4arch9wavefront6targetE0EEEvSW_
; %bb.0:
	.section	.rodata,"a",@progbits
	.p2align	6, 0x0
	.amdhsa_kernel _ZN7rocprim17ROCPRIM_400000_NS6detail17trampoline_kernelINS0_14default_configENS1_27upper_bound_config_selectorItlEEZNS1_14transform_implILb0ES3_S5_N6thrust23THRUST_200600_302600_NS6detail15normal_iteratorINS8_7pointerItNS8_11hip_rocprim5par_tENS8_11use_defaultESE_EEEENSA_INSB_IlSD_SE_SE_EEEEZNS1_13binary_searchIS3_S5_PtSG_SI_NS1_21upper_bound_search_opENS9_16wrapped_functionINS8_6system6detail7generic6detail18binary_search_lessEbEEEE10hipError_tPvRmT1_T2_T3_mmT4_T5_P12ihipStream_tbEUlRKtE_EEST_SX_SY_mSZ_S12_bEUlT_E_NS1_11comp_targetILNS1_3genE2ELNS1_11target_archE906ELNS1_3gpuE6ELNS1_3repE0EEENS1_30default_config_static_selectorELNS0_4arch9wavefront6targetE0EEEvSW_
		.amdhsa_group_segment_fixed_size 0
		.amdhsa_private_segment_fixed_size 0
		.amdhsa_kernarg_size 56
		.amdhsa_user_sgpr_count 6
		.amdhsa_user_sgpr_private_segment_buffer 1
		.amdhsa_user_sgpr_dispatch_ptr 0
		.amdhsa_user_sgpr_queue_ptr 0
		.amdhsa_user_sgpr_kernarg_segment_ptr 1
		.amdhsa_user_sgpr_dispatch_id 0
		.amdhsa_user_sgpr_flat_scratch_init 0
		.amdhsa_user_sgpr_private_segment_size 0
		.amdhsa_wavefront_size32 1
		.amdhsa_uses_dynamic_stack 0
		.amdhsa_system_sgpr_private_segment_wavefront_offset 0
		.amdhsa_system_sgpr_workgroup_id_x 1
		.amdhsa_system_sgpr_workgroup_id_y 0
		.amdhsa_system_sgpr_workgroup_id_z 0
		.amdhsa_system_sgpr_workgroup_info 0
		.amdhsa_system_vgpr_workitem_id 0
		.amdhsa_next_free_vgpr 1
		.amdhsa_next_free_sgpr 1
		.amdhsa_reserve_vcc 0
		.amdhsa_reserve_flat_scratch 0
		.amdhsa_float_round_mode_32 0
		.amdhsa_float_round_mode_16_64 0
		.amdhsa_float_denorm_mode_32 3
		.amdhsa_float_denorm_mode_16_64 3
		.amdhsa_dx10_clamp 1
		.amdhsa_ieee_mode 1
		.amdhsa_fp16_overflow 0
		.amdhsa_workgroup_processor_mode 1
		.amdhsa_memory_ordered 1
		.amdhsa_forward_progress 1
		.amdhsa_shared_vgpr_count 0
		.amdhsa_exception_fp_ieee_invalid_op 0
		.amdhsa_exception_fp_denorm_src 0
		.amdhsa_exception_fp_ieee_div_zero 0
		.amdhsa_exception_fp_ieee_overflow 0
		.amdhsa_exception_fp_ieee_underflow 0
		.amdhsa_exception_fp_ieee_inexact 0
		.amdhsa_exception_int_div_zero 0
	.end_amdhsa_kernel
	.section	.text._ZN7rocprim17ROCPRIM_400000_NS6detail17trampoline_kernelINS0_14default_configENS1_27upper_bound_config_selectorItlEEZNS1_14transform_implILb0ES3_S5_N6thrust23THRUST_200600_302600_NS6detail15normal_iteratorINS8_7pointerItNS8_11hip_rocprim5par_tENS8_11use_defaultESE_EEEENSA_INSB_IlSD_SE_SE_EEEEZNS1_13binary_searchIS3_S5_PtSG_SI_NS1_21upper_bound_search_opENS9_16wrapped_functionINS8_6system6detail7generic6detail18binary_search_lessEbEEEE10hipError_tPvRmT1_T2_T3_mmT4_T5_P12ihipStream_tbEUlRKtE_EEST_SX_SY_mSZ_S12_bEUlT_E_NS1_11comp_targetILNS1_3genE2ELNS1_11target_archE906ELNS1_3gpuE6ELNS1_3repE0EEENS1_30default_config_static_selectorELNS0_4arch9wavefront6targetE0EEEvSW_,"axG",@progbits,_ZN7rocprim17ROCPRIM_400000_NS6detail17trampoline_kernelINS0_14default_configENS1_27upper_bound_config_selectorItlEEZNS1_14transform_implILb0ES3_S5_N6thrust23THRUST_200600_302600_NS6detail15normal_iteratorINS8_7pointerItNS8_11hip_rocprim5par_tENS8_11use_defaultESE_EEEENSA_INSB_IlSD_SE_SE_EEEEZNS1_13binary_searchIS3_S5_PtSG_SI_NS1_21upper_bound_search_opENS9_16wrapped_functionINS8_6system6detail7generic6detail18binary_search_lessEbEEEE10hipError_tPvRmT1_T2_T3_mmT4_T5_P12ihipStream_tbEUlRKtE_EEST_SX_SY_mSZ_S12_bEUlT_E_NS1_11comp_targetILNS1_3genE2ELNS1_11target_archE906ELNS1_3gpuE6ELNS1_3repE0EEENS1_30default_config_static_selectorELNS0_4arch9wavefront6targetE0EEEvSW_,comdat
.Lfunc_end206:
	.size	_ZN7rocprim17ROCPRIM_400000_NS6detail17trampoline_kernelINS0_14default_configENS1_27upper_bound_config_selectorItlEEZNS1_14transform_implILb0ES3_S5_N6thrust23THRUST_200600_302600_NS6detail15normal_iteratorINS8_7pointerItNS8_11hip_rocprim5par_tENS8_11use_defaultESE_EEEENSA_INSB_IlSD_SE_SE_EEEEZNS1_13binary_searchIS3_S5_PtSG_SI_NS1_21upper_bound_search_opENS9_16wrapped_functionINS8_6system6detail7generic6detail18binary_search_lessEbEEEE10hipError_tPvRmT1_T2_T3_mmT4_T5_P12ihipStream_tbEUlRKtE_EEST_SX_SY_mSZ_S12_bEUlT_E_NS1_11comp_targetILNS1_3genE2ELNS1_11target_archE906ELNS1_3gpuE6ELNS1_3repE0EEENS1_30default_config_static_selectorELNS0_4arch9wavefront6targetE0EEEvSW_, .Lfunc_end206-_ZN7rocprim17ROCPRIM_400000_NS6detail17trampoline_kernelINS0_14default_configENS1_27upper_bound_config_selectorItlEEZNS1_14transform_implILb0ES3_S5_N6thrust23THRUST_200600_302600_NS6detail15normal_iteratorINS8_7pointerItNS8_11hip_rocprim5par_tENS8_11use_defaultESE_EEEENSA_INSB_IlSD_SE_SE_EEEEZNS1_13binary_searchIS3_S5_PtSG_SI_NS1_21upper_bound_search_opENS9_16wrapped_functionINS8_6system6detail7generic6detail18binary_search_lessEbEEEE10hipError_tPvRmT1_T2_T3_mmT4_T5_P12ihipStream_tbEUlRKtE_EEST_SX_SY_mSZ_S12_bEUlT_E_NS1_11comp_targetILNS1_3genE2ELNS1_11target_archE906ELNS1_3gpuE6ELNS1_3repE0EEENS1_30default_config_static_selectorELNS0_4arch9wavefront6targetE0EEEvSW_
                                        ; -- End function
	.set _ZN7rocprim17ROCPRIM_400000_NS6detail17trampoline_kernelINS0_14default_configENS1_27upper_bound_config_selectorItlEEZNS1_14transform_implILb0ES3_S5_N6thrust23THRUST_200600_302600_NS6detail15normal_iteratorINS8_7pointerItNS8_11hip_rocprim5par_tENS8_11use_defaultESE_EEEENSA_INSB_IlSD_SE_SE_EEEEZNS1_13binary_searchIS3_S5_PtSG_SI_NS1_21upper_bound_search_opENS9_16wrapped_functionINS8_6system6detail7generic6detail18binary_search_lessEbEEEE10hipError_tPvRmT1_T2_T3_mmT4_T5_P12ihipStream_tbEUlRKtE_EEST_SX_SY_mSZ_S12_bEUlT_E_NS1_11comp_targetILNS1_3genE2ELNS1_11target_archE906ELNS1_3gpuE6ELNS1_3repE0EEENS1_30default_config_static_selectorELNS0_4arch9wavefront6targetE0EEEvSW_.num_vgpr, 0
	.set _ZN7rocprim17ROCPRIM_400000_NS6detail17trampoline_kernelINS0_14default_configENS1_27upper_bound_config_selectorItlEEZNS1_14transform_implILb0ES3_S5_N6thrust23THRUST_200600_302600_NS6detail15normal_iteratorINS8_7pointerItNS8_11hip_rocprim5par_tENS8_11use_defaultESE_EEEENSA_INSB_IlSD_SE_SE_EEEEZNS1_13binary_searchIS3_S5_PtSG_SI_NS1_21upper_bound_search_opENS9_16wrapped_functionINS8_6system6detail7generic6detail18binary_search_lessEbEEEE10hipError_tPvRmT1_T2_T3_mmT4_T5_P12ihipStream_tbEUlRKtE_EEST_SX_SY_mSZ_S12_bEUlT_E_NS1_11comp_targetILNS1_3genE2ELNS1_11target_archE906ELNS1_3gpuE6ELNS1_3repE0EEENS1_30default_config_static_selectorELNS0_4arch9wavefront6targetE0EEEvSW_.num_agpr, 0
	.set _ZN7rocprim17ROCPRIM_400000_NS6detail17trampoline_kernelINS0_14default_configENS1_27upper_bound_config_selectorItlEEZNS1_14transform_implILb0ES3_S5_N6thrust23THRUST_200600_302600_NS6detail15normal_iteratorINS8_7pointerItNS8_11hip_rocprim5par_tENS8_11use_defaultESE_EEEENSA_INSB_IlSD_SE_SE_EEEEZNS1_13binary_searchIS3_S5_PtSG_SI_NS1_21upper_bound_search_opENS9_16wrapped_functionINS8_6system6detail7generic6detail18binary_search_lessEbEEEE10hipError_tPvRmT1_T2_T3_mmT4_T5_P12ihipStream_tbEUlRKtE_EEST_SX_SY_mSZ_S12_bEUlT_E_NS1_11comp_targetILNS1_3genE2ELNS1_11target_archE906ELNS1_3gpuE6ELNS1_3repE0EEENS1_30default_config_static_selectorELNS0_4arch9wavefront6targetE0EEEvSW_.numbered_sgpr, 0
	.set _ZN7rocprim17ROCPRIM_400000_NS6detail17trampoline_kernelINS0_14default_configENS1_27upper_bound_config_selectorItlEEZNS1_14transform_implILb0ES3_S5_N6thrust23THRUST_200600_302600_NS6detail15normal_iteratorINS8_7pointerItNS8_11hip_rocprim5par_tENS8_11use_defaultESE_EEEENSA_INSB_IlSD_SE_SE_EEEEZNS1_13binary_searchIS3_S5_PtSG_SI_NS1_21upper_bound_search_opENS9_16wrapped_functionINS8_6system6detail7generic6detail18binary_search_lessEbEEEE10hipError_tPvRmT1_T2_T3_mmT4_T5_P12ihipStream_tbEUlRKtE_EEST_SX_SY_mSZ_S12_bEUlT_E_NS1_11comp_targetILNS1_3genE2ELNS1_11target_archE906ELNS1_3gpuE6ELNS1_3repE0EEENS1_30default_config_static_selectorELNS0_4arch9wavefront6targetE0EEEvSW_.num_named_barrier, 0
	.set _ZN7rocprim17ROCPRIM_400000_NS6detail17trampoline_kernelINS0_14default_configENS1_27upper_bound_config_selectorItlEEZNS1_14transform_implILb0ES3_S5_N6thrust23THRUST_200600_302600_NS6detail15normal_iteratorINS8_7pointerItNS8_11hip_rocprim5par_tENS8_11use_defaultESE_EEEENSA_INSB_IlSD_SE_SE_EEEEZNS1_13binary_searchIS3_S5_PtSG_SI_NS1_21upper_bound_search_opENS9_16wrapped_functionINS8_6system6detail7generic6detail18binary_search_lessEbEEEE10hipError_tPvRmT1_T2_T3_mmT4_T5_P12ihipStream_tbEUlRKtE_EEST_SX_SY_mSZ_S12_bEUlT_E_NS1_11comp_targetILNS1_3genE2ELNS1_11target_archE906ELNS1_3gpuE6ELNS1_3repE0EEENS1_30default_config_static_selectorELNS0_4arch9wavefront6targetE0EEEvSW_.private_seg_size, 0
	.set _ZN7rocprim17ROCPRIM_400000_NS6detail17trampoline_kernelINS0_14default_configENS1_27upper_bound_config_selectorItlEEZNS1_14transform_implILb0ES3_S5_N6thrust23THRUST_200600_302600_NS6detail15normal_iteratorINS8_7pointerItNS8_11hip_rocprim5par_tENS8_11use_defaultESE_EEEENSA_INSB_IlSD_SE_SE_EEEEZNS1_13binary_searchIS3_S5_PtSG_SI_NS1_21upper_bound_search_opENS9_16wrapped_functionINS8_6system6detail7generic6detail18binary_search_lessEbEEEE10hipError_tPvRmT1_T2_T3_mmT4_T5_P12ihipStream_tbEUlRKtE_EEST_SX_SY_mSZ_S12_bEUlT_E_NS1_11comp_targetILNS1_3genE2ELNS1_11target_archE906ELNS1_3gpuE6ELNS1_3repE0EEENS1_30default_config_static_selectorELNS0_4arch9wavefront6targetE0EEEvSW_.uses_vcc, 0
	.set _ZN7rocprim17ROCPRIM_400000_NS6detail17trampoline_kernelINS0_14default_configENS1_27upper_bound_config_selectorItlEEZNS1_14transform_implILb0ES3_S5_N6thrust23THRUST_200600_302600_NS6detail15normal_iteratorINS8_7pointerItNS8_11hip_rocprim5par_tENS8_11use_defaultESE_EEEENSA_INSB_IlSD_SE_SE_EEEEZNS1_13binary_searchIS3_S5_PtSG_SI_NS1_21upper_bound_search_opENS9_16wrapped_functionINS8_6system6detail7generic6detail18binary_search_lessEbEEEE10hipError_tPvRmT1_T2_T3_mmT4_T5_P12ihipStream_tbEUlRKtE_EEST_SX_SY_mSZ_S12_bEUlT_E_NS1_11comp_targetILNS1_3genE2ELNS1_11target_archE906ELNS1_3gpuE6ELNS1_3repE0EEENS1_30default_config_static_selectorELNS0_4arch9wavefront6targetE0EEEvSW_.uses_flat_scratch, 0
	.set _ZN7rocprim17ROCPRIM_400000_NS6detail17trampoline_kernelINS0_14default_configENS1_27upper_bound_config_selectorItlEEZNS1_14transform_implILb0ES3_S5_N6thrust23THRUST_200600_302600_NS6detail15normal_iteratorINS8_7pointerItNS8_11hip_rocprim5par_tENS8_11use_defaultESE_EEEENSA_INSB_IlSD_SE_SE_EEEEZNS1_13binary_searchIS3_S5_PtSG_SI_NS1_21upper_bound_search_opENS9_16wrapped_functionINS8_6system6detail7generic6detail18binary_search_lessEbEEEE10hipError_tPvRmT1_T2_T3_mmT4_T5_P12ihipStream_tbEUlRKtE_EEST_SX_SY_mSZ_S12_bEUlT_E_NS1_11comp_targetILNS1_3genE2ELNS1_11target_archE906ELNS1_3gpuE6ELNS1_3repE0EEENS1_30default_config_static_selectorELNS0_4arch9wavefront6targetE0EEEvSW_.has_dyn_sized_stack, 0
	.set _ZN7rocprim17ROCPRIM_400000_NS6detail17trampoline_kernelINS0_14default_configENS1_27upper_bound_config_selectorItlEEZNS1_14transform_implILb0ES3_S5_N6thrust23THRUST_200600_302600_NS6detail15normal_iteratorINS8_7pointerItNS8_11hip_rocprim5par_tENS8_11use_defaultESE_EEEENSA_INSB_IlSD_SE_SE_EEEEZNS1_13binary_searchIS3_S5_PtSG_SI_NS1_21upper_bound_search_opENS9_16wrapped_functionINS8_6system6detail7generic6detail18binary_search_lessEbEEEE10hipError_tPvRmT1_T2_T3_mmT4_T5_P12ihipStream_tbEUlRKtE_EEST_SX_SY_mSZ_S12_bEUlT_E_NS1_11comp_targetILNS1_3genE2ELNS1_11target_archE906ELNS1_3gpuE6ELNS1_3repE0EEENS1_30default_config_static_selectorELNS0_4arch9wavefront6targetE0EEEvSW_.has_recursion, 0
	.set _ZN7rocprim17ROCPRIM_400000_NS6detail17trampoline_kernelINS0_14default_configENS1_27upper_bound_config_selectorItlEEZNS1_14transform_implILb0ES3_S5_N6thrust23THRUST_200600_302600_NS6detail15normal_iteratorINS8_7pointerItNS8_11hip_rocprim5par_tENS8_11use_defaultESE_EEEENSA_INSB_IlSD_SE_SE_EEEEZNS1_13binary_searchIS3_S5_PtSG_SI_NS1_21upper_bound_search_opENS9_16wrapped_functionINS8_6system6detail7generic6detail18binary_search_lessEbEEEE10hipError_tPvRmT1_T2_T3_mmT4_T5_P12ihipStream_tbEUlRKtE_EEST_SX_SY_mSZ_S12_bEUlT_E_NS1_11comp_targetILNS1_3genE2ELNS1_11target_archE906ELNS1_3gpuE6ELNS1_3repE0EEENS1_30default_config_static_selectorELNS0_4arch9wavefront6targetE0EEEvSW_.has_indirect_call, 0
	.section	.AMDGPU.csdata,"",@progbits
; Kernel info:
; codeLenInByte = 0
; TotalNumSgprs: 0
; NumVgprs: 0
; ScratchSize: 0
; MemoryBound: 0
; FloatMode: 240
; IeeeMode: 1
; LDSByteSize: 0 bytes/workgroup (compile time only)
; SGPRBlocks: 0
; VGPRBlocks: 0
; NumSGPRsForWavesPerEU: 1
; NumVGPRsForWavesPerEU: 1
; Occupancy: 16
; WaveLimiterHint : 0
; COMPUTE_PGM_RSRC2:SCRATCH_EN: 0
; COMPUTE_PGM_RSRC2:USER_SGPR: 6
; COMPUTE_PGM_RSRC2:TRAP_HANDLER: 0
; COMPUTE_PGM_RSRC2:TGID_X_EN: 1
; COMPUTE_PGM_RSRC2:TGID_Y_EN: 0
; COMPUTE_PGM_RSRC2:TGID_Z_EN: 0
; COMPUTE_PGM_RSRC2:TIDIG_COMP_CNT: 0
	.section	.text._ZN7rocprim17ROCPRIM_400000_NS6detail17trampoline_kernelINS0_14default_configENS1_27upper_bound_config_selectorItlEEZNS1_14transform_implILb0ES3_S5_N6thrust23THRUST_200600_302600_NS6detail15normal_iteratorINS8_7pointerItNS8_11hip_rocprim5par_tENS8_11use_defaultESE_EEEENSA_INSB_IlSD_SE_SE_EEEEZNS1_13binary_searchIS3_S5_PtSG_SI_NS1_21upper_bound_search_opENS9_16wrapped_functionINS8_6system6detail7generic6detail18binary_search_lessEbEEEE10hipError_tPvRmT1_T2_T3_mmT4_T5_P12ihipStream_tbEUlRKtE_EEST_SX_SY_mSZ_S12_bEUlT_E_NS1_11comp_targetILNS1_3genE10ELNS1_11target_archE1201ELNS1_3gpuE5ELNS1_3repE0EEENS1_30default_config_static_selectorELNS0_4arch9wavefront6targetE0EEEvSW_,"axG",@progbits,_ZN7rocprim17ROCPRIM_400000_NS6detail17trampoline_kernelINS0_14default_configENS1_27upper_bound_config_selectorItlEEZNS1_14transform_implILb0ES3_S5_N6thrust23THRUST_200600_302600_NS6detail15normal_iteratorINS8_7pointerItNS8_11hip_rocprim5par_tENS8_11use_defaultESE_EEEENSA_INSB_IlSD_SE_SE_EEEEZNS1_13binary_searchIS3_S5_PtSG_SI_NS1_21upper_bound_search_opENS9_16wrapped_functionINS8_6system6detail7generic6detail18binary_search_lessEbEEEE10hipError_tPvRmT1_T2_T3_mmT4_T5_P12ihipStream_tbEUlRKtE_EEST_SX_SY_mSZ_S12_bEUlT_E_NS1_11comp_targetILNS1_3genE10ELNS1_11target_archE1201ELNS1_3gpuE5ELNS1_3repE0EEENS1_30default_config_static_selectorELNS0_4arch9wavefront6targetE0EEEvSW_,comdat
	.protected	_ZN7rocprim17ROCPRIM_400000_NS6detail17trampoline_kernelINS0_14default_configENS1_27upper_bound_config_selectorItlEEZNS1_14transform_implILb0ES3_S5_N6thrust23THRUST_200600_302600_NS6detail15normal_iteratorINS8_7pointerItNS8_11hip_rocprim5par_tENS8_11use_defaultESE_EEEENSA_INSB_IlSD_SE_SE_EEEEZNS1_13binary_searchIS3_S5_PtSG_SI_NS1_21upper_bound_search_opENS9_16wrapped_functionINS8_6system6detail7generic6detail18binary_search_lessEbEEEE10hipError_tPvRmT1_T2_T3_mmT4_T5_P12ihipStream_tbEUlRKtE_EEST_SX_SY_mSZ_S12_bEUlT_E_NS1_11comp_targetILNS1_3genE10ELNS1_11target_archE1201ELNS1_3gpuE5ELNS1_3repE0EEENS1_30default_config_static_selectorELNS0_4arch9wavefront6targetE0EEEvSW_ ; -- Begin function _ZN7rocprim17ROCPRIM_400000_NS6detail17trampoline_kernelINS0_14default_configENS1_27upper_bound_config_selectorItlEEZNS1_14transform_implILb0ES3_S5_N6thrust23THRUST_200600_302600_NS6detail15normal_iteratorINS8_7pointerItNS8_11hip_rocprim5par_tENS8_11use_defaultESE_EEEENSA_INSB_IlSD_SE_SE_EEEEZNS1_13binary_searchIS3_S5_PtSG_SI_NS1_21upper_bound_search_opENS9_16wrapped_functionINS8_6system6detail7generic6detail18binary_search_lessEbEEEE10hipError_tPvRmT1_T2_T3_mmT4_T5_P12ihipStream_tbEUlRKtE_EEST_SX_SY_mSZ_S12_bEUlT_E_NS1_11comp_targetILNS1_3genE10ELNS1_11target_archE1201ELNS1_3gpuE5ELNS1_3repE0EEENS1_30default_config_static_selectorELNS0_4arch9wavefront6targetE0EEEvSW_
	.globl	_ZN7rocprim17ROCPRIM_400000_NS6detail17trampoline_kernelINS0_14default_configENS1_27upper_bound_config_selectorItlEEZNS1_14transform_implILb0ES3_S5_N6thrust23THRUST_200600_302600_NS6detail15normal_iteratorINS8_7pointerItNS8_11hip_rocprim5par_tENS8_11use_defaultESE_EEEENSA_INSB_IlSD_SE_SE_EEEEZNS1_13binary_searchIS3_S5_PtSG_SI_NS1_21upper_bound_search_opENS9_16wrapped_functionINS8_6system6detail7generic6detail18binary_search_lessEbEEEE10hipError_tPvRmT1_T2_T3_mmT4_T5_P12ihipStream_tbEUlRKtE_EEST_SX_SY_mSZ_S12_bEUlT_E_NS1_11comp_targetILNS1_3genE10ELNS1_11target_archE1201ELNS1_3gpuE5ELNS1_3repE0EEENS1_30default_config_static_selectorELNS0_4arch9wavefront6targetE0EEEvSW_
	.p2align	8
	.type	_ZN7rocprim17ROCPRIM_400000_NS6detail17trampoline_kernelINS0_14default_configENS1_27upper_bound_config_selectorItlEEZNS1_14transform_implILb0ES3_S5_N6thrust23THRUST_200600_302600_NS6detail15normal_iteratorINS8_7pointerItNS8_11hip_rocprim5par_tENS8_11use_defaultESE_EEEENSA_INSB_IlSD_SE_SE_EEEEZNS1_13binary_searchIS3_S5_PtSG_SI_NS1_21upper_bound_search_opENS9_16wrapped_functionINS8_6system6detail7generic6detail18binary_search_lessEbEEEE10hipError_tPvRmT1_T2_T3_mmT4_T5_P12ihipStream_tbEUlRKtE_EEST_SX_SY_mSZ_S12_bEUlT_E_NS1_11comp_targetILNS1_3genE10ELNS1_11target_archE1201ELNS1_3gpuE5ELNS1_3repE0EEENS1_30default_config_static_selectorELNS0_4arch9wavefront6targetE0EEEvSW_,@function
_ZN7rocprim17ROCPRIM_400000_NS6detail17trampoline_kernelINS0_14default_configENS1_27upper_bound_config_selectorItlEEZNS1_14transform_implILb0ES3_S5_N6thrust23THRUST_200600_302600_NS6detail15normal_iteratorINS8_7pointerItNS8_11hip_rocprim5par_tENS8_11use_defaultESE_EEEENSA_INSB_IlSD_SE_SE_EEEEZNS1_13binary_searchIS3_S5_PtSG_SI_NS1_21upper_bound_search_opENS9_16wrapped_functionINS8_6system6detail7generic6detail18binary_search_lessEbEEEE10hipError_tPvRmT1_T2_T3_mmT4_T5_P12ihipStream_tbEUlRKtE_EEST_SX_SY_mSZ_S12_bEUlT_E_NS1_11comp_targetILNS1_3genE10ELNS1_11target_archE1201ELNS1_3gpuE5ELNS1_3repE0EEENS1_30default_config_static_selectorELNS0_4arch9wavefront6targetE0EEEvSW_: ; @_ZN7rocprim17ROCPRIM_400000_NS6detail17trampoline_kernelINS0_14default_configENS1_27upper_bound_config_selectorItlEEZNS1_14transform_implILb0ES3_S5_N6thrust23THRUST_200600_302600_NS6detail15normal_iteratorINS8_7pointerItNS8_11hip_rocprim5par_tENS8_11use_defaultESE_EEEENSA_INSB_IlSD_SE_SE_EEEEZNS1_13binary_searchIS3_S5_PtSG_SI_NS1_21upper_bound_search_opENS9_16wrapped_functionINS8_6system6detail7generic6detail18binary_search_lessEbEEEE10hipError_tPvRmT1_T2_T3_mmT4_T5_P12ihipStream_tbEUlRKtE_EEST_SX_SY_mSZ_S12_bEUlT_E_NS1_11comp_targetILNS1_3genE10ELNS1_11target_archE1201ELNS1_3gpuE5ELNS1_3repE0EEENS1_30default_config_static_selectorELNS0_4arch9wavefront6targetE0EEEvSW_
; %bb.0:
	.section	.rodata,"a",@progbits
	.p2align	6, 0x0
	.amdhsa_kernel _ZN7rocprim17ROCPRIM_400000_NS6detail17trampoline_kernelINS0_14default_configENS1_27upper_bound_config_selectorItlEEZNS1_14transform_implILb0ES3_S5_N6thrust23THRUST_200600_302600_NS6detail15normal_iteratorINS8_7pointerItNS8_11hip_rocprim5par_tENS8_11use_defaultESE_EEEENSA_INSB_IlSD_SE_SE_EEEEZNS1_13binary_searchIS3_S5_PtSG_SI_NS1_21upper_bound_search_opENS9_16wrapped_functionINS8_6system6detail7generic6detail18binary_search_lessEbEEEE10hipError_tPvRmT1_T2_T3_mmT4_T5_P12ihipStream_tbEUlRKtE_EEST_SX_SY_mSZ_S12_bEUlT_E_NS1_11comp_targetILNS1_3genE10ELNS1_11target_archE1201ELNS1_3gpuE5ELNS1_3repE0EEENS1_30default_config_static_selectorELNS0_4arch9wavefront6targetE0EEEvSW_
		.amdhsa_group_segment_fixed_size 0
		.amdhsa_private_segment_fixed_size 0
		.amdhsa_kernarg_size 56
		.amdhsa_user_sgpr_count 6
		.amdhsa_user_sgpr_private_segment_buffer 1
		.amdhsa_user_sgpr_dispatch_ptr 0
		.amdhsa_user_sgpr_queue_ptr 0
		.amdhsa_user_sgpr_kernarg_segment_ptr 1
		.amdhsa_user_sgpr_dispatch_id 0
		.amdhsa_user_sgpr_flat_scratch_init 0
		.amdhsa_user_sgpr_private_segment_size 0
		.amdhsa_wavefront_size32 1
		.amdhsa_uses_dynamic_stack 0
		.amdhsa_system_sgpr_private_segment_wavefront_offset 0
		.amdhsa_system_sgpr_workgroup_id_x 1
		.amdhsa_system_sgpr_workgroup_id_y 0
		.amdhsa_system_sgpr_workgroup_id_z 0
		.amdhsa_system_sgpr_workgroup_info 0
		.amdhsa_system_vgpr_workitem_id 0
		.amdhsa_next_free_vgpr 1
		.amdhsa_next_free_sgpr 1
		.amdhsa_reserve_vcc 0
		.amdhsa_reserve_flat_scratch 0
		.amdhsa_float_round_mode_32 0
		.amdhsa_float_round_mode_16_64 0
		.amdhsa_float_denorm_mode_32 3
		.amdhsa_float_denorm_mode_16_64 3
		.amdhsa_dx10_clamp 1
		.amdhsa_ieee_mode 1
		.amdhsa_fp16_overflow 0
		.amdhsa_workgroup_processor_mode 1
		.amdhsa_memory_ordered 1
		.amdhsa_forward_progress 1
		.amdhsa_shared_vgpr_count 0
		.amdhsa_exception_fp_ieee_invalid_op 0
		.amdhsa_exception_fp_denorm_src 0
		.amdhsa_exception_fp_ieee_div_zero 0
		.amdhsa_exception_fp_ieee_overflow 0
		.amdhsa_exception_fp_ieee_underflow 0
		.amdhsa_exception_fp_ieee_inexact 0
		.amdhsa_exception_int_div_zero 0
	.end_amdhsa_kernel
	.section	.text._ZN7rocprim17ROCPRIM_400000_NS6detail17trampoline_kernelINS0_14default_configENS1_27upper_bound_config_selectorItlEEZNS1_14transform_implILb0ES3_S5_N6thrust23THRUST_200600_302600_NS6detail15normal_iteratorINS8_7pointerItNS8_11hip_rocprim5par_tENS8_11use_defaultESE_EEEENSA_INSB_IlSD_SE_SE_EEEEZNS1_13binary_searchIS3_S5_PtSG_SI_NS1_21upper_bound_search_opENS9_16wrapped_functionINS8_6system6detail7generic6detail18binary_search_lessEbEEEE10hipError_tPvRmT1_T2_T3_mmT4_T5_P12ihipStream_tbEUlRKtE_EEST_SX_SY_mSZ_S12_bEUlT_E_NS1_11comp_targetILNS1_3genE10ELNS1_11target_archE1201ELNS1_3gpuE5ELNS1_3repE0EEENS1_30default_config_static_selectorELNS0_4arch9wavefront6targetE0EEEvSW_,"axG",@progbits,_ZN7rocprim17ROCPRIM_400000_NS6detail17trampoline_kernelINS0_14default_configENS1_27upper_bound_config_selectorItlEEZNS1_14transform_implILb0ES3_S5_N6thrust23THRUST_200600_302600_NS6detail15normal_iteratorINS8_7pointerItNS8_11hip_rocprim5par_tENS8_11use_defaultESE_EEEENSA_INSB_IlSD_SE_SE_EEEEZNS1_13binary_searchIS3_S5_PtSG_SI_NS1_21upper_bound_search_opENS9_16wrapped_functionINS8_6system6detail7generic6detail18binary_search_lessEbEEEE10hipError_tPvRmT1_T2_T3_mmT4_T5_P12ihipStream_tbEUlRKtE_EEST_SX_SY_mSZ_S12_bEUlT_E_NS1_11comp_targetILNS1_3genE10ELNS1_11target_archE1201ELNS1_3gpuE5ELNS1_3repE0EEENS1_30default_config_static_selectorELNS0_4arch9wavefront6targetE0EEEvSW_,comdat
.Lfunc_end207:
	.size	_ZN7rocprim17ROCPRIM_400000_NS6detail17trampoline_kernelINS0_14default_configENS1_27upper_bound_config_selectorItlEEZNS1_14transform_implILb0ES3_S5_N6thrust23THRUST_200600_302600_NS6detail15normal_iteratorINS8_7pointerItNS8_11hip_rocprim5par_tENS8_11use_defaultESE_EEEENSA_INSB_IlSD_SE_SE_EEEEZNS1_13binary_searchIS3_S5_PtSG_SI_NS1_21upper_bound_search_opENS9_16wrapped_functionINS8_6system6detail7generic6detail18binary_search_lessEbEEEE10hipError_tPvRmT1_T2_T3_mmT4_T5_P12ihipStream_tbEUlRKtE_EEST_SX_SY_mSZ_S12_bEUlT_E_NS1_11comp_targetILNS1_3genE10ELNS1_11target_archE1201ELNS1_3gpuE5ELNS1_3repE0EEENS1_30default_config_static_selectorELNS0_4arch9wavefront6targetE0EEEvSW_, .Lfunc_end207-_ZN7rocprim17ROCPRIM_400000_NS6detail17trampoline_kernelINS0_14default_configENS1_27upper_bound_config_selectorItlEEZNS1_14transform_implILb0ES3_S5_N6thrust23THRUST_200600_302600_NS6detail15normal_iteratorINS8_7pointerItNS8_11hip_rocprim5par_tENS8_11use_defaultESE_EEEENSA_INSB_IlSD_SE_SE_EEEEZNS1_13binary_searchIS3_S5_PtSG_SI_NS1_21upper_bound_search_opENS9_16wrapped_functionINS8_6system6detail7generic6detail18binary_search_lessEbEEEE10hipError_tPvRmT1_T2_T3_mmT4_T5_P12ihipStream_tbEUlRKtE_EEST_SX_SY_mSZ_S12_bEUlT_E_NS1_11comp_targetILNS1_3genE10ELNS1_11target_archE1201ELNS1_3gpuE5ELNS1_3repE0EEENS1_30default_config_static_selectorELNS0_4arch9wavefront6targetE0EEEvSW_
                                        ; -- End function
	.set _ZN7rocprim17ROCPRIM_400000_NS6detail17trampoline_kernelINS0_14default_configENS1_27upper_bound_config_selectorItlEEZNS1_14transform_implILb0ES3_S5_N6thrust23THRUST_200600_302600_NS6detail15normal_iteratorINS8_7pointerItNS8_11hip_rocprim5par_tENS8_11use_defaultESE_EEEENSA_INSB_IlSD_SE_SE_EEEEZNS1_13binary_searchIS3_S5_PtSG_SI_NS1_21upper_bound_search_opENS9_16wrapped_functionINS8_6system6detail7generic6detail18binary_search_lessEbEEEE10hipError_tPvRmT1_T2_T3_mmT4_T5_P12ihipStream_tbEUlRKtE_EEST_SX_SY_mSZ_S12_bEUlT_E_NS1_11comp_targetILNS1_3genE10ELNS1_11target_archE1201ELNS1_3gpuE5ELNS1_3repE0EEENS1_30default_config_static_selectorELNS0_4arch9wavefront6targetE0EEEvSW_.num_vgpr, 0
	.set _ZN7rocprim17ROCPRIM_400000_NS6detail17trampoline_kernelINS0_14default_configENS1_27upper_bound_config_selectorItlEEZNS1_14transform_implILb0ES3_S5_N6thrust23THRUST_200600_302600_NS6detail15normal_iteratorINS8_7pointerItNS8_11hip_rocprim5par_tENS8_11use_defaultESE_EEEENSA_INSB_IlSD_SE_SE_EEEEZNS1_13binary_searchIS3_S5_PtSG_SI_NS1_21upper_bound_search_opENS9_16wrapped_functionINS8_6system6detail7generic6detail18binary_search_lessEbEEEE10hipError_tPvRmT1_T2_T3_mmT4_T5_P12ihipStream_tbEUlRKtE_EEST_SX_SY_mSZ_S12_bEUlT_E_NS1_11comp_targetILNS1_3genE10ELNS1_11target_archE1201ELNS1_3gpuE5ELNS1_3repE0EEENS1_30default_config_static_selectorELNS0_4arch9wavefront6targetE0EEEvSW_.num_agpr, 0
	.set _ZN7rocprim17ROCPRIM_400000_NS6detail17trampoline_kernelINS0_14default_configENS1_27upper_bound_config_selectorItlEEZNS1_14transform_implILb0ES3_S5_N6thrust23THRUST_200600_302600_NS6detail15normal_iteratorINS8_7pointerItNS8_11hip_rocprim5par_tENS8_11use_defaultESE_EEEENSA_INSB_IlSD_SE_SE_EEEEZNS1_13binary_searchIS3_S5_PtSG_SI_NS1_21upper_bound_search_opENS9_16wrapped_functionINS8_6system6detail7generic6detail18binary_search_lessEbEEEE10hipError_tPvRmT1_T2_T3_mmT4_T5_P12ihipStream_tbEUlRKtE_EEST_SX_SY_mSZ_S12_bEUlT_E_NS1_11comp_targetILNS1_3genE10ELNS1_11target_archE1201ELNS1_3gpuE5ELNS1_3repE0EEENS1_30default_config_static_selectorELNS0_4arch9wavefront6targetE0EEEvSW_.numbered_sgpr, 0
	.set _ZN7rocprim17ROCPRIM_400000_NS6detail17trampoline_kernelINS0_14default_configENS1_27upper_bound_config_selectorItlEEZNS1_14transform_implILb0ES3_S5_N6thrust23THRUST_200600_302600_NS6detail15normal_iteratorINS8_7pointerItNS8_11hip_rocprim5par_tENS8_11use_defaultESE_EEEENSA_INSB_IlSD_SE_SE_EEEEZNS1_13binary_searchIS3_S5_PtSG_SI_NS1_21upper_bound_search_opENS9_16wrapped_functionINS8_6system6detail7generic6detail18binary_search_lessEbEEEE10hipError_tPvRmT1_T2_T3_mmT4_T5_P12ihipStream_tbEUlRKtE_EEST_SX_SY_mSZ_S12_bEUlT_E_NS1_11comp_targetILNS1_3genE10ELNS1_11target_archE1201ELNS1_3gpuE5ELNS1_3repE0EEENS1_30default_config_static_selectorELNS0_4arch9wavefront6targetE0EEEvSW_.num_named_barrier, 0
	.set _ZN7rocprim17ROCPRIM_400000_NS6detail17trampoline_kernelINS0_14default_configENS1_27upper_bound_config_selectorItlEEZNS1_14transform_implILb0ES3_S5_N6thrust23THRUST_200600_302600_NS6detail15normal_iteratorINS8_7pointerItNS8_11hip_rocprim5par_tENS8_11use_defaultESE_EEEENSA_INSB_IlSD_SE_SE_EEEEZNS1_13binary_searchIS3_S5_PtSG_SI_NS1_21upper_bound_search_opENS9_16wrapped_functionINS8_6system6detail7generic6detail18binary_search_lessEbEEEE10hipError_tPvRmT1_T2_T3_mmT4_T5_P12ihipStream_tbEUlRKtE_EEST_SX_SY_mSZ_S12_bEUlT_E_NS1_11comp_targetILNS1_3genE10ELNS1_11target_archE1201ELNS1_3gpuE5ELNS1_3repE0EEENS1_30default_config_static_selectorELNS0_4arch9wavefront6targetE0EEEvSW_.private_seg_size, 0
	.set _ZN7rocprim17ROCPRIM_400000_NS6detail17trampoline_kernelINS0_14default_configENS1_27upper_bound_config_selectorItlEEZNS1_14transform_implILb0ES3_S5_N6thrust23THRUST_200600_302600_NS6detail15normal_iteratorINS8_7pointerItNS8_11hip_rocprim5par_tENS8_11use_defaultESE_EEEENSA_INSB_IlSD_SE_SE_EEEEZNS1_13binary_searchIS3_S5_PtSG_SI_NS1_21upper_bound_search_opENS9_16wrapped_functionINS8_6system6detail7generic6detail18binary_search_lessEbEEEE10hipError_tPvRmT1_T2_T3_mmT4_T5_P12ihipStream_tbEUlRKtE_EEST_SX_SY_mSZ_S12_bEUlT_E_NS1_11comp_targetILNS1_3genE10ELNS1_11target_archE1201ELNS1_3gpuE5ELNS1_3repE0EEENS1_30default_config_static_selectorELNS0_4arch9wavefront6targetE0EEEvSW_.uses_vcc, 0
	.set _ZN7rocprim17ROCPRIM_400000_NS6detail17trampoline_kernelINS0_14default_configENS1_27upper_bound_config_selectorItlEEZNS1_14transform_implILb0ES3_S5_N6thrust23THRUST_200600_302600_NS6detail15normal_iteratorINS8_7pointerItNS8_11hip_rocprim5par_tENS8_11use_defaultESE_EEEENSA_INSB_IlSD_SE_SE_EEEEZNS1_13binary_searchIS3_S5_PtSG_SI_NS1_21upper_bound_search_opENS9_16wrapped_functionINS8_6system6detail7generic6detail18binary_search_lessEbEEEE10hipError_tPvRmT1_T2_T3_mmT4_T5_P12ihipStream_tbEUlRKtE_EEST_SX_SY_mSZ_S12_bEUlT_E_NS1_11comp_targetILNS1_3genE10ELNS1_11target_archE1201ELNS1_3gpuE5ELNS1_3repE0EEENS1_30default_config_static_selectorELNS0_4arch9wavefront6targetE0EEEvSW_.uses_flat_scratch, 0
	.set _ZN7rocprim17ROCPRIM_400000_NS6detail17trampoline_kernelINS0_14default_configENS1_27upper_bound_config_selectorItlEEZNS1_14transform_implILb0ES3_S5_N6thrust23THRUST_200600_302600_NS6detail15normal_iteratorINS8_7pointerItNS8_11hip_rocprim5par_tENS8_11use_defaultESE_EEEENSA_INSB_IlSD_SE_SE_EEEEZNS1_13binary_searchIS3_S5_PtSG_SI_NS1_21upper_bound_search_opENS9_16wrapped_functionINS8_6system6detail7generic6detail18binary_search_lessEbEEEE10hipError_tPvRmT1_T2_T3_mmT4_T5_P12ihipStream_tbEUlRKtE_EEST_SX_SY_mSZ_S12_bEUlT_E_NS1_11comp_targetILNS1_3genE10ELNS1_11target_archE1201ELNS1_3gpuE5ELNS1_3repE0EEENS1_30default_config_static_selectorELNS0_4arch9wavefront6targetE0EEEvSW_.has_dyn_sized_stack, 0
	.set _ZN7rocprim17ROCPRIM_400000_NS6detail17trampoline_kernelINS0_14default_configENS1_27upper_bound_config_selectorItlEEZNS1_14transform_implILb0ES3_S5_N6thrust23THRUST_200600_302600_NS6detail15normal_iteratorINS8_7pointerItNS8_11hip_rocprim5par_tENS8_11use_defaultESE_EEEENSA_INSB_IlSD_SE_SE_EEEEZNS1_13binary_searchIS3_S5_PtSG_SI_NS1_21upper_bound_search_opENS9_16wrapped_functionINS8_6system6detail7generic6detail18binary_search_lessEbEEEE10hipError_tPvRmT1_T2_T3_mmT4_T5_P12ihipStream_tbEUlRKtE_EEST_SX_SY_mSZ_S12_bEUlT_E_NS1_11comp_targetILNS1_3genE10ELNS1_11target_archE1201ELNS1_3gpuE5ELNS1_3repE0EEENS1_30default_config_static_selectorELNS0_4arch9wavefront6targetE0EEEvSW_.has_recursion, 0
	.set _ZN7rocprim17ROCPRIM_400000_NS6detail17trampoline_kernelINS0_14default_configENS1_27upper_bound_config_selectorItlEEZNS1_14transform_implILb0ES3_S5_N6thrust23THRUST_200600_302600_NS6detail15normal_iteratorINS8_7pointerItNS8_11hip_rocprim5par_tENS8_11use_defaultESE_EEEENSA_INSB_IlSD_SE_SE_EEEEZNS1_13binary_searchIS3_S5_PtSG_SI_NS1_21upper_bound_search_opENS9_16wrapped_functionINS8_6system6detail7generic6detail18binary_search_lessEbEEEE10hipError_tPvRmT1_T2_T3_mmT4_T5_P12ihipStream_tbEUlRKtE_EEST_SX_SY_mSZ_S12_bEUlT_E_NS1_11comp_targetILNS1_3genE10ELNS1_11target_archE1201ELNS1_3gpuE5ELNS1_3repE0EEENS1_30default_config_static_selectorELNS0_4arch9wavefront6targetE0EEEvSW_.has_indirect_call, 0
	.section	.AMDGPU.csdata,"",@progbits
; Kernel info:
; codeLenInByte = 0
; TotalNumSgprs: 0
; NumVgprs: 0
; ScratchSize: 0
; MemoryBound: 0
; FloatMode: 240
; IeeeMode: 1
; LDSByteSize: 0 bytes/workgroup (compile time only)
; SGPRBlocks: 0
; VGPRBlocks: 0
; NumSGPRsForWavesPerEU: 1
; NumVGPRsForWavesPerEU: 1
; Occupancy: 16
; WaveLimiterHint : 0
; COMPUTE_PGM_RSRC2:SCRATCH_EN: 0
; COMPUTE_PGM_RSRC2:USER_SGPR: 6
; COMPUTE_PGM_RSRC2:TRAP_HANDLER: 0
; COMPUTE_PGM_RSRC2:TGID_X_EN: 1
; COMPUTE_PGM_RSRC2:TGID_Y_EN: 0
; COMPUTE_PGM_RSRC2:TGID_Z_EN: 0
; COMPUTE_PGM_RSRC2:TIDIG_COMP_CNT: 0
	.section	.text._ZN7rocprim17ROCPRIM_400000_NS6detail17trampoline_kernelINS0_14default_configENS1_27upper_bound_config_selectorItlEEZNS1_14transform_implILb0ES3_S5_N6thrust23THRUST_200600_302600_NS6detail15normal_iteratorINS8_7pointerItNS8_11hip_rocprim5par_tENS8_11use_defaultESE_EEEENSA_INSB_IlSD_SE_SE_EEEEZNS1_13binary_searchIS3_S5_PtSG_SI_NS1_21upper_bound_search_opENS9_16wrapped_functionINS8_6system6detail7generic6detail18binary_search_lessEbEEEE10hipError_tPvRmT1_T2_T3_mmT4_T5_P12ihipStream_tbEUlRKtE_EEST_SX_SY_mSZ_S12_bEUlT_E_NS1_11comp_targetILNS1_3genE10ELNS1_11target_archE1200ELNS1_3gpuE4ELNS1_3repE0EEENS1_30default_config_static_selectorELNS0_4arch9wavefront6targetE0EEEvSW_,"axG",@progbits,_ZN7rocprim17ROCPRIM_400000_NS6detail17trampoline_kernelINS0_14default_configENS1_27upper_bound_config_selectorItlEEZNS1_14transform_implILb0ES3_S5_N6thrust23THRUST_200600_302600_NS6detail15normal_iteratorINS8_7pointerItNS8_11hip_rocprim5par_tENS8_11use_defaultESE_EEEENSA_INSB_IlSD_SE_SE_EEEEZNS1_13binary_searchIS3_S5_PtSG_SI_NS1_21upper_bound_search_opENS9_16wrapped_functionINS8_6system6detail7generic6detail18binary_search_lessEbEEEE10hipError_tPvRmT1_T2_T3_mmT4_T5_P12ihipStream_tbEUlRKtE_EEST_SX_SY_mSZ_S12_bEUlT_E_NS1_11comp_targetILNS1_3genE10ELNS1_11target_archE1200ELNS1_3gpuE4ELNS1_3repE0EEENS1_30default_config_static_selectorELNS0_4arch9wavefront6targetE0EEEvSW_,comdat
	.protected	_ZN7rocprim17ROCPRIM_400000_NS6detail17trampoline_kernelINS0_14default_configENS1_27upper_bound_config_selectorItlEEZNS1_14transform_implILb0ES3_S5_N6thrust23THRUST_200600_302600_NS6detail15normal_iteratorINS8_7pointerItNS8_11hip_rocprim5par_tENS8_11use_defaultESE_EEEENSA_INSB_IlSD_SE_SE_EEEEZNS1_13binary_searchIS3_S5_PtSG_SI_NS1_21upper_bound_search_opENS9_16wrapped_functionINS8_6system6detail7generic6detail18binary_search_lessEbEEEE10hipError_tPvRmT1_T2_T3_mmT4_T5_P12ihipStream_tbEUlRKtE_EEST_SX_SY_mSZ_S12_bEUlT_E_NS1_11comp_targetILNS1_3genE10ELNS1_11target_archE1200ELNS1_3gpuE4ELNS1_3repE0EEENS1_30default_config_static_selectorELNS0_4arch9wavefront6targetE0EEEvSW_ ; -- Begin function _ZN7rocprim17ROCPRIM_400000_NS6detail17trampoline_kernelINS0_14default_configENS1_27upper_bound_config_selectorItlEEZNS1_14transform_implILb0ES3_S5_N6thrust23THRUST_200600_302600_NS6detail15normal_iteratorINS8_7pointerItNS8_11hip_rocprim5par_tENS8_11use_defaultESE_EEEENSA_INSB_IlSD_SE_SE_EEEEZNS1_13binary_searchIS3_S5_PtSG_SI_NS1_21upper_bound_search_opENS9_16wrapped_functionINS8_6system6detail7generic6detail18binary_search_lessEbEEEE10hipError_tPvRmT1_T2_T3_mmT4_T5_P12ihipStream_tbEUlRKtE_EEST_SX_SY_mSZ_S12_bEUlT_E_NS1_11comp_targetILNS1_3genE10ELNS1_11target_archE1200ELNS1_3gpuE4ELNS1_3repE0EEENS1_30default_config_static_selectorELNS0_4arch9wavefront6targetE0EEEvSW_
	.globl	_ZN7rocprim17ROCPRIM_400000_NS6detail17trampoline_kernelINS0_14default_configENS1_27upper_bound_config_selectorItlEEZNS1_14transform_implILb0ES3_S5_N6thrust23THRUST_200600_302600_NS6detail15normal_iteratorINS8_7pointerItNS8_11hip_rocprim5par_tENS8_11use_defaultESE_EEEENSA_INSB_IlSD_SE_SE_EEEEZNS1_13binary_searchIS3_S5_PtSG_SI_NS1_21upper_bound_search_opENS9_16wrapped_functionINS8_6system6detail7generic6detail18binary_search_lessEbEEEE10hipError_tPvRmT1_T2_T3_mmT4_T5_P12ihipStream_tbEUlRKtE_EEST_SX_SY_mSZ_S12_bEUlT_E_NS1_11comp_targetILNS1_3genE10ELNS1_11target_archE1200ELNS1_3gpuE4ELNS1_3repE0EEENS1_30default_config_static_selectorELNS0_4arch9wavefront6targetE0EEEvSW_
	.p2align	8
	.type	_ZN7rocprim17ROCPRIM_400000_NS6detail17trampoline_kernelINS0_14default_configENS1_27upper_bound_config_selectorItlEEZNS1_14transform_implILb0ES3_S5_N6thrust23THRUST_200600_302600_NS6detail15normal_iteratorINS8_7pointerItNS8_11hip_rocprim5par_tENS8_11use_defaultESE_EEEENSA_INSB_IlSD_SE_SE_EEEEZNS1_13binary_searchIS3_S5_PtSG_SI_NS1_21upper_bound_search_opENS9_16wrapped_functionINS8_6system6detail7generic6detail18binary_search_lessEbEEEE10hipError_tPvRmT1_T2_T3_mmT4_T5_P12ihipStream_tbEUlRKtE_EEST_SX_SY_mSZ_S12_bEUlT_E_NS1_11comp_targetILNS1_3genE10ELNS1_11target_archE1200ELNS1_3gpuE4ELNS1_3repE0EEENS1_30default_config_static_selectorELNS0_4arch9wavefront6targetE0EEEvSW_,@function
_ZN7rocprim17ROCPRIM_400000_NS6detail17trampoline_kernelINS0_14default_configENS1_27upper_bound_config_selectorItlEEZNS1_14transform_implILb0ES3_S5_N6thrust23THRUST_200600_302600_NS6detail15normal_iteratorINS8_7pointerItNS8_11hip_rocprim5par_tENS8_11use_defaultESE_EEEENSA_INSB_IlSD_SE_SE_EEEEZNS1_13binary_searchIS3_S5_PtSG_SI_NS1_21upper_bound_search_opENS9_16wrapped_functionINS8_6system6detail7generic6detail18binary_search_lessEbEEEE10hipError_tPvRmT1_T2_T3_mmT4_T5_P12ihipStream_tbEUlRKtE_EEST_SX_SY_mSZ_S12_bEUlT_E_NS1_11comp_targetILNS1_3genE10ELNS1_11target_archE1200ELNS1_3gpuE4ELNS1_3repE0EEENS1_30default_config_static_selectorELNS0_4arch9wavefront6targetE0EEEvSW_: ; @_ZN7rocprim17ROCPRIM_400000_NS6detail17trampoline_kernelINS0_14default_configENS1_27upper_bound_config_selectorItlEEZNS1_14transform_implILb0ES3_S5_N6thrust23THRUST_200600_302600_NS6detail15normal_iteratorINS8_7pointerItNS8_11hip_rocprim5par_tENS8_11use_defaultESE_EEEENSA_INSB_IlSD_SE_SE_EEEEZNS1_13binary_searchIS3_S5_PtSG_SI_NS1_21upper_bound_search_opENS9_16wrapped_functionINS8_6system6detail7generic6detail18binary_search_lessEbEEEE10hipError_tPvRmT1_T2_T3_mmT4_T5_P12ihipStream_tbEUlRKtE_EEST_SX_SY_mSZ_S12_bEUlT_E_NS1_11comp_targetILNS1_3genE10ELNS1_11target_archE1200ELNS1_3gpuE4ELNS1_3repE0EEENS1_30default_config_static_selectorELNS0_4arch9wavefront6targetE0EEEvSW_
; %bb.0:
	.section	.rodata,"a",@progbits
	.p2align	6, 0x0
	.amdhsa_kernel _ZN7rocprim17ROCPRIM_400000_NS6detail17trampoline_kernelINS0_14default_configENS1_27upper_bound_config_selectorItlEEZNS1_14transform_implILb0ES3_S5_N6thrust23THRUST_200600_302600_NS6detail15normal_iteratorINS8_7pointerItNS8_11hip_rocprim5par_tENS8_11use_defaultESE_EEEENSA_INSB_IlSD_SE_SE_EEEEZNS1_13binary_searchIS3_S5_PtSG_SI_NS1_21upper_bound_search_opENS9_16wrapped_functionINS8_6system6detail7generic6detail18binary_search_lessEbEEEE10hipError_tPvRmT1_T2_T3_mmT4_T5_P12ihipStream_tbEUlRKtE_EEST_SX_SY_mSZ_S12_bEUlT_E_NS1_11comp_targetILNS1_3genE10ELNS1_11target_archE1200ELNS1_3gpuE4ELNS1_3repE0EEENS1_30default_config_static_selectorELNS0_4arch9wavefront6targetE0EEEvSW_
		.amdhsa_group_segment_fixed_size 0
		.amdhsa_private_segment_fixed_size 0
		.amdhsa_kernarg_size 56
		.amdhsa_user_sgpr_count 6
		.amdhsa_user_sgpr_private_segment_buffer 1
		.amdhsa_user_sgpr_dispatch_ptr 0
		.amdhsa_user_sgpr_queue_ptr 0
		.amdhsa_user_sgpr_kernarg_segment_ptr 1
		.amdhsa_user_sgpr_dispatch_id 0
		.amdhsa_user_sgpr_flat_scratch_init 0
		.amdhsa_user_sgpr_private_segment_size 0
		.amdhsa_wavefront_size32 1
		.amdhsa_uses_dynamic_stack 0
		.amdhsa_system_sgpr_private_segment_wavefront_offset 0
		.amdhsa_system_sgpr_workgroup_id_x 1
		.amdhsa_system_sgpr_workgroup_id_y 0
		.amdhsa_system_sgpr_workgroup_id_z 0
		.amdhsa_system_sgpr_workgroup_info 0
		.amdhsa_system_vgpr_workitem_id 0
		.amdhsa_next_free_vgpr 1
		.amdhsa_next_free_sgpr 1
		.amdhsa_reserve_vcc 0
		.amdhsa_reserve_flat_scratch 0
		.amdhsa_float_round_mode_32 0
		.amdhsa_float_round_mode_16_64 0
		.amdhsa_float_denorm_mode_32 3
		.amdhsa_float_denorm_mode_16_64 3
		.amdhsa_dx10_clamp 1
		.amdhsa_ieee_mode 1
		.amdhsa_fp16_overflow 0
		.amdhsa_workgroup_processor_mode 1
		.amdhsa_memory_ordered 1
		.amdhsa_forward_progress 1
		.amdhsa_shared_vgpr_count 0
		.amdhsa_exception_fp_ieee_invalid_op 0
		.amdhsa_exception_fp_denorm_src 0
		.amdhsa_exception_fp_ieee_div_zero 0
		.amdhsa_exception_fp_ieee_overflow 0
		.amdhsa_exception_fp_ieee_underflow 0
		.amdhsa_exception_fp_ieee_inexact 0
		.amdhsa_exception_int_div_zero 0
	.end_amdhsa_kernel
	.section	.text._ZN7rocprim17ROCPRIM_400000_NS6detail17trampoline_kernelINS0_14default_configENS1_27upper_bound_config_selectorItlEEZNS1_14transform_implILb0ES3_S5_N6thrust23THRUST_200600_302600_NS6detail15normal_iteratorINS8_7pointerItNS8_11hip_rocprim5par_tENS8_11use_defaultESE_EEEENSA_INSB_IlSD_SE_SE_EEEEZNS1_13binary_searchIS3_S5_PtSG_SI_NS1_21upper_bound_search_opENS9_16wrapped_functionINS8_6system6detail7generic6detail18binary_search_lessEbEEEE10hipError_tPvRmT1_T2_T3_mmT4_T5_P12ihipStream_tbEUlRKtE_EEST_SX_SY_mSZ_S12_bEUlT_E_NS1_11comp_targetILNS1_3genE10ELNS1_11target_archE1200ELNS1_3gpuE4ELNS1_3repE0EEENS1_30default_config_static_selectorELNS0_4arch9wavefront6targetE0EEEvSW_,"axG",@progbits,_ZN7rocprim17ROCPRIM_400000_NS6detail17trampoline_kernelINS0_14default_configENS1_27upper_bound_config_selectorItlEEZNS1_14transform_implILb0ES3_S5_N6thrust23THRUST_200600_302600_NS6detail15normal_iteratorINS8_7pointerItNS8_11hip_rocprim5par_tENS8_11use_defaultESE_EEEENSA_INSB_IlSD_SE_SE_EEEEZNS1_13binary_searchIS3_S5_PtSG_SI_NS1_21upper_bound_search_opENS9_16wrapped_functionINS8_6system6detail7generic6detail18binary_search_lessEbEEEE10hipError_tPvRmT1_T2_T3_mmT4_T5_P12ihipStream_tbEUlRKtE_EEST_SX_SY_mSZ_S12_bEUlT_E_NS1_11comp_targetILNS1_3genE10ELNS1_11target_archE1200ELNS1_3gpuE4ELNS1_3repE0EEENS1_30default_config_static_selectorELNS0_4arch9wavefront6targetE0EEEvSW_,comdat
.Lfunc_end208:
	.size	_ZN7rocprim17ROCPRIM_400000_NS6detail17trampoline_kernelINS0_14default_configENS1_27upper_bound_config_selectorItlEEZNS1_14transform_implILb0ES3_S5_N6thrust23THRUST_200600_302600_NS6detail15normal_iteratorINS8_7pointerItNS8_11hip_rocprim5par_tENS8_11use_defaultESE_EEEENSA_INSB_IlSD_SE_SE_EEEEZNS1_13binary_searchIS3_S5_PtSG_SI_NS1_21upper_bound_search_opENS9_16wrapped_functionINS8_6system6detail7generic6detail18binary_search_lessEbEEEE10hipError_tPvRmT1_T2_T3_mmT4_T5_P12ihipStream_tbEUlRKtE_EEST_SX_SY_mSZ_S12_bEUlT_E_NS1_11comp_targetILNS1_3genE10ELNS1_11target_archE1200ELNS1_3gpuE4ELNS1_3repE0EEENS1_30default_config_static_selectorELNS0_4arch9wavefront6targetE0EEEvSW_, .Lfunc_end208-_ZN7rocprim17ROCPRIM_400000_NS6detail17trampoline_kernelINS0_14default_configENS1_27upper_bound_config_selectorItlEEZNS1_14transform_implILb0ES3_S5_N6thrust23THRUST_200600_302600_NS6detail15normal_iteratorINS8_7pointerItNS8_11hip_rocprim5par_tENS8_11use_defaultESE_EEEENSA_INSB_IlSD_SE_SE_EEEEZNS1_13binary_searchIS3_S5_PtSG_SI_NS1_21upper_bound_search_opENS9_16wrapped_functionINS8_6system6detail7generic6detail18binary_search_lessEbEEEE10hipError_tPvRmT1_T2_T3_mmT4_T5_P12ihipStream_tbEUlRKtE_EEST_SX_SY_mSZ_S12_bEUlT_E_NS1_11comp_targetILNS1_3genE10ELNS1_11target_archE1200ELNS1_3gpuE4ELNS1_3repE0EEENS1_30default_config_static_selectorELNS0_4arch9wavefront6targetE0EEEvSW_
                                        ; -- End function
	.set _ZN7rocprim17ROCPRIM_400000_NS6detail17trampoline_kernelINS0_14default_configENS1_27upper_bound_config_selectorItlEEZNS1_14transform_implILb0ES3_S5_N6thrust23THRUST_200600_302600_NS6detail15normal_iteratorINS8_7pointerItNS8_11hip_rocprim5par_tENS8_11use_defaultESE_EEEENSA_INSB_IlSD_SE_SE_EEEEZNS1_13binary_searchIS3_S5_PtSG_SI_NS1_21upper_bound_search_opENS9_16wrapped_functionINS8_6system6detail7generic6detail18binary_search_lessEbEEEE10hipError_tPvRmT1_T2_T3_mmT4_T5_P12ihipStream_tbEUlRKtE_EEST_SX_SY_mSZ_S12_bEUlT_E_NS1_11comp_targetILNS1_3genE10ELNS1_11target_archE1200ELNS1_3gpuE4ELNS1_3repE0EEENS1_30default_config_static_selectorELNS0_4arch9wavefront6targetE0EEEvSW_.num_vgpr, 0
	.set _ZN7rocprim17ROCPRIM_400000_NS6detail17trampoline_kernelINS0_14default_configENS1_27upper_bound_config_selectorItlEEZNS1_14transform_implILb0ES3_S5_N6thrust23THRUST_200600_302600_NS6detail15normal_iteratorINS8_7pointerItNS8_11hip_rocprim5par_tENS8_11use_defaultESE_EEEENSA_INSB_IlSD_SE_SE_EEEEZNS1_13binary_searchIS3_S5_PtSG_SI_NS1_21upper_bound_search_opENS9_16wrapped_functionINS8_6system6detail7generic6detail18binary_search_lessEbEEEE10hipError_tPvRmT1_T2_T3_mmT4_T5_P12ihipStream_tbEUlRKtE_EEST_SX_SY_mSZ_S12_bEUlT_E_NS1_11comp_targetILNS1_3genE10ELNS1_11target_archE1200ELNS1_3gpuE4ELNS1_3repE0EEENS1_30default_config_static_selectorELNS0_4arch9wavefront6targetE0EEEvSW_.num_agpr, 0
	.set _ZN7rocprim17ROCPRIM_400000_NS6detail17trampoline_kernelINS0_14default_configENS1_27upper_bound_config_selectorItlEEZNS1_14transform_implILb0ES3_S5_N6thrust23THRUST_200600_302600_NS6detail15normal_iteratorINS8_7pointerItNS8_11hip_rocprim5par_tENS8_11use_defaultESE_EEEENSA_INSB_IlSD_SE_SE_EEEEZNS1_13binary_searchIS3_S5_PtSG_SI_NS1_21upper_bound_search_opENS9_16wrapped_functionINS8_6system6detail7generic6detail18binary_search_lessEbEEEE10hipError_tPvRmT1_T2_T3_mmT4_T5_P12ihipStream_tbEUlRKtE_EEST_SX_SY_mSZ_S12_bEUlT_E_NS1_11comp_targetILNS1_3genE10ELNS1_11target_archE1200ELNS1_3gpuE4ELNS1_3repE0EEENS1_30default_config_static_selectorELNS0_4arch9wavefront6targetE0EEEvSW_.numbered_sgpr, 0
	.set _ZN7rocprim17ROCPRIM_400000_NS6detail17trampoline_kernelINS0_14default_configENS1_27upper_bound_config_selectorItlEEZNS1_14transform_implILb0ES3_S5_N6thrust23THRUST_200600_302600_NS6detail15normal_iteratorINS8_7pointerItNS8_11hip_rocprim5par_tENS8_11use_defaultESE_EEEENSA_INSB_IlSD_SE_SE_EEEEZNS1_13binary_searchIS3_S5_PtSG_SI_NS1_21upper_bound_search_opENS9_16wrapped_functionINS8_6system6detail7generic6detail18binary_search_lessEbEEEE10hipError_tPvRmT1_T2_T3_mmT4_T5_P12ihipStream_tbEUlRKtE_EEST_SX_SY_mSZ_S12_bEUlT_E_NS1_11comp_targetILNS1_3genE10ELNS1_11target_archE1200ELNS1_3gpuE4ELNS1_3repE0EEENS1_30default_config_static_selectorELNS0_4arch9wavefront6targetE0EEEvSW_.num_named_barrier, 0
	.set _ZN7rocprim17ROCPRIM_400000_NS6detail17trampoline_kernelINS0_14default_configENS1_27upper_bound_config_selectorItlEEZNS1_14transform_implILb0ES3_S5_N6thrust23THRUST_200600_302600_NS6detail15normal_iteratorINS8_7pointerItNS8_11hip_rocprim5par_tENS8_11use_defaultESE_EEEENSA_INSB_IlSD_SE_SE_EEEEZNS1_13binary_searchIS3_S5_PtSG_SI_NS1_21upper_bound_search_opENS9_16wrapped_functionINS8_6system6detail7generic6detail18binary_search_lessEbEEEE10hipError_tPvRmT1_T2_T3_mmT4_T5_P12ihipStream_tbEUlRKtE_EEST_SX_SY_mSZ_S12_bEUlT_E_NS1_11comp_targetILNS1_3genE10ELNS1_11target_archE1200ELNS1_3gpuE4ELNS1_3repE0EEENS1_30default_config_static_selectorELNS0_4arch9wavefront6targetE0EEEvSW_.private_seg_size, 0
	.set _ZN7rocprim17ROCPRIM_400000_NS6detail17trampoline_kernelINS0_14default_configENS1_27upper_bound_config_selectorItlEEZNS1_14transform_implILb0ES3_S5_N6thrust23THRUST_200600_302600_NS6detail15normal_iteratorINS8_7pointerItNS8_11hip_rocprim5par_tENS8_11use_defaultESE_EEEENSA_INSB_IlSD_SE_SE_EEEEZNS1_13binary_searchIS3_S5_PtSG_SI_NS1_21upper_bound_search_opENS9_16wrapped_functionINS8_6system6detail7generic6detail18binary_search_lessEbEEEE10hipError_tPvRmT1_T2_T3_mmT4_T5_P12ihipStream_tbEUlRKtE_EEST_SX_SY_mSZ_S12_bEUlT_E_NS1_11comp_targetILNS1_3genE10ELNS1_11target_archE1200ELNS1_3gpuE4ELNS1_3repE0EEENS1_30default_config_static_selectorELNS0_4arch9wavefront6targetE0EEEvSW_.uses_vcc, 0
	.set _ZN7rocprim17ROCPRIM_400000_NS6detail17trampoline_kernelINS0_14default_configENS1_27upper_bound_config_selectorItlEEZNS1_14transform_implILb0ES3_S5_N6thrust23THRUST_200600_302600_NS6detail15normal_iteratorINS8_7pointerItNS8_11hip_rocprim5par_tENS8_11use_defaultESE_EEEENSA_INSB_IlSD_SE_SE_EEEEZNS1_13binary_searchIS3_S5_PtSG_SI_NS1_21upper_bound_search_opENS9_16wrapped_functionINS8_6system6detail7generic6detail18binary_search_lessEbEEEE10hipError_tPvRmT1_T2_T3_mmT4_T5_P12ihipStream_tbEUlRKtE_EEST_SX_SY_mSZ_S12_bEUlT_E_NS1_11comp_targetILNS1_3genE10ELNS1_11target_archE1200ELNS1_3gpuE4ELNS1_3repE0EEENS1_30default_config_static_selectorELNS0_4arch9wavefront6targetE0EEEvSW_.uses_flat_scratch, 0
	.set _ZN7rocprim17ROCPRIM_400000_NS6detail17trampoline_kernelINS0_14default_configENS1_27upper_bound_config_selectorItlEEZNS1_14transform_implILb0ES3_S5_N6thrust23THRUST_200600_302600_NS6detail15normal_iteratorINS8_7pointerItNS8_11hip_rocprim5par_tENS8_11use_defaultESE_EEEENSA_INSB_IlSD_SE_SE_EEEEZNS1_13binary_searchIS3_S5_PtSG_SI_NS1_21upper_bound_search_opENS9_16wrapped_functionINS8_6system6detail7generic6detail18binary_search_lessEbEEEE10hipError_tPvRmT1_T2_T3_mmT4_T5_P12ihipStream_tbEUlRKtE_EEST_SX_SY_mSZ_S12_bEUlT_E_NS1_11comp_targetILNS1_3genE10ELNS1_11target_archE1200ELNS1_3gpuE4ELNS1_3repE0EEENS1_30default_config_static_selectorELNS0_4arch9wavefront6targetE0EEEvSW_.has_dyn_sized_stack, 0
	.set _ZN7rocprim17ROCPRIM_400000_NS6detail17trampoline_kernelINS0_14default_configENS1_27upper_bound_config_selectorItlEEZNS1_14transform_implILb0ES3_S5_N6thrust23THRUST_200600_302600_NS6detail15normal_iteratorINS8_7pointerItNS8_11hip_rocprim5par_tENS8_11use_defaultESE_EEEENSA_INSB_IlSD_SE_SE_EEEEZNS1_13binary_searchIS3_S5_PtSG_SI_NS1_21upper_bound_search_opENS9_16wrapped_functionINS8_6system6detail7generic6detail18binary_search_lessEbEEEE10hipError_tPvRmT1_T2_T3_mmT4_T5_P12ihipStream_tbEUlRKtE_EEST_SX_SY_mSZ_S12_bEUlT_E_NS1_11comp_targetILNS1_3genE10ELNS1_11target_archE1200ELNS1_3gpuE4ELNS1_3repE0EEENS1_30default_config_static_selectorELNS0_4arch9wavefront6targetE0EEEvSW_.has_recursion, 0
	.set _ZN7rocprim17ROCPRIM_400000_NS6detail17trampoline_kernelINS0_14default_configENS1_27upper_bound_config_selectorItlEEZNS1_14transform_implILb0ES3_S5_N6thrust23THRUST_200600_302600_NS6detail15normal_iteratorINS8_7pointerItNS8_11hip_rocprim5par_tENS8_11use_defaultESE_EEEENSA_INSB_IlSD_SE_SE_EEEEZNS1_13binary_searchIS3_S5_PtSG_SI_NS1_21upper_bound_search_opENS9_16wrapped_functionINS8_6system6detail7generic6detail18binary_search_lessEbEEEE10hipError_tPvRmT1_T2_T3_mmT4_T5_P12ihipStream_tbEUlRKtE_EEST_SX_SY_mSZ_S12_bEUlT_E_NS1_11comp_targetILNS1_3genE10ELNS1_11target_archE1200ELNS1_3gpuE4ELNS1_3repE0EEENS1_30default_config_static_selectorELNS0_4arch9wavefront6targetE0EEEvSW_.has_indirect_call, 0
	.section	.AMDGPU.csdata,"",@progbits
; Kernel info:
; codeLenInByte = 0
; TotalNumSgprs: 0
; NumVgprs: 0
; ScratchSize: 0
; MemoryBound: 0
; FloatMode: 240
; IeeeMode: 1
; LDSByteSize: 0 bytes/workgroup (compile time only)
; SGPRBlocks: 0
; VGPRBlocks: 0
; NumSGPRsForWavesPerEU: 1
; NumVGPRsForWavesPerEU: 1
; Occupancy: 16
; WaveLimiterHint : 0
; COMPUTE_PGM_RSRC2:SCRATCH_EN: 0
; COMPUTE_PGM_RSRC2:USER_SGPR: 6
; COMPUTE_PGM_RSRC2:TRAP_HANDLER: 0
; COMPUTE_PGM_RSRC2:TGID_X_EN: 1
; COMPUTE_PGM_RSRC2:TGID_Y_EN: 0
; COMPUTE_PGM_RSRC2:TGID_Z_EN: 0
; COMPUTE_PGM_RSRC2:TIDIG_COMP_CNT: 0
	.section	.text._ZN7rocprim17ROCPRIM_400000_NS6detail17trampoline_kernelINS0_14default_configENS1_27upper_bound_config_selectorItlEEZNS1_14transform_implILb0ES3_S5_N6thrust23THRUST_200600_302600_NS6detail15normal_iteratorINS8_7pointerItNS8_11hip_rocprim5par_tENS8_11use_defaultESE_EEEENSA_INSB_IlSD_SE_SE_EEEEZNS1_13binary_searchIS3_S5_PtSG_SI_NS1_21upper_bound_search_opENS9_16wrapped_functionINS8_6system6detail7generic6detail18binary_search_lessEbEEEE10hipError_tPvRmT1_T2_T3_mmT4_T5_P12ihipStream_tbEUlRKtE_EEST_SX_SY_mSZ_S12_bEUlT_E_NS1_11comp_targetILNS1_3genE9ELNS1_11target_archE1100ELNS1_3gpuE3ELNS1_3repE0EEENS1_30default_config_static_selectorELNS0_4arch9wavefront6targetE0EEEvSW_,"axG",@progbits,_ZN7rocprim17ROCPRIM_400000_NS6detail17trampoline_kernelINS0_14default_configENS1_27upper_bound_config_selectorItlEEZNS1_14transform_implILb0ES3_S5_N6thrust23THRUST_200600_302600_NS6detail15normal_iteratorINS8_7pointerItNS8_11hip_rocprim5par_tENS8_11use_defaultESE_EEEENSA_INSB_IlSD_SE_SE_EEEEZNS1_13binary_searchIS3_S5_PtSG_SI_NS1_21upper_bound_search_opENS9_16wrapped_functionINS8_6system6detail7generic6detail18binary_search_lessEbEEEE10hipError_tPvRmT1_T2_T3_mmT4_T5_P12ihipStream_tbEUlRKtE_EEST_SX_SY_mSZ_S12_bEUlT_E_NS1_11comp_targetILNS1_3genE9ELNS1_11target_archE1100ELNS1_3gpuE3ELNS1_3repE0EEENS1_30default_config_static_selectorELNS0_4arch9wavefront6targetE0EEEvSW_,comdat
	.protected	_ZN7rocprim17ROCPRIM_400000_NS6detail17trampoline_kernelINS0_14default_configENS1_27upper_bound_config_selectorItlEEZNS1_14transform_implILb0ES3_S5_N6thrust23THRUST_200600_302600_NS6detail15normal_iteratorINS8_7pointerItNS8_11hip_rocprim5par_tENS8_11use_defaultESE_EEEENSA_INSB_IlSD_SE_SE_EEEEZNS1_13binary_searchIS3_S5_PtSG_SI_NS1_21upper_bound_search_opENS9_16wrapped_functionINS8_6system6detail7generic6detail18binary_search_lessEbEEEE10hipError_tPvRmT1_T2_T3_mmT4_T5_P12ihipStream_tbEUlRKtE_EEST_SX_SY_mSZ_S12_bEUlT_E_NS1_11comp_targetILNS1_3genE9ELNS1_11target_archE1100ELNS1_3gpuE3ELNS1_3repE0EEENS1_30default_config_static_selectorELNS0_4arch9wavefront6targetE0EEEvSW_ ; -- Begin function _ZN7rocprim17ROCPRIM_400000_NS6detail17trampoline_kernelINS0_14default_configENS1_27upper_bound_config_selectorItlEEZNS1_14transform_implILb0ES3_S5_N6thrust23THRUST_200600_302600_NS6detail15normal_iteratorINS8_7pointerItNS8_11hip_rocprim5par_tENS8_11use_defaultESE_EEEENSA_INSB_IlSD_SE_SE_EEEEZNS1_13binary_searchIS3_S5_PtSG_SI_NS1_21upper_bound_search_opENS9_16wrapped_functionINS8_6system6detail7generic6detail18binary_search_lessEbEEEE10hipError_tPvRmT1_T2_T3_mmT4_T5_P12ihipStream_tbEUlRKtE_EEST_SX_SY_mSZ_S12_bEUlT_E_NS1_11comp_targetILNS1_3genE9ELNS1_11target_archE1100ELNS1_3gpuE3ELNS1_3repE0EEENS1_30default_config_static_selectorELNS0_4arch9wavefront6targetE0EEEvSW_
	.globl	_ZN7rocprim17ROCPRIM_400000_NS6detail17trampoline_kernelINS0_14default_configENS1_27upper_bound_config_selectorItlEEZNS1_14transform_implILb0ES3_S5_N6thrust23THRUST_200600_302600_NS6detail15normal_iteratorINS8_7pointerItNS8_11hip_rocprim5par_tENS8_11use_defaultESE_EEEENSA_INSB_IlSD_SE_SE_EEEEZNS1_13binary_searchIS3_S5_PtSG_SI_NS1_21upper_bound_search_opENS9_16wrapped_functionINS8_6system6detail7generic6detail18binary_search_lessEbEEEE10hipError_tPvRmT1_T2_T3_mmT4_T5_P12ihipStream_tbEUlRKtE_EEST_SX_SY_mSZ_S12_bEUlT_E_NS1_11comp_targetILNS1_3genE9ELNS1_11target_archE1100ELNS1_3gpuE3ELNS1_3repE0EEENS1_30default_config_static_selectorELNS0_4arch9wavefront6targetE0EEEvSW_
	.p2align	8
	.type	_ZN7rocprim17ROCPRIM_400000_NS6detail17trampoline_kernelINS0_14default_configENS1_27upper_bound_config_selectorItlEEZNS1_14transform_implILb0ES3_S5_N6thrust23THRUST_200600_302600_NS6detail15normal_iteratorINS8_7pointerItNS8_11hip_rocprim5par_tENS8_11use_defaultESE_EEEENSA_INSB_IlSD_SE_SE_EEEEZNS1_13binary_searchIS3_S5_PtSG_SI_NS1_21upper_bound_search_opENS9_16wrapped_functionINS8_6system6detail7generic6detail18binary_search_lessEbEEEE10hipError_tPvRmT1_T2_T3_mmT4_T5_P12ihipStream_tbEUlRKtE_EEST_SX_SY_mSZ_S12_bEUlT_E_NS1_11comp_targetILNS1_3genE9ELNS1_11target_archE1100ELNS1_3gpuE3ELNS1_3repE0EEENS1_30default_config_static_selectorELNS0_4arch9wavefront6targetE0EEEvSW_,@function
_ZN7rocprim17ROCPRIM_400000_NS6detail17trampoline_kernelINS0_14default_configENS1_27upper_bound_config_selectorItlEEZNS1_14transform_implILb0ES3_S5_N6thrust23THRUST_200600_302600_NS6detail15normal_iteratorINS8_7pointerItNS8_11hip_rocprim5par_tENS8_11use_defaultESE_EEEENSA_INSB_IlSD_SE_SE_EEEEZNS1_13binary_searchIS3_S5_PtSG_SI_NS1_21upper_bound_search_opENS9_16wrapped_functionINS8_6system6detail7generic6detail18binary_search_lessEbEEEE10hipError_tPvRmT1_T2_T3_mmT4_T5_P12ihipStream_tbEUlRKtE_EEST_SX_SY_mSZ_S12_bEUlT_E_NS1_11comp_targetILNS1_3genE9ELNS1_11target_archE1100ELNS1_3gpuE3ELNS1_3repE0EEENS1_30default_config_static_selectorELNS0_4arch9wavefront6targetE0EEEvSW_: ; @_ZN7rocprim17ROCPRIM_400000_NS6detail17trampoline_kernelINS0_14default_configENS1_27upper_bound_config_selectorItlEEZNS1_14transform_implILb0ES3_S5_N6thrust23THRUST_200600_302600_NS6detail15normal_iteratorINS8_7pointerItNS8_11hip_rocprim5par_tENS8_11use_defaultESE_EEEENSA_INSB_IlSD_SE_SE_EEEEZNS1_13binary_searchIS3_S5_PtSG_SI_NS1_21upper_bound_search_opENS9_16wrapped_functionINS8_6system6detail7generic6detail18binary_search_lessEbEEEE10hipError_tPvRmT1_T2_T3_mmT4_T5_P12ihipStream_tbEUlRKtE_EEST_SX_SY_mSZ_S12_bEUlT_E_NS1_11comp_targetILNS1_3genE9ELNS1_11target_archE1100ELNS1_3gpuE3ELNS1_3repE0EEENS1_30default_config_static_selectorELNS0_4arch9wavefront6targetE0EEEvSW_
; %bb.0:
	.section	.rodata,"a",@progbits
	.p2align	6, 0x0
	.amdhsa_kernel _ZN7rocprim17ROCPRIM_400000_NS6detail17trampoline_kernelINS0_14default_configENS1_27upper_bound_config_selectorItlEEZNS1_14transform_implILb0ES3_S5_N6thrust23THRUST_200600_302600_NS6detail15normal_iteratorINS8_7pointerItNS8_11hip_rocprim5par_tENS8_11use_defaultESE_EEEENSA_INSB_IlSD_SE_SE_EEEEZNS1_13binary_searchIS3_S5_PtSG_SI_NS1_21upper_bound_search_opENS9_16wrapped_functionINS8_6system6detail7generic6detail18binary_search_lessEbEEEE10hipError_tPvRmT1_T2_T3_mmT4_T5_P12ihipStream_tbEUlRKtE_EEST_SX_SY_mSZ_S12_bEUlT_E_NS1_11comp_targetILNS1_3genE9ELNS1_11target_archE1100ELNS1_3gpuE3ELNS1_3repE0EEENS1_30default_config_static_selectorELNS0_4arch9wavefront6targetE0EEEvSW_
		.amdhsa_group_segment_fixed_size 0
		.amdhsa_private_segment_fixed_size 0
		.amdhsa_kernarg_size 56
		.amdhsa_user_sgpr_count 6
		.amdhsa_user_sgpr_private_segment_buffer 1
		.amdhsa_user_sgpr_dispatch_ptr 0
		.amdhsa_user_sgpr_queue_ptr 0
		.amdhsa_user_sgpr_kernarg_segment_ptr 1
		.amdhsa_user_sgpr_dispatch_id 0
		.amdhsa_user_sgpr_flat_scratch_init 0
		.amdhsa_user_sgpr_private_segment_size 0
		.amdhsa_wavefront_size32 1
		.amdhsa_uses_dynamic_stack 0
		.amdhsa_system_sgpr_private_segment_wavefront_offset 0
		.amdhsa_system_sgpr_workgroup_id_x 1
		.amdhsa_system_sgpr_workgroup_id_y 0
		.amdhsa_system_sgpr_workgroup_id_z 0
		.amdhsa_system_sgpr_workgroup_info 0
		.amdhsa_system_vgpr_workitem_id 0
		.amdhsa_next_free_vgpr 1
		.amdhsa_next_free_sgpr 1
		.amdhsa_reserve_vcc 0
		.amdhsa_reserve_flat_scratch 0
		.amdhsa_float_round_mode_32 0
		.amdhsa_float_round_mode_16_64 0
		.amdhsa_float_denorm_mode_32 3
		.amdhsa_float_denorm_mode_16_64 3
		.amdhsa_dx10_clamp 1
		.amdhsa_ieee_mode 1
		.amdhsa_fp16_overflow 0
		.amdhsa_workgroup_processor_mode 1
		.amdhsa_memory_ordered 1
		.amdhsa_forward_progress 1
		.amdhsa_shared_vgpr_count 0
		.amdhsa_exception_fp_ieee_invalid_op 0
		.amdhsa_exception_fp_denorm_src 0
		.amdhsa_exception_fp_ieee_div_zero 0
		.amdhsa_exception_fp_ieee_overflow 0
		.amdhsa_exception_fp_ieee_underflow 0
		.amdhsa_exception_fp_ieee_inexact 0
		.amdhsa_exception_int_div_zero 0
	.end_amdhsa_kernel
	.section	.text._ZN7rocprim17ROCPRIM_400000_NS6detail17trampoline_kernelINS0_14default_configENS1_27upper_bound_config_selectorItlEEZNS1_14transform_implILb0ES3_S5_N6thrust23THRUST_200600_302600_NS6detail15normal_iteratorINS8_7pointerItNS8_11hip_rocprim5par_tENS8_11use_defaultESE_EEEENSA_INSB_IlSD_SE_SE_EEEEZNS1_13binary_searchIS3_S5_PtSG_SI_NS1_21upper_bound_search_opENS9_16wrapped_functionINS8_6system6detail7generic6detail18binary_search_lessEbEEEE10hipError_tPvRmT1_T2_T3_mmT4_T5_P12ihipStream_tbEUlRKtE_EEST_SX_SY_mSZ_S12_bEUlT_E_NS1_11comp_targetILNS1_3genE9ELNS1_11target_archE1100ELNS1_3gpuE3ELNS1_3repE0EEENS1_30default_config_static_selectorELNS0_4arch9wavefront6targetE0EEEvSW_,"axG",@progbits,_ZN7rocprim17ROCPRIM_400000_NS6detail17trampoline_kernelINS0_14default_configENS1_27upper_bound_config_selectorItlEEZNS1_14transform_implILb0ES3_S5_N6thrust23THRUST_200600_302600_NS6detail15normal_iteratorINS8_7pointerItNS8_11hip_rocprim5par_tENS8_11use_defaultESE_EEEENSA_INSB_IlSD_SE_SE_EEEEZNS1_13binary_searchIS3_S5_PtSG_SI_NS1_21upper_bound_search_opENS9_16wrapped_functionINS8_6system6detail7generic6detail18binary_search_lessEbEEEE10hipError_tPvRmT1_T2_T3_mmT4_T5_P12ihipStream_tbEUlRKtE_EEST_SX_SY_mSZ_S12_bEUlT_E_NS1_11comp_targetILNS1_3genE9ELNS1_11target_archE1100ELNS1_3gpuE3ELNS1_3repE0EEENS1_30default_config_static_selectorELNS0_4arch9wavefront6targetE0EEEvSW_,comdat
.Lfunc_end209:
	.size	_ZN7rocprim17ROCPRIM_400000_NS6detail17trampoline_kernelINS0_14default_configENS1_27upper_bound_config_selectorItlEEZNS1_14transform_implILb0ES3_S5_N6thrust23THRUST_200600_302600_NS6detail15normal_iteratorINS8_7pointerItNS8_11hip_rocprim5par_tENS8_11use_defaultESE_EEEENSA_INSB_IlSD_SE_SE_EEEEZNS1_13binary_searchIS3_S5_PtSG_SI_NS1_21upper_bound_search_opENS9_16wrapped_functionINS8_6system6detail7generic6detail18binary_search_lessEbEEEE10hipError_tPvRmT1_T2_T3_mmT4_T5_P12ihipStream_tbEUlRKtE_EEST_SX_SY_mSZ_S12_bEUlT_E_NS1_11comp_targetILNS1_3genE9ELNS1_11target_archE1100ELNS1_3gpuE3ELNS1_3repE0EEENS1_30default_config_static_selectorELNS0_4arch9wavefront6targetE0EEEvSW_, .Lfunc_end209-_ZN7rocprim17ROCPRIM_400000_NS6detail17trampoline_kernelINS0_14default_configENS1_27upper_bound_config_selectorItlEEZNS1_14transform_implILb0ES3_S5_N6thrust23THRUST_200600_302600_NS6detail15normal_iteratorINS8_7pointerItNS8_11hip_rocprim5par_tENS8_11use_defaultESE_EEEENSA_INSB_IlSD_SE_SE_EEEEZNS1_13binary_searchIS3_S5_PtSG_SI_NS1_21upper_bound_search_opENS9_16wrapped_functionINS8_6system6detail7generic6detail18binary_search_lessEbEEEE10hipError_tPvRmT1_T2_T3_mmT4_T5_P12ihipStream_tbEUlRKtE_EEST_SX_SY_mSZ_S12_bEUlT_E_NS1_11comp_targetILNS1_3genE9ELNS1_11target_archE1100ELNS1_3gpuE3ELNS1_3repE0EEENS1_30default_config_static_selectorELNS0_4arch9wavefront6targetE0EEEvSW_
                                        ; -- End function
	.set _ZN7rocprim17ROCPRIM_400000_NS6detail17trampoline_kernelINS0_14default_configENS1_27upper_bound_config_selectorItlEEZNS1_14transform_implILb0ES3_S5_N6thrust23THRUST_200600_302600_NS6detail15normal_iteratorINS8_7pointerItNS8_11hip_rocprim5par_tENS8_11use_defaultESE_EEEENSA_INSB_IlSD_SE_SE_EEEEZNS1_13binary_searchIS3_S5_PtSG_SI_NS1_21upper_bound_search_opENS9_16wrapped_functionINS8_6system6detail7generic6detail18binary_search_lessEbEEEE10hipError_tPvRmT1_T2_T3_mmT4_T5_P12ihipStream_tbEUlRKtE_EEST_SX_SY_mSZ_S12_bEUlT_E_NS1_11comp_targetILNS1_3genE9ELNS1_11target_archE1100ELNS1_3gpuE3ELNS1_3repE0EEENS1_30default_config_static_selectorELNS0_4arch9wavefront6targetE0EEEvSW_.num_vgpr, 0
	.set _ZN7rocprim17ROCPRIM_400000_NS6detail17trampoline_kernelINS0_14default_configENS1_27upper_bound_config_selectorItlEEZNS1_14transform_implILb0ES3_S5_N6thrust23THRUST_200600_302600_NS6detail15normal_iteratorINS8_7pointerItNS8_11hip_rocprim5par_tENS8_11use_defaultESE_EEEENSA_INSB_IlSD_SE_SE_EEEEZNS1_13binary_searchIS3_S5_PtSG_SI_NS1_21upper_bound_search_opENS9_16wrapped_functionINS8_6system6detail7generic6detail18binary_search_lessEbEEEE10hipError_tPvRmT1_T2_T3_mmT4_T5_P12ihipStream_tbEUlRKtE_EEST_SX_SY_mSZ_S12_bEUlT_E_NS1_11comp_targetILNS1_3genE9ELNS1_11target_archE1100ELNS1_3gpuE3ELNS1_3repE0EEENS1_30default_config_static_selectorELNS0_4arch9wavefront6targetE0EEEvSW_.num_agpr, 0
	.set _ZN7rocprim17ROCPRIM_400000_NS6detail17trampoline_kernelINS0_14default_configENS1_27upper_bound_config_selectorItlEEZNS1_14transform_implILb0ES3_S5_N6thrust23THRUST_200600_302600_NS6detail15normal_iteratorINS8_7pointerItNS8_11hip_rocprim5par_tENS8_11use_defaultESE_EEEENSA_INSB_IlSD_SE_SE_EEEEZNS1_13binary_searchIS3_S5_PtSG_SI_NS1_21upper_bound_search_opENS9_16wrapped_functionINS8_6system6detail7generic6detail18binary_search_lessEbEEEE10hipError_tPvRmT1_T2_T3_mmT4_T5_P12ihipStream_tbEUlRKtE_EEST_SX_SY_mSZ_S12_bEUlT_E_NS1_11comp_targetILNS1_3genE9ELNS1_11target_archE1100ELNS1_3gpuE3ELNS1_3repE0EEENS1_30default_config_static_selectorELNS0_4arch9wavefront6targetE0EEEvSW_.numbered_sgpr, 0
	.set _ZN7rocprim17ROCPRIM_400000_NS6detail17trampoline_kernelINS0_14default_configENS1_27upper_bound_config_selectorItlEEZNS1_14transform_implILb0ES3_S5_N6thrust23THRUST_200600_302600_NS6detail15normal_iteratorINS8_7pointerItNS8_11hip_rocprim5par_tENS8_11use_defaultESE_EEEENSA_INSB_IlSD_SE_SE_EEEEZNS1_13binary_searchIS3_S5_PtSG_SI_NS1_21upper_bound_search_opENS9_16wrapped_functionINS8_6system6detail7generic6detail18binary_search_lessEbEEEE10hipError_tPvRmT1_T2_T3_mmT4_T5_P12ihipStream_tbEUlRKtE_EEST_SX_SY_mSZ_S12_bEUlT_E_NS1_11comp_targetILNS1_3genE9ELNS1_11target_archE1100ELNS1_3gpuE3ELNS1_3repE0EEENS1_30default_config_static_selectorELNS0_4arch9wavefront6targetE0EEEvSW_.num_named_barrier, 0
	.set _ZN7rocprim17ROCPRIM_400000_NS6detail17trampoline_kernelINS0_14default_configENS1_27upper_bound_config_selectorItlEEZNS1_14transform_implILb0ES3_S5_N6thrust23THRUST_200600_302600_NS6detail15normal_iteratorINS8_7pointerItNS8_11hip_rocprim5par_tENS8_11use_defaultESE_EEEENSA_INSB_IlSD_SE_SE_EEEEZNS1_13binary_searchIS3_S5_PtSG_SI_NS1_21upper_bound_search_opENS9_16wrapped_functionINS8_6system6detail7generic6detail18binary_search_lessEbEEEE10hipError_tPvRmT1_T2_T3_mmT4_T5_P12ihipStream_tbEUlRKtE_EEST_SX_SY_mSZ_S12_bEUlT_E_NS1_11comp_targetILNS1_3genE9ELNS1_11target_archE1100ELNS1_3gpuE3ELNS1_3repE0EEENS1_30default_config_static_selectorELNS0_4arch9wavefront6targetE0EEEvSW_.private_seg_size, 0
	.set _ZN7rocprim17ROCPRIM_400000_NS6detail17trampoline_kernelINS0_14default_configENS1_27upper_bound_config_selectorItlEEZNS1_14transform_implILb0ES3_S5_N6thrust23THRUST_200600_302600_NS6detail15normal_iteratorINS8_7pointerItNS8_11hip_rocprim5par_tENS8_11use_defaultESE_EEEENSA_INSB_IlSD_SE_SE_EEEEZNS1_13binary_searchIS3_S5_PtSG_SI_NS1_21upper_bound_search_opENS9_16wrapped_functionINS8_6system6detail7generic6detail18binary_search_lessEbEEEE10hipError_tPvRmT1_T2_T3_mmT4_T5_P12ihipStream_tbEUlRKtE_EEST_SX_SY_mSZ_S12_bEUlT_E_NS1_11comp_targetILNS1_3genE9ELNS1_11target_archE1100ELNS1_3gpuE3ELNS1_3repE0EEENS1_30default_config_static_selectorELNS0_4arch9wavefront6targetE0EEEvSW_.uses_vcc, 0
	.set _ZN7rocprim17ROCPRIM_400000_NS6detail17trampoline_kernelINS0_14default_configENS1_27upper_bound_config_selectorItlEEZNS1_14transform_implILb0ES3_S5_N6thrust23THRUST_200600_302600_NS6detail15normal_iteratorINS8_7pointerItNS8_11hip_rocprim5par_tENS8_11use_defaultESE_EEEENSA_INSB_IlSD_SE_SE_EEEEZNS1_13binary_searchIS3_S5_PtSG_SI_NS1_21upper_bound_search_opENS9_16wrapped_functionINS8_6system6detail7generic6detail18binary_search_lessEbEEEE10hipError_tPvRmT1_T2_T3_mmT4_T5_P12ihipStream_tbEUlRKtE_EEST_SX_SY_mSZ_S12_bEUlT_E_NS1_11comp_targetILNS1_3genE9ELNS1_11target_archE1100ELNS1_3gpuE3ELNS1_3repE0EEENS1_30default_config_static_selectorELNS0_4arch9wavefront6targetE0EEEvSW_.uses_flat_scratch, 0
	.set _ZN7rocprim17ROCPRIM_400000_NS6detail17trampoline_kernelINS0_14default_configENS1_27upper_bound_config_selectorItlEEZNS1_14transform_implILb0ES3_S5_N6thrust23THRUST_200600_302600_NS6detail15normal_iteratorINS8_7pointerItNS8_11hip_rocprim5par_tENS8_11use_defaultESE_EEEENSA_INSB_IlSD_SE_SE_EEEEZNS1_13binary_searchIS3_S5_PtSG_SI_NS1_21upper_bound_search_opENS9_16wrapped_functionINS8_6system6detail7generic6detail18binary_search_lessEbEEEE10hipError_tPvRmT1_T2_T3_mmT4_T5_P12ihipStream_tbEUlRKtE_EEST_SX_SY_mSZ_S12_bEUlT_E_NS1_11comp_targetILNS1_3genE9ELNS1_11target_archE1100ELNS1_3gpuE3ELNS1_3repE0EEENS1_30default_config_static_selectorELNS0_4arch9wavefront6targetE0EEEvSW_.has_dyn_sized_stack, 0
	.set _ZN7rocprim17ROCPRIM_400000_NS6detail17trampoline_kernelINS0_14default_configENS1_27upper_bound_config_selectorItlEEZNS1_14transform_implILb0ES3_S5_N6thrust23THRUST_200600_302600_NS6detail15normal_iteratorINS8_7pointerItNS8_11hip_rocprim5par_tENS8_11use_defaultESE_EEEENSA_INSB_IlSD_SE_SE_EEEEZNS1_13binary_searchIS3_S5_PtSG_SI_NS1_21upper_bound_search_opENS9_16wrapped_functionINS8_6system6detail7generic6detail18binary_search_lessEbEEEE10hipError_tPvRmT1_T2_T3_mmT4_T5_P12ihipStream_tbEUlRKtE_EEST_SX_SY_mSZ_S12_bEUlT_E_NS1_11comp_targetILNS1_3genE9ELNS1_11target_archE1100ELNS1_3gpuE3ELNS1_3repE0EEENS1_30default_config_static_selectorELNS0_4arch9wavefront6targetE0EEEvSW_.has_recursion, 0
	.set _ZN7rocprim17ROCPRIM_400000_NS6detail17trampoline_kernelINS0_14default_configENS1_27upper_bound_config_selectorItlEEZNS1_14transform_implILb0ES3_S5_N6thrust23THRUST_200600_302600_NS6detail15normal_iteratorINS8_7pointerItNS8_11hip_rocprim5par_tENS8_11use_defaultESE_EEEENSA_INSB_IlSD_SE_SE_EEEEZNS1_13binary_searchIS3_S5_PtSG_SI_NS1_21upper_bound_search_opENS9_16wrapped_functionINS8_6system6detail7generic6detail18binary_search_lessEbEEEE10hipError_tPvRmT1_T2_T3_mmT4_T5_P12ihipStream_tbEUlRKtE_EEST_SX_SY_mSZ_S12_bEUlT_E_NS1_11comp_targetILNS1_3genE9ELNS1_11target_archE1100ELNS1_3gpuE3ELNS1_3repE0EEENS1_30default_config_static_selectorELNS0_4arch9wavefront6targetE0EEEvSW_.has_indirect_call, 0
	.section	.AMDGPU.csdata,"",@progbits
; Kernel info:
; codeLenInByte = 0
; TotalNumSgprs: 0
; NumVgprs: 0
; ScratchSize: 0
; MemoryBound: 0
; FloatMode: 240
; IeeeMode: 1
; LDSByteSize: 0 bytes/workgroup (compile time only)
; SGPRBlocks: 0
; VGPRBlocks: 0
; NumSGPRsForWavesPerEU: 1
; NumVGPRsForWavesPerEU: 1
; Occupancy: 16
; WaveLimiterHint : 0
; COMPUTE_PGM_RSRC2:SCRATCH_EN: 0
; COMPUTE_PGM_RSRC2:USER_SGPR: 6
; COMPUTE_PGM_RSRC2:TRAP_HANDLER: 0
; COMPUTE_PGM_RSRC2:TGID_X_EN: 1
; COMPUTE_PGM_RSRC2:TGID_Y_EN: 0
; COMPUTE_PGM_RSRC2:TGID_Z_EN: 0
; COMPUTE_PGM_RSRC2:TIDIG_COMP_CNT: 0
	.section	.text._ZN7rocprim17ROCPRIM_400000_NS6detail17trampoline_kernelINS0_14default_configENS1_27upper_bound_config_selectorItlEEZNS1_14transform_implILb0ES3_S5_N6thrust23THRUST_200600_302600_NS6detail15normal_iteratorINS8_7pointerItNS8_11hip_rocprim5par_tENS8_11use_defaultESE_EEEENSA_INSB_IlSD_SE_SE_EEEEZNS1_13binary_searchIS3_S5_PtSG_SI_NS1_21upper_bound_search_opENS9_16wrapped_functionINS8_6system6detail7generic6detail18binary_search_lessEbEEEE10hipError_tPvRmT1_T2_T3_mmT4_T5_P12ihipStream_tbEUlRKtE_EEST_SX_SY_mSZ_S12_bEUlT_E_NS1_11comp_targetILNS1_3genE8ELNS1_11target_archE1030ELNS1_3gpuE2ELNS1_3repE0EEENS1_30default_config_static_selectorELNS0_4arch9wavefront6targetE0EEEvSW_,"axG",@progbits,_ZN7rocprim17ROCPRIM_400000_NS6detail17trampoline_kernelINS0_14default_configENS1_27upper_bound_config_selectorItlEEZNS1_14transform_implILb0ES3_S5_N6thrust23THRUST_200600_302600_NS6detail15normal_iteratorINS8_7pointerItNS8_11hip_rocprim5par_tENS8_11use_defaultESE_EEEENSA_INSB_IlSD_SE_SE_EEEEZNS1_13binary_searchIS3_S5_PtSG_SI_NS1_21upper_bound_search_opENS9_16wrapped_functionINS8_6system6detail7generic6detail18binary_search_lessEbEEEE10hipError_tPvRmT1_T2_T3_mmT4_T5_P12ihipStream_tbEUlRKtE_EEST_SX_SY_mSZ_S12_bEUlT_E_NS1_11comp_targetILNS1_3genE8ELNS1_11target_archE1030ELNS1_3gpuE2ELNS1_3repE0EEENS1_30default_config_static_selectorELNS0_4arch9wavefront6targetE0EEEvSW_,comdat
	.protected	_ZN7rocprim17ROCPRIM_400000_NS6detail17trampoline_kernelINS0_14default_configENS1_27upper_bound_config_selectorItlEEZNS1_14transform_implILb0ES3_S5_N6thrust23THRUST_200600_302600_NS6detail15normal_iteratorINS8_7pointerItNS8_11hip_rocprim5par_tENS8_11use_defaultESE_EEEENSA_INSB_IlSD_SE_SE_EEEEZNS1_13binary_searchIS3_S5_PtSG_SI_NS1_21upper_bound_search_opENS9_16wrapped_functionINS8_6system6detail7generic6detail18binary_search_lessEbEEEE10hipError_tPvRmT1_T2_T3_mmT4_T5_P12ihipStream_tbEUlRKtE_EEST_SX_SY_mSZ_S12_bEUlT_E_NS1_11comp_targetILNS1_3genE8ELNS1_11target_archE1030ELNS1_3gpuE2ELNS1_3repE0EEENS1_30default_config_static_selectorELNS0_4arch9wavefront6targetE0EEEvSW_ ; -- Begin function _ZN7rocprim17ROCPRIM_400000_NS6detail17trampoline_kernelINS0_14default_configENS1_27upper_bound_config_selectorItlEEZNS1_14transform_implILb0ES3_S5_N6thrust23THRUST_200600_302600_NS6detail15normal_iteratorINS8_7pointerItNS8_11hip_rocprim5par_tENS8_11use_defaultESE_EEEENSA_INSB_IlSD_SE_SE_EEEEZNS1_13binary_searchIS3_S5_PtSG_SI_NS1_21upper_bound_search_opENS9_16wrapped_functionINS8_6system6detail7generic6detail18binary_search_lessEbEEEE10hipError_tPvRmT1_T2_T3_mmT4_T5_P12ihipStream_tbEUlRKtE_EEST_SX_SY_mSZ_S12_bEUlT_E_NS1_11comp_targetILNS1_3genE8ELNS1_11target_archE1030ELNS1_3gpuE2ELNS1_3repE0EEENS1_30default_config_static_selectorELNS0_4arch9wavefront6targetE0EEEvSW_
	.globl	_ZN7rocprim17ROCPRIM_400000_NS6detail17trampoline_kernelINS0_14default_configENS1_27upper_bound_config_selectorItlEEZNS1_14transform_implILb0ES3_S5_N6thrust23THRUST_200600_302600_NS6detail15normal_iteratorINS8_7pointerItNS8_11hip_rocprim5par_tENS8_11use_defaultESE_EEEENSA_INSB_IlSD_SE_SE_EEEEZNS1_13binary_searchIS3_S5_PtSG_SI_NS1_21upper_bound_search_opENS9_16wrapped_functionINS8_6system6detail7generic6detail18binary_search_lessEbEEEE10hipError_tPvRmT1_T2_T3_mmT4_T5_P12ihipStream_tbEUlRKtE_EEST_SX_SY_mSZ_S12_bEUlT_E_NS1_11comp_targetILNS1_3genE8ELNS1_11target_archE1030ELNS1_3gpuE2ELNS1_3repE0EEENS1_30default_config_static_selectorELNS0_4arch9wavefront6targetE0EEEvSW_
	.p2align	8
	.type	_ZN7rocprim17ROCPRIM_400000_NS6detail17trampoline_kernelINS0_14default_configENS1_27upper_bound_config_selectorItlEEZNS1_14transform_implILb0ES3_S5_N6thrust23THRUST_200600_302600_NS6detail15normal_iteratorINS8_7pointerItNS8_11hip_rocprim5par_tENS8_11use_defaultESE_EEEENSA_INSB_IlSD_SE_SE_EEEEZNS1_13binary_searchIS3_S5_PtSG_SI_NS1_21upper_bound_search_opENS9_16wrapped_functionINS8_6system6detail7generic6detail18binary_search_lessEbEEEE10hipError_tPvRmT1_T2_T3_mmT4_T5_P12ihipStream_tbEUlRKtE_EEST_SX_SY_mSZ_S12_bEUlT_E_NS1_11comp_targetILNS1_3genE8ELNS1_11target_archE1030ELNS1_3gpuE2ELNS1_3repE0EEENS1_30default_config_static_selectorELNS0_4arch9wavefront6targetE0EEEvSW_,@function
_ZN7rocprim17ROCPRIM_400000_NS6detail17trampoline_kernelINS0_14default_configENS1_27upper_bound_config_selectorItlEEZNS1_14transform_implILb0ES3_S5_N6thrust23THRUST_200600_302600_NS6detail15normal_iteratorINS8_7pointerItNS8_11hip_rocprim5par_tENS8_11use_defaultESE_EEEENSA_INSB_IlSD_SE_SE_EEEEZNS1_13binary_searchIS3_S5_PtSG_SI_NS1_21upper_bound_search_opENS9_16wrapped_functionINS8_6system6detail7generic6detail18binary_search_lessEbEEEE10hipError_tPvRmT1_T2_T3_mmT4_T5_P12ihipStream_tbEUlRKtE_EEST_SX_SY_mSZ_S12_bEUlT_E_NS1_11comp_targetILNS1_3genE8ELNS1_11target_archE1030ELNS1_3gpuE2ELNS1_3repE0EEENS1_30default_config_static_selectorELNS0_4arch9wavefront6targetE0EEEvSW_: ; @_ZN7rocprim17ROCPRIM_400000_NS6detail17trampoline_kernelINS0_14default_configENS1_27upper_bound_config_selectorItlEEZNS1_14transform_implILb0ES3_S5_N6thrust23THRUST_200600_302600_NS6detail15normal_iteratorINS8_7pointerItNS8_11hip_rocprim5par_tENS8_11use_defaultESE_EEEENSA_INSB_IlSD_SE_SE_EEEEZNS1_13binary_searchIS3_S5_PtSG_SI_NS1_21upper_bound_search_opENS9_16wrapped_functionINS8_6system6detail7generic6detail18binary_search_lessEbEEEE10hipError_tPvRmT1_T2_T3_mmT4_T5_P12ihipStream_tbEUlRKtE_EEST_SX_SY_mSZ_S12_bEUlT_E_NS1_11comp_targetILNS1_3genE8ELNS1_11target_archE1030ELNS1_3gpuE2ELNS1_3repE0EEENS1_30default_config_static_selectorELNS0_4arch9wavefront6targetE0EEEvSW_
; %bb.0:
	s_clause 0x2
	s_load_dwordx8 s[8:15], s[4:5], 0x0
	s_load_dword s2, s[4:5], 0x38
	s_load_dwordx4 s[16:19], s[4:5], 0x20
	s_mov_b32 s5, 0
	s_waitcnt lgkmcnt(0)
	s_lshl_b64 s[0:1], s[10:11], 1
	s_add_u32 s8, s8, s0
	s_addc_u32 s9, s9, s1
	s_lshl_b64 s[0:1], s[10:11], 3
	s_add_u32 s3, s14, s0
	s_addc_u32 s7, s15, s1
	s_lshl_b32 s4, s6, 9
	s_add_i32 s2, s2, -1
	s_lshl_b64 s[0:1], s[4:5], 1
	s_add_u32 s8, s8, s0
	s_addc_u32 s9, s9, s1
	s_cmp_lg_u32 s6, s2
	s_mov_b32 s0, -1
	s_cbranch_scc0 .LBB210_5
; %bb.1:
	v_lshlrev_b32_e32 v1, 1, v0
	s_cmp_lg_u64 s[18:19], 0
	v_add_co_u32 v1, s0, s8, v1
	v_add_co_ci_u32_e64 v2, null, s9, 0, s0
	s_cselect_b32 s0, -1, 0
	s_cmp_eq_u64 s[18:19], 0
	s_clause 0x2
	flat_load_ushort v7, v[1:2] offset:256
	flat_load_ushort v9, v[1:2] offset:512
	flat_load_ushort v11, v[1:2] offset:768
	s_cbranch_scc1 .LBB210_6
; %bb.2:
	flat_load_ushort v5, v[1:2]
	v_mov_b32_e32 v1, 0
	v_mov_b32_e32 v3, s18
	;; [unrolled: 1-line block ×4, first 2 shown]
	s_mov_b32 s1, 0
	s_inst_prefetch 0x1
	.p2align	6
.LBB210_3:                              ; =>This Inner Loop Header: Depth=1
	v_sub_co_u32 v12, vcc_lo, v3, v1
	v_sub_co_ci_u32_e64 v13, null, v4, v2, vcc_lo
	v_lshrrev_b64 v[14:15], 1, v[12:13]
	v_lshrrev_b64 v[12:13], 6, v[12:13]
	v_add_co_u32 v6, vcc_lo, v14, v1
	v_add_co_ci_u32_e64 v8, null, v15, v2, vcc_lo
	v_add_co_u32 v12, vcc_lo, v6, v12
	v_add_co_ci_u32_e64 v13, null, v8, v13, vcc_lo
	v_lshlrev_b64 v[14:15], 1, v[12:13]
	v_add_co_u32 v14, vcc_lo, s16, v14
	v_add_co_ci_u32_e64 v15, null, s17, v15, vcc_lo
	v_add_co_u32 v8, vcc_lo, v12, 1
	v_add_co_ci_u32_e64 v10, null, 0, v13, vcc_lo
	global_load_ushort v6, v[14:15], off
	s_waitcnt vmcnt(0) lgkmcnt(0)
	v_cmp_lt_u16_e32 vcc_lo, v5, v6
	v_cndmask_b32_e32 v4, v4, v13, vcc_lo
	v_cndmask_b32_e32 v3, v3, v12, vcc_lo
	v_cndmask_b32_e32 v2, v10, v2, vcc_lo
	v_cndmask_b32_e32 v1, v8, v1, vcc_lo
	v_cmp_ge_u64_e32 vcc_lo, v[1:2], v[3:4]
	s_or_b32 s1, vcc_lo, s1
	s_andn2_b32 exec_lo, exec_lo, s1
	s_cbranch_execnz .LBB210_3
; %bb.4:
	s_inst_prefetch 0x2
	s_or_b32 exec_lo, exec_lo, s1
	s_branch .LBB210_7
.LBB210_5:
	s_mov_b32 s6, s5
                                        ; implicit-def: $vgpr7_vgpr8
                                        ; implicit-def: $vgpr11_vgpr12
	s_and_b32 vcc_lo, exec_lo, s0
	s_cbranch_vccnz .LBB210_20
	s_branch .LBB210_53
.LBB210_6:
	v_mov_b32_e32 v1, 0
	v_mov_b32_e32 v2, 0
.LBB210_7:
	v_mov_b32_e32 v3, 0
	v_cndmask_b32_e64 v10, 0, 1, s0
	v_mov_b32_e32 v4, 0
	s_andn2_b32 vcc_lo, exec_lo, s0
	s_cbranch_vccnz .LBB210_11
; %bb.8:
	v_mov_b32_e32 v5, s18
	v_mov_b32_e32 v6, s19
	s_mov_b32 s0, 0
	s_inst_prefetch 0x1
	.p2align	6
.LBB210_9:                              ; =>This Inner Loop Header: Depth=1
	v_sub_co_u32 v12, vcc_lo, v5, v3
	v_sub_co_ci_u32_e64 v13, null, v6, v4, vcc_lo
	v_lshrrev_b64 v[14:15], 1, v[12:13]
	v_lshrrev_b64 v[12:13], 6, v[12:13]
	v_add_co_u32 v8, vcc_lo, v14, v3
	v_add_co_ci_u32_e64 v14, null, v15, v4, vcc_lo
	v_add_co_u32 v12, vcc_lo, v8, v12
	v_add_co_ci_u32_e64 v13, null, v14, v13, vcc_lo
	v_lshlrev_b64 v[14:15], 1, v[12:13]
	v_add_co_u32 v14, vcc_lo, s16, v14
	v_add_co_ci_u32_e64 v15, null, s17, v15, vcc_lo
	global_load_ushort v8, v[14:15], off
	v_add_co_u32 v14, vcc_lo, v12, 1
	v_add_co_ci_u32_e64 v15, null, 0, v13, vcc_lo
	s_waitcnt vmcnt(0) lgkmcnt(2)
	v_cmp_lt_u16_e32 vcc_lo, v7, v8
	v_cndmask_b32_e32 v6, v6, v13, vcc_lo
	v_cndmask_b32_e32 v5, v5, v12, vcc_lo
	;; [unrolled: 1-line block ×4, first 2 shown]
	v_cmp_ge_u64_e32 vcc_lo, v[3:4], v[5:6]
	s_or_b32 s0, vcc_lo, s0
	s_andn2_b32 exec_lo, exec_lo, s0
	s_cbranch_execnz .LBB210_9
; %bb.10:
	s_inst_prefetch 0x2
	s_or_b32 exec_lo, exec_lo, s0
.LBB210_11:
	v_cmp_ne_u32_e32 vcc_lo, 1, v10
	v_mov_b32_e32 v5, 0
	v_mov_b32_e32 v6, 0
	s_cbranch_vccnz .LBB210_15
; %bb.12:
	s_waitcnt vmcnt(2) lgkmcnt(2)
	v_mov_b32_e32 v7, s18
	v_mov_b32_e32 v8, s19
	s_mov_b32 s0, 0
	s_inst_prefetch 0x1
	.p2align	6
.LBB210_13:                             ; =>This Inner Loop Header: Depth=1
	v_sub_co_u32 v12, vcc_lo, v7, v5
	v_sub_co_ci_u32_e64 v13, null, v8, v6, vcc_lo
	v_lshrrev_b64 v[14:15], 1, v[12:13]
	v_lshrrev_b64 v[12:13], 6, v[12:13]
	v_add_co_u32 v14, vcc_lo, v14, v5
	v_add_co_ci_u32_e64 v15, null, v15, v6, vcc_lo
	v_add_co_u32 v12, vcc_lo, v14, v12
	v_add_co_ci_u32_e64 v13, null, v15, v13, vcc_lo
	v_lshlrev_b64 v[14:15], 1, v[12:13]
	v_add_co_u32 v14, vcc_lo, s16, v14
	v_add_co_ci_u32_e64 v15, null, s17, v15, vcc_lo
	global_load_ushort v14, v[14:15], off
	v_add_co_u32 v15, vcc_lo, v12, 1
	v_add_co_ci_u32_e64 v16, null, 0, v13, vcc_lo
	s_waitcnt vmcnt(0) lgkmcnt(1)
	v_cmp_lt_u16_e32 vcc_lo, v9, v14
	v_cndmask_b32_e32 v8, v8, v13, vcc_lo
	v_cndmask_b32_e32 v7, v7, v12, vcc_lo
	;; [unrolled: 1-line block ×4, first 2 shown]
	v_cmp_ge_u64_e32 vcc_lo, v[5:6], v[7:8]
	s_or_b32 s0, vcc_lo, s0
	s_andn2_b32 exec_lo, exec_lo, s0
	s_cbranch_execnz .LBB210_13
; %bb.14:
	s_inst_prefetch 0x2
	s_or_b32 exec_lo, exec_lo, s0
.LBB210_15:
	v_cmp_ne_u32_e32 vcc_lo, 1, v10
	s_waitcnt vmcnt(2) lgkmcnt(2)
	v_mov_b32_e32 v7, 0
	v_mov_b32_e32 v8, 0
	s_cbranch_vccnz .LBB210_19
; %bb.16:
	s_waitcnt vmcnt(1) lgkmcnt(1)
	v_mov_b32_e32 v9, s18
	v_mov_b32_e32 v10, s19
	s_mov_b32 s0, 0
	s_inst_prefetch 0x1
	.p2align	6
.LBB210_17:                             ; =>This Inner Loop Header: Depth=1
	v_sub_co_u32 v12, vcc_lo, v9, v7
	v_sub_co_ci_u32_e64 v13, null, v10, v8, vcc_lo
	v_lshrrev_b64 v[14:15], 1, v[12:13]
	v_lshrrev_b64 v[12:13], 6, v[12:13]
	v_add_co_u32 v14, vcc_lo, v14, v7
	v_add_co_ci_u32_e64 v15, null, v15, v8, vcc_lo
	v_add_co_u32 v12, vcc_lo, v14, v12
	v_add_co_ci_u32_e64 v13, null, v15, v13, vcc_lo
	v_lshlrev_b64 v[14:15], 1, v[12:13]
	v_add_co_u32 v14, vcc_lo, s16, v14
	v_add_co_ci_u32_e64 v15, null, s17, v15, vcc_lo
	global_load_ushort v14, v[14:15], off
	v_add_co_u32 v15, vcc_lo, v12, 1
	v_add_co_ci_u32_e64 v16, null, 0, v13, vcc_lo
	s_waitcnt vmcnt(0) lgkmcnt(0)
	v_cmp_lt_u16_e32 vcc_lo, v11, v14
	v_cndmask_b32_e32 v10, v10, v13, vcc_lo
	v_cndmask_b32_e32 v9, v9, v12, vcc_lo
	;; [unrolled: 1-line block ×4, first 2 shown]
	v_cmp_ge_u64_e32 vcc_lo, v[7:8], v[9:10]
	s_or_b32 s0, vcc_lo, s0
	s_andn2_b32 exec_lo, exec_lo, s0
	s_cbranch_execnz .LBB210_17
; %bb.18:
	s_inst_prefetch 0x2
	s_or_b32 exec_lo, exec_lo, s0
.LBB210_19:
	s_waitcnt vmcnt(1) lgkmcnt(1)
	v_lshlrev_b32_e32 v9, 3, v0
	s_lshl_b64 s[0:1], s[4:5], 3
	s_mov_b32 s6, -1
	s_add_u32 s0, s3, s0
	s_addc_u32 s1, s7, s1
	s_waitcnt vmcnt(0) lgkmcnt(0)
	v_add_co_u32 v11, s0, s0, v9
	v_add_co_ci_u32_e64 v12, null, s1, 0, s0
	v_add_co_u32 v9, vcc_lo, 0x800, v11
	v_add_co_ci_u32_e64 v10, null, 0, v12, vcc_lo
	flat_store_dwordx2 v[11:12], v[1:2]
	flat_store_dwordx2 v[11:12], v[3:4] offset:1024
	flat_store_dwordx2 v[9:10], v[5:6]
	s_branch .LBB210_53
.LBB210_20:
	v_mov_b32_e32 v1, 0
	s_sub_i32 s6, s12, s4
	v_cmp_gt_u32_e64 s0, s6, v0
	v_mov_b32_e32 v2, v1
	s_and_saveexec_b32 s1, s0
	s_cbranch_execz .LBB210_22
; %bb.21:
	v_lshlrev_b32_e32 v2, 1, v0
	v_mov_b32_e32 v4, v1
	v_mov_b32_e32 v5, v1
	v_add_co_u32 v2, s2, s8, v2
	v_add_co_ci_u32_e64 v3, null, s9, 0, s2
	flat_load_short_d16 v4, v[2:3]
	s_waitcnt vmcnt(0) lgkmcnt(0)
	v_mov_b32_e32 v1, v4
	v_mov_b32_e32 v2, v5
.LBB210_22:
	s_or_b32 exec_lo, exec_lo, s1
	v_or_b32_e32 v3, 0x80, v0
	v_cmp_gt_u32_e64 s1, s6, v3
	s_and_saveexec_b32 s2, s1
	s_cbranch_execz .LBB210_24
; %bb.23:
	v_lshlrev_b32_e32 v3, 1, v0
	v_add_co_u32 v3, s10, s8, v3
	v_add_co_ci_u32_e64 v4, null, s9, 0, s10
	flat_load_short_d16_hi v1, v[3:4] offset:256
.LBB210_24:
	s_or_b32 exec_lo, exec_lo, s2
	v_or_b32_e32 v3, 0x100, v0
	v_cmp_gt_u32_e64 s2, s6, v3
	s_and_saveexec_b32 s10, s2
	s_cbranch_execz .LBB210_26
; %bb.25:
	v_lshlrev_b32_e32 v3, 1, v0
	v_add_co_u32 v3, s11, s8, v3
	v_add_co_ci_u32_e64 v4, null, s9, 0, s11
	flat_load_short_d16 v2, v[3:4] offset:512
.LBB210_26:
	s_or_b32 exec_lo, exec_lo, s10
	v_or_b32_e32 v3, 0x180, v0
	v_cmp_gt_u32_e64 s6, s6, v3
	s_and_saveexec_b32 s10, s6
	s_cbranch_execz .LBB210_28
; %bb.27:
	v_lshlrev_b32_e32 v3, 1, v0
	v_add_co_u32 v3, s8, s8, v3
	v_add_co_ci_u32_e64 v4, null, s9, 0, s8
	s_waitcnt vmcnt(0) lgkmcnt(0)
	flat_load_short_d16_hi v2, v[3:4] offset:768
.LBB210_28:
	s_or_b32 exec_lo, exec_lo, s10
	s_cmp_lg_u64 s[18:19], 0
                                        ; implicit-def: $vgpr3_vgpr4
	s_cselect_b32 s8, -1, 0
	s_and_saveexec_b32 s9, s0
	s_cbranch_execz .LBB210_33
; %bb.29:
	v_mov_b32_e32 v3, 0
	v_mov_b32_e32 v4, 0
	s_andn2_b32 vcc_lo, exec_lo, s8
	s_cbranch_vccnz .LBB210_33
; %bb.30:
	v_mov_b32_e32 v5, s18
	v_mov_b32_e32 v6, s19
	s_mov_b32 s10, 0
	s_inst_prefetch 0x1
	.p2align	6
.LBB210_31:                             ; =>This Inner Loop Header: Depth=1
	v_sub_co_u32 v7, vcc_lo, v5, v3
	v_sub_co_ci_u32_e64 v8, null, v6, v4, vcc_lo
	v_lshrrev_b64 v[9:10], 1, v[7:8]
	v_lshrrev_b64 v[7:8], 6, v[7:8]
	v_add_co_u32 v9, vcc_lo, v9, v3
	v_add_co_ci_u32_e64 v10, null, v10, v4, vcc_lo
	v_add_co_u32 v7, vcc_lo, v9, v7
	v_add_co_ci_u32_e64 v8, null, v10, v8, vcc_lo
	v_lshlrev_b64 v[9:10], 1, v[7:8]
	v_add_co_u32 v9, vcc_lo, s16, v9
	v_add_co_ci_u32_e64 v10, null, s17, v10, vcc_lo
	global_load_ushort v9, v[9:10], off
	v_add_co_u32 v10, vcc_lo, v7, 1
	v_add_co_ci_u32_e64 v11, null, 0, v8, vcc_lo
	s_waitcnt vmcnt(0) lgkmcnt(0)
	v_cmp_lt_u16_e32 vcc_lo, v1, v9
	v_cndmask_b32_e32 v6, v6, v8, vcc_lo
	v_cndmask_b32_e32 v5, v5, v7, vcc_lo
	;; [unrolled: 1-line block ×4, first 2 shown]
	v_cmp_ge_u64_e32 vcc_lo, v[3:4], v[5:6]
	s_or_b32 s10, vcc_lo, s10
	s_andn2_b32 exec_lo, exec_lo, s10
	s_cbranch_execnz .LBB210_31
; %bb.32:
	s_inst_prefetch 0x2
	s_or_b32 exec_lo, exec_lo, s10
.LBB210_33:
	s_or_b32 exec_lo, exec_lo, s9
                                        ; implicit-def: $vgpr5_vgpr6
	s_and_saveexec_b32 s9, s1
	s_cbranch_execz .LBB210_38
; %bb.34:
	v_mov_b32_e32 v5, 0
	v_mov_b32_e32 v6, 0
	s_andn2_b32 vcc_lo, exec_lo, s8
	s_cbranch_vccnz .LBB210_38
; %bb.35:
	v_mov_b32_e32 v7, s18
	v_mov_b32_e32 v8, s19
	s_mov_b32 s10, 0
	s_inst_prefetch 0x1
	.p2align	6
.LBB210_36:                             ; =>This Inner Loop Header: Depth=1
	v_sub_co_u32 v9, vcc_lo, v7, v5
	v_sub_co_ci_u32_e64 v10, null, v8, v6, vcc_lo
	v_lshrrev_b64 v[11:12], 1, v[9:10]
	v_lshrrev_b64 v[9:10], 6, v[9:10]
	v_add_co_u32 v11, vcc_lo, v11, v5
	v_add_co_ci_u32_e64 v12, null, v12, v6, vcc_lo
	v_add_co_u32 v9, vcc_lo, v11, v9
	v_add_co_ci_u32_e64 v10, null, v12, v10, vcc_lo
	v_lshlrev_b64 v[11:12], 1, v[9:10]
	v_add_co_u32 v11, vcc_lo, s16, v11
	v_add_co_ci_u32_e64 v12, null, s17, v12, vcc_lo
	global_load_ushort v11, v[11:12], off
	v_add_co_u32 v12, vcc_lo, v9, 1
	v_add_co_ci_u32_e64 v13, null, 0, v10, vcc_lo
	s_waitcnt vmcnt(0) lgkmcnt(0)
	v_cmp_lt_u16_sdwa vcc_lo, v1, v11 src0_sel:WORD_1 src1_sel:DWORD
	v_cndmask_b32_e32 v8, v8, v10, vcc_lo
	v_cndmask_b32_e32 v7, v7, v9, vcc_lo
	v_cndmask_b32_e32 v6, v13, v6, vcc_lo
	v_cndmask_b32_e32 v5, v12, v5, vcc_lo
	v_cmp_ge_u64_e32 vcc_lo, v[5:6], v[7:8]
	s_or_b32 s10, vcc_lo, s10
	s_andn2_b32 exec_lo, exec_lo, s10
	s_cbranch_execnz .LBB210_36
; %bb.37:
	s_inst_prefetch 0x2
	s_or_b32 exec_lo, exec_lo, s10
.LBB210_38:
	s_or_b32 exec_lo, exec_lo, s9
                                        ; implicit-def: $vgpr9_vgpr10
	s_and_saveexec_b32 s9, s2
	s_cbranch_execz .LBB210_43
; %bb.39:
	v_mov_b32_e32 v9, 0
	v_mov_b32_e32 v10, 0
	s_andn2_b32 vcc_lo, exec_lo, s8
	s_cbranch_vccnz .LBB210_43
; %bb.40:
	v_mov_b32_e32 v7, s18
	v_mov_b32_e32 v8, s19
	s_mov_b32 s10, 0
	s_inst_prefetch 0x1
	.p2align	6
.LBB210_41:                             ; =>This Inner Loop Header: Depth=1
	v_sub_co_u32 v11, vcc_lo, v7, v9
	v_sub_co_ci_u32_e64 v12, null, v8, v10, vcc_lo
	v_lshrrev_b64 v[13:14], 1, v[11:12]
	v_lshrrev_b64 v[11:12], 6, v[11:12]
	s_waitcnt vmcnt(0) lgkmcnt(0)
	v_add_co_u32 v1, vcc_lo, v13, v9
	v_add_co_ci_u32_e64 v13, null, v14, v10, vcc_lo
	v_add_co_u32 v11, vcc_lo, v1, v11
	v_add_co_ci_u32_e64 v12, null, v13, v12, vcc_lo
	v_lshlrev_b64 v[13:14], 1, v[11:12]
	v_add_co_u32 v13, vcc_lo, s16, v13
	v_add_co_ci_u32_e64 v14, null, s17, v14, vcc_lo
	global_load_ushort v1, v[13:14], off
	v_add_co_u32 v13, vcc_lo, v11, 1
	v_add_co_ci_u32_e64 v14, null, 0, v12, vcc_lo
	s_waitcnt vmcnt(0)
	v_cmp_lt_u16_e32 vcc_lo, v2, v1
	v_cndmask_b32_e32 v8, v8, v12, vcc_lo
	v_cndmask_b32_e32 v7, v7, v11, vcc_lo
	;; [unrolled: 1-line block ×4, first 2 shown]
	v_cmp_ge_u64_e32 vcc_lo, v[9:10], v[7:8]
	s_or_b32 s10, vcc_lo, s10
	s_andn2_b32 exec_lo, exec_lo, s10
	s_cbranch_execnz .LBB210_41
; %bb.42:
	s_inst_prefetch 0x2
	s_or_b32 exec_lo, exec_lo, s10
.LBB210_43:
	s_or_b32 exec_lo, exec_lo, s9
                                        ; implicit-def: $vgpr7_vgpr8
	s_and_saveexec_b32 s9, s6
	s_cbranch_execz .LBB210_48
; %bb.44:
	v_mov_b32_e32 v7, 0
	v_mov_b32_e32 v8, 0
	s_andn2_b32 vcc_lo, exec_lo, s8
	s_cbranch_vccnz .LBB210_48
; %bb.45:
	v_mov_b32_e32 v11, s18
	v_mov_b32_e32 v12, s19
	s_mov_b32 s8, 0
	s_inst_prefetch 0x1
	.p2align	6
.LBB210_46:                             ; =>This Inner Loop Header: Depth=1
	v_sub_co_u32 v13, vcc_lo, v11, v7
	v_sub_co_ci_u32_e64 v14, null, v12, v8, vcc_lo
	v_lshrrev_b64 v[15:16], 1, v[13:14]
	v_lshrrev_b64 v[13:14], 6, v[13:14]
	s_waitcnt vmcnt(0) lgkmcnt(0)
	v_add_co_u32 v1, vcc_lo, v15, v7
	v_add_co_ci_u32_e64 v15, null, v16, v8, vcc_lo
	v_add_co_u32 v13, vcc_lo, v1, v13
	v_add_co_ci_u32_e64 v14, null, v15, v14, vcc_lo
	v_lshlrev_b64 v[15:16], 1, v[13:14]
	v_add_co_u32 v15, vcc_lo, s16, v15
	v_add_co_ci_u32_e64 v16, null, s17, v16, vcc_lo
	global_load_ushort v1, v[15:16], off
	v_add_co_u32 v15, vcc_lo, v13, 1
	v_add_co_ci_u32_e64 v16, null, 0, v14, vcc_lo
	s_waitcnt vmcnt(0)
	v_cmp_lt_u16_sdwa vcc_lo, v2, v1 src0_sel:WORD_1 src1_sel:DWORD
	v_cndmask_b32_e32 v12, v12, v14, vcc_lo
	v_cndmask_b32_e32 v11, v11, v13, vcc_lo
	;; [unrolled: 1-line block ×4, first 2 shown]
	v_cmp_ge_u64_e32 vcc_lo, v[7:8], v[11:12]
	s_or_b32 s8, vcc_lo, s8
	s_andn2_b32 exec_lo, exec_lo, s8
	s_cbranch_execnz .LBB210_46
; %bb.47:
	s_inst_prefetch 0x2
	s_or_b32 exec_lo, exec_lo, s8
.LBB210_48:
	s_or_b32 exec_lo, exec_lo, s9
	v_lshlrev_b32_e32 v0, 3, v0
	s_lshl_b64 s[4:5], s[4:5], 3
	s_add_u32 s3, s3, s4
	s_addc_u32 s4, s7, s5
	v_add_co_u32 v11, s3, s3, v0
	v_add_co_ci_u32_e64 v12, null, s4, 0, s3
	s_and_saveexec_b32 s3, s0
	s_xor_b32 s0, exec_lo, s3
	s_cbranch_execnz .LBB210_56
; %bb.49:
	s_or_b32 exec_lo, exec_lo, s0
	s_and_saveexec_b32 s0, s1
	s_cbranch_execnz .LBB210_57
.LBB210_50:
	s_or_b32 exec_lo, exec_lo, s0
	s_and_saveexec_b32 s0, s2
	s_cbranch_execz .LBB210_52
.LBB210_51:
	v_add_co_u32 v0, vcc_lo, 0x800, v11
	s_waitcnt vmcnt(0) lgkmcnt(0)
	v_add_co_ci_u32_e64 v1, null, 0, v12, vcc_lo
	flat_store_dwordx2 v[0:1], v[9:10]
.LBB210_52:
	s_or_b32 exec_lo, exec_lo, s0
.LBB210_53:
	s_and_saveexec_b32 s0, s6
	s_cbranch_execnz .LBB210_55
; %bb.54:
	s_endpgm
.LBB210_55:
	v_add_co_u32 v0, vcc_lo, 0x800, v11
	s_waitcnt vmcnt(0) lgkmcnt(0)
	v_add_co_ci_u32_e64 v1, null, 0, v12, vcc_lo
	flat_store_dwordx2 v[0:1], v[7:8] offset:1024
	s_endpgm
.LBB210_56:
	flat_store_dwordx2 v[11:12], v[3:4]
	s_or_b32 exec_lo, exec_lo, s0
	s_and_saveexec_b32 s0, s1
	s_cbranch_execz .LBB210_50
.LBB210_57:
	flat_store_dwordx2 v[11:12], v[5:6] offset:1024
	s_or_b32 exec_lo, exec_lo, s0
	s_and_saveexec_b32 s0, s2
	s_cbranch_execnz .LBB210_51
	s_branch .LBB210_52
	.section	.rodata,"a",@progbits
	.p2align	6, 0x0
	.amdhsa_kernel _ZN7rocprim17ROCPRIM_400000_NS6detail17trampoline_kernelINS0_14default_configENS1_27upper_bound_config_selectorItlEEZNS1_14transform_implILb0ES3_S5_N6thrust23THRUST_200600_302600_NS6detail15normal_iteratorINS8_7pointerItNS8_11hip_rocprim5par_tENS8_11use_defaultESE_EEEENSA_INSB_IlSD_SE_SE_EEEEZNS1_13binary_searchIS3_S5_PtSG_SI_NS1_21upper_bound_search_opENS9_16wrapped_functionINS8_6system6detail7generic6detail18binary_search_lessEbEEEE10hipError_tPvRmT1_T2_T3_mmT4_T5_P12ihipStream_tbEUlRKtE_EEST_SX_SY_mSZ_S12_bEUlT_E_NS1_11comp_targetILNS1_3genE8ELNS1_11target_archE1030ELNS1_3gpuE2ELNS1_3repE0EEENS1_30default_config_static_selectorELNS0_4arch9wavefront6targetE0EEEvSW_
		.amdhsa_group_segment_fixed_size 0
		.amdhsa_private_segment_fixed_size 0
		.amdhsa_kernarg_size 312
		.amdhsa_user_sgpr_count 6
		.amdhsa_user_sgpr_private_segment_buffer 1
		.amdhsa_user_sgpr_dispatch_ptr 0
		.amdhsa_user_sgpr_queue_ptr 0
		.amdhsa_user_sgpr_kernarg_segment_ptr 1
		.amdhsa_user_sgpr_dispatch_id 0
		.amdhsa_user_sgpr_flat_scratch_init 0
		.amdhsa_user_sgpr_private_segment_size 0
		.amdhsa_wavefront_size32 1
		.amdhsa_uses_dynamic_stack 0
		.amdhsa_system_sgpr_private_segment_wavefront_offset 0
		.amdhsa_system_sgpr_workgroup_id_x 1
		.amdhsa_system_sgpr_workgroup_id_y 0
		.amdhsa_system_sgpr_workgroup_id_z 0
		.amdhsa_system_sgpr_workgroup_info 0
		.amdhsa_system_vgpr_workitem_id 0
		.amdhsa_next_free_vgpr 17
		.amdhsa_next_free_sgpr 20
		.amdhsa_reserve_vcc 1
		.amdhsa_reserve_flat_scratch 1
		.amdhsa_float_round_mode_32 0
		.amdhsa_float_round_mode_16_64 0
		.amdhsa_float_denorm_mode_32 3
		.amdhsa_float_denorm_mode_16_64 3
		.amdhsa_dx10_clamp 1
		.amdhsa_ieee_mode 1
		.amdhsa_fp16_overflow 0
		.amdhsa_workgroup_processor_mode 1
		.amdhsa_memory_ordered 1
		.amdhsa_forward_progress 1
		.amdhsa_shared_vgpr_count 0
		.amdhsa_exception_fp_ieee_invalid_op 0
		.amdhsa_exception_fp_denorm_src 0
		.amdhsa_exception_fp_ieee_div_zero 0
		.amdhsa_exception_fp_ieee_overflow 0
		.amdhsa_exception_fp_ieee_underflow 0
		.amdhsa_exception_fp_ieee_inexact 0
		.amdhsa_exception_int_div_zero 0
	.end_amdhsa_kernel
	.section	.text._ZN7rocprim17ROCPRIM_400000_NS6detail17trampoline_kernelINS0_14default_configENS1_27upper_bound_config_selectorItlEEZNS1_14transform_implILb0ES3_S5_N6thrust23THRUST_200600_302600_NS6detail15normal_iteratorINS8_7pointerItNS8_11hip_rocprim5par_tENS8_11use_defaultESE_EEEENSA_INSB_IlSD_SE_SE_EEEEZNS1_13binary_searchIS3_S5_PtSG_SI_NS1_21upper_bound_search_opENS9_16wrapped_functionINS8_6system6detail7generic6detail18binary_search_lessEbEEEE10hipError_tPvRmT1_T2_T3_mmT4_T5_P12ihipStream_tbEUlRKtE_EEST_SX_SY_mSZ_S12_bEUlT_E_NS1_11comp_targetILNS1_3genE8ELNS1_11target_archE1030ELNS1_3gpuE2ELNS1_3repE0EEENS1_30default_config_static_selectorELNS0_4arch9wavefront6targetE0EEEvSW_,"axG",@progbits,_ZN7rocprim17ROCPRIM_400000_NS6detail17trampoline_kernelINS0_14default_configENS1_27upper_bound_config_selectorItlEEZNS1_14transform_implILb0ES3_S5_N6thrust23THRUST_200600_302600_NS6detail15normal_iteratorINS8_7pointerItNS8_11hip_rocprim5par_tENS8_11use_defaultESE_EEEENSA_INSB_IlSD_SE_SE_EEEEZNS1_13binary_searchIS3_S5_PtSG_SI_NS1_21upper_bound_search_opENS9_16wrapped_functionINS8_6system6detail7generic6detail18binary_search_lessEbEEEE10hipError_tPvRmT1_T2_T3_mmT4_T5_P12ihipStream_tbEUlRKtE_EEST_SX_SY_mSZ_S12_bEUlT_E_NS1_11comp_targetILNS1_3genE8ELNS1_11target_archE1030ELNS1_3gpuE2ELNS1_3repE0EEENS1_30default_config_static_selectorELNS0_4arch9wavefront6targetE0EEEvSW_,comdat
.Lfunc_end210:
	.size	_ZN7rocprim17ROCPRIM_400000_NS6detail17trampoline_kernelINS0_14default_configENS1_27upper_bound_config_selectorItlEEZNS1_14transform_implILb0ES3_S5_N6thrust23THRUST_200600_302600_NS6detail15normal_iteratorINS8_7pointerItNS8_11hip_rocprim5par_tENS8_11use_defaultESE_EEEENSA_INSB_IlSD_SE_SE_EEEEZNS1_13binary_searchIS3_S5_PtSG_SI_NS1_21upper_bound_search_opENS9_16wrapped_functionINS8_6system6detail7generic6detail18binary_search_lessEbEEEE10hipError_tPvRmT1_T2_T3_mmT4_T5_P12ihipStream_tbEUlRKtE_EEST_SX_SY_mSZ_S12_bEUlT_E_NS1_11comp_targetILNS1_3genE8ELNS1_11target_archE1030ELNS1_3gpuE2ELNS1_3repE0EEENS1_30default_config_static_selectorELNS0_4arch9wavefront6targetE0EEEvSW_, .Lfunc_end210-_ZN7rocprim17ROCPRIM_400000_NS6detail17trampoline_kernelINS0_14default_configENS1_27upper_bound_config_selectorItlEEZNS1_14transform_implILb0ES3_S5_N6thrust23THRUST_200600_302600_NS6detail15normal_iteratorINS8_7pointerItNS8_11hip_rocprim5par_tENS8_11use_defaultESE_EEEENSA_INSB_IlSD_SE_SE_EEEEZNS1_13binary_searchIS3_S5_PtSG_SI_NS1_21upper_bound_search_opENS9_16wrapped_functionINS8_6system6detail7generic6detail18binary_search_lessEbEEEE10hipError_tPvRmT1_T2_T3_mmT4_T5_P12ihipStream_tbEUlRKtE_EEST_SX_SY_mSZ_S12_bEUlT_E_NS1_11comp_targetILNS1_3genE8ELNS1_11target_archE1030ELNS1_3gpuE2ELNS1_3repE0EEENS1_30default_config_static_selectorELNS0_4arch9wavefront6targetE0EEEvSW_
                                        ; -- End function
	.set _ZN7rocprim17ROCPRIM_400000_NS6detail17trampoline_kernelINS0_14default_configENS1_27upper_bound_config_selectorItlEEZNS1_14transform_implILb0ES3_S5_N6thrust23THRUST_200600_302600_NS6detail15normal_iteratorINS8_7pointerItNS8_11hip_rocprim5par_tENS8_11use_defaultESE_EEEENSA_INSB_IlSD_SE_SE_EEEEZNS1_13binary_searchIS3_S5_PtSG_SI_NS1_21upper_bound_search_opENS9_16wrapped_functionINS8_6system6detail7generic6detail18binary_search_lessEbEEEE10hipError_tPvRmT1_T2_T3_mmT4_T5_P12ihipStream_tbEUlRKtE_EEST_SX_SY_mSZ_S12_bEUlT_E_NS1_11comp_targetILNS1_3genE8ELNS1_11target_archE1030ELNS1_3gpuE2ELNS1_3repE0EEENS1_30default_config_static_selectorELNS0_4arch9wavefront6targetE0EEEvSW_.num_vgpr, 17
	.set _ZN7rocprim17ROCPRIM_400000_NS6detail17trampoline_kernelINS0_14default_configENS1_27upper_bound_config_selectorItlEEZNS1_14transform_implILb0ES3_S5_N6thrust23THRUST_200600_302600_NS6detail15normal_iteratorINS8_7pointerItNS8_11hip_rocprim5par_tENS8_11use_defaultESE_EEEENSA_INSB_IlSD_SE_SE_EEEEZNS1_13binary_searchIS3_S5_PtSG_SI_NS1_21upper_bound_search_opENS9_16wrapped_functionINS8_6system6detail7generic6detail18binary_search_lessEbEEEE10hipError_tPvRmT1_T2_T3_mmT4_T5_P12ihipStream_tbEUlRKtE_EEST_SX_SY_mSZ_S12_bEUlT_E_NS1_11comp_targetILNS1_3genE8ELNS1_11target_archE1030ELNS1_3gpuE2ELNS1_3repE0EEENS1_30default_config_static_selectorELNS0_4arch9wavefront6targetE0EEEvSW_.num_agpr, 0
	.set _ZN7rocprim17ROCPRIM_400000_NS6detail17trampoline_kernelINS0_14default_configENS1_27upper_bound_config_selectorItlEEZNS1_14transform_implILb0ES3_S5_N6thrust23THRUST_200600_302600_NS6detail15normal_iteratorINS8_7pointerItNS8_11hip_rocprim5par_tENS8_11use_defaultESE_EEEENSA_INSB_IlSD_SE_SE_EEEEZNS1_13binary_searchIS3_S5_PtSG_SI_NS1_21upper_bound_search_opENS9_16wrapped_functionINS8_6system6detail7generic6detail18binary_search_lessEbEEEE10hipError_tPvRmT1_T2_T3_mmT4_T5_P12ihipStream_tbEUlRKtE_EEST_SX_SY_mSZ_S12_bEUlT_E_NS1_11comp_targetILNS1_3genE8ELNS1_11target_archE1030ELNS1_3gpuE2ELNS1_3repE0EEENS1_30default_config_static_selectorELNS0_4arch9wavefront6targetE0EEEvSW_.numbered_sgpr, 20
	.set _ZN7rocprim17ROCPRIM_400000_NS6detail17trampoline_kernelINS0_14default_configENS1_27upper_bound_config_selectorItlEEZNS1_14transform_implILb0ES3_S5_N6thrust23THRUST_200600_302600_NS6detail15normal_iteratorINS8_7pointerItNS8_11hip_rocprim5par_tENS8_11use_defaultESE_EEEENSA_INSB_IlSD_SE_SE_EEEEZNS1_13binary_searchIS3_S5_PtSG_SI_NS1_21upper_bound_search_opENS9_16wrapped_functionINS8_6system6detail7generic6detail18binary_search_lessEbEEEE10hipError_tPvRmT1_T2_T3_mmT4_T5_P12ihipStream_tbEUlRKtE_EEST_SX_SY_mSZ_S12_bEUlT_E_NS1_11comp_targetILNS1_3genE8ELNS1_11target_archE1030ELNS1_3gpuE2ELNS1_3repE0EEENS1_30default_config_static_selectorELNS0_4arch9wavefront6targetE0EEEvSW_.num_named_barrier, 0
	.set _ZN7rocprim17ROCPRIM_400000_NS6detail17trampoline_kernelINS0_14default_configENS1_27upper_bound_config_selectorItlEEZNS1_14transform_implILb0ES3_S5_N6thrust23THRUST_200600_302600_NS6detail15normal_iteratorINS8_7pointerItNS8_11hip_rocprim5par_tENS8_11use_defaultESE_EEEENSA_INSB_IlSD_SE_SE_EEEEZNS1_13binary_searchIS3_S5_PtSG_SI_NS1_21upper_bound_search_opENS9_16wrapped_functionINS8_6system6detail7generic6detail18binary_search_lessEbEEEE10hipError_tPvRmT1_T2_T3_mmT4_T5_P12ihipStream_tbEUlRKtE_EEST_SX_SY_mSZ_S12_bEUlT_E_NS1_11comp_targetILNS1_3genE8ELNS1_11target_archE1030ELNS1_3gpuE2ELNS1_3repE0EEENS1_30default_config_static_selectorELNS0_4arch9wavefront6targetE0EEEvSW_.private_seg_size, 0
	.set _ZN7rocprim17ROCPRIM_400000_NS6detail17trampoline_kernelINS0_14default_configENS1_27upper_bound_config_selectorItlEEZNS1_14transform_implILb0ES3_S5_N6thrust23THRUST_200600_302600_NS6detail15normal_iteratorINS8_7pointerItNS8_11hip_rocprim5par_tENS8_11use_defaultESE_EEEENSA_INSB_IlSD_SE_SE_EEEEZNS1_13binary_searchIS3_S5_PtSG_SI_NS1_21upper_bound_search_opENS9_16wrapped_functionINS8_6system6detail7generic6detail18binary_search_lessEbEEEE10hipError_tPvRmT1_T2_T3_mmT4_T5_P12ihipStream_tbEUlRKtE_EEST_SX_SY_mSZ_S12_bEUlT_E_NS1_11comp_targetILNS1_3genE8ELNS1_11target_archE1030ELNS1_3gpuE2ELNS1_3repE0EEENS1_30default_config_static_selectorELNS0_4arch9wavefront6targetE0EEEvSW_.uses_vcc, 1
	.set _ZN7rocprim17ROCPRIM_400000_NS6detail17trampoline_kernelINS0_14default_configENS1_27upper_bound_config_selectorItlEEZNS1_14transform_implILb0ES3_S5_N6thrust23THRUST_200600_302600_NS6detail15normal_iteratorINS8_7pointerItNS8_11hip_rocprim5par_tENS8_11use_defaultESE_EEEENSA_INSB_IlSD_SE_SE_EEEEZNS1_13binary_searchIS3_S5_PtSG_SI_NS1_21upper_bound_search_opENS9_16wrapped_functionINS8_6system6detail7generic6detail18binary_search_lessEbEEEE10hipError_tPvRmT1_T2_T3_mmT4_T5_P12ihipStream_tbEUlRKtE_EEST_SX_SY_mSZ_S12_bEUlT_E_NS1_11comp_targetILNS1_3genE8ELNS1_11target_archE1030ELNS1_3gpuE2ELNS1_3repE0EEENS1_30default_config_static_selectorELNS0_4arch9wavefront6targetE0EEEvSW_.uses_flat_scratch, 1
	.set _ZN7rocprim17ROCPRIM_400000_NS6detail17trampoline_kernelINS0_14default_configENS1_27upper_bound_config_selectorItlEEZNS1_14transform_implILb0ES3_S5_N6thrust23THRUST_200600_302600_NS6detail15normal_iteratorINS8_7pointerItNS8_11hip_rocprim5par_tENS8_11use_defaultESE_EEEENSA_INSB_IlSD_SE_SE_EEEEZNS1_13binary_searchIS3_S5_PtSG_SI_NS1_21upper_bound_search_opENS9_16wrapped_functionINS8_6system6detail7generic6detail18binary_search_lessEbEEEE10hipError_tPvRmT1_T2_T3_mmT4_T5_P12ihipStream_tbEUlRKtE_EEST_SX_SY_mSZ_S12_bEUlT_E_NS1_11comp_targetILNS1_3genE8ELNS1_11target_archE1030ELNS1_3gpuE2ELNS1_3repE0EEENS1_30default_config_static_selectorELNS0_4arch9wavefront6targetE0EEEvSW_.has_dyn_sized_stack, 0
	.set _ZN7rocprim17ROCPRIM_400000_NS6detail17trampoline_kernelINS0_14default_configENS1_27upper_bound_config_selectorItlEEZNS1_14transform_implILb0ES3_S5_N6thrust23THRUST_200600_302600_NS6detail15normal_iteratorINS8_7pointerItNS8_11hip_rocprim5par_tENS8_11use_defaultESE_EEEENSA_INSB_IlSD_SE_SE_EEEEZNS1_13binary_searchIS3_S5_PtSG_SI_NS1_21upper_bound_search_opENS9_16wrapped_functionINS8_6system6detail7generic6detail18binary_search_lessEbEEEE10hipError_tPvRmT1_T2_T3_mmT4_T5_P12ihipStream_tbEUlRKtE_EEST_SX_SY_mSZ_S12_bEUlT_E_NS1_11comp_targetILNS1_3genE8ELNS1_11target_archE1030ELNS1_3gpuE2ELNS1_3repE0EEENS1_30default_config_static_selectorELNS0_4arch9wavefront6targetE0EEEvSW_.has_recursion, 0
	.set _ZN7rocprim17ROCPRIM_400000_NS6detail17trampoline_kernelINS0_14default_configENS1_27upper_bound_config_selectorItlEEZNS1_14transform_implILb0ES3_S5_N6thrust23THRUST_200600_302600_NS6detail15normal_iteratorINS8_7pointerItNS8_11hip_rocprim5par_tENS8_11use_defaultESE_EEEENSA_INSB_IlSD_SE_SE_EEEEZNS1_13binary_searchIS3_S5_PtSG_SI_NS1_21upper_bound_search_opENS9_16wrapped_functionINS8_6system6detail7generic6detail18binary_search_lessEbEEEE10hipError_tPvRmT1_T2_T3_mmT4_T5_P12ihipStream_tbEUlRKtE_EEST_SX_SY_mSZ_S12_bEUlT_E_NS1_11comp_targetILNS1_3genE8ELNS1_11target_archE1030ELNS1_3gpuE2ELNS1_3repE0EEENS1_30default_config_static_selectorELNS0_4arch9wavefront6targetE0EEEvSW_.has_indirect_call, 0
	.section	.AMDGPU.csdata,"",@progbits
; Kernel info:
; codeLenInByte = 2672
; TotalNumSgprs: 22
; NumVgprs: 17
; ScratchSize: 0
; MemoryBound: 0
; FloatMode: 240
; IeeeMode: 1
; LDSByteSize: 0 bytes/workgroup (compile time only)
; SGPRBlocks: 0
; VGPRBlocks: 2
; NumSGPRsForWavesPerEU: 22
; NumVGPRsForWavesPerEU: 17
; Occupancy: 16
; WaveLimiterHint : 1
; COMPUTE_PGM_RSRC2:SCRATCH_EN: 0
; COMPUTE_PGM_RSRC2:USER_SGPR: 6
; COMPUTE_PGM_RSRC2:TRAP_HANDLER: 0
; COMPUTE_PGM_RSRC2:TGID_X_EN: 1
; COMPUTE_PGM_RSRC2:TGID_Y_EN: 0
; COMPUTE_PGM_RSRC2:TGID_Z_EN: 0
; COMPUTE_PGM_RSRC2:TIDIG_COMP_CNT: 0
	.section	.text._Z18upper_bound_kernelIxEvmPT_Pl,"axG",@progbits,_Z18upper_bound_kernelIxEvmPT_Pl,comdat
	.protected	_Z18upper_bound_kernelIxEvmPT_Pl ; -- Begin function _Z18upper_bound_kernelIxEvmPT_Pl
	.globl	_Z18upper_bound_kernelIxEvmPT_Pl
	.p2align	8
	.type	_Z18upper_bound_kernelIxEvmPT_Pl,@function
_Z18upper_bound_kernelIxEvmPT_Pl:       ; @_Z18upper_bound_kernelIxEvmPT_Pl
; %bb.0:
	s_clause 0x1
	s_load_dwordx4 s[0:3], s[4:5], 0x0
	s_load_dwordx2 s[4:5], s[4:5], 0x10
	s_waitcnt lgkmcnt(0)
	s_lshl_b64 s[0:1], s[0:1], 3
	s_add_u32 s0, s2, s0
	s_addc_u32 s1, s3, s1
	s_sub_u32 s0, s0, s2
	s_subb_u32 s1, s1, s3
	s_ashr_i64 s[6:7], s[0:1], 3
	s_mov_b32 s1, -1
	v_cmp_lt_i64_e64 s0, s[6:7], 1
	s_and_b32 s0, exec_lo, s0
	s_mov_b32 vcc_lo, s0
	s_cbranch_vccz .LBB211_2
; %bb.1:
	v_mov_b32_e32 v0, 0
	s_mov_b32 s1, 0
	v_mov_b32_e32 v1, v0
	global_store_dwordx2 v0, v[0:1], s[4:5]
.LBB211_2:
	s_andn2_b32 vcc_lo, exec_lo, s1
	s_mov_b64 s[8:9], 0
	s_cbranch_vccnz .LBB211_7
; %bb.3:
	s_mov_b64 s[10:11], s[6:7]
	.p2align	6
.LBB211_4:                              ; =>This Inner Loop Header: Depth=1
	s_sub_u32 s12, s10, s8
	s_subb_u32 s13, s11, s9
	s_lshr_b64 s[12:13], s[12:13], 1
	s_add_u32 s12, s12, s8
	s_addc_u32 s13, s13, s9
	s_lshl_b64 s[14:15], s[12:13], 3
	s_add_u32 s14, s2, s14
	s_addc_u32 s15, s3, s15
	s_load_dwordx2 s[14:15], s[14:15], 0x0
	s_waitcnt lgkmcnt(0)
	v_cmp_gt_i64_e64 s1, s[14:15], 0
	s_add_u32 s14, s12, 1
	s_addc_u32 s15, s13, 0
	s_and_b32 s1, s1, exec_lo
	s_cselect_b32 s9, s9, s15
	s_cselect_b32 s8, s8, s14
	;; [unrolled: 1-line block ×4, first 2 shown]
	v_cmp_lt_i64_e64 s1, s[8:9], s[10:11]
	s_and_b32 vcc_lo, exec_lo, s1
	s_cbranch_vccnz .LBB211_4
; %bb.5:
	s_lshl_b64 s[8:9], s[8:9], 3
	v_mov_b32_e32 v2, 0
	s_add_u32 s1, s2, s8
	s_addc_u32 s9, s3, s9
	s_sub_u32 s8, s1, s2
	s_subb_u32 s9, s9, s3
	s_mov_b64 s[10:11], s[6:7]
	s_ashr_i64 s[8:9], s[8:9], 3
	v_mov_b32_e32 v0, s8
	v_mov_b32_e32 v1, s9
	s_mov_b64 s[8:9], 0
	global_store_dwordx2 v2, v[0:1], s[4:5]
	.p2align	6
.LBB211_6:                              ; =>This Inner Loop Header: Depth=1
	s_sub_u32 s12, s10, s8
	s_subb_u32 s13, s11, s9
	s_lshr_b64 s[12:13], s[12:13], 1
	s_add_u32 s12, s12, s8
	s_addc_u32 s13, s13, s9
	s_lshl_b64 s[14:15], s[12:13], 3
	s_add_u32 s14, s2, s14
	s_addc_u32 s15, s3, s15
	s_load_dwordx2 s[14:15], s[14:15], 0x0
	s_waitcnt lgkmcnt(0)
	v_cmp_gt_i64_e64 s1, s[14:15], 1
	s_add_u32 s14, s12, 1
	s_addc_u32 s15, s13, 0
	s_and_b32 s1, s1, exec_lo
	s_cselect_b32 s9, s9, s15
	s_cselect_b32 s8, s8, s14
	;; [unrolled: 1-line block ×4, first 2 shown]
	v_cmp_ge_i64_e64 s1, s[8:9], s[10:11]
	s_and_b32 vcc_lo, exec_lo, s1
	s_cbranch_vccz .LBB211_6
.LBB211_7:
	s_lshl_b64 s[8:9], s[8:9], 3
	v_mov_b32_e32 v0, 0
	s_add_u32 s1, s2, s8
	s_addc_u32 s9, s3, s9
	s_sub_u32 s8, s1, s2
	s_subb_u32 s9, s9, s3
	s_mov_b32 s1, -1
	s_ashr_i64 s[8:9], s[8:9], 3
	s_mov_b32 vcc_lo, s0
	v_mov_b32_e32 v1, s8
	v_mov_b32_e32 v2, s9
	global_store_dwordx2 v0, v[1:2], s[4:5] offset:8
	s_cbranch_vccz .LBB211_9
; %bb.8:
	v_mov_b32_e32 v1, v0
	s_mov_b32 s1, 0
	global_store_dwordx2 v0, v[0:1], s[4:5] offset:16
.LBB211_9:
	s_andn2_b32 vcc_lo, exec_lo, s1
	s_mov_b64 s[8:9], 0
	s_cbranch_vccnz .LBB211_14
; %bb.10:
	s_mov_b64 s[10:11], s[6:7]
	.p2align	6
.LBB211_11:                             ; =>This Inner Loop Header: Depth=1
	s_sub_u32 s12, s10, s8
	s_subb_u32 s13, s11, s9
	s_lshr_b64 s[12:13], s[12:13], 1
	s_add_u32 s12, s12, s8
	s_addc_u32 s13, s13, s9
	s_lshl_b64 s[14:15], s[12:13], 3
	s_add_u32 s14, s2, s14
	s_addc_u32 s15, s3, s15
	s_load_dwordx2 s[14:15], s[14:15], 0x0
	s_waitcnt lgkmcnt(0)
	v_cmp_gt_i64_e64 s1, s[14:15], 2
	s_add_u32 s14, s12, 1
	s_addc_u32 s15, s13, 0
	s_and_b32 s1, s1, exec_lo
	s_cselect_b32 s9, s9, s15
	s_cselect_b32 s8, s8, s14
	;; [unrolled: 1-line block ×4, first 2 shown]
	v_cmp_lt_i64_e64 s1, s[8:9], s[10:11]
	s_and_b32 vcc_lo, exec_lo, s1
	s_cbranch_vccnz .LBB211_11
; %bb.12:
	s_lshl_b64 s[8:9], s[8:9], 3
	v_mov_b32_e32 v2, 0
	s_add_u32 s1, s2, s8
	s_addc_u32 s9, s3, s9
	s_sub_u32 s8, s1, s2
	s_subb_u32 s9, s9, s3
	s_mov_b64 s[10:11], s[6:7]
	s_ashr_i64 s[8:9], s[8:9], 3
	v_mov_b32_e32 v0, s8
	v_mov_b32_e32 v1, s9
	s_mov_b64 s[8:9], 0
	global_store_dwordx2 v2, v[0:1], s[4:5] offset:16
	.p2align	6
.LBB211_13:                             ; =>This Inner Loop Header: Depth=1
	s_sub_u32 s12, s10, s8
	s_subb_u32 s13, s11, s9
	s_lshr_b64 s[12:13], s[12:13], 1
	s_add_u32 s12, s12, s8
	s_addc_u32 s13, s13, s9
	s_lshl_b64 s[14:15], s[12:13], 3
	s_add_u32 s14, s2, s14
	s_addc_u32 s15, s3, s15
	s_load_dwordx2 s[14:15], s[14:15], 0x0
	s_waitcnt lgkmcnt(0)
	v_cmp_gt_i64_e64 s1, s[14:15], 3
	s_add_u32 s14, s12, 1
	s_addc_u32 s15, s13, 0
	s_and_b32 s1, s1, exec_lo
	s_cselect_b32 s9, s9, s15
	s_cselect_b32 s8, s8, s14
	;; [unrolled: 1-line block ×4, first 2 shown]
	v_cmp_ge_i64_e64 s1, s[8:9], s[10:11]
	s_and_b32 vcc_lo, exec_lo, s1
	s_cbranch_vccz .LBB211_13
.LBB211_14:
	s_lshl_b64 s[8:9], s[8:9], 3
	v_mov_b32_e32 v0, 0
	s_add_u32 s1, s2, s8
	s_addc_u32 s9, s3, s9
	s_sub_u32 s8, s1, s2
	s_subb_u32 s9, s9, s3
	s_mov_b32 s1, -1
	s_ashr_i64 s[8:9], s[8:9], 3
	s_mov_b32 vcc_lo, s0
	v_mov_b32_e32 v1, s8
	v_mov_b32_e32 v2, s9
	global_store_dwordx2 v0, v[1:2], s[4:5] offset:24
	s_cbranch_vccz .LBB211_16
; %bb.15:
	v_mov_b32_e32 v1, v0
	s_mov_b32 s1, 0
	global_store_dwordx2 v0, v[0:1], s[4:5] offset:32
.LBB211_16:
	s_andn2_b32 vcc_lo, exec_lo, s1
	s_mov_b64 s[8:9], 0
	s_cbranch_vccnz .LBB211_21
; %bb.17:
	s_mov_b64 s[10:11], s[6:7]
	.p2align	6
.LBB211_18:                             ; =>This Inner Loop Header: Depth=1
	s_sub_u32 s12, s10, s8
	s_subb_u32 s13, s11, s9
	s_lshr_b64 s[12:13], s[12:13], 1
	s_add_u32 s12, s12, s8
	s_addc_u32 s13, s13, s9
	s_lshl_b64 s[14:15], s[12:13], 3
	s_add_u32 s14, s2, s14
	s_addc_u32 s15, s3, s15
	s_load_dwordx2 s[14:15], s[14:15], 0x0
	s_waitcnt lgkmcnt(0)
	v_cmp_gt_i64_e64 s1, s[14:15], 4
	s_add_u32 s14, s12, 1
	s_addc_u32 s15, s13, 0
	s_and_b32 s1, s1, exec_lo
	s_cselect_b32 s9, s9, s15
	s_cselect_b32 s8, s8, s14
	;; [unrolled: 1-line block ×4, first 2 shown]
	v_cmp_lt_i64_e64 s1, s[8:9], s[10:11]
	s_and_b32 vcc_lo, exec_lo, s1
	s_cbranch_vccnz .LBB211_18
; %bb.19:
	s_lshl_b64 s[8:9], s[8:9], 3
	v_mov_b32_e32 v2, 0
	s_add_u32 s1, s2, s8
	s_addc_u32 s9, s3, s9
	s_sub_u32 s8, s1, s2
	s_subb_u32 s9, s9, s3
	s_mov_b64 s[10:11], s[6:7]
	s_ashr_i64 s[8:9], s[8:9], 3
	v_mov_b32_e32 v0, s8
	v_mov_b32_e32 v1, s9
	s_mov_b64 s[8:9], 0
	global_store_dwordx2 v2, v[0:1], s[4:5] offset:32
	.p2align	6
.LBB211_20:                             ; =>This Inner Loop Header: Depth=1
	s_sub_u32 s12, s10, s8
	s_subb_u32 s13, s11, s9
	s_lshr_b64 s[12:13], s[12:13], 1
	s_add_u32 s12, s12, s8
	s_addc_u32 s13, s13, s9
	s_lshl_b64 s[14:15], s[12:13], 3
	s_add_u32 s14, s2, s14
	s_addc_u32 s15, s3, s15
	s_load_dwordx2 s[14:15], s[14:15], 0x0
	s_waitcnt lgkmcnt(0)
	v_cmp_gt_i64_e64 s1, s[14:15], 5
	s_add_u32 s14, s12, 1
	s_addc_u32 s15, s13, 0
	s_and_b32 s1, s1, exec_lo
	s_cselect_b32 s9, s9, s15
	s_cselect_b32 s8, s8, s14
	;; [unrolled: 1-line block ×4, first 2 shown]
	v_cmp_ge_i64_e64 s1, s[8:9], s[10:11]
	s_and_b32 vcc_lo, exec_lo, s1
	s_cbranch_vccz .LBB211_20
.LBB211_21:
	s_lshl_b64 s[8:9], s[8:9], 3
	v_mov_b32_e32 v0, 0
	s_add_u32 s1, s2, s8
	s_addc_u32 s9, s3, s9
	s_sub_u32 s8, s1, s2
	s_subb_u32 s9, s9, s3
	s_mov_b32 s1, -1
	s_ashr_i64 s[8:9], s[8:9], 3
	s_mov_b32 vcc_lo, s0
	v_mov_b32_e32 v1, s8
	v_mov_b32_e32 v2, s9
	global_store_dwordx2 v0, v[1:2], s[4:5] offset:40
	s_cbranch_vccz .LBB211_23
; %bb.22:
	v_mov_b32_e32 v1, v0
	s_mov_b32 s1, 0
	global_store_dwordx2 v0, v[0:1], s[4:5] offset:48
.LBB211_23:
	s_andn2_b32 vcc_lo, exec_lo, s1
	s_mov_b64 s[8:9], 0
	s_cbranch_vccnz .LBB211_28
; %bb.24:
	s_mov_b64 s[10:11], s[6:7]
	.p2align	6
.LBB211_25:                             ; =>This Inner Loop Header: Depth=1
	s_sub_u32 s12, s10, s8
	s_subb_u32 s13, s11, s9
	s_lshr_b64 s[12:13], s[12:13], 1
	s_add_u32 s12, s12, s8
	s_addc_u32 s13, s13, s9
	s_lshl_b64 s[14:15], s[12:13], 3
	s_add_u32 s14, s2, s14
	s_addc_u32 s15, s3, s15
	s_load_dwordx2 s[14:15], s[14:15], 0x0
	s_waitcnt lgkmcnt(0)
	v_cmp_gt_i64_e64 s1, s[14:15], 6
	s_add_u32 s14, s12, 1
	s_addc_u32 s15, s13, 0
	s_and_b32 s1, s1, exec_lo
	s_cselect_b32 s9, s9, s15
	s_cselect_b32 s8, s8, s14
	;; [unrolled: 1-line block ×4, first 2 shown]
	v_cmp_lt_i64_e64 s1, s[8:9], s[10:11]
	s_and_b32 vcc_lo, exec_lo, s1
	s_cbranch_vccnz .LBB211_25
; %bb.26:
	s_lshl_b64 s[8:9], s[8:9], 3
	v_mov_b32_e32 v2, 0
	s_add_u32 s1, s2, s8
	s_addc_u32 s9, s3, s9
	s_sub_u32 s8, s1, s2
	s_subb_u32 s9, s9, s3
	s_mov_b64 s[10:11], s[6:7]
	s_ashr_i64 s[8:9], s[8:9], 3
	v_mov_b32_e32 v0, s8
	v_mov_b32_e32 v1, s9
	s_mov_b64 s[8:9], 0
	global_store_dwordx2 v2, v[0:1], s[4:5] offset:48
	.p2align	6
.LBB211_27:                             ; =>This Inner Loop Header: Depth=1
	s_sub_u32 s12, s10, s8
	s_subb_u32 s13, s11, s9
	s_lshr_b64 s[12:13], s[12:13], 1
	s_add_u32 s12, s12, s8
	s_addc_u32 s13, s13, s9
	s_lshl_b64 s[14:15], s[12:13], 3
	s_add_u32 s14, s2, s14
	s_addc_u32 s15, s3, s15
	s_load_dwordx2 s[14:15], s[14:15], 0x0
	s_waitcnt lgkmcnt(0)
	v_cmp_gt_i64_e64 s1, s[14:15], 7
	s_add_u32 s14, s12, 1
	s_addc_u32 s15, s13, 0
	s_and_b32 s1, s1, exec_lo
	s_cselect_b32 s9, s9, s15
	s_cselect_b32 s8, s8, s14
	s_cselect_b32 s11, s13, s11
	s_cselect_b32 s10, s12, s10
	v_cmp_ge_i64_e64 s1, s[8:9], s[10:11]
	s_and_b32 vcc_lo, exec_lo, s1
	s_cbranch_vccz .LBB211_27
.LBB211_28:
	s_lshl_b64 s[8:9], s[8:9], 3
	v_mov_b32_e32 v0, 0
	s_add_u32 s1, s2, s8
	s_addc_u32 s9, s3, s9
	s_sub_u32 s8, s1, s2
	s_subb_u32 s9, s9, s3
	s_mov_b32 s1, -1
	s_ashr_i64 s[8:9], s[8:9], 3
	s_mov_b32 vcc_lo, s0
	v_mov_b32_e32 v1, s8
	v_mov_b32_e32 v2, s9
	global_store_dwordx2 v0, v[1:2], s[4:5] offset:56
	s_cbranch_vccz .LBB211_30
; %bb.29:
	v_mov_b32_e32 v1, v0
	s_mov_b32 s1, 0
	global_store_dwordx2 v0, v[0:1], s[4:5] offset:64
.LBB211_30:
	s_andn2_b32 vcc_lo, exec_lo, s1
	s_mov_b64 s[0:1], 0
	s_cbranch_vccnz .LBB211_35
; %bb.31:
	s_mov_b64 s[8:9], s[6:7]
	.p2align	6
.LBB211_32:                             ; =>This Inner Loop Header: Depth=1
	s_sub_u32 s10, s8, s0
	s_subb_u32 s11, s9, s1
	s_lshr_b64 s[10:11], s[10:11], 1
	s_add_u32 s10, s10, s0
	s_addc_u32 s11, s11, s1
	s_lshl_b64 s[12:13], s[10:11], 3
	s_add_u32 s12, s2, s12
	s_addc_u32 s13, s3, s13
	s_load_dwordx2 s[12:13], s[12:13], 0x0
	s_waitcnt lgkmcnt(0)
	v_cmp_gt_i64_e64 s12, s[12:13], 8
	s_add_u32 s13, s10, 1
	s_addc_u32 s14, s11, 0
	s_and_b32 s12, s12, exec_lo
	s_cselect_b32 s1, s1, s14
	s_cselect_b32 s0, s0, s13
	;; [unrolled: 1-line block ×4, first 2 shown]
	v_cmp_lt_i64_e64 s10, s[0:1], s[8:9]
	s_and_b32 vcc_lo, exec_lo, s10
	s_cbranch_vccnz .LBB211_32
; %bb.33:
	s_lshl_b64 s[0:1], s[0:1], 3
	v_mov_b32_e32 v2, 0
	s_add_u32 s0, s2, s0
	s_addc_u32 s1, s3, s1
	s_sub_u32 s0, s0, s2
	s_subb_u32 s1, s1, s3
	s_ashr_i64 s[0:1], s[0:1], 3
	v_mov_b32_e32 v0, s0
	v_mov_b32_e32 v1, s1
	s_mov_b64 s[0:1], 0
	global_store_dwordx2 v2, v[0:1], s[4:5] offset:64
	.p2align	6
.LBB211_34:                             ; =>This Inner Loop Header: Depth=1
	s_sub_u32 s8, s6, s0
	s_subb_u32 s9, s7, s1
	s_lshr_b64 s[8:9], s[8:9], 1
	s_add_u32 s8, s8, s0
	s_addc_u32 s9, s9, s1
	s_lshl_b64 s[10:11], s[8:9], 3
	s_add_u32 s10, s2, s10
	s_addc_u32 s11, s3, s11
	s_load_dwordx2 s[10:11], s[10:11], 0x0
	s_waitcnt lgkmcnt(0)
	v_cmp_gt_i64_e64 s10, s[10:11], 9
	s_add_u32 s11, s8, 1
	s_addc_u32 s12, s9, 0
	s_and_b32 s10, s10, exec_lo
	s_cselect_b32 s1, s1, s12
	s_cselect_b32 s0, s0, s11
	;; [unrolled: 1-line block ×4, first 2 shown]
	v_cmp_ge_i64_e64 s8, s[0:1], s[6:7]
	s_and_b32 vcc_lo, exec_lo, s8
	s_cbranch_vccz .LBB211_34
.LBB211_35:
	s_lshl_b64 s[0:1], s[0:1], 3
	v_mov_b32_e32 v2, 0
	s_add_u32 s0, s2, s0
	s_addc_u32 s1, s3, s1
	s_sub_u32 s0, s0, s2
	s_subb_u32 s1, s1, s3
	s_ashr_i64 s[0:1], s[0:1], 3
	v_mov_b32_e32 v0, s0
	v_mov_b32_e32 v1, s1
	global_store_dwordx2 v2, v[0:1], s[4:5] offset:72
	s_endpgm
	.section	.rodata,"a",@progbits
	.p2align	6, 0x0
	.amdhsa_kernel _Z18upper_bound_kernelIxEvmPT_Pl
		.amdhsa_group_segment_fixed_size 0
		.amdhsa_private_segment_fixed_size 0
		.amdhsa_kernarg_size 24
		.amdhsa_user_sgpr_count 6
		.amdhsa_user_sgpr_private_segment_buffer 1
		.amdhsa_user_sgpr_dispatch_ptr 0
		.amdhsa_user_sgpr_queue_ptr 0
		.amdhsa_user_sgpr_kernarg_segment_ptr 1
		.amdhsa_user_sgpr_dispatch_id 0
		.amdhsa_user_sgpr_flat_scratch_init 0
		.amdhsa_user_sgpr_private_segment_size 0
		.amdhsa_wavefront_size32 1
		.amdhsa_uses_dynamic_stack 0
		.amdhsa_system_sgpr_private_segment_wavefront_offset 0
		.amdhsa_system_sgpr_workgroup_id_x 1
		.amdhsa_system_sgpr_workgroup_id_y 0
		.amdhsa_system_sgpr_workgroup_id_z 0
		.amdhsa_system_sgpr_workgroup_info 0
		.amdhsa_system_vgpr_workitem_id 0
		.amdhsa_next_free_vgpr 3
		.amdhsa_next_free_sgpr 16
		.amdhsa_reserve_vcc 1
		.amdhsa_reserve_flat_scratch 0
		.amdhsa_float_round_mode_32 0
		.amdhsa_float_round_mode_16_64 0
		.amdhsa_float_denorm_mode_32 3
		.amdhsa_float_denorm_mode_16_64 3
		.amdhsa_dx10_clamp 1
		.amdhsa_ieee_mode 1
		.amdhsa_fp16_overflow 0
		.amdhsa_workgroup_processor_mode 1
		.amdhsa_memory_ordered 1
		.amdhsa_forward_progress 1
		.amdhsa_shared_vgpr_count 0
		.amdhsa_exception_fp_ieee_invalid_op 0
		.amdhsa_exception_fp_denorm_src 0
		.amdhsa_exception_fp_ieee_div_zero 0
		.amdhsa_exception_fp_ieee_overflow 0
		.amdhsa_exception_fp_ieee_underflow 0
		.amdhsa_exception_fp_ieee_inexact 0
		.amdhsa_exception_int_div_zero 0
	.end_amdhsa_kernel
	.section	.text._Z18upper_bound_kernelIxEvmPT_Pl,"axG",@progbits,_Z18upper_bound_kernelIxEvmPT_Pl,comdat
.Lfunc_end211:
	.size	_Z18upper_bound_kernelIxEvmPT_Pl, .Lfunc_end211-_Z18upper_bound_kernelIxEvmPT_Pl
                                        ; -- End function
	.set _Z18upper_bound_kernelIxEvmPT_Pl.num_vgpr, 3
	.set _Z18upper_bound_kernelIxEvmPT_Pl.num_agpr, 0
	.set _Z18upper_bound_kernelIxEvmPT_Pl.numbered_sgpr, 16
	.set _Z18upper_bound_kernelIxEvmPT_Pl.num_named_barrier, 0
	.set _Z18upper_bound_kernelIxEvmPT_Pl.private_seg_size, 0
	.set _Z18upper_bound_kernelIxEvmPT_Pl.uses_vcc, 1
	.set _Z18upper_bound_kernelIxEvmPT_Pl.uses_flat_scratch, 0
	.set _Z18upper_bound_kernelIxEvmPT_Pl.has_dyn_sized_stack, 0
	.set _Z18upper_bound_kernelIxEvmPT_Pl.has_recursion, 0
	.set _Z18upper_bound_kernelIxEvmPT_Pl.has_indirect_call, 0
	.section	.AMDGPU.csdata,"",@progbits
; Kernel info:
; codeLenInByte = 2000
; TotalNumSgprs: 18
; NumVgprs: 3
; ScratchSize: 0
; MemoryBound: 0
; FloatMode: 240
; IeeeMode: 1
; LDSByteSize: 0 bytes/workgroup (compile time only)
; SGPRBlocks: 0
; VGPRBlocks: 0
; NumSGPRsForWavesPerEU: 18
; NumVGPRsForWavesPerEU: 3
; Occupancy: 16
; WaveLimiterHint : 0
; COMPUTE_PGM_RSRC2:SCRATCH_EN: 0
; COMPUTE_PGM_RSRC2:USER_SGPR: 6
; COMPUTE_PGM_RSRC2:TRAP_HANDLER: 0
; COMPUTE_PGM_RSRC2:TGID_X_EN: 1
; COMPUTE_PGM_RSRC2:TGID_Y_EN: 0
; COMPUTE_PGM_RSRC2:TGID_Z_EN: 0
; COMPUTE_PGM_RSRC2:TIDIG_COMP_CNT: 0
	.section	.text._ZN7rocprim17ROCPRIM_400000_NS6detail17trampoline_kernelINS0_14default_configENS1_27upper_bound_config_selectorIxlEEZNS1_14transform_implILb0ES3_S5_N6thrust23THRUST_200600_302600_NS6detail15normal_iteratorINS8_7pointerIxNS8_11hip_rocprim5par_tENS8_11use_defaultESE_EEEENSA_INSB_IlSD_SE_SE_EEEEZNS1_13binary_searchIS3_S5_PxSG_SI_NS1_21upper_bound_search_opENS9_16wrapped_functionINS8_6system6detail7generic6detail18binary_search_lessEbEEEE10hipError_tPvRmT1_T2_T3_mmT4_T5_P12ihipStream_tbEUlRKxE_EEST_SX_SY_mSZ_S12_bEUlT_E_NS1_11comp_targetILNS1_3genE0ELNS1_11target_archE4294967295ELNS1_3gpuE0ELNS1_3repE0EEENS1_30default_config_static_selectorELNS0_4arch9wavefront6targetE0EEEvSW_,"axG",@progbits,_ZN7rocprim17ROCPRIM_400000_NS6detail17trampoline_kernelINS0_14default_configENS1_27upper_bound_config_selectorIxlEEZNS1_14transform_implILb0ES3_S5_N6thrust23THRUST_200600_302600_NS6detail15normal_iteratorINS8_7pointerIxNS8_11hip_rocprim5par_tENS8_11use_defaultESE_EEEENSA_INSB_IlSD_SE_SE_EEEEZNS1_13binary_searchIS3_S5_PxSG_SI_NS1_21upper_bound_search_opENS9_16wrapped_functionINS8_6system6detail7generic6detail18binary_search_lessEbEEEE10hipError_tPvRmT1_T2_T3_mmT4_T5_P12ihipStream_tbEUlRKxE_EEST_SX_SY_mSZ_S12_bEUlT_E_NS1_11comp_targetILNS1_3genE0ELNS1_11target_archE4294967295ELNS1_3gpuE0ELNS1_3repE0EEENS1_30default_config_static_selectorELNS0_4arch9wavefront6targetE0EEEvSW_,comdat
	.protected	_ZN7rocprim17ROCPRIM_400000_NS6detail17trampoline_kernelINS0_14default_configENS1_27upper_bound_config_selectorIxlEEZNS1_14transform_implILb0ES3_S5_N6thrust23THRUST_200600_302600_NS6detail15normal_iteratorINS8_7pointerIxNS8_11hip_rocprim5par_tENS8_11use_defaultESE_EEEENSA_INSB_IlSD_SE_SE_EEEEZNS1_13binary_searchIS3_S5_PxSG_SI_NS1_21upper_bound_search_opENS9_16wrapped_functionINS8_6system6detail7generic6detail18binary_search_lessEbEEEE10hipError_tPvRmT1_T2_T3_mmT4_T5_P12ihipStream_tbEUlRKxE_EEST_SX_SY_mSZ_S12_bEUlT_E_NS1_11comp_targetILNS1_3genE0ELNS1_11target_archE4294967295ELNS1_3gpuE0ELNS1_3repE0EEENS1_30default_config_static_selectorELNS0_4arch9wavefront6targetE0EEEvSW_ ; -- Begin function _ZN7rocprim17ROCPRIM_400000_NS6detail17trampoline_kernelINS0_14default_configENS1_27upper_bound_config_selectorIxlEEZNS1_14transform_implILb0ES3_S5_N6thrust23THRUST_200600_302600_NS6detail15normal_iteratorINS8_7pointerIxNS8_11hip_rocprim5par_tENS8_11use_defaultESE_EEEENSA_INSB_IlSD_SE_SE_EEEEZNS1_13binary_searchIS3_S5_PxSG_SI_NS1_21upper_bound_search_opENS9_16wrapped_functionINS8_6system6detail7generic6detail18binary_search_lessEbEEEE10hipError_tPvRmT1_T2_T3_mmT4_T5_P12ihipStream_tbEUlRKxE_EEST_SX_SY_mSZ_S12_bEUlT_E_NS1_11comp_targetILNS1_3genE0ELNS1_11target_archE4294967295ELNS1_3gpuE0ELNS1_3repE0EEENS1_30default_config_static_selectorELNS0_4arch9wavefront6targetE0EEEvSW_
	.globl	_ZN7rocprim17ROCPRIM_400000_NS6detail17trampoline_kernelINS0_14default_configENS1_27upper_bound_config_selectorIxlEEZNS1_14transform_implILb0ES3_S5_N6thrust23THRUST_200600_302600_NS6detail15normal_iteratorINS8_7pointerIxNS8_11hip_rocprim5par_tENS8_11use_defaultESE_EEEENSA_INSB_IlSD_SE_SE_EEEEZNS1_13binary_searchIS3_S5_PxSG_SI_NS1_21upper_bound_search_opENS9_16wrapped_functionINS8_6system6detail7generic6detail18binary_search_lessEbEEEE10hipError_tPvRmT1_T2_T3_mmT4_T5_P12ihipStream_tbEUlRKxE_EEST_SX_SY_mSZ_S12_bEUlT_E_NS1_11comp_targetILNS1_3genE0ELNS1_11target_archE4294967295ELNS1_3gpuE0ELNS1_3repE0EEENS1_30default_config_static_selectorELNS0_4arch9wavefront6targetE0EEEvSW_
	.p2align	8
	.type	_ZN7rocprim17ROCPRIM_400000_NS6detail17trampoline_kernelINS0_14default_configENS1_27upper_bound_config_selectorIxlEEZNS1_14transform_implILb0ES3_S5_N6thrust23THRUST_200600_302600_NS6detail15normal_iteratorINS8_7pointerIxNS8_11hip_rocprim5par_tENS8_11use_defaultESE_EEEENSA_INSB_IlSD_SE_SE_EEEEZNS1_13binary_searchIS3_S5_PxSG_SI_NS1_21upper_bound_search_opENS9_16wrapped_functionINS8_6system6detail7generic6detail18binary_search_lessEbEEEE10hipError_tPvRmT1_T2_T3_mmT4_T5_P12ihipStream_tbEUlRKxE_EEST_SX_SY_mSZ_S12_bEUlT_E_NS1_11comp_targetILNS1_3genE0ELNS1_11target_archE4294967295ELNS1_3gpuE0ELNS1_3repE0EEENS1_30default_config_static_selectorELNS0_4arch9wavefront6targetE0EEEvSW_,@function
_ZN7rocprim17ROCPRIM_400000_NS6detail17trampoline_kernelINS0_14default_configENS1_27upper_bound_config_selectorIxlEEZNS1_14transform_implILb0ES3_S5_N6thrust23THRUST_200600_302600_NS6detail15normal_iteratorINS8_7pointerIxNS8_11hip_rocprim5par_tENS8_11use_defaultESE_EEEENSA_INSB_IlSD_SE_SE_EEEEZNS1_13binary_searchIS3_S5_PxSG_SI_NS1_21upper_bound_search_opENS9_16wrapped_functionINS8_6system6detail7generic6detail18binary_search_lessEbEEEE10hipError_tPvRmT1_T2_T3_mmT4_T5_P12ihipStream_tbEUlRKxE_EEST_SX_SY_mSZ_S12_bEUlT_E_NS1_11comp_targetILNS1_3genE0ELNS1_11target_archE4294967295ELNS1_3gpuE0ELNS1_3repE0EEENS1_30default_config_static_selectorELNS0_4arch9wavefront6targetE0EEEvSW_: ; @_ZN7rocprim17ROCPRIM_400000_NS6detail17trampoline_kernelINS0_14default_configENS1_27upper_bound_config_selectorIxlEEZNS1_14transform_implILb0ES3_S5_N6thrust23THRUST_200600_302600_NS6detail15normal_iteratorINS8_7pointerIxNS8_11hip_rocprim5par_tENS8_11use_defaultESE_EEEENSA_INSB_IlSD_SE_SE_EEEEZNS1_13binary_searchIS3_S5_PxSG_SI_NS1_21upper_bound_search_opENS9_16wrapped_functionINS8_6system6detail7generic6detail18binary_search_lessEbEEEE10hipError_tPvRmT1_T2_T3_mmT4_T5_P12ihipStream_tbEUlRKxE_EEST_SX_SY_mSZ_S12_bEUlT_E_NS1_11comp_targetILNS1_3genE0ELNS1_11target_archE4294967295ELNS1_3gpuE0ELNS1_3repE0EEENS1_30default_config_static_selectorELNS0_4arch9wavefront6targetE0EEEvSW_
; %bb.0:
	.section	.rodata,"a",@progbits
	.p2align	6, 0x0
	.amdhsa_kernel _ZN7rocprim17ROCPRIM_400000_NS6detail17trampoline_kernelINS0_14default_configENS1_27upper_bound_config_selectorIxlEEZNS1_14transform_implILb0ES3_S5_N6thrust23THRUST_200600_302600_NS6detail15normal_iteratorINS8_7pointerIxNS8_11hip_rocprim5par_tENS8_11use_defaultESE_EEEENSA_INSB_IlSD_SE_SE_EEEEZNS1_13binary_searchIS3_S5_PxSG_SI_NS1_21upper_bound_search_opENS9_16wrapped_functionINS8_6system6detail7generic6detail18binary_search_lessEbEEEE10hipError_tPvRmT1_T2_T3_mmT4_T5_P12ihipStream_tbEUlRKxE_EEST_SX_SY_mSZ_S12_bEUlT_E_NS1_11comp_targetILNS1_3genE0ELNS1_11target_archE4294967295ELNS1_3gpuE0ELNS1_3repE0EEENS1_30default_config_static_selectorELNS0_4arch9wavefront6targetE0EEEvSW_
		.amdhsa_group_segment_fixed_size 0
		.amdhsa_private_segment_fixed_size 0
		.amdhsa_kernarg_size 56
		.amdhsa_user_sgpr_count 6
		.amdhsa_user_sgpr_private_segment_buffer 1
		.amdhsa_user_sgpr_dispatch_ptr 0
		.amdhsa_user_sgpr_queue_ptr 0
		.amdhsa_user_sgpr_kernarg_segment_ptr 1
		.amdhsa_user_sgpr_dispatch_id 0
		.amdhsa_user_sgpr_flat_scratch_init 0
		.amdhsa_user_sgpr_private_segment_size 0
		.amdhsa_wavefront_size32 1
		.amdhsa_uses_dynamic_stack 0
		.amdhsa_system_sgpr_private_segment_wavefront_offset 0
		.amdhsa_system_sgpr_workgroup_id_x 1
		.amdhsa_system_sgpr_workgroup_id_y 0
		.amdhsa_system_sgpr_workgroup_id_z 0
		.amdhsa_system_sgpr_workgroup_info 0
		.amdhsa_system_vgpr_workitem_id 0
		.amdhsa_next_free_vgpr 1
		.amdhsa_next_free_sgpr 1
		.amdhsa_reserve_vcc 0
		.amdhsa_reserve_flat_scratch 0
		.amdhsa_float_round_mode_32 0
		.amdhsa_float_round_mode_16_64 0
		.amdhsa_float_denorm_mode_32 3
		.amdhsa_float_denorm_mode_16_64 3
		.amdhsa_dx10_clamp 1
		.amdhsa_ieee_mode 1
		.amdhsa_fp16_overflow 0
		.amdhsa_workgroup_processor_mode 1
		.amdhsa_memory_ordered 1
		.amdhsa_forward_progress 1
		.amdhsa_shared_vgpr_count 0
		.amdhsa_exception_fp_ieee_invalid_op 0
		.amdhsa_exception_fp_denorm_src 0
		.amdhsa_exception_fp_ieee_div_zero 0
		.amdhsa_exception_fp_ieee_overflow 0
		.amdhsa_exception_fp_ieee_underflow 0
		.amdhsa_exception_fp_ieee_inexact 0
		.amdhsa_exception_int_div_zero 0
	.end_amdhsa_kernel
	.section	.text._ZN7rocprim17ROCPRIM_400000_NS6detail17trampoline_kernelINS0_14default_configENS1_27upper_bound_config_selectorIxlEEZNS1_14transform_implILb0ES3_S5_N6thrust23THRUST_200600_302600_NS6detail15normal_iteratorINS8_7pointerIxNS8_11hip_rocprim5par_tENS8_11use_defaultESE_EEEENSA_INSB_IlSD_SE_SE_EEEEZNS1_13binary_searchIS3_S5_PxSG_SI_NS1_21upper_bound_search_opENS9_16wrapped_functionINS8_6system6detail7generic6detail18binary_search_lessEbEEEE10hipError_tPvRmT1_T2_T3_mmT4_T5_P12ihipStream_tbEUlRKxE_EEST_SX_SY_mSZ_S12_bEUlT_E_NS1_11comp_targetILNS1_3genE0ELNS1_11target_archE4294967295ELNS1_3gpuE0ELNS1_3repE0EEENS1_30default_config_static_selectorELNS0_4arch9wavefront6targetE0EEEvSW_,"axG",@progbits,_ZN7rocprim17ROCPRIM_400000_NS6detail17trampoline_kernelINS0_14default_configENS1_27upper_bound_config_selectorIxlEEZNS1_14transform_implILb0ES3_S5_N6thrust23THRUST_200600_302600_NS6detail15normal_iteratorINS8_7pointerIxNS8_11hip_rocprim5par_tENS8_11use_defaultESE_EEEENSA_INSB_IlSD_SE_SE_EEEEZNS1_13binary_searchIS3_S5_PxSG_SI_NS1_21upper_bound_search_opENS9_16wrapped_functionINS8_6system6detail7generic6detail18binary_search_lessEbEEEE10hipError_tPvRmT1_T2_T3_mmT4_T5_P12ihipStream_tbEUlRKxE_EEST_SX_SY_mSZ_S12_bEUlT_E_NS1_11comp_targetILNS1_3genE0ELNS1_11target_archE4294967295ELNS1_3gpuE0ELNS1_3repE0EEENS1_30default_config_static_selectorELNS0_4arch9wavefront6targetE0EEEvSW_,comdat
.Lfunc_end212:
	.size	_ZN7rocprim17ROCPRIM_400000_NS6detail17trampoline_kernelINS0_14default_configENS1_27upper_bound_config_selectorIxlEEZNS1_14transform_implILb0ES3_S5_N6thrust23THRUST_200600_302600_NS6detail15normal_iteratorINS8_7pointerIxNS8_11hip_rocprim5par_tENS8_11use_defaultESE_EEEENSA_INSB_IlSD_SE_SE_EEEEZNS1_13binary_searchIS3_S5_PxSG_SI_NS1_21upper_bound_search_opENS9_16wrapped_functionINS8_6system6detail7generic6detail18binary_search_lessEbEEEE10hipError_tPvRmT1_T2_T3_mmT4_T5_P12ihipStream_tbEUlRKxE_EEST_SX_SY_mSZ_S12_bEUlT_E_NS1_11comp_targetILNS1_3genE0ELNS1_11target_archE4294967295ELNS1_3gpuE0ELNS1_3repE0EEENS1_30default_config_static_selectorELNS0_4arch9wavefront6targetE0EEEvSW_, .Lfunc_end212-_ZN7rocprim17ROCPRIM_400000_NS6detail17trampoline_kernelINS0_14default_configENS1_27upper_bound_config_selectorIxlEEZNS1_14transform_implILb0ES3_S5_N6thrust23THRUST_200600_302600_NS6detail15normal_iteratorINS8_7pointerIxNS8_11hip_rocprim5par_tENS8_11use_defaultESE_EEEENSA_INSB_IlSD_SE_SE_EEEEZNS1_13binary_searchIS3_S5_PxSG_SI_NS1_21upper_bound_search_opENS9_16wrapped_functionINS8_6system6detail7generic6detail18binary_search_lessEbEEEE10hipError_tPvRmT1_T2_T3_mmT4_T5_P12ihipStream_tbEUlRKxE_EEST_SX_SY_mSZ_S12_bEUlT_E_NS1_11comp_targetILNS1_3genE0ELNS1_11target_archE4294967295ELNS1_3gpuE0ELNS1_3repE0EEENS1_30default_config_static_selectorELNS0_4arch9wavefront6targetE0EEEvSW_
                                        ; -- End function
	.set _ZN7rocprim17ROCPRIM_400000_NS6detail17trampoline_kernelINS0_14default_configENS1_27upper_bound_config_selectorIxlEEZNS1_14transform_implILb0ES3_S5_N6thrust23THRUST_200600_302600_NS6detail15normal_iteratorINS8_7pointerIxNS8_11hip_rocprim5par_tENS8_11use_defaultESE_EEEENSA_INSB_IlSD_SE_SE_EEEEZNS1_13binary_searchIS3_S5_PxSG_SI_NS1_21upper_bound_search_opENS9_16wrapped_functionINS8_6system6detail7generic6detail18binary_search_lessEbEEEE10hipError_tPvRmT1_T2_T3_mmT4_T5_P12ihipStream_tbEUlRKxE_EEST_SX_SY_mSZ_S12_bEUlT_E_NS1_11comp_targetILNS1_3genE0ELNS1_11target_archE4294967295ELNS1_3gpuE0ELNS1_3repE0EEENS1_30default_config_static_selectorELNS0_4arch9wavefront6targetE0EEEvSW_.num_vgpr, 0
	.set _ZN7rocprim17ROCPRIM_400000_NS6detail17trampoline_kernelINS0_14default_configENS1_27upper_bound_config_selectorIxlEEZNS1_14transform_implILb0ES3_S5_N6thrust23THRUST_200600_302600_NS6detail15normal_iteratorINS8_7pointerIxNS8_11hip_rocprim5par_tENS8_11use_defaultESE_EEEENSA_INSB_IlSD_SE_SE_EEEEZNS1_13binary_searchIS3_S5_PxSG_SI_NS1_21upper_bound_search_opENS9_16wrapped_functionINS8_6system6detail7generic6detail18binary_search_lessEbEEEE10hipError_tPvRmT1_T2_T3_mmT4_T5_P12ihipStream_tbEUlRKxE_EEST_SX_SY_mSZ_S12_bEUlT_E_NS1_11comp_targetILNS1_3genE0ELNS1_11target_archE4294967295ELNS1_3gpuE0ELNS1_3repE0EEENS1_30default_config_static_selectorELNS0_4arch9wavefront6targetE0EEEvSW_.num_agpr, 0
	.set _ZN7rocprim17ROCPRIM_400000_NS6detail17trampoline_kernelINS0_14default_configENS1_27upper_bound_config_selectorIxlEEZNS1_14transform_implILb0ES3_S5_N6thrust23THRUST_200600_302600_NS6detail15normal_iteratorINS8_7pointerIxNS8_11hip_rocprim5par_tENS8_11use_defaultESE_EEEENSA_INSB_IlSD_SE_SE_EEEEZNS1_13binary_searchIS3_S5_PxSG_SI_NS1_21upper_bound_search_opENS9_16wrapped_functionINS8_6system6detail7generic6detail18binary_search_lessEbEEEE10hipError_tPvRmT1_T2_T3_mmT4_T5_P12ihipStream_tbEUlRKxE_EEST_SX_SY_mSZ_S12_bEUlT_E_NS1_11comp_targetILNS1_3genE0ELNS1_11target_archE4294967295ELNS1_3gpuE0ELNS1_3repE0EEENS1_30default_config_static_selectorELNS0_4arch9wavefront6targetE0EEEvSW_.numbered_sgpr, 0
	.set _ZN7rocprim17ROCPRIM_400000_NS6detail17trampoline_kernelINS0_14default_configENS1_27upper_bound_config_selectorIxlEEZNS1_14transform_implILb0ES3_S5_N6thrust23THRUST_200600_302600_NS6detail15normal_iteratorINS8_7pointerIxNS8_11hip_rocprim5par_tENS8_11use_defaultESE_EEEENSA_INSB_IlSD_SE_SE_EEEEZNS1_13binary_searchIS3_S5_PxSG_SI_NS1_21upper_bound_search_opENS9_16wrapped_functionINS8_6system6detail7generic6detail18binary_search_lessEbEEEE10hipError_tPvRmT1_T2_T3_mmT4_T5_P12ihipStream_tbEUlRKxE_EEST_SX_SY_mSZ_S12_bEUlT_E_NS1_11comp_targetILNS1_3genE0ELNS1_11target_archE4294967295ELNS1_3gpuE0ELNS1_3repE0EEENS1_30default_config_static_selectorELNS0_4arch9wavefront6targetE0EEEvSW_.num_named_barrier, 0
	.set _ZN7rocprim17ROCPRIM_400000_NS6detail17trampoline_kernelINS0_14default_configENS1_27upper_bound_config_selectorIxlEEZNS1_14transform_implILb0ES3_S5_N6thrust23THRUST_200600_302600_NS6detail15normal_iteratorINS8_7pointerIxNS8_11hip_rocprim5par_tENS8_11use_defaultESE_EEEENSA_INSB_IlSD_SE_SE_EEEEZNS1_13binary_searchIS3_S5_PxSG_SI_NS1_21upper_bound_search_opENS9_16wrapped_functionINS8_6system6detail7generic6detail18binary_search_lessEbEEEE10hipError_tPvRmT1_T2_T3_mmT4_T5_P12ihipStream_tbEUlRKxE_EEST_SX_SY_mSZ_S12_bEUlT_E_NS1_11comp_targetILNS1_3genE0ELNS1_11target_archE4294967295ELNS1_3gpuE0ELNS1_3repE0EEENS1_30default_config_static_selectorELNS0_4arch9wavefront6targetE0EEEvSW_.private_seg_size, 0
	.set _ZN7rocprim17ROCPRIM_400000_NS6detail17trampoline_kernelINS0_14default_configENS1_27upper_bound_config_selectorIxlEEZNS1_14transform_implILb0ES3_S5_N6thrust23THRUST_200600_302600_NS6detail15normal_iteratorINS8_7pointerIxNS8_11hip_rocprim5par_tENS8_11use_defaultESE_EEEENSA_INSB_IlSD_SE_SE_EEEEZNS1_13binary_searchIS3_S5_PxSG_SI_NS1_21upper_bound_search_opENS9_16wrapped_functionINS8_6system6detail7generic6detail18binary_search_lessEbEEEE10hipError_tPvRmT1_T2_T3_mmT4_T5_P12ihipStream_tbEUlRKxE_EEST_SX_SY_mSZ_S12_bEUlT_E_NS1_11comp_targetILNS1_3genE0ELNS1_11target_archE4294967295ELNS1_3gpuE0ELNS1_3repE0EEENS1_30default_config_static_selectorELNS0_4arch9wavefront6targetE0EEEvSW_.uses_vcc, 0
	.set _ZN7rocprim17ROCPRIM_400000_NS6detail17trampoline_kernelINS0_14default_configENS1_27upper_bound_config_selectorIxlEEZNS1_14transform_implILb0ES3_S5_N6thrust23THRUST_200600_302600_NS6detail15normal_iteratorINS8_7pointerIxNS8_11hip_rocprim5par_tENS8_11use_defaultESE_EEEENSA_INSB_IlSD_SE_SE_EEEEZNS1_13binary_searchIS3_S5_PxSG_SI_NS1_21upper_bound_search_opENS9_16wrapped_functionINS8_6system6detail7generic6detail18binary_search_lessEbEEEE10hipError_tPvRmT1_T2_T3_mmT4_T5_P12ihipStream_tbEUlRKxE_EEST_SX_SY_mSZ_S12_bEUlT_E_NS1_11comp_targetILNS1_3genE0ELNS1_11target_archE4294967295ELNS1_3gpuE0ELNS1_3repE0EEENS1_30default_config_static_selectorELNS0_4arch9wavefront6targetE0EEEvSW_.uses_flat_scratch, 0
	.set _ZN7rocprim17ROCPRIM_400000_NS6detail17trampoline_kernelINS0_14default_configENS1_27upper_bound_config_selectorIxlEEZNS1_14transform_implILb0ES3_S5_N6thrust23THRUST_200600_302600_NS6detail15normal_iteratorINS8_7pointerIxNS8_11hip_rocprim5par_tENS8_11use_defaultESE_EEEENSA_INSB_IlSD_SE_SE_EEEEZNS1_13binary_searchIS3_S5_PxSG_SI_NS1_21upper_bound_search_opENS9_16wrapped_functionINS8_6system6detail7generic6detail18binary_search_lessEbEEEE10hipError_tPvRmT1_T2_T3_mmT4_T5_P12ihipStream_tbEUlRKxE_EEST_SX_SY_mSZ_S12_bEUlT_E_NS1_11comp_targetILNS1_3genE0ELNS1_11target_archE4294967295ELNS1_3gpuE0ELNS1_3repE0EEENS1_30default_config_static_selectorELNS0_4arch9wavefront6targetE0EEEvSW_.has_dyn_sized_stack, 0
	.set _ZN7rocprim17ROCPRIM_400000_NS6detail17trampoline_kernelINS0_14default_configENS1_27upper_bound_config_selectorIxlEEZNS1_14transform_implILb0ES3_S5_N6thrust23THRUST_200600_302600_NS6detail15normal_iteratorINS8_7pointerIxNS8_11hip_rocprim5par_tENS8_11use_defaultESE_EEEENSA_INSB_IlSD_SE_SE_EEEEZNS1_13binary_searchIS3_S5_PxSG_SI_NS1_21upper_bound_search_opENS9_16wrapped_functionINS8_6system6detail7generic6detail18binary_search_lessEbEEEE10hipError_tPvRmT1_T2_T3_mmT4_T5_P12ihipStream_tbEUlRKxE_EEST_SX_SY_mSZ_S12_bEUlT_E_NS1_11comp_targetILNS1_3genE0ELNS1_11target_archE4294967295ELNS1_3gpuE0ELNS1_3repE0EEENS1_30default_config_static_selectorELNS0_4arch9wavefront6targetE0EEEvSW_.has_recursion, 0
	.set _ZN7rocprim17ROCPRIM_400000_NS6detail17trampoline_kernelINS0_14default_configENS1_27upper_bound_config_selectorIxlEEZNS1_14transform_implILb0ES3_S5_N6thrust23THRUST_200600_302600_NS6detail15normal_iteratorINS8_7pointerIxNS8_11hip_rocprim5par_tENS8_11use_defaultESE_EEEENSA_INSB_IlSD_SE_SE_EEEEZNS1_13binary_searchIS3_S5_PxSG_SI_NS1_21upper_bound_search_opENS9_16wrapped_functionINS8_6system6detail7generic6detail18binary_search_lessEbEEEE10hipError_tPvRmT1_T2_T3_mmT4_T5_P12ihipStream_tbEUlRKxE_EEST_SX_SY_mSZ_S12_bEUlT_E_NS1_11comp_targetILNS1_3genE0ELNS1_11target_archE4294967295ELNS1_3gpuE0ELNS1_3repE0EEENS1_30default_config_static_selectorELNS0_4arch9wavefront6targetE0EEEvSW_.has_indirect_call, 0
	.section	.AMDGPU.csdata,"",@progbits
; Kernel info:
; codeLenInByte = 0
; TotalNumSgprs: 0
; NumVgprs: 0
; ScratchSize: 0
; MemoryBound: 0
; FloatMode: 240
; IeeeMode: 1
; LDSByteSize: 0 bytes/workgroup (compile time only)
; SGPRBlocks: 0
; VGPRBlocks: 0
; NumSGPRsForWavesPerEU: 1
; NumVGPRsForWavesPerEU: 1
; Occupancy: 16
; WaveLimiterHint : 0
; COMPUTE_PGM_RSRC2:SCRATCH_EN: 0
; COMPUTE_PGM_RSRC2:USER_SGPR: 6
; COMPUTE_PGM_RSRC2:TRAP_HANDLER: 0
; COMPUTE_PGM_RSRC2:TGID_X_EN: 1
; COMPUTE_PGM_RSRC2:TGID_Y_EN: 0
; COMPUTE_PGM_RSRC2:TGID_Z_EN: 0
; COMPUTE_PGM_RSRC2:TIDIG_COMP_CNT: 0
	.section	.text._ZN7rocprim17ROCPRIM_400000_NS6detail17trampoline_kernelINS0_14default_configENS1_27upper_bound_config_selectorIxlEEZNS1_14transform_implILb0ES3_S5_N6thrust23THRUST_200600_302600_NS6detail15normal_iteratorINS8_7pointerIxNS8_11hip_rocprim5par_tENS8_11use_defaultESE_EEEENSA_INSB_IlSD_SE_SE_EEEEZNS1_13binary_searchIS3_S5_PxSG_SI_NS1_21upper_bound_search_opENS9_16wrapped_functionINS8_6system6detail7generic6detail18binary_search_lessEbEEEE10hipError_tPvRmT1_T2_T3_mmT4_T5_P12ihipStream_tbEUlRKxE_EEST_SX_SY_mSZ_S12_bEUlT_E_NS1_11comp_targetILNS1_3genE5ELNS1_11target_archE942ELNS1_3gpuE9ELNS1_3repE0EEENS1_30default_config_static_selectorELNS0_4arch9wavefront6targetE0EEEvSW_,"axG",@progbits,_ZN7rocprim17ROCPRIM_400000_NS6detail17trampoline_kernelINS0_14default_configENS1_27upper_bound_config_selectorIxlEEZNS1_14transform_implILb0ES3_S5_N6thrust23THRUST_200600_302600_NS6detail15normal_iteratorINS8_7pointerIxNS8_11hip_rocprim5par_tENS8_11use_defaultESE_EEEENSA_INSB_IlSD_SE_SE_EEEEZNS1_13binary_searchIS3_S5_PxSG_SI_NS1_21upper_bound_search_opENS9_16wrapped_functionINS8_6system6detail7generic6detail18binary_search_lessEbEEEE10hipError_tPvRmT1_T2_T3_mmT4_T5_P12ihipStream_tbEUlRKxE_EEST_SX_SY_mSZ_S12_bEUlT_E_NS1_11comp_targetILNS1_3genE5ELNS1_11target_archE942ELNS1_3gpuE9ELNS1_3repE0EEENS1_30default_config_static_selectorELNS0_4arch9wavefront6targetE0EEEvSW_,comdat
	.protected	_ZN7rocprim17ROCPRIM_400000_NS6detail17trampoline_kernelINS0_14default_configENS1_27upper_bound_config_selectorIxlEEZNS1_14transform_implILb0ES3_S5_N6thrust23THRUST_200600_302600_NS6detail15normal_iteratorINS8_7pointerIxNS8_11hip_rocprim5par_tENS8_11use_defaultESE_EEEENSA_INSB_IlSD_SE_SE_EEEEZNS1_13binary_searchIS3_S5_PxSG_SI_NS1_21upper_bound_search_opENS9_16wrapped_functionINS8_6system6detail7generic6detail18binary_search_lessEbEEEE10hipError_tPvRmT1_T2_T3_mmT4_T5_P12ihipStream_tbEUlRKxE_EEST_SX_SY_mSZ_S12_bEUlT_E_NS1_11comp_targetILNS1_3genE5ELNS1_11target_archE942ELNS1_3gpuE9ELNS1_3repE0EEENS1_30default_config_static_selectorELNS0_4arch9wavefront6targetE0EEEvSW_ ; -- Begin function _ZN7rocprim17ROCPRIM_400000_NS6detail17trampoline_kernelINS0_14default_configENS1_27upper_bound_config_selectorIxlEEZNS1_14transform_implILb0ES3_S5_N6thrust23THRUST_200600_302600_NS6detail15normal_iteratorINS8_7pointerIxNS8_11hip_rocprim5par_tENS8_11use_defaultESE_EEEENSA_INSB_IlSD_SE_SE_EEEEZNS1_13binary_searchIS3_S5_PxSG_SI_NS1_21upper_bound_search_opENS9_16wrapped_functionINS8_6system6detail7generic6detail18binary_search_lessEbEEEE10hipError_tPvRmT1_T2_T3_mmT4_T5_P12ihipStream_tbEUlRKxE_EEST_SX_SY_mSZ_S12_bEUlT_E_NS1_11comp_targetILNS1_3genE5ELNS1_11target_archE942ELNS1_3gpuE9ELNS1_3repE0EEENS1_30default_config_static_selectorELNS0_4arch9wavefront6targetE0EEEvSW_
	.globl	_ZN7rocprim17ROCPRIM_400000_NS6detail17trampoline_kernelINS0_14default_configENS1_27upper_bound_config_selectorIxlEEZNS1_14transform_implILb0ES3_S5_N6thrust23THRUST_200600_302600_NS6detail15normal_iteratorINS8_7pointerIxNS8_11hip_rocprim5par_tENS8_11use_defaultESE_EEEENSA_INSB_IlSD_SE_SE_EEEEZNS1_13binary_searchIS3_S5_PxSG_SI_NS1_21upper_bound_search_opENS9_16wrapped_functionINS8_6system6detail7generic6detail18binary_search_lessEbEEEE10hipError_tPvRmT1_T2_T3_mmT4_T5_P12ihipStream_tbEUlRKxE_EEST_SX_SY_mSZ_S12_bEUlT_E_NS1_11comp_targetILNS1_3genE5ELNS1_11target_archE942ELNS1_3gpuE9ELNS1_3repE0EEENS1_30default_config_static_selectorELNS0_4arch9wavefront6targetE0EEEvSW_
	.p2align	8
	.type	_ZN7rocprim17ROCPRIM_400000_NS6detail17trampoline_kernelINS0_14default_configENS1_27upper_bound_config_selectorIxlEEZNS1_14transform_implILb0ES3_S5_N6thrust23THRUST_200600_302600_NS6detail15normal_iteratorINS8_7pointerIxNS8_11hip_rocprim5par_tENS8_11use_defaultESE_EEEENSA_INSB_IlSD_SE_SE_EEEEZNS1_13binary_searchIS3_S5_PxSG_SI_NS1_21upper_bound_search_opENS9_16wrapped_functionINS8_6system6detail7generic6detail18binary_search_lessEbEEEE10hipError_tPvRmT1_T2_T3_mmT4_T5_P12ihipStream_tbEUlRKxE_EEST_SX_SY_mSZ_S12_bEUlT_E_NS1_11comp_targetILNS1_3genE5ELNS1_11target_archE942ELNS1_3gpuE9ELNS1_3repE0EEENS1_30default_config_static_selectorELNS0_4arch9wavefront6targetE0EEEvSW_,@function
_ZN7rocprim17ROCPRIM_400000_NS6detail17trampoline_kernelINS0_14default_configENS1_27upper_bound_config_selectorIxlEEZNS1_14transform_implILb0ES3_S5_N6thrust23THRUST_200600_302600_NS6detail15normal_iteratorINS8_7pointerIxNS8_11hip_rocprim5par_tENS8_11use_defaultESE_EEEENSA_INSB_IlSD_SE_SE_EEEEZNS1_13binary_searchIS3_S5_PxSG_SI_NS1_21upper_bound_search_opENS9_16wrapped_functionINS8_6system6detail7generic6detail18binary_search_lessEbEEEE10hipError_tPvRmT1_T2_T3_mmT4_T5_P12ihipStream_tbEUlRKxE_EEST_SX_SY_mSZ_S12_bEUlT_E_NS1_11comp_targetILNS1_3genE5ELNS1_11target_archE942ELNS1_3gpuE9ELNS1_3repE0EEENS1_30default_config_static_selectorELNS0_4arch9wavefront6targetE0EEEvSW_: ; @_ZN7rocprim17ROCPRIM_400000_NS6detail17trampoline_kernelINS0_14default_configENS1_27upper_bound_config_selectorIxlEEZNS1_14transform_implILb0ES3_S5_N6thrust23THRUST_200600_302600_NS6detail15normal_iteratorINS8_7pointerIxNS8_11hip_rocprim5par_tENS8_11use_defaultESE_EEEENSA_INSB_IlSD_SE_SE_EEEEZNS1_13binary_searchIS3_S5_PxSG_SI_NS1_21upper_bound_search_opENS9_16wrapped_functionINS8_6system6detail7generic6detail18binary_search_lessEbEEEE10hipError_tPvRmT1_T2_T3_mmT4_T5_P12ihipStream_tbEUlRKxE_EEST_SX_SY_mSZ_S12_bEUlT_E_NS1_11comp_targetILNS1_3genE5ELNS1_11target_archE942ELNS1_3gpuE9ELNS1_3repE0EEENS1_30default_config_static_selectorELNS0_4arch9wavefront6targetE0EEEvSW_
; %bb.0:
	.section	.rodata,"a",@progbits
	.p2align	6, 0x0
	.amdhsa_kernel _ZN7rocprim17ROCPRIM_400000_NS6detail17trampoline_kernelINS0_14default_configENS1_27upper_bound_config_selectorIxlEEZNS1_14transform_implILb0ES3_S5_N6thrust23THRUST_200600_302600_NS6detail15normal_iteratorINS8_7pointerIxNS8_11hip_rocprim5par_tENS8_11use_defaultESE_EEEENSA_INSB_IlSD_SE_SE_EEEEZNS1_13binary_searchIS3_S5_PxSG_SI_NS1_21upper_bound_search_opENS9_16wrapped_functionINS8_6system6detail7generic6detail18binary_search_lessEbEEEE10hipError_tPvRmT1_T2_T3_mmT4_T5_P12ihipStream_tbEUlRKxE_EEST_SX_SY_mSZ_S12_bEUlT_E_NS1_11comp_targetILNS1_3genE5ELNS1_11target_archE942ELNS1_3gpuE9ELNS1_3repE0EEENS1_30default_config_static_selectorELNS0_4arch9wavefront6targetE0EEEvSW_
		.amdhsa_group_segment_fixed_size 0
		.amdhsa_private_segment_fixed_size 0
		.amdhsa_kernarg_size 56
		.amdhsa_user_sgpr_count 6
		.amdhsa_user_sgpr_private_segment_buffer 1
		.amdhsa_user_sgpr_dispatch_ptr 0
		.amdhsa_user_sgpr_queue_ptr 0
		.amdhsa_user_sgpr_kernarg_segment_ptr 1
		.amdhsa_user_sgpr_dispatch_id 0
		.amdhsa_user_sgpr_flat_scratch_init 0
		.amdhsa_user_sgpr_private_segment_size 0
		.amdhsa_wavefront_size32 1
		.amdhsa_uses_dynamic_stack 0
		.amdhsa_system_sgpr_private_segment_wavefront_offset 0
		.amdhsa_system_sgpr_workgroup_id_x 1
		.amdhsa_system_sgpr_workgroup_id_y 0
		.amdhsa_system_sgpr_workgroup_id_z 0
		.amdhsa_system_sgpr_workgroup_info 0
		.amdhsa_system_vgpr_workitem_id 0
		.amdhsa_next_free_vgpr 1
		.amdhsa_next_free_sgpr 1
		.amdhsa_reserve_vcc 0
		.amdhsa_reserve_flat_scratch 0
		.amdhsa_float_round_mode_32 0
		.amdhsa_float_round_mode_16_64 0
		.amdhsa_float_denorm_mode_32 3
		.amdhsa_float_denorm_mode_16_64 3
		.amdhsa_dx10_clamp 1
		.amdhsa_ieee_mode 1
		.amdhsa_fp16_overflow 0
		.amdhsa_workgroup_processor_mode 1
		.amdhsa_memory_ordered 1
		.amdhsa_forward_progress 1
		.amdhsa_shared_vgpr_count 0
		.amdhsa_exception_fp_ieee_invalid_op 0
		.amdhsa_exception_fp_denorm_src 0
		.amdhsa_exception_fp_ieee_div_zero 0
		.amdhsa_exception_fp_ieee_overflow 0
		.amdhsa_exception_fp_ieee_underflow 0
		.amdhsa_exception_fp_ieee_inexact 0
		.amdhsa_exception_int_div_zero 0
	.end_amdhsa_kernel
	.section	.text._ZN7rocprim17ROCPRIM_400000_NS6detail17trampoline_kernelINS0_14default_configENS1_27upper_bound_config_selectorIxlEEZNS1_14transform_implILb0ES3_S5_N6thrust23THRUST_200600_302600_NS6detail15normal_iteratorINS8_7pointerIxNS8_11hip_rocprim5par_tENS8_11use_defaultESE_EEEENSA_INSB_IlSD_SE_SE_EEEEZNS1_13binary_searchIS3_S5_PxSG_SI_NS1_21upper_bound_search_opENS9_16wrapped_functionINS8_6system6detail7generic6detail18binary_search_lessEbEEEE10hipError_tPvRmT1_T2_T3_mmT4_T5_P12ihipStream_tbEUlRKxE_EEST_SX_SY_mSZ_S12_bEUlT_E_NS1_11comp_targetILNS1_3genE5ELNS1_11target_archE942ELNS1_3gpuE9ELNS1_3repE0EEENS1_30default_config_static_selectorELNS0_4arch9wavefront6targetE0EEEvSW_,"axG",@progbits,_ZN7rocprim17ROCPRIM_400000_NS6detail17trampoline_kernelINS0_14default_configENS1_27upper_bound_config_selectorIxlEEZNS1_14transform_implILb0ES3_S5_N6thrust23THRUST_200600_302600_NS6detail15normal_iteratorINS8_7pointerIxNS8_11hip_rocprim5par_tENS8_11use_defaultESE_EEEENSA_INSB_IlSD_SE_SE_EEEEZNS1_13binary_searchIS3_S5_PxSG_SI_NS1_21upper_bound_search_opENS9_16wrapped_functionINS8_6system6detail7generic6detail18binary_search_lessEbEEEE10hipError_tPvRmT1_T2_T3_mmT4_T5_P12ihipStream_tbEUlRKxE_EEST_SX_SY_mSZ_S12_bEUlT_E_NS1_11comp_targetILNS1_3genE5ELNS1_11target_archE942ELNS1_3gpuE9ELNS1_3repE0EEENS1_30default_config_static_selectorELNS0_4arch9wavefront6targetE0EEEvSW_,comdat
.Lfunc_end213:
	.size	_ZN7rocprim17ROCPRIM_400000_NS6detail17trampoline_kernelINS0_14default_configENS1_27upper_bound_config_selectorIxlEEZNS1_14transform_implILb0ES3_S5_N6thrust23THRUST_200600_302600_NS6detail15normal_iteratorINS8_7pointerIxNS8_11hip_rocprim5par_tENS8_11use_defaultESE_EEEENSA_INSB_IlSD_SE_SE_EEEEZNS1_13binary_searchIS3_S5_PxSG_SI_NS1_21upper_bound_search_opENS9_16wrapped_functionINS8_6system6detail7generic6detail18binary_search_lessEbEEEE10hipError_tPvRmT1_T2_T3_mmT4_T5_P12ihipStream_tbEUlRKxE_EEST_SX_SY_mSZ_S12_bEUlT_E_NS1_11comp_targetILNS1_3genE5ELNS1_11target_archE942ELNS1_3gpuE9ELNS1_3repE0EEENS1_30default_config_static_selectorELNS0_4arch9wavefront6targetE0EEEvSW_, .Lfunc_end213-_ZN7rocprim17ROCPRIM_400000_NS6detail17trampoline_kernelINS0_14default_configENS1_27upper_bound_config_selectorIxlEEZNS1_14transform_implILb0ES3_S5_N6thrust23THRUST_200600_302600_NS6detail15normal_iteratorINS8_7pointerIxNS8_11hip_rocprim5par_tENS8_11use_defaultESE_EEEENSA_INSB_IlSD_SE_SE_EEEEZNS1_13binary_searchIS3_S5_PxSG_SI_NS1_21upper_bound_search_opENS9_16wrapped_functionINS8_6system6detail7generic6detail18binary_search_lessEbEEEE10hipError_tPvRmT1_T2_T3_mmT4_T5_P12ihipStream_tbEUlRKxE_EEST_SX_SY_mSZ_S12_bEUlT_E_NS1_11comp_targetILNS1_3genE5ELNS1_11target_archE942ELNS1_3gpuE9ELNS1_3repE0EEENS1_30default_config_static_selectorELNS0_4arch9wavefront6targetE0EEEvSW_
                                        ; -- End function
	.set _ZN7rocprim17ROCPRIM_400000_NS6detail17trampoline_kernelINS0_14default_configENS1_27upper_bound_config_selectorIxlEEZNS1_14transform_implILb0ES3_S5_N6thrust23THRUST_200600_302600_NS6detail15normal_iteratorINS8_7pointerIxNS8_11hip_rocprim5par_tENS8_11use_defaultESE_EEEENSA_INSB_IlSD_SE_SE_EEEEZNS1_13binary_searchIS3_S5_PxSG_SI_NS1_21upper_bound_search_opENS9_16wrapped_functionINS8_6system6detail7generic6detail18binary_search_lessEbEEEE10hipError_tPvRmT1_T2_T3_mmT4_T5_P12ihipStream_tbEUlRKxE_EEST_SX_SY_mSZ_S12_bEUlT_E_NS1_11comp_targetILNS1_3genE5ELNS1_11target_archE942ELNS1_3gpuE9ELNS1_3repE0EEENS1_30default_config_static_selectorELNS0_4arch9wavefront6targetE0EEEvSW_.num_vgpr, 0
	.set _ZN7rocprim17ROCPRIM_400000_NS6detail17trampoline_kernelINS0_14default_configENS1_27upper_bound_config_selectorIxlEEZNS1_14transform_implILb0ES3_S5_N6thrust23THRUST_200600_302600_NS6detail15normal_iteratorINS8_7pointerIxNS8_11hip_rocprim5par_tENS8_11use_defaultESE_EEEENSA_INSB_IlSD_SE_SE_EEEEZNS1_13binary_searchIS3_S5_PxSG_SI_NS1_21upper_bound_search_opENS9_16wrapped_functionINS8_6system6detail7generic6detail18binary_search_lessEbEEEE10hipError_tPvRmT1_T2_T3_mmT4_T5_P12ihipStream_tbEUlRKxE_EEST_SX_SY_mSZ_S12_bEUlT_E_NS1_11comp_targetILNS1_3genE5ELNS1_11target_archE942ELNS1_3gpuE9ELNS1_3repE0EEENS1_30default_config_static_selectorELNS0_4arch9wavefront6targetE0EEEvSW_.num_agpr, 0
	.set _ZN7rocprim17ROCPRIM_400000_NS6detail17trampoline_kernelINS0_14default_configENS1_27upper_bound_config_selectorIxlEEZNS1_14transform_implILb0ES3_S5_N6thrust23THRUST_200600_302600_NS6detail15normal_iteratorINS8_7pointerIxNS8_11hip_rocprim5par_tENS8_11use_defaultESE_EEEENSA_INSB_IlSD_SE_SE_EEEEZNS1_13binary_searchIS3_S5_PxSG_SI_NS1_21upper_bound_search_opENS9_16wrapped_functionINS8_6system6detail7generic6detail18binary_search_lessEbEEEE10hipError_tPvRmT1_T2_T3_mmT4_T5_P12ihipStream_tbEUlRKxE_EEST_SX_SY_mSZ_S12_bEUlT_E_NS1_11comp_targetILNS1_3genE5ELNS1_11target_archE942ELNS1_3gpuE9ELNS1_3repE0EEENS1_30default_config_static_selectorELNS0_4arch9wavefront6targetE0EEEvSW_.numbered_sgpr, 0
	.set _ZN7rocprim17ROCPRIM_400000_NS6detail17trampoline_kernelINS0_14default_configENS1_27upper_bound_config_selectorIxlEEZNS1_14transform_implILb0ES3_S5_N6thrust23THRUST_200600_302600_NS6detail15normal_iteratorINS8_7pointerIxNS8_11hip_rocprim5par_tENS8_11use_defaultESE_EEEENSA_INSB_IlSD_SE_SE_EEEEZNS1_13binary_searchIS3_S5_PxSG_SI_NS1_21upper_bound_search_opENS9_16wrapped_functionINS8_6system6detail7generic6detail18binary_search_lessEbEEEE10hipError_tPvRmT1_T2_T3_mmT4_T5_P12ihipStream_tbEUlRKxE_EEST_SX_SY_mSZ_S12_bEUlT_E_NS1_11comp_targetILNS1_3genE5ELNS1_11target_archE942ELNS1_3gpuE9ELNS1_3repE0EEENS1_30default_config_static_selectorELNS0_4arch9wavefront6targetE0EEEvSW_.num_named_barrier, 0
	.set _ZN7rocprim17ROCPRIM_400000_NS6detail17trampoline_kernelINS0_14default_configENS1_27upper_bound_config_selectorIxlEEZNS1_14transform_implILb0ES3_S5_N6thrust23THRUST_200600_302600_NS6detail15normal_iteratorINS8_7pointerIxNS8_11hip_rocprim5par_tENS8_11use_defaultESE_EEEENSA_INSB_IlSD_SE_SE_EEEEZNS1_13binary_searchIS3_S5_PxSG_SI_NS1_21upper_bound_search_opENS9_16wrapped_functionINS8_6system6detail7generic6detail18binary_search_lessEbEEEE10hipError_tPvRmT1_T2_T3_mmT4_T5_P12ihipStream_tbEUlRKxE_EEST_SX_SY_mSZ_S12_bEUlT_E_NS1_11comp_targetILNS1_3genE5ELNS1_11target_archE942ELNS1_3gpuE9ELNS1_3repE0EEENS1_30default_config_static_selectorELNS0_4arch9wavefront6targetE0EEEvSW_.private_seg_size, 0
	.set _ZN7rocprim17ROCPRIM_400000_NS6detail17trampoline_kernelINS0_14default_configENS1_27upper_bound_config_selectorIxlEEZNS1_14transform_implILb0ES3_S5_N6thrust23THRUST_200600_302600_NS6detail15normal_iteratorINS8_7pointerIxNS8_11hip_rocprim5par_tENS8_11use_defaultESE_EEEENSA_INSB_IlSD_SE_SE_EEEEZNS1_13binary_searchIS3_S5_PxSG_SI_NS1_21upper_bound_search_opENS9_16wrapped_functionINS8_6system6detail7generic6detail18binary_search_lessEbEEEE10hipError_tPvRmT1_T2_T3_mmT4_T5_P12ihipStream_tbEUlRKxE_EEST_SX_SY_mSZ_S12_bEUlT_E_NS1_11comp_targetILNS1_3genE5ELNS1_11target_archE942ELNS1_3gpuE9ELNS1_3repE0EEENS1_30default_config_static_selectorELNS0_4arch9wavefront6targetE0EEEvSW_.uses_vcc, 0
	.set _ZN7rocprim17ROCPRIM_400000_NS6detail17trampoline_kernelINS0_14default_configENS1_27upper_bound_config_selectorIxlEEZNS1_14transform_implILb0ES3_S5_N6thrust23THRUST_200600_302600_NS6detail15normal_iteratorINS8_7pointerIxNS8_11hip_rocprim5par_tENS8_11use_defaultESE_EEEENSA_INSB_IlSD_SE_SE_EEEEZNS1_13binary_searchIS3_S5_PxSG_SI_NS1_21upper_bound_search_opENS9_16wrapped_functionINS8_6system6detail7generic6detail18binary_search_lessEbEEEE10hipError_tPvRmT1_T2_T3_mmT4_T5_P12ihipStream_tbEUlRKxE_EEST_SX_SY_mSZ_S12_bEUlT_E_NS1_11comp_targetILNS1_3genE5ELNS1_11target_archE942ELNS1_3gpuE9ELNS1_3repE0EEENS1_30default_config_static_selectorELNS0_4arch9wavefront6targetE0EEEvSW_.uses_flat_scratch, 0
	.set _ZN7rocprim17ROCPRIM_400000_NS6detail17trampoline_kernelINS0_14default_configENS1_27upper_bound_config_selectorIxlEEZNS1_14transform_implILb0ES3_S5_N6thrust23THRUST_200600_302600_NS6detail15normal_iteratorINS8_7pointerIxNS8_11hip_rocprim5par_tENS8_11use_defaultESE_EEEENSA_INSB_IlSD_SE_SE_EEEEZNS1_13binary_searchIS3_S5_PxSG_SI_NS1_21upper_bound_search_opENS9_16wrapped_functionINS8_6system6detail7generic6detail18binary_search_lessEbEEEE10hipError_tPvRmT1_T2_T3_mmT4_T5_P12ihipStream_tbEUlRKxE_EEST_SX_SY_mSZ_S12_bEUlT_E_NS1_11comp_targetILNS1_3genE5ELNS1_11target_archE942ELNS1_3gpuE9ELNS1_3repE0EEENS1_30default_config_static_selectorELNS0_4arch9wavefront6targetE0EEEvSW_.has_dyn_sized_stack, 0
	.set _ZN7rocprim17ROCPRIM_400000_NS6detail17trampoline_kernelINS0_14default_configENS1_27upper_bound_config_selectorIxlEEZNS1_14transform_implILb0ES3_S5_N6thrust23THRUST_200600_302600_NS6detail15normal_iteratorINS8_7pointerIxNS8_11hip_rocprim5par_tENS8_11use_defaultESE_EEEENSA_INSB_IlSD_SE_SE_EEEEZNS1_13binary_searchIS3_S5_PxSG_SI_NS1_21upper_bound_search_opENS9_16wrapped_functionINS8_6system6detail7generic6detail18binary_search_lessEbEEEE10hipError_tPvRmT1_T2_T3_mmT4_T5_P12ihipStream_tbEUlRKxE_EEST_SX_SY_mSZ_S12_bEUlT_E_NS1_11comp_targetILNS1_3genE5ELNS1_11target_archE942ELNS1_3gpuE9ELNS1_3repE0EEENS1_30default_config_static_selectorELNS0_4arch9wavefront6targetE0EEEvSW_.has_recursion, 0
	.set _ZN7rocprim17ROCPRIM_400000_NS6detail17trampoline_kernelINS0_14default_configENS1_27upper_bound_config_selectorIxlEEZNS1_14transform_implILb0ES3_S5_N6thrust23THRUST_200600_302600_NS6detail15normal_iteratorINS8_7pointerIxNS8_11hip_rocprim5par_tENS8_11use_defaultESE_EEEENSA_INSB_IlSD_SE_SE_EEEEZNS1_13binary_searchIS3_S5_PxSG_SI_NS1_21upper_bound_search_opENS9_16wrapped_functionINS8_6system6detail7generic6detail18binary_search_lessEbEEEE10hipError_tPvRmT1_T2_T3_mmT4_T5_P12ihipStream_tbEUlRKxE_EEST_SX_SY_mSZ_S12_bEUlT_E_NS1_11comp_targetILNS1_3genE5ELNS1_11target_archE942ELNS1_3gpuE9ELNS1_3repE0EEENS1_30default_config_static_selectorELNS0_4arch9wavefront6targetE0EEEvSW_.has_indirect_call, 0
	.section	.AMDGPU.csdata,"",@progbits
; Kernel info:
; codeLenInByte = 0
; TotalNumSgprs: 0
; NumVgprs: 0
; ScratchSize: 0
; MemoryBound: 0
; FloatMode: 240
; IeeeMode: 1
; LDSByteSize: 0 bytes/workgroup (compile time only)
; SGPRBlocks: 0
; VGPRBlocks: 0
; NumSGPRsForWavesPerEU: 1
; NumVGPRsForWavesPerEU: 1
; Occupancy: 16
; WaveLimiterHint : 0
; COMPUTE_PGM_RSRC2:SCRATCH_EN: 0
; COMPUTE_PGM_RSRC2:USER_SGPR: 6
; COMPUTE_PGM_RSRC2:TRAP_HANDLER: 0
; COMPUTE_PGM_RSRC2:TGID_X_EN: 1
; COMPUTE_PGM_RSRC2:TGID_Y_EN: 0
; COMPUTE_PGM_RSRC2:TGID_Z_EN: 0
; COMPUTE_PGM_RSRC2:TIDIG_COMP_CNT: 0
	.section	.text._ZN7rocprim17ROCPRIM_400000_NS6detail17trampoline_kernelINS0_14default_configENS1_27upper_bound_config_selectorIxlEEZNS1_14transform_implILb0ES3_S5_N6thrust23THRUST_200600_302600_NS6detail15normal_iteratorINS8_7pointerIxNS8_11hip_rocprim5par_tENS8_11use_defaultESE_EEEENSA_INSB_IlSD_SE_SE_EEEEZNS1_13binary_searchIS3_S5_PxSG_SI_NS1_21upper_bound_search_opENS9_16wrapped_functionINS8_6system6detail7generic6detail18binary_search_lessEbEEEE10hipError_tPvRmT1_T2_T3_mmT4_T5_P12ihipStream_tbEUlRKxE_EEST_SX_SY_mSZ_S12_bEUlT_E_NS1_11comp_targetILNS1_3genE4ELNS1_11target_archE910ELNS1_3gpuE8ELNS1_3repE0EEENS1_30default_config_static_selectorELNS0_4arch9wavefront6targetE0EEEvSW_,"axG",@progbits,_ZN7rocprim17ROCPRIM_400000_NS6detail17trampoline_kernelINS0_14default_configENS1_27upper_bound_config_selectorIxlEEZNS1_14transform_implILb0ES3_S5_N6thrust23THRUST_200600_302600_NS6detail15normal_iteratorINS8_7pointerIxNS8_11hip_rocprim5par_tENS8_11use_defaultESE_EEEENSA_INSB_IlSD_SE_SE_EEEEZNS1_13binary_searchIS3_S5_PxSG_SI_NS1_21upper_bound_search_opENS9_16wrapped_functionINS8_6system6detail7generic6detail18binary_search_lessEbEEEE10hipError_tPvRmT1_T2_T3_mmT4_T5_P12ihipStream_tbEUlRKxE_EEST_SX_SY_mSZ_S12_bEUlT_E_NS1_11comp_targetILNS1_3genE4ELNS1_11target_archE910ELNS1_3gpuE8ELNS1_3repE0EEENS1_30default_config_static_selectorELNS0_4arch9wavefront6targetE0EEEvSW_,comdat
	.protected	_ZN7rocprim17ROCPRIM_400000_NS6detail17trampoline_kernelINS0_14default_configENS1_27upper_bound_config_selectorIxlEEZNS1_14transform_implILb0ES3_S5_N6thrust23THRUST_200600_302600_NS6detail15normal_iteratorINS8_7pointerIxNS8_11hip_rocprim5par_tENS8_11use_defaultESE_EEEENSA_INSB_IlSD_SE_SE_EEEEZNS1_13binary_searchIS3_S5_PxSG_SI_NS1_21upper_bound_search_opENS9_16wrapped_functionINS8_6system6detail7generic6detail18binary_search_lessEbEEEE10hipError_tPvRmT1_T2_T3_mmT4_T5_P12ihipStream_tbEUlRKxE_EEST_SX_SY_mSZ_S12_bEUlT_E_NS1_11comp_targetILNS1_3genE4ELNS1_11target_archE910ELNS1_3gpuE8ELNS1_3repE0EEENS1_30default_config_static_selectorELNS0_4arch9wavefront6targetE0EEEvSW_ ; -- Begin function _ZN7rocprim17ROCPRIM_400000_NS6detail17trampoline_kernelINS0_14default_configENS1_27upper_bound_config_selectorIxlEEZNS1_14transform_implILb0ES3_S5_N6thrust23THRUST_200600_302600_NS6detail15normal_iteratorINS8_7pointerIxNS8_11hip_rocprim5par_tENS8_11use_defaultESE_EEEENSA_INSB_IlSD_SE_SE_EEEEZNS1_13binary_searchIS3_S5_PxSG_SI_NS1_21upper_bound_search_opENS9_16wrapped_functionINS8_6system6detail7generic6detail18binary_search_lessEbEEEE10hipError_tPvRmT1_T2_T3_mmT4_T5_P12ihipStream_tbEUlRKxE_EEST_SX_SY_mSZ_S12_bEUlT_E_NS1_11comp_targetILNS1_3genE4ELNS1_11target_archE910ELNS1_3gpuE8ELNS1_3repE0EEENS1_30default_config_static_selectorELNS0_4arch9wavefront6targetE0EEEvSW_
	.globl	_ZN7rocprim17ROCPRIM_400000_NS6detail17trampoline_kernelINS0_14default_configENS1_27upper_bound_config_selectorIxlEEZNS1_14transform_implILb0ES3_S5_N6thrust23THRUST_200600_302600_NS6detail15normal_iteratorINS8_7pointerIxNS8_11hip_rocprim5par_tENS8_11use_defaultESE_EEEENSA_INSB_IlSD_SE_SE_EEEEZNS1_13binary_searchIS3_S5_PxSG_SI_NS1_21upper_bound_search_opENS9_16wrapped_functionINS8_6system6detail7generic6detail18binary_search_lessEbEEEE10hipError_tPvRmT1_T2_T3_mmT4_T5_P12ihipStream_tbEUlRKxE_EEST_SX_SY_mSZ_S12_bEUlT_E_NS1_11comp_targetILNS1_3genE4ELNS1_11target_archE910ELNS1_3gpuE8ELNS1_3repE0EEENS1_30default_config_static_selectorELNS0_4arch9wavefront6targetE0EEEvSW_
	.p2align	8
	.type	_ZN7rocprim17ROCPRIM_400000_NS6detail17trampoline_kernelINS0_14default_configENS1_27upper_bound_config_selectorIxlEEZNS1_14transform_implILb0ES3_S5_N6thrust23THRUST_200600_302600_NS6detail15normal_iteratorINS8_7pointerIxNS8_11hip_rocprim5par_tENS8_11use_defaultESE_EEEENSA_INSB_IlSD_SE_SE_EEEEZNS1_13binary_searchIS3_S5_PxSG_SI_NS1_21upper_bound_search_opENS9_16wrapped_functionINS8_6system6detail7generic6detail18binary_search_lessEbEEEE10hipError_tPvRmT1_T2_T3_mmT4_T5_P12ihipStream_tbEUlRKxE_EEST_SX_SY_mSZ_S12_bEUlT_E_NS1_11comp_targetILNS1_3genE4ELNS1_11target_archE910ELNS1_3gpuE8ELNS1_3repE0EEENS1_30default_config_static_selectorELNS0_4arch9wavefront6targetE0EEEvSW_,@function
_ZN7rocprim17ROCPRIM_400000_NS6detail17trampoline_kernelINS0_14default_configENS1_27upper_bound_config_selectorIxlEEZNS1_14transform_implILb0ES3_S5_N6thrust23THRUST_200600_302600_NS6detail15normal_iteratorINS8_7pointerIxNS8_11hip_rocprim5par_tENS8_11use_defaultESE_EEEENSA_INSB_IlSD_SE_SE_EEEEZNS1_13binary_searchIS3_S5_PxSG_SI_NS1_21upper_bound_search_opENS9_16wrapped_functionINS8_6system6detail7generic6detail18binary_search_lessEbEEEE10hipError_tPvRmT1_T2_T3_mmT4_T5_P12ihipStream_tbEUlRKxE_EEST_SX_SY_mSZ_S12_bEUlT_E_NS1_11comp_targetILNS1_3genE4ELNS1_11target_archE910ELNS1_3gpuE8ELNS1_3repE0EEENS1_30default_config_static_selectorELNS0_4arch9wavefront6targetE0EEEvSW_: ; @_ZN7rocprim17ROCPRIM_400000_NS6detail17trampoline_kernelINS0_14default_configENS1_27upper_bound_config_selectorIxlEEZNS1_14transform_implILb0ES3_S5_N6thrust23THRUST_200600_302600_NS6detail15normal_iteratorINS8_7pointerIxNS8_11hip_rocprim5par_tENS8_11use_defaultESE_EEEENSA_INSB_IlSD_SE_SE_EEEEZNS1_13binary_searchIS3_S5_PxSG_SI_NS1_21upper_bound_search_opENS9_16wrapped_functionINS8_6system6detail7generic6detail18binary_search_lessEbEEEE10hipError_tPvRmT1_T2_T3_mmT4_T5_P12ihipStream_tbEUlRKxE_EEST_SX_SY_mSZ_S12_bEUlT_E_NS1_11comp_targetILNS1_3genE4ELNS1_11target_archE910ELNS1_3gpuE8ELNS1_3repE0EEENS1_30default_config_static_selectorELNS0_4arch9wavefront6targetE0EEEvSW_
; %bb.0:
	.section	.rodata,"a",@progbits
	.p2align	6, 0x0
	.amdhsa_kernel _ZN7rocprim17ROCPRIM_400000_NS6detail17trampoline_kernelINS0_14default_configENS1_27upper_bound_config_selectorIxlEEZNS1_14transform_implILb0ES3_S5_N6thrust23THRUST_200600_302600_NS6detail15normal_iteratorINS8_7pointerIxNS8_11hip_rocprim5par_tENS8_11use_defaultESE_EEEENSA_INSB_IlSD_SE_SE_EEEEZNS1_13binary_searchIS3_S5_PxSG_SI_NS1_21upper_bound_search_opENS9_16wrapped_functionINS8_6system6detail7generic6detail18binary_search_lessEbEEEE10hipError_tPvRmT1_T2_T3_mmT4_T5_P12ihipStream_tbEUlRKxE_EEST_SX_SY_mSZ_S12_bEUlT_E_NS1_11comp_targetILNS1_3genE4ELNS1_11target_archE910ELNS1_3gpuE8ELNS1_3repE0EEENS1_30default_config_static_selectorELNS0_4arch9wavefront6targetE0EEEvSW_
		.amdhsa_group_segment_fixed_size 0
		.amdhsa_private_segment_fixed_size 0
		.amdhsa_kernarg_size 56
		.amdhsa_user_sgpr_count 6
		.amdhsa_user_sgpr_private_segment_buffer 1
		.amdhsa_user_sgpr_dispatch_ptr 0
		.amdhsa_user_sgpr_queue_ptr 0
		.amdhsa_user_sgpr_kernarg_segment_ptr 1
		.amdhsa_user_sgpr_dispatch_id 0
		.amdhsa_user_sgpr_flat_scratch_init 0
		.amdhsa_user_sgpr_private_segment_size 0
		.amdhsa_wavefront_size32 1
		.amdhsa_uses_dynamic_stack 0
		.amdhsa_system_sgpr_private_segment_wavefront_offset 0
		.amdhsa_system_sgpr_workgroup_id_x 1
		.amdhsa_system_sgpr_workgroup_id_y 0
		.amdhsa_system_sgpr_workgroup_id_z 0
		.amdhsa_system_sgpr_workgroup_info 0
		.amdhsa_system_vgpr_workitem_id 0
		.amdhsa_next_free_vgpr 1
		.amdhsa_next_free_sgpr 1
		.amdhsa_reserve_vcc 0
		.amdhsa_reserve_flat_scratch 0
		.amdhsa_float_round_mode_32 0
		.amdhsa_float_round_mode_16_64 0
		.amdhsa_float_denorm_mode_32 3
		.amdhsa_float_denorm_mode_16_64 3
		.amdhsa_dx10_clamp 1
		.amdhsa_ieee_mode 1
		.amdhsa_fp16_overflow 0
		.amdhsa_workgroup_processor_mode 1
		.amdhsa_memory_ordered 1
		.amdhsa_forward_progress 1
		.amdhsa_shared_vgpr_count 0
		.amdhsa_exception_fp_ieee_invalid_op 0
		.amdhsa_exception_fp_denorm_src 0
		.amdhsa_exception_fp_ieee_div_zero 0
		.amdhsa_exception_fp_ieee_overflow 0
		.amdhsa_exception_fp_ieee_underflow 0
		.amdhsa_exception_fp_ieee_inexact 0
		.amdhsa_exception_int_div_zero 0
	.end_amdhsa_kernel
	.section	.text._ZN7rocprim17ROCPRIM_400000_NS6detail17trampoline_kernelINS0_14default_configENS1_27upper_bound_config_selectorIxlEEZNS1_14transform_implILb0ES3_S5_N6thrust23THRUST_200600_302600_NS6detail15normal_iteratorINS8_7pointerIxNS8_11hip_rocprim5par_tENS8_11use_defaultESE_EEEENSA_INSB_IlSD_SE_SE_EEEEZNS1_13binary_searchIS3_S5_PxSG_SI_NS1_21upper_bound_search_opENS9_16wrapped_functionINS8_6system6detail7generic6detail18binary_search_lessEbEEEE10hipError_tPvRmT1_T2_T3_mmT4_T5_P12ihipStream_tbEUlRKxE_EEST_SX_SY_mSZ_S12_bEUlT_E_NS1_11comp_targetILNS1_3genE4ELNS1_11target_archE910ELNS1_3gpuE8ELNS1_3repE0EEENS1_30default_config_static_selectorELNS0_4arch9wavefront6targetE0EEEvSW_,"axG",@progbits,_ZN7rocprim17ROCPRIM_400000_NS6detail17trampoline_kernelINS0_14default_configENS1_27upper_bound_config_selectorIxlEEZNS1_14transform_implILb0ES3_S5_N6thrust23THRUST_200600_302600_NS6detail15normal_iteratorINS8_7pointerIxNS8_11hip_rocprim5par_tENS8_11use_defaultESE_EEEENSA_INSB_IlSD_SE_SE_EEEEZNS1_13binary_searchIS3_S5_PxSG_SI_NS1_21upper_bound_search_opENS9_16wrapped_functionINS8_6system6detail7generic6detail18binary_search_lessEbEEEE10hipError_tPvRmT1_T2_T3_mmT4_T5_P12ihipStream_tbEUlRKxE_EEST_SX_SY_mSZ_S12_bEUlT_E_NS1_11comp_targetILNS1_3genE4ELNS1_11target_archE910ELNS1_3gpuE8ELNS1_3repE0EEENS1_30default_config_static_selectorELNS0_4arch9wavefront6targetE0EEEvSW_,comdat
.Lfunc_end214:
	.size	_ZN7rocprim17ROCPRIM_400000_NS6detail17trampoline_kernelINS0_14default_configENS1_27upper_bound_config_selectorIxlEEZNS1_14transform_implILb0ES3_S5_N6thrust23THRUST_200600_302600_NS6detail15normal_iteratorINS8_7pointerIxNS8_11hip_rocprim5par_tENS8_11use_defaultESE_EEEENSA_INSB_IlSD_SE_SE_EEEEZNS1_13binary_searchIS3_S5_PxSG_SI_NS1_21upper_bound_search_opENS9_16wrapped_functionINS8_6system6detail7generic6detail18binary_search_lessEbEEEE10hipError_tPvRmT1_T2_T3_mmT4_T5_P12ihipStream_tbEUlRKxE_EEST_SX_SY_mSZ_S12_bEUlT_E_NS1_11comp_targetILNS1_3genE4ELNS1_11target_archE910ELNS1_3gpuE8ELNS1_3repE0EEENS1_30default_config_static_selectorELNS0_4arch9wavefront6targetE0EEEvSW_, .Lfunc_end214-_ZN7rocprim17ROCPRIM_400000_NS6detail17trampoline_kernelINS0_14default_configENS1_27upper_bound_config_selectorIxlEEZNS1_14transform_implILb0ES3_S5_N6thrust23THRUST_200600_302600_NS6detail15normal_iteratorINS8_7pointerIxNS8_11hip_rocprim5par_tENS8_11use_defaultESE_EEEENSA_INSB_IlSD_SE_SE_EEEEZNS1_13binary_searchIS3_S5_PxSG_SI_NS1_21upper_bound_search_opENS9_16wrapped_functionINS8_6system6detail7generic6detail18binary_search_lessEbEEEE10hipError_tPvRmT1_T2_T3_mmT4_T5_P12ihipStream_tbEUlRKxE_EEST_SX_SY_mSZ_S12_bEUlT_E_NS1_11comp_targetILNS1_3genE4ELNS1_11target_archE910ELNS1_3gpuE8ELNS1_3repE0EEENS1_30default_config_static_selectorELNS0_4arch9wavefront6targetE0EEEvSW_
                                        ; -- End function
	.set _ZN7rocprim17ROCPRIM_400000_NS6detail17trampoline_kernelINS0_14default_configENS1_27upper_bound_config_selectorIxlEEZNS1_14transform_implILb0ES3_S5_N6thrust23THRUST_200600_302600_NS6detail15normal_iteratorINS8_7pointerIxNS8_11hip_rocprim5par_tENS8_11use_defaultESE_EEEENSA_INSB_IlSD_SE_SE_EEEEZNS1_13binary_searchIS3_S5_PxSG_SI_NS1_21upper_bound_search_opENS9_16wrapped_functionINS8_6system6detail7generic6detail18binary_search_lessEbEEEE10hipError_tPvRmT1_T2_T3_mmT4_T5_P12ihipStream_tbEUlRKxE_EEST_SX_SY_mSZ_S12_bEUlT_E_NS1_11comp_targetILNS1_3genE4ELNS1_11target_archE910ELNS1_3gpuE8ELNS1_3repE0EEENS1_30default_config_static_selectorELNS0_4arch9wavefront6targetE0EEEvSW_.num_vgpr, 0
	.set _ZN7rocprim17ROCPRIM_400000_NS6detail17trampoline_kernelINS0_14default_configENS1_27upper_bound_config_selectorIxlEEZNS1_14transform_implILb0ES3_S5_N6thrust23THRUST_200600_302600_NS6detail15normal_iteratorINS8_7pointerIxNS8_11hip_rocprim5par_tENS8_11use_defaultESE_EEEENSA_INSB_IlSD_SE_SE_EEEEZNS1_13binary_searchIS3_S5_PxSG_SI_NS1_21upper_bound_search_opENS9_16wrapped_functionINS8_6system6detail7generic6detail18binary_search_lessEbEEEE10hipError_tPvRmT1_T2_T3_mmT4_T5_P12ihipStream_tbEUlRKxE_EEST_SX_SY_mSZ_S12_bEUlT_E_NS1_11comp_targetILNS1_3genE4ELNS1_11target_archE910ELNS1_3gpuE8ELNS1_3repE0EEENS1_30default_config_static_selectorELNS0_4arch9wavefront6targetE0EEEvSW_.num_agpr, 0
	.set _ZN7rocprim17ROCPRIM_400000_NS6detail17trampoline_kernelINS0_14default_configENS1_27upper_bound_config_selectorIxlEEZNS1_14transform_implILb0ES3_S5_N6thrust23THRUST_200600_302600_NS6detail15normal_iteratorINS8_7pointerIxNS8_11hip_rocprim5par_tENS8_11use_defaultESE_EEEENSA_INSB_IlSD_SE_SE_EEEEZNS1_13binary_searchIS3_S5_PxSG_SI_NS1_21upper_bound_search_opENS9_16wrapped_functionINS8_6system6detail7generic6detail18binary_search_lessEbEEEE10hipError_tPvRmT1_T2_T3_mmT4_T5_P12ihipStream_tbEUlRKxE_EEST_SX_SY_mSZ_S12_bEUlT_E_NS1_11comp_targetILNS1_3genE4ELNS1_11target_archE910ELNS1_3gpuE8ELNS1_3repE0EEENS1_30default_config_static_selectorELNS0_4arch9wavefront6targetE0EEEvSW_.numbered_sgpr, 0
	.set _ZN7rocprim17ROCPRIM_400000_NS6detail17trampoline_kernelINS0_14default_configENS1_27upper_bound_config_selectorIxlEEZNS1_14transform_implILb0ES3_S5_N6thrust23THRUST_200600_302600_NS6detail15normal_iteratorINS8_7pointerIxNS8_11hip_rocprim5par_tENS8_11use_defaultESE_EEEENSA_INSB_IlSD_SE_SE_EEEEZNS1_13binary_searchIS3_S5_PxSG_SI_NS1_21upper_bound_search_opENS9_16wrapped_functionINS8_6system6detail7generic6detail18binary_search_lessEbEEEE10hipError_tPvRmT1_T2_T3_mmT4_T5_P12ihipStream_tbEUlRKxE_EEST_SX_SY_mSZ_S12_bEUlT_E_NS1_11comp_targetILNS1_3genE4ELNS1_11target_archE910ELNS1_3gpuE8ELNS1_3repE0EEENS1_30default_config_static_selectorELNS0_4arch9wavefront6targetE0EEEvSW_.num_named_barrier, 0
	.set _ZN7rocprim17ROCPRIM_400000_NS6detail17trampoline_kernelINS0_14default_configENS1_27upper_bound_config_selectorIxlEEZNS1_14transform_implILb0ES3_S5_N6thrust23THRUST_200600_302600_NS6detail15normal_iteratorINS8_7pointerIxNS8_11hip_rocprim5par_tENS8_11use_defaultESE_EEEENSA_INSB_IlSD_SE_SE_EEEEZNS1_13binary_searchIS3_S5_PxSG_SI_NS1_21upper_bound_search_opENS9_16wrapped_functionINS8_6system6detail7generic6detail18binary_search_lessEbEEEE10hipError_tPvRmT1_T2_T3_mmT4_T5_P12ihipStream_tbEUlRKxE_EEST_SX_SY_mSZ_S12_bEUlT_E_NS1_11comp_targetILNS1_3genE4ELNS1_11target_archE910ELNS1_3gpuE8ELNS1_3repE0EEENS1_30default_config_static_selectorELNS0_4arch9wavefront6targetE0EEEvSW_.private_seg_size, 0
	.set _ZN7rocprim17ROCPRIM_400000_NS6detail17trampoline_kernelINS0_14default_configENS1_27upper_bound_config_selectorIxlEEZNS1_14transform_implILb0ES3_S5_N6thrust23THRUST_200600_302600_NS6detail15normal_iteratorINS8_7pointerIxNS8_11hip_rocprim5par_tENS8_11use_defaultESE_EEEENSA_INSB_IlSD_SE_SE_EEEEZNS1_13binary_searchIS3_S5_PxSG_SI_NS1_21upper_bound_search_opENS9_16wrapped_functionINS8_6system6detail7generic6detail18binary_search_lessEbEEEE10hipError_tPvRmT1_T2_T3_mmT4_T5_P12ihipStream_tbEUlRKxE_EEST_SX_SY_mSZ_S12_bEUlT_E_NS1_11comp_targetILNS1_3genE4ELNS1_11target_archE910ELNS1_3gpuE8ELNS1_3repE0EEENS1_30default_config_static_selectorELNS0_4arch9wavefront6targetE0EEEvSW_.uses_vcc, 0
	.set _ZN7rocprim17ROCPRIM_400000_NS6detail17trampoline_kernelINS0_14default_configENS1_27upper_bound_config_selectorIxlEEZNS1_14transform_implILb0ES3_S5_N6thrust23THRUST_200600_302600_NS6detail15normal_iteratorINS8_7pointerIxNS8_11hip_rocprim5par_tENS8_11use_defaultESE_EEEENSA_INSB_IlSD_SE_SE_EEEEZNS1_13binary_searchIS3_S5_PxSG_SI_NS1_21upper_bound_search_opENS9_16wrapped_functionINS8_6system6detail7generic6detail18binary_search_lessEbEEEE10hipError_tPvRmT1_T2_T3_mmT4_T5_P12ihipStream_tbEUlRKxE_EEST_SX_SY_mSZ_S12_bEUlT_E_NS1_11comp_targetILNS1_3genE4ELNS1_11target_archE910ELNS1_3gpuE8ELNS1_3repE0EEENS1_30default_config_static_selectorELNS0_4arch9wavefront6targetE0EEEvSW_.uses_flat_scratch, 0
	.set _ZN7rocprim17ROCPRIM_400000_NS6detail17trampoline_kernelINS0_14default_configENS1_27upper_bound_config_selectorIxlEEZNS1_14transform_implILb0ES3_S5_N6thrust23THRUST_200600_302600_NS6detail15normal_iteratorINS8_7pointerIxNS8_11hip_rocprim5par_tENS8_11use_defaultESE_EEEENSA_INSB_IlSD_SE_SE_EEEEZNS1_13binary_searchIS3_S5_PxSG_SI_NS1_21upper_bound_search_opENS9_16wrapped_functionINS8_6system6detail7generic6detail18binary_search_lessEbEEEE10hipError_tPvRmT1_T2_T3_mmT4_T5_P12ihipStream_tbEUlRKxE_EEST_SX_SY_mSZ_S12_bEUlT_E_NS1_11comp_targetILNS1_3genE4ELNS1_11target_archE910ELNS1_3gpuE8ELNS1_3repE0EEENS1_30default_config_static_selectorELNS0_4arch9wavefront6targetE0EEEvSW_.has_dyn_sized_stack, 0
	.set _ZN7rocprim17ROCPRIM_400000_NS6detail17trampoline_kernelINS0_14default_configENS1_27upper_bound_config_selectorIxlEEZNS1_14transform_implILb0ES3_S5_N6thrust23THRUST_200600_302600_NS6detail15normal_iteratorINS8_7pointerIxNS8_11hip_rocprim5par_tENS8_11use_defaultESE_EEEENSA_INSB_IlSD_SE_SE_EEEEZNS1_13binary_searchIS3_S5_PxSG_SI_NS1_21upper_bound_search_opENS9_16wrapped_functionINS8_6system6detail7generic6detail18binary_search_lessEbEEEE10hipError_tPvRmT1_T2_T3_mmT4_T5_P12ihipStream_tbEUlRKxE_EEST_SX_SY_mSZ_S12_bEUlT_E_NS1_11comp_targetILNS1_3genE4ELNS1_11target_archE910ELNS1_3gpuE8ELNS1_3repE0EEENS1_30default_config_static_selectorELNS0_4arch9wavefront6targetE0EEEvSW_.has_recursion, 0
	.set _ZN7rocprim17ROCPRIM_400000_NS6detail17trampoline_kernelINS0_14default_configENS1_27upper_bound_config_selectorIxlEEZNS1_14transform_implILb0ES3_S5_N6thrust23THRUST_200600_302600_NS6detail15normal_iteratorINS8_7pointerIxNS8_11hip_rocprim5par_tENS8_11use_defaultESE_EEEENSA_INSB_IlSD_SE_SE_EEEEZNS1_13binary_searchIS3_S5_PxSG_SI_NS1_21upper_bound_search_opENS9_16wrapped_functionINS8_6system6detail7generic6detail18binary_search_lessEbEEEE10hipError_tPvRmT1_T2_T3_mmT4_T5_P12ihipStream_tbEUlRKxE_EEST_SX_SY_mSZ_S12_bEUlT_E_NS1_11comp_targetILNS1_3genE4ELNS1_11target_archE910ELNS1_3gpuE8ELNS1_3repE0EEENS1_30default_config_static_selectorELNS0_4arch9wavefront6targetE0EEEvSW_.has_indirect_call, 0
	.section	.AMDGPU.csdata,"",@progbits
; Kernel info:
; codeLenInByte = 0
; TotalNumSgprs: 0
; NumVgprs: 0
; ScratchSize: 0
; MemoryBound: 0
; FloatMode: 240
; IeeeMode: 1
; LDSByteSize: 0 bytes/workgroup (compile time only)
; SGPRBlocks: 0
; VGPRBlocks: 0
; NumSGPRsForWavesPerEU: 1
; NumVGPRsForWavesPerEU: 1
; Occupancy: 16
; WaveLimiterHint : 0
; COMPUTE_PGM_RSRC2:SCRATCH_EN: 0
; COMPUTE_PGM_RSRC2:USER_SGPR: 6
; COMPUTE_PGM_RSRC2:TRAP_HANDLER: 0
; COMPUTE_PGM_RSRC2:TGID_X_EN: 1
; COMPUTE_PGM_RSRC2:TGID_Y_EN: 0
; COMPUTE_PGM_RSRC2:TGID_Z_EN: 0
; COMPUTE_PGM_RSRC2:TIDIG_COMP_CNT: 0
	.section	.text._ZN7rocprim17ROCPRIM_400000_NS6detail17trampoline_kernelINS0_14default_configENS1_27upper_bound_config_selectorIxlEEZNS1_14transform_implILb0ES3_S5_N6thrust23THRUST_200600_302600_NS6detail15normal_iteratorINS8_7pointerIxNS8_11hip_rocprim5par_tENS8_11use_defaultESE_EEEENSA_INSB_IlSD_SE_SE_EEEEZNS1_13binary_searchIS3_S5_PxSG_SI_NS1_21upper_bound_search_opENS9_16wrapped_functionINS8_6system6detail7generic6detail18binary_search_lessEbEEEE10hipError_tPvRmT1_T2_T3_mmT4_T5_P12ihipStream_tbEUlRKxE_EEST_SX_SY_mSZ_S12_bEUlT_E_NS1_11comp_targetILNS1_3genE3ELNS1_11target_archE908ELNS1_3gpuE7ELNS1_3repE0EEENS1_30default_config_static_selectorELNS0_4arch9wavefront6targetE0EEEvSW_,"axG",@progbits,_ZN7rocprim17ROCPRIM_400000_NS6detail17trampoline_kernelINS0_14default_configENS1_27upper_bound_config_selectorIxlEEZNS1_14transform_implILb0ES3_S5_N6thrust23THRUST_200600_302600_NS6detail15normal_iteratorINS8_7pointerIxNS8_11hip_rocprim5par_tENS8_11use_defaultESE_EEEENSA_INSB_IlSD_SE_SE_EEEEZNS1_13binary_searchIS3_S5_PxSG_SI_NS1_21upper_bound_search_opENS9_16wrapped_functionINS8_6system6detail7generic6detail18binary_search_lessEbEEEE10hipError_tPvRmT1_T2_T3_mmT4_T5_P12ihipStream_tbEUlRKxE_EEST_SX_SY_mSZ_S12_bEUlT_E_NS1_11comp_targetILNS1_3genE3ELNS1_11target_archE908ELNS1_3gpuE7ELNS1_3repE0EEENS1_30default_config_static_selectorELNS0_4arch9wavefront6targetE0EEEvSW_,comdat
	.protected	_ZN7rocprim17ROCPRIM_400000_NS6detail17trampoline_kernelINS0_14default_configENS1_27upper_bound_config_selectorIxlEEZNS1_14transform_implILb0ES3_S5_N6thrust23THRUST_200600_302600_NS6detail15normal_iteratorINS8_7pointerIxNS8_11hip_rocprim5par_tENS8_11use_defaultESE_EEEENSA_INSB_IlSD_SE_SE_EEEEZNS1_13binary_searchIS3_S5_PxSG_SI_NS1_21upper_bound_search_opENS9_16wrapped_functionINS8_6system6detail7generic6detail18binary_search_lessEbEEEE10hipError_tPvRmT1_T2_T3_mmT4_T5_P12ihipStream_tbEUlRKxE_EEST_SX_SY_mSZ_S12_bEUlT_E_NS1_11comp_targetILNS1_3genE3ELNS1_11target_archE908ELNS1_3gpuE7ELNS1_3repE0EEENS1_30default_config_static_selectorELNS0_4arch9wavefront6targetE0EEEvSW_ ; -- Begin function _ZN7rocprim17ROCPRIM_400000_NS6detail17trampoline_kernelINS0_14default_configENS1_27upper_bound_config_selectorIxlEEZNS1_14transform_implILb0ES3_S5_N6thrust23THRUST_200600_302600_NS6detail15normal_iteratorINS8_7pointerIxNS8_11hip_rocprim5par_tENS8_11use_defaultESE_EEEENSA_INSB_IlSD_SE_SE_EEEEZNS1_13binary_searchIS3_S5_PxSG_SI_NS1_21upper_bound_search_opENS9_16wrapped_functionINS8_6system6detail7generic6detail18binary_search_lessEbEEEE10hipError_tPvRmT1_T2_T3_mmT4_T5_P12ihipStream_tbEUlRKxE_EEST_SX_SY_mSZ_S12_bEUlT_E_NS1_11comp_targetILNS1_3genE3ELNS1_11target_archE908ELNS1_3gpuE7ELNS1_3repE0EEENS1_30default_config_static_selectorELNS0_4arch9wavefront6targetE0EEEvSW_
	.globl	_ZN7rocprim17ROCPRIM_400000_NS6detail17trampoline_kernelINS0_14default_configENS1_27upper_bound_config_selectorIxlEEZNS1_14transform_implILb0ES3_S5_N6thrust23THRUST_200600_302600_NS6detail15normal_iteratorINS8_7pointerIxNS8_11hip_rocprim5par_tENS8_11use_defaultESE_EEEENSA_INSB_IlSD_SE_SE_EEEEZNS1_13binary_searchIS3_S5_PxSG_SI_NS1_21upper_bound_search_opENS9_16wrapped_functionINS8_6system6detail7generic6detail18binary_search_lessEbEEEE10hipError_tPvRmT1_T2_T3_mmT4_T5_P12ihipStream_tbEUlRKxE_EEST_SX_SY_mSZ_S12_bEUlT_E_NS1_11comp_targetILNS1_3genE3ELNS1_11target_archE908ELNS1_3gpuE7ELNS1_3repE0EEENS1_30default_config_static_selectorELNS0_4arch9wavefront6targetE0EEEvSW_
	.p2align	8
	.type	_ZN7rocprim17ROCPRIM_400000_NS6detail17trampoline_kernelINS0_14default_configENS1_27upper_bound_config_selectorIxlEEZNS1_14transform_implILb0ES3_S5_N6thrust23THRUST_200600_302600_NS6detail15normal_iteratorINS8_7pointerIxNS8_11hip_rocprim5par_tENS8_11use_defaultESE_EEEENSA_INSB_IlSD_SE_SE_EEEEZNS1_13binary_searchIS3_S5_PxSG_SI_NS1_21upper_bound_search_opENS9_16wrapped_functionINS8_6system6detail7generic6detail18binary_search_lessEbEEEE10hipError_tPvRmT1_T2_T3_mmT4_T5_P12ihipStream_tbEUlRKxE_EEST_SX_SY_mSZ_S12_bEUlT_E_NS1_11comp_targetILNS1_3genE3ELNS1_11target_archE908ELNS1_3gpuE7ELNS1_3repE0EEENS1_30default_config_static_selectorELNS0_4arch9wavefront6targetE0EEEvSW_,@function
_ZN7rocprim17ROCPRIM_400000_NS6detail17trampoline_kernelINS0_14default_configENS1_27upper_bound_config_selectorIxlEEZNS1_14transform_implILb0ES3_S5_N6thrust23THRUST_200600_302600_NS6detail15normal_iteratorINS8_7pointerIxNS8_11hip_rocprim5par_tENS8_11use_defaultESE_EEEENSA_INSB_IlSD_SE_SE_EEEEZNS1_13binary_searchIS3_S5_PxSG_SI_NS1_21upper_bound_search_opENS9_16wrapped_functionINS8_6system6detail7generic6detail18binary_search_lessEbEEEE10hipError_tPvRmT1_T2_T3_mmT4_T5_P12ihipStream_tbEUlRKxE_EEST_SX_SY_mSZ_S12_bEUlT_E_NS1_11comp_targetILNS1_3genE3ELNS1_11target_archE908ELNS1_3gpuE7ELNS1_3repE0EEENS1_30default_config_static_selectorELNS0_4arch9wavefront6targetE0EEEvSW_: ; @_ZN7rocprim17ROCPRIM_400000_NS6detail17trampoline_kernelINS0_14default_configENS1_27upper_bound_config_selectorIxlEEZNS1_14transform_implILb0ES3_S5_N6thrust23THRUST_200600_302600_NS6detail15normal_iteratorINS8_7pointerIxNS8_11hip_rocprim5par_tENS8_11use_defaultESE_EEEENSA_INSB_IlSD_SE_SE_EEEEZNS1_13binary_searchIS3_S5_PxSG_SI_NS1_21upper_bound_search_opENS9_16wrapped_functionINS8_6system6detail7generic6detail18binary_search_lessEbEEEE10hipError_tPvRmT1_T2_T3_mmT4_T5_P12ihipStream_tbEUlRKxE_EEST_SX_SY_mSZ_S12_bEUlT_E_NS1_11comp_targetILNS1_3genE3ELNS1_11target_archE908ELNS1_3gpuE7ELNS1_3repE0EEENS1_30default_config_static_selectorELNS0_4arch9wavefront6targetE0EEEvSW_
; %bb.0:
	.section	.rodata,"a",@progbits
	.p2align	6, 0x0
	.amdhsa_kernel _ZN7rocprim17ROCPRIM_400000_NS6detail17trampoline_kernelINS0_14default_configENS1_27upper_bound_config_selectorIxlEEZNS1_14transform_implILb0ES3_S5_N6thrust23THRUST_200600_302600_NS6detail15normal_iteratorINS8_7pointerIxNS8_11hip_rocprim5par_tENS8_11use_defaultESE_EEEENSA_INSB_IlSD_SE_SE_EEEEZNS1_13binary_searchIS3_S5_PxSG_SI_NS1_21upper_bound_search_opENS9_16wrapped_functionINS8_6system6detail7generic6detail18binary_search_lessEbEEEE10hipError_tPvRmT1_T2_T3_mmT4_T5_P12ihipStream_tbEUlRKxE_EEST_SX_SY_mSZ_S12_bEUlT_E_NS1_11comp_targetILNS1_3genE3ELNS1_11target_archE908ELNS1_3gpuE7ELNS1_3repE0EEENS1_30default_config_static_selectorELNS0_4arch9wavefront6targetE0EEEvSW_
		.amdhsa_group_segment_fixed_size 0
		.amdhsa_private_segment_fixed_size 0
		.amdhsa_kernarg_size 56
		.amdhsa_user_sgpr_count 6
		.amdhsa_user_sgpr_private_segment_buffer 1
		.amdhsa_user_sgpr_dispatch_ptr 0
		.amdhsa_user_sgpr_queue_ptr 0
		.amdhsa_user_sgpr_kernarg_segment_ptr 1
		.amdhsa_user_sgpr_dispatch_id 0
		.amdhsa_user_sgpr_flat_scratch_init 0
		.amdhsa_user_sgpr_private_segment_size 0
		.amdhsa_wavefront_size32 1
		.amdhsa_uses_dynamic_stack 0
		.amdhsa_system_sgpr_private_segment_wavefront_offset 0
		.amdhsa_system_sgpr_workgroup_id_x 1
		.amdhsa_system_sgpr_workgroup_id_y 0
		.amdhsa_system_sgpr_workgroup_id_z 0
		.amdhsa_system_sgpr_workgroup_info 0
		.amdhsa_system_vgpr_workitem_id 0
		.amdhsa_next_free_vgpr 1
		.amdhsa_next_free_sgpr 1
		.amdhsa_reserve_vcc 0
		.amdhsa_reserve_flat_scratch 0
		.amdhsa_float_round_mode_32 0
		.amdhsa_float_round_mode_16_64 0
		.amdhsa_float_denorm_mode_32 3
		.amdhsa_float_denorm_mode_16_64 3
		.amdhsa_dx10_clamp 1
		.amdhsa_ieee_mode 1
		.amdhsa_fp16_overflow 0
		.amdhsa_workgroup_processor_mode 1
		.amdhsa_memory_ordered 1
		.amdhsa_forward_progress 1
		.amdhsa_shared_vgpr_count 0
		.amdhsa_exception_fp_ieee_invalid_op 0
		.amdhsa_exception_fp_denorm_src 0
		.amdhsa_exception_fp_ieee_div_zero 0
		.amdhsa_exception_fp_ieee_overflow 0
		.amdhsa_exception_fp_ieee_underflow 0
		.amdhsa_exception_fp_ieee_inexact 0
		.amdhsa_exception_int_div_zero 0
	.end_amdhsa_kernel
	.section	.text._ZN7rocprim17ROCPRIM_400000_NS6detail17trampoline_kernelINS0_14default_configENS1_27upper_bound_config_selectorIxlEEZNS1_14transform_implILb0ES3_S5_N6thrust23THRUST_200600_302600_NS6detail15normal_iteratorINS8_7pointerIxNS8_11hip_rocprim5par_tENS8_11use_defaultESE_EEEENSA_INSB_IlSD_SE_SE_EEEEZNS1_13binary_searchIS3_S5_PxSG_SI_NS1_21upper_bound_search_opENS9_16wrapped_functionINS8_6system6detail7generic6detail18binary_search_lessEbEEEE10hipError_tPvRmT1_T2_T3_mmT4_T5_P12ihipStream_tbEUlRKxE_EEST_SX_SY_mSZ_S12_bEUlT_E_NS1_11comp_targetILNS1_3genE3ELNS1_11target_archE908ELNS1_3gpuE7ELNS1_3repE0EEENS1_30default_config_static_selectorELNS0_4arch9wavefront6targetE0EEEvSW_,"axG",@progbits,_ZN7rocprim17ROCPRIM_400000_NS6detail17trampoline_kernelINS0_14default_configENS1_27upper_bound_config_selectorIxlEEZNS1_14transform_implILb0ES3_S5_N6thrust23THRUST_200600_302600_NS6detail15normal_iteratorINS8_7pointerIxNS8_11hip_rocprim5par_tENS8_11use_defaultESE_EEEENSA_INSB_IlSD_SE_SE_EEEEZNS1_13binary_searchIS3_S5_PxSG_SI_NS1_21upper_bound_search_opENS9_16wrapped_functionINS8_6system6detail7generic6detail18binary_search_lessEbEEEE10hipError_tPvRmT1_T2_T3_mmT4_T5_P12ihipStream_tbEUlRKxE_EEST_SX_SY_mSZ_S12_bEUlT_E_NS1_11comp_targetILNS1_3genE3ELNS1_11target_archE908ELNS1_3gpuE7ELNS1_3repE0EEENS1_30default_config_static_selectorELNS0_4arch9wavefront6targetE0EEEvSW_,comdat
.Lfunc_end215:
	.size	_ZN7rocprim17ROCPRIM_400000_NS6detail17trampoline_kernelINS0_14default_configENS1_27upper_bound_config_selectorIxlEEZNS1_14transform_implILb0ES3_S5_N6thrust23THRUST_200600_302600_NS6detail15normal_iteratorINS8_7pointerIxNS8_11hip_rocprim5par_tENS8_11use_defaultESE_EEEENSA_INSB_IlSD_SE_SE_EEEEZNS1_13binary_searchIS3_S5_PxSG_SI_NS1_21upper_bound_search_opENS9_16wrapped_functionINS8_6system6detail7generic6detail18binary_search_lessEbEEEE10hipError_tPvRmT1_T2_T3_mmT4_T5_P12ihipStream_tbEUlRKxE_EEST_SX_SY_mSZ_S12_bEUlT_E_NS1_11comp_targetILNS1_3genE3ELNS1_11target_archE908ELNS1_3gpuE7ELNS1_3repE0EEENS1_30default_config_static_selectorELNS0_4arch9wavefront6targetE0EEEvSW_, .Lfunc_end215-_ZN7rocprim17ROCPRIM_400000_NS6detail17trampoline_kernelINS0_14default_configENS1_27upper_bound_config_selectorIxlEEZNS1_14transform_implILb0ES3_S5_N6thrust23THRUST_200600_302600_NS6detail15normal_iteratorINS8_7pointerIxNS8_11hip_rocprim5par_tENS8_11use_defaultESE_EEEENSA_INSB_IlSD_SE_SE_EEEEZNS1_13binary_searchIS3_S5_PxSG_SI_NS1_21upper_bound_search_opENS9_16wrapped_functionINS8_6system6detail7generic6detail18binary_search_lessEbEEEE10hipError_tPvRmT1_T2_T3_mmT4_T5_P12ihipStream_tbEUlRKxE_EEST_SX_SY_mSZ_S12_bEUlT_E_NS1_11comp_targetILNS1_3genE3ELNS1_11target_archE908ELNS1_3gpuE7ELNS1_3repE0EEENS1_30default_config_static_selectorELNS0_4arch9wavefront6targetE0EEEvSW_
                                        ; -- End function
	.set _ZN7rocprim17ROCPRIM_400000_NS6detail17trampoline_kernelINS0_14default_configENS1_27upper_bound_config_selectorIxlEEZNS1_14transform_implILb0ES3_S5_N6thrust23THRUST_200600_302600_NS6detail15normal_iteratorINS8_7pointerIxNS8_11hip_rocprim5par_tENS8_11use_defaultESE_EEEENSA_INSB_IlSD_SE_SE_EEEEZNS1_13binary_searchIS3_S5_PxSG_SI_NS1_21upper_bound_search_opENS9_16wrapped_functionINS8_6system6detail7generic6detail18binary_search_lessEbEEEE10hipError_tPvRmT1_T2_T3_mmT4_T5_P12ihipStream_tbEUlRKxE_EEST_SX_SY_mSZ_S12_bEUlT_E_NS1_11comp_targetILNS1_3genE3ELNS1_11target_archE908ELNS1_3gpuE7ELNS1_3repE0EEENS1_30default_config_static_selectorELNS0_4arch9wavefront6targetE0EEEvSW_.num_vgpr, 0
	.set _ZN7rocprim17ROCPRIM_400000_NS6detail17trampoline_kernelINS0_14default_configENS1_27upper_bound_config_selectorIxlEEZNS1_14transform_implILb0ES3_S5_N6thrust23THRUST_200600_302600_NS6detail15normal_iteratorINS8_7pointerIxNS8_11hip_rocprim5par_tENS8_11use_defaultESE_EEEENSA_INSB_IlSD_SE_SE_EEEEZNS1_13binary_searchIS3_S5_PxSG_SI_NS1_21upper_bound_search_opENS9_16wrapped_functionINS8_6system6detail7generic6detail18binary_search_lessEbEEEE10hipError_tPvRmT1_T2_T3_mmT4_T5_P12ihipStream_tbEUlRKxE_EEST_SX_SY_mSZ_S12_bEUlT_E_NS1_11comp_targetILNS1_3genE3ELNS1_11target_archE908ELNS1_3gpuE7ELNS1_3repE0EEENS1_30default_config_static_selectorELNS0_4arch9wavefront6targetE0EEEvSW_.num_agpr, 0
	.set _ZN7rocprim17ROCPRIM_400000_NS6detail17trampoline_kernelINS0_14default_configENS1_27upper_bound_config_selectorIxlEEZNS1_14transform_implILb0ES3_S5_N6thrust23THRUST_200600_302600_NS6detail15normal_iteratorINS8_7pointerIxNS8_11hip_rocprim5par_tENS8_11use_defaultESE_EEEENSA_INSB_IlSD_SE_SE_EEEEZNS1_13binary_searchIS3_S5_PxSG_SI_NS1_21upper_bound_search_opENS9_16wrapped_functionINS8_6system6detail7generic6detail18binary_search_lessEbEEEE10hipError_tPvRmT1_T2_T3_mmT4_T5_P12ihipStream_tbEUlRKxE_EEST_SX_SY_mSZ_S12_bEUlT_E_NS1_11comp_targetILNS1_3genE3ELNS1_11target_archE908ELNS1_3gpuE7ELNS1_3repE0EEENS1_30default_config_static_selectorELNS0_4arch9wavefront6targetE0EEEvSW_.numbered_sgpr, 0
	.set _ZN7rocprim17ROCPRIM_400000_NS6detail17trampoline_kernelINS0_14default_configENS1_27upper_bound_config_selectorIxlEEZNS1_14transform_implILb0ES3_S5_N6thrust23THRUST_200600_302600_NS6detail15normal_iteratorINS8_7pointerIxNS8_11hip_rocprim5par_tENS8_11use_defaultESE_EEEENSA_INSB_IlSD_SE_SE_EEEEZNS1_13binary_searchIS3_S5_PxSG_SI_NS1_21upper_bound_search_opENS9_16wrapped_functionINS8_6system6detail7generic6detail18binary_search_lessEbEEEE10hipError_tPvRmT1_T2_T3_mmT4_T5_P12ihipStream_tbEUlRKxE_EEST_SX_SY_mSZ_S12_bEUlT_E_NS1_11comp_targetILNS1_3genE3ELNS1_11target_archE908ELNS1_3gpuE7ELNS1_3repE0EEENS1_30default_config_static_selectorELNS0_4arch9wavefront6targetE0EEEvSW_.num_named_barrier, 0
	.set _ZN7rocprim17ROCPRIM_400000_NS6detail17trampoline_kernelINS0_14default_configENS1_27upper_bound_config_selectorIxlEEZNS1_14transform_implILb0ES3_S5_N6thrust23THRUST_200600_302600_NS6detail15normal_iteratorINS8_7pointerIxNS8_11hip_rocprim5par_tENS8_11use_defaultESE_EEEENSA_INSB_IlSD_SE_SE_EEEEZNS1_13binary_searchIS3_S5_PxSG_SI_NS1_21upper_bound_search_opENS9_16wrapped_functionINS8_6system6detail7generic6detail18binary_search_lessEbEEEE10hipError_tPvRmT1_T2_T3_mmT4_T5_P12ihipStream_tbEUlRKxE_EEST_SX_SY_mSZ_S12_bEUlT_E_NS1_11comp_targetILNS1_3genE3ELNS1_11target_archE908ELNS1_3gpuE7ELNS1_3repE0EEENS1_30default_config_static_selectorELNS0_4arch9wavefront6targetE0EEEvSW_.private_seg_size, 0
	.set _ZN7rocprim17ROCPRIM_400000_NS6detail17trampoline_kernelINS0_14default_configENS1_27upper_bound_config_selectorIxlEEZNS1_14transform_implILb0ES3_S5_N6thrust23THRUST_200600_302600_NS6detail15normal_iteratorINS8_7pointerIxNS8_11hip_rocprim5par_tENS8_11use_defaultESE_EEEENSA_INSB_IlSD_SE_SE_EEEEZNS1_13binary_searchIS3_S5_PxSG_SI_NS1_21upper_bound_search_opENS9_16wrapped_functionINS8_6system6detail7generic6detail18binary_search_lessEbEEEE10hipError_tPvRmT1_T2_T3_mmT4_T5_P12ihipStream_tbEUlRKxE_EEST_SX_SY_mSZ_S12_bEUlT_E_NS1_11comp_targetILNS1_3genE3ELNS1_11target_archE908ELNS1_3gpuE7ELNS1_3repE0EEENS1_30default_config_static_selectorELNS0_4arch9wavefront6targetE0EEEvSW_.uses_vcc, 0
	.set _ZN7rocprim17ROCPRIM_400000_NS6detail17trampoline_kernelINS0_14default_configENS1_27upper_bound_config_selectorIxlEEZNS1_14transform_implILb0ES3_S5_N6thrust23THRUST_200600_302600_NS6detail15normal_iteratorINS8_7pointerIxNS8_11hip_rocprim5par_tENS8_11use_defaultESE_EEEENSA_INSB_IlSD_SE_SE_EEEEZNS1_13binary_searchIS3_S5_PxSG_SI_NS1_21upper_bound_search_opENS9_16wrapped_functionINS8_6system6detail7generic6detail18binary_search_lessEbEEEE10hipError_tPvRmT1_T2_T3_mmT4_T5_P12ihipStream_tbEUlRKxE_EEST_SX_SY_mSZ_S12_bEUlT_E_NS1_11comp_targetILNS1_3genE3ELNS1_11target_archE908ELNS1_3gpuE7ELNS1_3repE0EEENS1_30default_config_static_selectorELNS0_4arch9wavefront6targetE0EEEvSW_.uses_flat_scratch, 0
	.set _ZN7rocprim17ROCPRIM_400000_NS6detail17trampoline_kernelINS0_14default_configENS1_27upper_bound_config_selectorIxlEEZNS1_14transform_implILb0ES3_S5_N6thrust23THRUST_200600_302600_NS6detail15normal_iteratorINS8_7pointerIxNS8_11hip_rocprim5par_tENS8_11use_defaultESE_EEEENSA_INSB_IlSD_SE_SE_EEEEZNS1_13binary_searchIS3_S5_PxSG_SI_NS1_21upper_bound_search_opENS9_16wrapped_functionINS8_6system6detail7generic6detail18binary_search_lessEbEEEE10hipError_tPvRmT1_T2_T3_mmT4_T5_P12ihipStream_tbEUlRKxE_EEST_SX_SY_mSZ_S12_bEUlT_E_NS1_11comp_targetILNS1_3genE3ELNS1_11target_archE908ELNS1_3gpuE7ELNS1_3repE0EEENS1_30default_config_static_selectorELNS0_4arch9wavefront6targetE0EEEvSW_.has_dyn_sized_stack, 0
	.set _ZN7rocprim17ROCPRIM_400000_NS6detail17trampoline_kernelINS0_14default_configENS1_27upper_bound_config_selectorIxlEEZNS1_14transform_implILb0ES3_S5_N6thrust23THRUST_200600_302600_NS6detail15normal_iteratorINS8_7pointerIxNS8_11hip_rocprim5par_tENS8_11use_defaultESE_EEEENSA_INSB_IlSD_SE_SE_EEEEZNS1_13binary_searchIS3_S5_PxSG_SI_NS1_21upper_bound_search_opENS9_16wrapped_functionINS8_6system6detail7generic6detail18binary_search_lessEbEEEE10hipError_tPvRmT1_T2_T3_mmT4_T5_P12ihipStream_tbEUlRKxE_EEST_SX_SY_mSZ_S12_bEUlT_E_NS1_11comp_targetILNS1_3genE3ELNS1_11target_archE908ELNS1_3gpuE7ELNS1_3repE0EEENS1_30default_config_static_selectorELNS0_4arch9wavefront6targetE0EEEvSW_.has_recursion, 0
	.set _ZN7rocprim17ROCPRIM_400000_NS6detail17trampoline_kernelINS0_14default_configENS1_27upper_bound_config_selectorIxlEEZNS1_14transform_implILb0ES3_S5_N6thrust23THRUST_200600_302600_NS6detail15normal_iteratorINS8_7pointerIxNS8_11hip_rocprim5par_tENS8_11use_defaultESE_EEEENSA_INSB_IlSD_SE_SE_EEEEZNS1_13binary_searchIS3_S5_PxSG_SI_NS1_21upper_bound_search_opENS9_16wrapped_functionINS8_6system6detail7generic6detail18binary_search_lessEbEEEE10hipError_tPvRmT1_T2_T3_mmT4_T5_P12ihipStream_tbEUlRKxE_EEST_SX_SY_mSZ_S12_bEUlT_E_NS1_11comp_targetILNS1_3genE3ELNS1_11target_archE908ELNS1_3gpuE7ELNS1_3repE0EEENS1_30default_config_static_selectorELNS0_4arch9wavefront6targetE0EEEvSW_.has_indirect_call, 0
	.section	.AMDGPU.csdata,"",@progbits
; Kernel info:
; codeLenInByte = 0
; TotalNumSgprs: 0
; NumVgprs: 0
; ScratchSize: 0
; MemoryBound: 0
; FloatMode: 240
; IeeeMode: 1
; LDSByteSize: 0 bytes/workgroup (compile time only)
; SGPRBlocks: 0
; VGPRBlocks: 0
; NumSGPRsForWavesPerEU: 1
; NumVGPRsForWavesPerEU: 1
; Occupancy: 16
; WaveLimiterHint : 0
; COMPUTE_PGM_RSRC2:SCRATCH_EN: 0
; COMPUTE_PGM_RSRC2:USER_SGPR: 6
; COMPUTE_PGM_RSRC2:TRAP_HANDLER: 0
; COMPUTE_PGM_RSRC2:TGID_X_EN: 1
; COMPUTE_PGM_RSRC2:TGID_Y_EN: 0
; COMPUTE_PGM_RSRC2:TGID_Z_EN: 0
; COMPUTE_PGM_RSRC2:TIDIG_COMP_CNT: 0
	.section	.text._ZN7rocprim17ROCPRIM_400000_NS6detail17trampoline_kernelINS0_14default_configENS1_27upper_bound_config_selectorIxlEEZNS1_14transform_implILb0ES3_S5_N6thrust23THRUST_200600_302600_NS6detail15normal_iteratorINS8_7pointerIxNS8_11hip_rocprim5par_tENS8_11use_defaultESE_EEEENSA_INSB_IlSD_SE_SE_EEEEZNS1_13binary_searchIS3_S5_PxSG_SI_NS1_21upper_bound_search_opENS9_16wrapped_functionINS8_6system6detail7generic6detail18binary_search_lessEbEEEE10hipError_tPvRmT1_T2_T3_mmT4_T5_P12ihipStream_tbEUlRKxE_EEST_SX_SY_mSZ_S12_bEUlT_E_NS1_11comp_targetILNS1_3genE2ELNS1_11target_archE906ELNS1_3gpuE6ELNS1_3repE0EEENS1_30default_config_static_selectorELNS0_4arch9wavefront6targetE0EEEvSW_,"axG",@progbits,_ZN7rocprim17ROCPRIM_400000_NS6detail17trampoline_kernelINS0_14default_configENS1_27upper_bound_config_selectorIxlEEZNS1_14transform_implILb0ES3_S5_N6thrust23THRUST_200600_302600_NS6detail15normal_iteratorINS8_7pointerIxNS8_11hip_rocprim5par_tENS8_11use_defaultESE_EEEENSA_INSB_IlSD_SE_SE_EEEEZNS1_13binary_searchIS3_S5_PxSG_SI_NS1_21upper_bound_search_opENS9_16wrapped_functionINS8_6system6detail7generic6detail18binary_search_lessEbEEEE10hipError_tPvRmT1_T2_T3_mmT4_T5_P12ihipStream_tbEUlRKxE_EEST_SX_SY_mSZ_S12_bEUlT_E_NS1_11comp_targetILNS1_3genE2ELNS1_11target_archE906ELNS1_3gpuE6ELNS1_3repE0EEENS1_30default_config_static_selectorELNS0_4arch9wavefront6targetE0EEEvSW_,comdat
	.protected	_ZN7rocprim17ROCPRIM_400000_NS6detail17trampoline_kernelINS0_14default_configENS1_27upper_bound_config_selectorIxlEEZNS1_14transform_implILb0ES3_S5_N6thrust23THRUST_200600_302600_NS6detail15normal_iteratorINS8_7pointerIxNS8_11hip_rocprim5par_tENS8_11use_defaultESE_EEEENSA_INSB_IlSD_SE_SE_EEEEZNS1_13binary_searchIS3_S5_PxSG_SI_NS1_21upper_bound_search_opENS9_16wrapped_functionINS8_6system6detail7generic6detail18binary_search_lessEbEEEE10hipError_tPvRmT1_T2_T3_mmT4_T5_P12ihipStream_tbEUlRKxE_EEST_SX_SY_mSZ_S12_bEUlT_E_NS1_11comp_targetILNS1_3genE2ELNS1_11target_archE906ELNS1_3gpuE6ELNS1_3repE0EEENS1_30default_config_static_selectorELNS0_4arch9wavefront6targetE0EEEvSW_ ; -- Begin function _ZN7rocprim17ROCPRIM_400000_NS6detail17trampoline_kernelINS0_14default_configENS1_27upper_bound_config_selectorIxlEEZNS1_14transform_implILb0ES3_S5_N6thrust23THRUST_200600_302600_NS6detail15normal_iteratorINS8_7pointerIxNS8_11hip_rocprim5par_tENS8_11use_defaultESE_EEEENSA_INSB_IlSD_SE_SE_EEEEZNS1_13binary_searchIS3_S5_PxSG_SI_NS1_21upper_bound_search_opENS9_16wrapped_functionINS8_6system6detail7generic6detail18binary_search_lessEbEEEE10hipError_tPvRmT1_T2_T3_mmT4_T5_P12ihipStream_tbEUlRKxE_EEST_SX_SY_mSZ_S12_bEUlT_E_NS1_11comp_targetILNS1_3genE2ELNS1_11target_archE906ELNS1_3gpuE6ELNS1_3repE0EEENS1_30default_config_static_selectorELNS0_4arch9wavefront6targetE0EEEvSW_
	.globl	_ZN7rocprim17ROCPRIM_400000_NS6detail17trampoline_kernelINS0_14default_configENS1_27upper_bound_config_selectorIxlEEZNS1_14transform_implILb0ES3_S5_N6thrust23THRUST_200600_302600_NS6detail15normal_iteratorINS8_7pointerIxNS8_11hip_rocprim5par_tENS8_11use_defaultESE_EEEENSA_INSB_IlSD_SE_SE_EEEEZNS1_13binary_searchIS3_S5_PxSG_SI_NS1_21upper_bound_search_opENS9_16wrapped_functionINS8_6system6detail7generic6detail18binary_search_lessEbEEEE10hipError_tPvRmT1_T2_T3_mmT4_T5_P12ihipStream_tbEUlRKxE_EEST_SX_SY_mSZ_S12_bEUlT_E_NS1_11comp_targetILNS1_3genE2ELNS1_11target_archE906ELNS1_3gpuE6ELNS1_3repE0EEENS1_30default_config_static_selectorELNS0_4arch9wavefront6targetE0EEEvSW_
	.p2align	8
	.type	_ZN7rocprim17ROCPRIM_400000_NS6detail17trampoline_kernelINS0_14default_configENS1_27upper_bound_config_selectorIxlEEZNS1_14transform_implILb0ES3_S5_N6thrust23THRUST_200600_302600_NS6detail15normal_iteratorINS8_7pointerIxNS8_11hip_rocprim5par_tENS8_11use_defaultESE_EEEENSA_INSB_IlSD_SE_SE_EEEEZNS1_13binary_searchIS3_S5_PxSG_SI_NS1_21upper_bound_search_opENS9_16wrapped_functionINS8_6system6detail7generic6detail18binary_search_lessEbEEEE10hipError_tPvRmT1_T2_T3_mmT4_T5_P12ihipStream_tbEUlRKxE_EEST_SX_SY_mSZ_S12_bEUlT_E_NS1_11comp_targetILNS1_3genE2ELNS1_11target_archE906ELNS1_3gpuE6ELNS1_3repE0EEENS1_30default_config_static_selectorELNS0_4arch9wavefront6targetE0EEEvSW_,@function
_ZN7rocprim17ROCPRIM_400000_NS6detail17trampoline_kernelINS0_14default_configENS1_27upper_bound_config_selectorIxlEEZNS1_14transform_implILb0ES3_S5_N6thrust23THRUST_200600_302600_NS6detail15normal_iteratorINS8_7pointerIxNS8_11hip_rocprim5par_tENS8_11use_defaultESE_EEEENSA_INSB_IlSD_SE_SE_EEEEZNS1_13binary_searchIS3_S5_PxSG_SI_NS1_21upper_bound_search_opENS9_16wrapped_functionINS8_6system6detail7generic6detail18binary_search_lessEbEEEE10hipError_tPvRmT1_T2_T3_mmT4_T5_P12ihipStream_tbEUlRKxE_EEST_SX_SY_mSZ_S12_bEUlT_E_NS1_11comp_targetILNS1_3genE2ELNS1_11target_archE906ELNS1_3gpuE6ELNS1_3repE0EEENS1_30default_config_static_selectorELNS0_4arch9wavefront6targetE0EEEvSW_: ; @_ZN7rocprim17ROCPRIM_400000_NS6detail17trampoline_kernelINS0_14default_configENS1_27upper_bound_config_selectorIxlEEZNS1_14transform_implILb0ES3_S5_N6thrust23THRUST_200600_302600_NS6detail15normal_iteratorINS8_7pointerIxNS8_11hip_rocprim5par_tENS8_11use_defaultESE_EEEENSA_INSB_IlSD_SE_SE_EEEEZNS1_13binary_searchIS3_S5_PxSG_SI_NS1_21upper_bound_search_opENS9_16wrapped_functionINS8_6system6detail7generic6detail18binary_search_lessEbEEEE10hipError_tPvRmT1_T2_T3_mmT4_T5_P12ihipStream_tbEUlRKxE_EEST_SX_SY_mSZ_S12_bEUlT_E_NS1_11comp_targetILNS1_3genE2ELNS1_11target_archE906ELNS1_3gpuE6ELNS1_3repE0EEENS1_30default_config_static_selectorELNS0_4arch9wavefront6targetE0EEEvSW_
; %bb.0:
	.section	.rodata,"a",@progbits
	.p2align	6, 0x0
	.amdhsa_kernel _ZN7rocprim17ROCPRIM_400000_NS6detail17trampoline_kernelINS0_14default_configENS1_27upper_bound_config_selectorIxlEEZNS1_14transform_implILb0ES3_S5_N6thrust23THRUST_200600_302600_NS6detail15normal_iteratorINS8_7pointerIxNS8_11hip_rocprim5par_tENS8_11use_defaultESE_EEEENSA_INSB_IlSD_SE_SE_EEEEZNS1_13binary_searchIS3_S5_PxSG_SI_NS1_21upper_bound_search_opENS9_16wrapped_functionINS8_6system6detail7generic6detail18binary_search_lessEbEEEE10hipError_tPvRmT1_T2_T3_mmT4_T5_P12ihipStream_tbEUlRKxE_EEST_SX_SY_mSZ_S12_bEUlT_E_NS1_11comp_targetILNS1_3genE2ELNS1_11target_archE906ELNS1_3gpuE6ELNS1_3repE0EEENS1_30default_config_static_selectorELNS0_4arch9wavefront6targetE0EEEvSW_
		.amdhsa_group_segment_fixed_size 0
		.amdhsa_private_segment_fixed_size 0
		.amdhsa_kernarg_size 56
		.amdhsa_user_sgpr_count 6
		.amdhsa_user_sgpr_private_segment_buffer 1
		.amdhsa_user_sgpr_dispatch_ptr 0
		.amdhsa_user_sgpr_queue_ptr 0
		.amdhsa_user_sgpr_kernarg_segment_ptr 1
		.amdhsa_user_sgpr_dispatch_id 0
		.amdhsa_user_sgpr_flat_scratch_init 0
		.amdhsa_user_sgpr_private_segment_size 0
		.amdhsa_wavefront_size32 1
		.amdhsa_uses_dynamic_stack 0
		.amdhsa_system_sgpr_private_segment_wavefront_offset 0
		.amdhsa_system_sgpr_workgroup_id_x 1
		.amdhsa_system_sgpr_workgroup_id_y 0
		.amdhsa_system_sgpr_workgroup_id_z 0
		.amdhsa_system_sgpr_workgroup_info 0
		.amdhsa_system_vgpr_workitem_id 0
		.amdhsa_next_free_vgpr 1
		.amdhsa_next_free_sgpr 1
		.amdhsa_reserve_vcc 0
		.amdhsa_reserve_flat_scratch 0
		.amdhsa_float_round_mode_32 0
		.amdhsa_float_round_mode_16_64 0
		.amdhsa_float_denorm_mode_32 3
		.amdhsa_float_denorm_mode_16_64 3
		.amdhsa_dx10_clamp 1
		.amdhsa_ieee_mode 1
		.amdhsa_fp16_overflow 0
		.amdhsa_workgroup_processor_mode 1
		.amdhsa_memory_ordered 1
		.amdhsa_forward_progress 1
		.amdhsa_shared_vgpr_count 0
		.amdhsa_exception_fp_ieee_invalid_op 0
		.amdhsa_exception_fp_denorm_src 0
		.amdhsa_exception_fp_ieee_div_zero 0
		.amdhsa_exception_fp_ieee_overflow 0
		.amdhsa_exception_fp_ieee_underflow 0
		.amdhsa_exception_fp_ieee_inexact 0
		.amdhsa_exception_int_div_zero 0
	.end_amdhsa_kernel
	.section	.text._ZN7rocprim17ROCPRIM_400000_NS6detail17trampoline_kernelINS0_14default_configENS1_27upper_bound_config_selectorIxlEEZNS1_14transform_implILb0ES3_S5_N6thrust23THRUST_200600_302600_NS6detail15normal_iteratorINS8_7pointerIxNS8_11hip_rocprim5par_tENS8_11use_defaultESE_EEEENSA_INSB_IlSD_SE_SE_EEEEZNS1_13binary_searchIS3_S5_PxSG_SI_NS1_21upper_bound_search_opENS9_16wrapped_functionINS8_6system6detail7generic6detail18binary_search_lessEbEEEE10hipError_tPvRmT1_T2_T3_mmT4_T5_P12ihipStream_tbEUlRKxE_EEST_SX_SY_mSZ_S12_bEUlT_E_NS1_11comp_targetILNS1_3genE2ELNS1_11target_archE906ELNS1_3gpuE6ELNS1_3repE0EEENS1_30default_config_static_selectorELNS0_4arch9wavefront6targetE0EEEvSW_,"axG",@progbits,_ZN7rocprim17ROCPRIM_400000_NS6detail17trampoline_kernelINS0_14default_configENS1_27upper_bound_config_selectorIxlEEZNS1_14transform_implILb0ES3_S5_N6thrust23THRUST_200600_302600_NS6detail15normal_iteratorINS8_7pointerIxNS8_11hip_rocprim5par_tENS8_11use_defaultESE_EEEENSA_INSB_IlSD_SE_SE_EEEEZNS1_13binary_searchIS3_S5_PxSG_SI_NS1_21upper_bound_search_opENS9_16wrapped_functionINS8_6system6detail7generic6detail18binary_search_lessEbEEEE10hipError_tPvRmT1_T2_T3_mmT4_T5_P12ihipStream_tbEUlRKxE_EEST_SX_SY_mSZ_S12_bEUlT_E_NS1_11comp_targetILNS1_3genE2ELNS1_11target_archE906ELNS1_3gpuE6ELNS1_3repE0EEENS1_30default_config_static_selectorELNS0_4arch9wavefront6targetE0EEEvSW_,comdat
.Lfunc_end216:
	.size	_ZN7rocprim17ROCPRIM_400000_NS6detail17trampoline_kernelINS0_14default_configENS1_27upper_bound_config_selectorIxlEEZNS1_14transform_implILb0ES3_S5_N6thrust23THRUST_200600_302600_NS6detail15normal_iteratorINS8_7pointerIxNS8_11hip_rocprim5par_tENS8_11use_defaultESE_EEEENSA_INSB_IlSD_SE_SE_EEEEZNS1_13binary_searchIS3_S5_PxSG_SI_NS1_21upper_bound_search_opENS9_16wrapped_functionINS8_6system6detail7generic6detail18binary_search_lessEbEEEE10hipError_tPvRmT1_T2_T3_mmT4_T5_P12ihipStream_tbEUlRKxE_EEST_SX_SY_mSZ_S12_bEUlT_E_NS1_11comp_targetILNS1_3genE2ELNS1_11target_archE906ELNS1_3gpuE6ELNS1_3repE0EEENS1_30default_config_static_selectorELNS0_4arch9wavefront6targetE0EEEvSW_, .Lfunc_end216-_ZN7rocprim17ROCPRIM_400000_NS6detail17trampoline_kernelINS0_14default_configENS1_27upper_bound_config_selectorIxlEEZNS1_14transform_implILb0ES3_S5_N6thrust23THRUST_200600_302600_NS6detail15normal_iteratorINS8_7pointerIxNS8_11hip_rocprim5par_tENS8_11use_defaultESE_EEEENSA_INSB_IlSD_SE_SE_EEEEZNS1_13binary_searchIS3_S5_PxSG_SI_NS1_21upper_bound_search_opENS9_16wrapped_functionINS8_6system6detail7generic6detail18binary_search_lessEbEEEE10hipError_tPvRmT1_T2_T3_mmT4_T5_P12ihipStream_tbEUlRKxE_EEST_SX_SY_mSZ_S12_bEUlT_E_NS1_11comp_targetILNS1_3genE2ELNS1_11target_archE906ELNS1_3gpuE6ELNS1_3repE0EEENS1_30default_config_static_selectorELNS0_4arch9wavefront6targetE0EEEvSW_
                                        ; -- End function
	.set _ZN7rocprim17ROCPRIM_400000_NS6detail17trampoline_kernelINS0_14default_configENS1_27upper_bound_config_selectorIxlEEZNS1_14transform_implILb0ES3_S5_N6thrust23THRUST_200600_302600_NS6detail15normal_iteratorINS8_7pointerIxNS8_11hip_rocprim5par_tENS8_11use_defaultESE_EEEENSA_INSB_IlSD_SE_SE_EEEEZNS1_13binary_searchIS3_S5_PxSG_SI_NS1_21upper_bound_search_opENS9_16wrapped_functionINS8_6system6detail7generic6detail18binary_search_lessEbEEEE10hipError_tPvRmT1_T2_T3_mmT4_T5_P12ihipStream_tbEUlRKxE_EEST_SX_SY_mSZ_S12_bEUlT_E_NS1_11comp_targetILNS1_3genE2ELNS1_11target_archE906ELNS1_3gpuE6ELNS1_3repE0EEENS1_30default_config_static_selectorELNS0_4arch9wavefront6targetE0EEEvSW_.num_vgpr, 0
	.set _ZN7rocprim17ROCPRIM_400000_NS6detail17trampoline_kernelINS0_14default_configENS1_27upper_bound_config_selectorIxlEEZNS1_14transform_implILb0ES3_S5_N6thrust23THRUST_200600_302600_NS6detail15normal_iteratorINS8_7pointerIxNS8_11hip_rocprim5par_tENS8_11use_defaultESE_EEEENSA_INSB_IlSD_SE_SE_EEEEZNS1_13binary_searchIS3_S5_PxSG_SI_NS1_21upper_bound_search_opENS9_16wrapped_functionINS8_6system6detail7generic6detail18binary_search_lessEbEEEE10hipError_tPvRmT1_T2_T3_mmT4_T5_P12ihipStream_tbEUlRKxE_EEST_SX_SY_mSZ_S12_bEUlT_E_NS1_11comp_targetILNS1_3genE2ELNS1_11target_archE906ELNS1_3gpuE6ELNS1_3repE0EEENS1_30default_config_static_selectorELNS0_4arch9wavefront6targetE0EEEvSW_.num_agpr, 0
	.set _ZN7rocprim17ROCPRIM_400000_NS6detail17trampoline_kernelINS0_14default_configENS1_27upper_bound_config_selectorIxlEEZNS1_14transform_implILb0ES3_S5_N6thrust23THRUST_200600_302600_NS6detail15normal_iteratorINS8_7pointerIxNS8_11hip_rocprim5par_tENS8_11use_defaultESE_EEEENSA_INSB_IlSD_SE_SE_EEEEZNS1_13binary_searchIS3_S5_PxSG_SI_NS1_21upper_bound_search_opENS9_16wrapped_functionINS8_6system6detail7generic6detail18binary_search_lessEbEEEE10hipError_tPvRmT1_T2_T3_mmT4_T5_P12ihipStream_tbEUlRKxE_EEST_SX_SY_mSZ_S12_bEUlT_E_NS1_11comp_targetILNS1_3genE2ELNS1_11target_archE906ELNS1_3gpuE6ELNS1_3repE0EEENS1_30default_config_static_selectorELNS0_4arch9wavefront6targetE0EEEvSW_.numbered_sgpr, 0
	.set _ZN7rocprim17ROCPRIM_400000_NS6detail17trampoline_kernelINS0_14default_configENS1_27upper_bound_config_selectorIxlEEZNS1_14transform_implILb0ES3_S5_N6thrust23THRUST_200600_302600_NS6detail15normal_iteratorINS8_7pointerIxNS8_11hip_rocprim5par_tENS8_11use_defaultESE_EEEENSA_INSB_IlSD_SE_SE_EEEEZNS1_13binary_searchIS3_S5_PxSG_SI_NS1_21upper_bound_search_opENS9_16wrapped_functionINS8_6system6detail7generic6detail18binary_search_lessEbEEEE10hipError_tPvRmT1_T2_T3_mmT4_T5_P12ihipStream_tbEUlRKxE_EEST_SX_SY_mSZ_S12_bEUlT_E_NS1_11comp_targetILNS1_3genE2ELNS1_11target_archE906ELNS1_3gpuE6ELNS1_3repE0EEENS1_30default_config_static_selectorELNS0_4arch9wavefront6targetE0EEEvSW_.num_named_barrier, 0
	.set _ZN7rocprim17ROCPRIM_400000_NS6detail17trampoline_kernelINS0_14default_configENS1_27upper_bound_config_selectorIxlEEZNS1_14transform_implILb0ES3_S5_N6thrust23THRUST_200600_302600_NS6detail15normal_iteratorINS8_7pointerIxNS8_11hip_rocprim5par_tENS8_11use_defaultESE_EEEENSA_INSB_IlSD_SE_SE_EEEEZNS1_13binary_searchIS3_S5_PxSG_SI_NS1_21upper_bound_search_opENS9_16wrapped_functionINS8_6system6detail7generic6detail18binary_search_lessEbEEEE10hipError_tPvRmT1_T2_T3_mmT4_T5_P12ihipStream_tbEUlRKxE_EEST_SX_SY_mSZ_S12_bEUlT_E_NS1_11comp_targetILNS1_3genE2ELNS1_11target_archE906ELNS1_3gpuE6ELNS1_3repE0EEENS1_30default_config_static_selectorELNS0_4arch9wavefront6targetE0EEEvSW_.private_seg_size, 0
	.set _ZN7rocprim17ROCPRIM_400000_NS6detail17trampoline_kernelINS0_14default_configENS1_27upper_bound_config_selectorIxlEEZNS1_14transform_implILb0ES3_S5_N6thrust23THRUST_200600_302600_NS6detail15normal_iteratorINS8_7pointerIxNS8_11hip_rocprim5par_tENS8_11use_defaultESE_EEEENSA_INSB_IlSD_SE_SE_EEEEZNS1_13binary_searchIS3_S5_PxSG_SI_NS1_21upper_bound_search_opENS9_16wrapped_functionINS8_6system6detail7generic6detail18binary_search_lessEbEEEE10hipError_tPvRmT1_T2_T3_mmT4_T5_P12ihipStream_tbEUlRKxE_EEST_SX_SY_mSZ_S12_bEUlT_E_NS1_11comp_targetILNS1_3genE2ELNS1_11target_archE906ELNS1_3gpuE6ELNS1_3repE0EEENS1_30default_config_static_selectorELNS0_4arch9wavefront6targetE0EEEvSW_.uses_vcc, 0
	.set _ZN7rocprim17ROCPRIM_400000_NS6detail17trampoline_kernelINS0_14default_configENS1_27upper_bound_config_selectorIxlEEZNS1_14transform_implILb0ES3_S5_N6thrust23THRUST_200600_302600_NS6detail15normal_iteratorINS8_7pointerIxNS8_11hip_rocprim5par_tENS8_11use_defaultESE_EEEENSA_INSB_IlSD_SE_SE_EEEEZNS1_13binary_searchIS3_S5_PxSG_SI_NS1_21upper_bound_search_opENS9_16wrapped_functionINS8_6system6detail7generic6detail18binary_search_lessEbEEEE10hipError_tPvRmT1_T2_T3_mmT4_T5_P12ihipStream_tbEUlRKxE_EEST_SX_SY_mSZ_S12_bEUlT_E_NS1_11comp_targetILNS1_3genE2ELNS1_11target_archE906ELNS1_3gpuE6ELNS1_3repE0EEENS1_30default_config_static_selectorELNS0_4arch9wavefront6targetE0EEEvSW_.uses_flat_scratch, 0
	.set _ZN7rocprim17ROCPRIM_400000_NS6detail17trampoline_kernelINS0_14default_configENS1_27upper_bound_config_selectorIxlEEZNS1_14transform_implILb0ES3_S5_N6thrust23THRUST_200600_302600_NS6detail15normal_iteratorINS8_7pointerIxNS8_11hip_rocprim5par_tENS8_11use_defaultESE_EEEENSA_INSB_IlSD_SE_SE_EEEEZNS1_13binary_searchIS3_S5_PxSG_SI_NS1_21upper_bound_search_opENS9_16wrapped_functionINS8_6system6detail7generic6detail18binary_search_lessEbEEEE10hipError_tPvRmT1_T2_T3_mmT4_T5_P12ihipStream_tbEUlRKxE_EEST_SX_SY_mSZ_S12_bEUlT_E_NS1_11comp_targetILNS1_3genE2ELNS1_11target_archE906ELNS1_3gpuE6ELNS1_3repE0EEENS1_30default_config_static_selectorELNS0_4arch9wavefront6targetE0EEEvSW_.has_dyn_sized_stack, 0
	.set _ZN7rocprim17ROCPRIM_400000_NS6detail17trampoline_kernelINS0_14default_configENS1_27upper_bound_config_selectorIxlEEZNS1_14transform_implILb0ES3_S5_N6thrust23THRUST_200600_302600_NS6detail15normal_iteratorINS8_7pointerIxNS8_11hip_rocprim5par_tENS8_11use_defaultESE_EEEENSA_INSB_IlSD_SE_SE_EEEEZNS1_13binary_searchIS3_S5_PxSG_SI_NS1_21upper_bound_search_opENS9_16wrapped_functionINS8_6system6detail7generic6detail18binary_search_lessEbEEEE10hipError_tPvRmT1_T2_T3_mmT4_T5_P12ihipStream_tbEUlRKxE_EEST_SX_SY_mSZ_S12_bEUlT_E_NS1_11comp_targetILNS1_3genE2ELNS1_11target_archE906ELNS1_3gpuE6ELNS1_3repE0EEENS1_30default_config_static_selectorELNS0_4arch9wavefront6targetE0EEEvSW_.has_recursion, 0
	.set _ZN7rocprim17ROCPRIM_400000_NS6detail17trampoline_kernelINS0_14default_configENS1_27upper_bound_config_selectorIxlEEZNS1_14transform_implILb0ES3_S5_N6thrust23THRUST_200600_302600_NS6detail15normal_iteratorINS8_7pointerIxNS8_11hip_rocprim5par_tENS8_11use_defaultESE_EEEENSA_INSB_IlSD_SE_SE_EEEEZNS1_13binary_searchIS3_S5_PxSG_SI_NS1_21upper_bound_search_opENS9_16wrapped_functionINS8_6system6detail7generic6detail18binary_search_lessEbEEEE10hipError_tPvRmT1_T2_T3_mmT4_T5_P12ihipStream_tbEUlRKxE_EEST_SX_SY_mSZ_S12_bEUlT_E_NS1_11comp_targetILNS1_3genE2ELNS1_11target_archE906ELNS1_3gpuE6ELNS1_3repE0EEENS1_30default_config_static_selectorELNS0_4arch9wavefront6targetE0EEEvSW_.has_indirect_call, 0
	.section	.AMDGPU.csdata,"",@progbits
; Kernel info:
; codeLenInByte = 0
; TotalNumSgprs: 0
; NumVgprs: 0
; ScratchSize: 0
; MemoryBound: 0
; FloatMode: 240
; IeeeMode: 1
; LDSByteSize: 0 bytes/workgroup (compile time only)
; SGPRBlocks: 0
; VGPRBlocks: 0
; NumSGPRsForWavesPerEU: 1
; NumVGPRsForWavesPerEU: 1
; Occupancy: 16
; WaveLimiterHint : 0
; COMPUTE_PGM_RSRC2:SCRATCH_EN: 0
; COMPUTE_PGM_RSRC2:USER_SGPR: 6
; COMPUTE_PGM_RSRC2:TRAP_HANDLER: 0
; COMPUTE_PGM_RSRC2:TGID_X_EN: 1
; COMPUTE_PGM_RSRC2:TGID_Y_EN: 0
; COMPUTE_PGM_RSRC2:TGID_Z_EN: 0
; COMPUTE_PGM_RSRC2:TIDIG_COMP_CNT: 0
	.section	.text._ZN7rocprim17ROCPRIM_400000_NS6detail17trampoline_kernelINS0_14default_configENS1_27upper_bound_config_selectorIxlEEZNS1_14transform_implILb0ES3_S5_N6thrust23THRUST_200600_302600_NS6detail15normal_iteratorINS8_7pointerIxNS8_11hip_rocprim5par_tENS8_11use_defaultESE_EEEENSA_INSB_IlSD_SE_SE_EEEEZNS1_13binary_searchIS3_S5_PxSG_SI_NS1_21upper_bound_search_opENS9_16wrapped_functionINS8_6system6detail7generic6detail18binary_search_lessEbEEEE10hipError_tPvRmT1_T2_T3_mmT4_T5_P12ihipStream_tbEUlRKxE_EEST_SX_SY_mSZ_S12_bEUlT_E_NS1_11comp_targetILNS1_3genE10ELNS1_11target_archE1201ELNS1_3gpuE5ELNS1_3repE0EEENS1_30default_config_static_selectorELNS0_4arch9wavefront6targetE0EEEvSW_,"axG",@progbits,_ZN7rocprim17ROCPRIM_400000_NS6detail17trampoline_kernelINS0_14default_configENS1_27upper_bound_config_selectorIxlEEZNS1_14transform_implILb0ES3_S5_N6thrust23THRUST_200600_302600_NS6detail15normal_iteratorINS8_7pointerIxNS8_11hip_rocprim5par_tENS8_11use_defaultESE_EEEENSA_INSB_IlSD_SE_SE_EEEEZNS1_13binary_searchIS3_S5_PxSG_SI_NS1_21upper_bound_search_opENS9_16wrapped_functionINS8_6system6detail7generic6detail18binary_search_lessEbEEEE10hipError_tPvRmT1_T2_T3_mmT4_T5_P12ihipStream_tbEUlRKxE_EEST_SX_SY_mSZ_S12_bEUlT_E_NS1_11comp_targetILNS1_3genE10ELNS1_11target_archE1201ELNS1_3gpuE5ELNS1_3repE0EEENS1_30default_config_static_selectorELNS0_4arch9wavefront6targetE0EEEvSW_,comdat
	.protected	_ZN7rocprim17ROCPRIM_400000_NS6detail17trampoline_kernelINS0_14default_configENS1_27upper_bound_config_selectorIxlEEZNS1_14transform_implILb0ES3_S5_N6thrust23THRUST_200600_302600_NS6detail15normal_iteratorINS8_7pointerIxNS8_11hip_rocprim5par_tENS8_11use_defaultESE_EEEENSA_INSB_IlSD_SE_SE_EEEEZNS1_13binary_searchIS3_S5_PxSG_SI_NS1_21upper_bound_search_opENS9_16wrapped_functionINS8_6system6detail7generic6detail18binary_search_lessEbEEEE10hipError_tPvRmT1_T2_T3_mmT4_T5_P12ihipStream_tbEUlRKxE_EEST_SX_SY_mSZ_S12_bEUlT_E_NS1_11comp_targetILNS1_3genE10ELNS1_11target_archE1201ELNS1_3gpuE5ELNS1_3repE0EEENS1_30default_config_static_selectorELNS0_4arch9wavefront6targetE0EEEvSW_ ; -- Begin function _ZN7rocprim17ROCPRIM_400000_NS6detail17trampoline_kernelINS0_14default_configENS1_27upper_bound_config_selectorIxlEEZNS1_14transform_implILb0ES3_S5_N6thrust23THRUST_200600_302600_NS6detail15normal_iteratorINS8_7pointerIxNS8_11hip_rocprim5par_tENS8_11use_defaultESE_EEEENSA_INSB_IlSD_SE_SE_EEEEZNS1_13binary_searchIS3_S5_PxSG_SI_NS1_21upper_bound_search_opENS9_16wrapped_functionINS8_6system6detail7generic6detail18binary_search_lessEbEEEE10hipError_tPvRmT1_T2_T3_mmT4_T5_P12ihipStream_tbEUlRKxE_EEST_SX_SY_mSZ_S12_bEUlT_E_NS1_11comp_targetILNS1_3genE10ELNS1_11target_archE1201ELNS1_3gpuE5ELNS1_3repE0EEENS1_30default_config_static_selectorELNS0_4arch9wavefront6targetE0EEEvSW_
	.globl	_ZN7rocprim17ROCPRIM_400000_NS6detail17trampoline_kernelINS0_14default_configENS1_27upper_bound_config_selectorIxlEEZNS1_14transform_implILb0ES3_S5_N6thrust23THRUST_200600_302600_NS6detail15normal_iteratorINS8_7pointerIxNS8_11hip_rocprim5par_tENS8_11use_defaultESE_EEEENSA_INSB_IlSD_SE_SE_EEEEZNS1_13binary_searchIS3_S5_PxSG_SI_NS1_21upper_bound_search_opENS9_16wrapped_functionINS8_6system6detail7generic6detail18binary_search_lessEbEEEE10hipError_tPvRmT1_T2_T3_mmT4_T5_P12ihipStream_tbEUlRKxE_EEST_SX_SY_mSZ_S12_bEUlT_E_NS1_11comp_targetILNS1_3genE10ELNS1_11target_archE1201ELNS1_3gpuE5ELNS1_3repE0EEENS1_30default_config_static_selectorELNS0_4arch9wavefront6targetE0EEEvSW_
	.p2align	8
	.type	_ZN7rocprim17ROCPRIM_400000_NS6detail17trampoline_kernelINS0_14default_configENS1_27upper_bound_config_selectorIxlEEZNS1_14transform_implILb0ES3_S5_N6thrust23THRUST_200600_302600_NS6detail15normal_iteratorINS8_7pointerIxNS8_11hip_rocprim5par_tENS8_11use_defaultESE_EEEENSA_INSB_IlSD_SE_SE_EEEEZNS1_13binary_searchIS3_S5_PxSG_SI_NS1_21upper_bound_search_opENS9_16wrapped_functionINS8_6system6detail7generic6detail18binary_search_lessEbEEEE10hipError_tPvRmT1_T2_T3_mmT4_T5_P12ihipStream_tbEUlRKxE_EEST_SX_SY_mSZ_S12_bEUlT_E_NS1_11comp_targetILNS1_3genE10ELNS1_11target_archE1201ELNS1_3gpuE5ELNS1_3repE0EEENS1_30default_config_static_selectorELNS0_4arch9wavefront6targetE0EEEvSW_,@function
_ZN7rocprim17ROCPRIM_400000_NS6detail17trampoline_kernelINS0_14default_configENS1_27upper_bound_config_selectorIxlEEZNS1_14transform_implILb0ES3_S5_N6thrust23THRUST_200600_302600_NS6detail15normal_iteratorINS8_7pointerIxNS8_11hip_rocprim5par_tENS8_11use_defaultESE_EEEENSA_INSB_IlSD_SE_SE_EEEEZNS1_13binary_searchIS3_S5_PxSG_SI_NS1_21upper_bound_search_opENS9_16wrapped_functionINS8_6system6detail7generic6detail18binary_search_lessEbEEEE10hipError_tPvRmT1_T2_T3_mmT4_T5_P12ihipStream_tbEUlRKxE_EEST_SX_SY_mSZ_S12_bEUlT_E_NS1_11comp_targetILNS1_3genE10ELNS1_11target_archE1201ELNS1_3gpuE5ELNS1_3repE0EEENS1_30default_config_static_selectorELNS0_4arch9wavefront6targetE0EEEvSW_: ; @_ZN7rocprim17ROCPRIM_400000_NS6detail17trampoline_kernelINS0_14default_configENS1_27upper_bound_config_selectorIxlEEZNS1_14transform_implILb0ES3_S5_N6thrust23THRUST_200600_302600_NS6detail15normal_iteratorINS8_7pointerIxNS8_11hip_rocprim5par_tENS8_11use_defaultESE_EEEENSA_INSB_IlSD_SE_SE_EEEEZNS1_13binary_searchIS3_S5_PxSG_SI_NS1_21upper_bound_search_opENS9_16wrapped_functionINS8_6system6detail7generic6detail18binary_search_lessEbEEEE10hipError_tPvRmT1_T2_T3_mmT4_T5_P12ihipStream_tbEUlRKxE_EEST_SX_SY_mSZ_S12_bEUlT_E_NS1_11comp_targetILNS1_3genE10ELNS1_11target_archE1201ELNS1_3gpuE5ELNS1_3repE0EEENS1_30default_config_static_selectorELNS0_4arch9wavefront6targetE0EEEvSW_
; %bb.0:
	.section	.rodata,"a",@progbits
	.p2align	6, 0x0
	.amdhsa_kernel _ZN7rocprim17ROCPRIM_400000_NS6detail17trampoline_kernelINS0_14default_configENS1_27upper_bound_config_selectorIxlEEZNS1_14transform_implILb0ES3_S5_N6thrust23THRUST_200600_302600_NS6detail15normal_iteratorINS8_7pointerIxNS8_11hip_rocprim5par_tENS8_11use_defaultESE_EEEENSA_INSB_IlSD_SE_SE_EEEEZNS1_13binary_searchIS3_S5_PxSG_SI_NS1_21upper_bound_search_opENS9_16wrapped_functionINS8_6system6detail7generic6detail18binary_search_lessEbEEEE10hipError_tPvRmT1_T2_T3_mmT4_T5_P12ihipStream_tbEUlRKxE_EEST_SX_SY_mSZ_S12_bEUlT_E_NS1_11comp_targetILNS1_3genE10ELNS1_11target_archE1201ELNS1_3gpuE5ELNS1_3repE0EEENS1_30default_config_static_selectorELNS0_4arch9wavefront6targetE0EEEvSW_
		.amdhsa_group_segment_fixed_size 0
		.amdhsa_private_segment_fixed_size 0
		.amdhsa_kernarg_size 56
		.amdhsa_user_sgpr_count 6
		.amdhsa_user_sgpr_private_segment_buffer 1
		.amdhsa_user_sgpr_dispatch_ptr 0
		.amdhsa_user_sgpr_queue_ptr 0
		.amdhsa_user_sgpr_kernarg_segment_ptr 1
		.amdhsa_user_sgpr_dispatch_id 0
		.amdhsa_user_sgpr_flat_scratch_init 0
		.amdhsa_user_sgpr_private_segment_size 0
		.amdhsa_wavefront_size32 1
		.amdhsa_uses_dynamic_stack 0
		.amdhsa_system_sgpr_private_segment_wavefront_offset 0
		.amdhsa_system_sgpr_workgroup_id_x 1
		.amdhsa_system_sgpr_workgroup_id_y 0
		.amdhsa_system_sgpr_workgroup_id_z 0
		.amdhsa_system_sgpr_workgroup_info 0
		.amdhsa_system_vgpr_workitem_id 0
		.amdhsa_next_free_vgpr 1
		.amdhsa_next_free_sgpr 1
		.amdhsa_reserve_vcc 0
		.amdhsa_reserve_flat_scratch 0
		.amdhsa_float_round_mode_32 0
		.amdhsa_float_round_mode_16_64 0
		.amdhsa_float_denorm_mode_32 3
		.amdhsa_float_denorm_mode_16_64 3
		.amdhsa_dx10_clamp 1
		.amdhsa_ieee_mode 1
		.amdhsa_fp16_overflow 0
		.amdhsa_workgroup_processor_mode 1
		.amdhsa_memory_ordered 1
		.amdhsa_forward_progress 1
		.amdhsa_shared_vgpr_count 0
		.amdhsa_exception_fp_ieee_invalid_op 0
		.amdhsa_exception_fp_denorm_src 0
		.amdhsa_exception_fp_ieee_div_zero 0
		.amdhsa_exception_fp_ieee_overflow 0
		.amdhsa_exception_fp_ieee_underflow 0
		.amdhsa_exception_fp_ieee_inexact 0
		.amdhsa_exception_int_div_zero 0
	.end_amdhsa_kernel
	.section	.text._ZN7rocprim17ROCPRIM_400000_NS6detail17trampoline_kernelINS0_14default_configENS1_27upper_bound_config_selectorIxlEEZNS1_14transform_implILb0ES3_S5_N6thrust23THRUST_200600_302600_NS6detail15normal_iteratorINS8_7pointerIxNS8_11hip_rocprim5par_tENS8_11use_defaultESE_EEEENSA_INSB_IlSD_SE_SE_EEEEZNS1_13binary_searchIS3_S5_PxSG_SI_NS1_21upper_bound_search_opENS9_16wrapped_functionINS8_6system6detail7generic6detail18binary_search_lessEbEEEE10hipError_tPvRmT1_T2_T3_mmT4_T5_P12ihipStream_tbEUlRKxE_EEST_SX_SY_mSZ_S12_bEUlT_E_NS1_11comp_targetILNS1_3genE10ELNS1_11target_archE1201ELNS1_3gpuE5ELNS1_3repE0EEENS1_30default_config_static_selectorELNS0_4arch9wavefront6targetE0EEEvSW_,"axG",@progbits,_ZN7rocprim17ROCPRIM_400000_NS6detail17trampoline_kernelINS0_14default_configENS1_27upper_bound_config_selectorIxlEEZNS1_14transform_implILb0ES3_S5_N6thrust23THRUST_200600_302600_NS6detail15normal_iteratorINS8_7pointerIxNS8_11hip_rocprim5par_tENS8_11use_defaultESE_EEEENSA_INSB_IlSD_SE_SE_EEEEZNS1_13binary_searchIS3_S5_PxSG_SI_NS1_21upper_bound_search_opENS9_16wrapped_functionINS8_6system6detail7generic6detail18binary_search_lessEbEEEE10hipError_tPvRmT1_T2_T3_mmT4_T5_P12ihipStream_tbEUlRKxE_EEST_SX_SY_mSZ_S12_bEUlT_E_NS1_11comp_targetILNS1_3genE10ELNS1_11target_archE1201ELNS1_3gpuE5ELNS1_3repE0EEENS1_30default_config_static_selectorELNS0_4arch9wavefront6targetE0EEEvSW_,comdat
.Lfunc_end217:
	.size	_ZN7rocprim17ROCPRIM_400000_NS6detail17trampoline_kernelINS0_14default_configENS1_27upper_bound_config_selectorIxlEEZNS1_14transform_implILb0ES3_S5_N6thrust23THRUST_200600_302600_NS6detail15normal_iteratorINS8_7pointerIxNS8_11hip_rocprim5par_tENS8_11use_defaultESE_EEEENSA_INSB_IlSD_SE_SE_EEEEZNS1_13binary_searchIS3_S5_PxSG_SI_NS1_21upper_bound_search_opENS9_16wrapped_functionINS8_6system6detail7generic6detail18binary_search_lessEbEEEE10hipError_tPvRmT1_T2_T3_mmT4_T5_P12ihipStream_tbEUlRKxE_EEST_SX_SY_mSZ_S12_bEUlT_E_NS1_11comp_targetILNS1_3genE10ELNS1_11target_archE1201ELNS1_3gpuE5ELNS1_3repE0EEENS1_30default_config_static_selectorELNS0_4arch9wavefront6targetE0EEEvSW_, .Lfunc_end217-_ZN7rocprim17ROCPRIM_400000_NS6detail17trampoline_kernelINS0_14default_configENS1_27upper_bound_config_selectorIxlEEZNS1_14transform_implILb0ES3_S5_N6thrust23THRUST_200600_302600_NS6detail15normal_iteratorINS8_7pointerIxNS8_11hip_rocprim5par_tENS8_11use_defaultESE_EEEENSA_INSB_IlSD_SE_SE_EEEEZNS1_13binary_searchIS3_S5_PxSG_SI_NS1_21upper_bound_search_opENS9_16wrapped_functionINS8_6system6detail7generic6detail18binary_search_lessEbEEEE10hipError_tPvRmT1_T2_T3_mmT4_T5_P12ihipStream_tbEUlRKxE_EEST_SX_SY_mSZ_S12_bEUlT_E_NS1_11comp_targetILNS1_3genE10ELNS1_11target_archE1201ELNS1_3gpuE5ELNS1_3repE0EEENS1_30default_config_static_selectorELNS0_4arch9wavefront6targetE0EEEvSW_
                                        ; -- End function
	.set _ZN7rocprim17ROCPRIM_400000_NS6detail17trampoline_kernelINS0_14default_configENS1_27upper_bound_config_selectorIxlEEZNS1_14transform_implILb0ES3_S5_N6thrust23THRUST_200600_302600_NS6detail15normal_iteratorINS8_7pointerIxNS8_11hip_rocprim5par_tENS8_11use_defaultESE_EEEENSA_INSB_IlSD_SE_SE_EEEEZNS1_13binary_searchIS3_S5_PxSG_SI_NS1_21upper_bound_search_opENS9_16wrapped_functionINS8_6system6detail7generic6detail18binary_search_lessEbEEEE10hipError_tPvRmT1_T2_T3_mmT4_T5_P12ihipStream_tbEUlRKxE_EEST_SX_SY_mSZ_S12_bEUlT_E_NS1_11comp_targetILNS1_3genE10ELNS1_11target_archE1201ELNS1_3gpuE5ELNS1_3repE0EEENS1_30default_config_static_selectorELNS0_4arch9wavefront6targetE0EEEvSW_.num_vgpr, 0
	.set _ZN7rocprim17ROCPRIM_400000_NS6detail17trampoline_kernelINS0_14default_configENS1_27upper_bound_config_selectorIxlEEZNS1_14transform_implILb0ES3_S5_N6thrust23THRUST_200600_302600_NS6detail15normal_iteratorINS8_7pointerIxNS8_11hip_rocprim5par_tENS8_11use_defaultESE_EEEENSA_INSB_IlSD_SE_SE_EEEEZNS1_13binary_searchIS3_S5_PxSG_SI_NS1_21upper_bound_search_opENS9_16wrapped_functionINS8_6system6detail7generic6detail18binary_search_lessEbEEEE10hipError_tPvRmT1_T2_T3_mmT4_T5_P12ihipStream_tbEUlRKxE_EEST_SX_SY_mSZ_S12_bEUlT_E_NS1_11comp_targetILNS1_3genE10ELNS1_11target_archE1201ELNS1_3gpuE5ELNS1_3repE0EEENS1_30default_config_static_selectorELNS0_4arch9wavefront6targetE0EEEvSW_.num_agpr, 0
	.set _ZN7rocprim17ROCPRIM_400000_NS6detail17trampoline_kernelINS0_14default_configENS1_27upper_bound_config_selectorIxlEEZNS1_14transform_implILb0ES3_S5_N6thrust23THRUST_200600_302600_NS6detail15normal_iteratorINS8_7pointerIxNS8_11hip_rocprim5par_tENS8_11use_defaultESE_EEEENSA_INSB_IlSD_SE_SE_EEEEZNS1_13binary_searchIS3_S5_PxSG_SI_NS1_21upper_bound_search_opENS9_16wrapped_functionINS8_6system6detail7generic6detail18binary_search_lessEbEEEE10hipError_tPvRmT1_T2_T3_mmT4_T5_P12ihipStream_tbEUlRKxE_EEST_SX_SY_mSZ_S12_bEUlT_E_NS1_11comp_targetILNS1_3genE10ELNS1_11target_archE1201ELNS1_3gpuE5ELNS1_3repE0EEENS1_30default_config_static_selectorELNS0_4arch9wavefront6targetE0EEEvSW_.numbered_sgpr, 0
	.set _ZN7rocprim17ROCPRIM_400000_NS6detail17trampoline_kernelINS0_14default_configENS1_27upper_bound_config_selectorIxlEEZNS1_14transform_implILb0ES3_S5_N6thrust23THRUST_200600_302600_NS6detail15normal_iteratorINS8_7pointerIxNS8_11hip_rocprim5par_tENS8_11use_defaultESE_EEEENSA_INSB_IlSD_SE_SE_EEEEZNS1_13binary_searchIS3_S5_PxSG_SI_NS1_21upper_bound_search_opENS9_16wrapped_functionINS8_6system6detail7generic6detail18binary_search_lessEbEEEE10hipError_tPvRmT1_T2_T3_mmT4_T5_P12ihipStream_tbEUlRKxE_EEST_SX_SY_mSZ_S12_bEUlT_E_NS1_11comp_targetILNS1_3genE10ELNS1_11target_archE1201ELNS1_3gpuE5ELNS1_3repE0EEENS1_30default_config_static_selectorELNS0_4arch9wavefront6targetE0EEEvSW_.num_named_barrier, 0
	.set _ZN7rocprim17ROCPRIM_400000_NS6detail17trampoline_kernelINS0_14default_configENS1_27upper_bound_config_selectorIxlEEZNS1_14transform_implILb0ES3_S5_N6thrust23THRUST_200600_302600_NS6detail15normal_iteratorINS8_7pointerIxNS8_11hip_rocprim5par_tENS8_11use_defaultESE_EEEENSA_INSB_IlSD_SE_SE_EEEEZNS1_13binary_searchIS3_S5_PxSG_SI_NS1_21upper_bound_search_opENS9_16wrapped_functionINS8_6system6detail7generic6detail18binary_search_lessEbEEEE10hipError_tPvRmT1_T2_T3_mmT4_T5_P12ihipStream_tbEUlRKxE_EEST_SX_SY_mSZ_S12_bEUlT_E_NS1_11comp_targetILNS1_3genE10ELNS1_11target_archE1201ELNS1_3gpuE5ELNS1_3repE0EEENS1_30default_config_static_selectorELNS0_4arch9wavefront6targetE0EEEvSW_.private_seg_size, 0
	.set _ZN7rocprim17ROCPRIM_400000_NS6detail17trampoline_kernelINS0_14default_configENS1_27upper_bound_config_selectorIxlEEZNS1_14transform_implILb0ES3_S5_N6thrust23THRUST_200600_302600_NS6detail15normal_iteratorINS8_7pointerIxNS8_11hip_rocprim5par_tENS8_11use_defaultESE_EEEENSA_INSB_IlSD_SE_SE_EEEEZNS1_13binary_searchIS3_S5_PxSG_SI_NS1_21upper_bound_search_opENS9_16wrapped_functionINS8_6system6detail7generic6detail18binary_search_lessEbEEEE10hipError_tPvRmT1_T2_T3_mmT4_T5_P12ihipStream_tbEUlRKxE_EEST_SX_SY_mSZ_S12_bEUlT_E_NS1_11comp_targetILNS1_3genE10ELNS1_11target_archE1201ELNS1_3gpuE5ELNS1_3repE0EEENS1_30default_config_static_selectorELNS0_4arch9wavefront6targetE0EEEvSW_.uses_vcc, 0
	.set _ZN7rocprim17ROCPRIM_400000_NS6detail17trampoline_kernelINS0_14default_configENS1_27upper_bound_config_selectorIxlEEZNS1_14transform_implILb0ES3_S5_N6thrust23THRUST_200600_302600_NS6detail15normal_iteratorINS8_7pointerIxNS8_11hip_rocprim5par_tENS8_11use_defaultESE_EEEENSA_INSB_IlSD_SE_SE_EEEEZNS1_13binary_searchIS3_S5_PxSG_SI_NS1_21upper_bound_search_opENS9_16wrapped_functionINS8_6system6detail7generic6detail18binary_search_lessEbEEEE10hipError_tPvRmT1_T2_T3_mmT4_T5_P12ihipStream_tbEUlRKxE_EEST_SX_SY_mSZ_S12_bEUlT_E_NS1_11comp_targetILNS1_3genE10ELNS1_11target_archE1201ELNS1_3gpuE5ELNS1_3repE0EEENS1_30default_config_static_selectorELNS0_4arch9wavefront6targetE0EEEvSW_.uses_flat_scratch, 0
	.set _ZN7rocprim17ROCPRIM_400000_NS6detail17trampoline_kernelINS0_14default_configENS1_27upper_bound_config_selectorIxlEEZNS1_14transform_implILb0ES3_S5_N6thrust23THRUST_200600_302600_NS6detail15normal_iteratorINS8_7pointerIxNS8_11hip_rocprim5par_tENS8_11use_defaultESE_EEEENSA_INSB_IlSD_SE_SE_EEEEZNS1_13binary_searchIS3_S5_PxSG_SI_NS1_21upper_bound_search_opENS9_16wrapped_functionINS8_6system6detail7generic6detail18binary_search_lessEbEEEE10hipError_tPvRmT1_T2_T3_mmT4_T5_P12ihipStream_tbEUlRKxE_EEST_SX_SY_mSZ_S12_bEUlT_E_NS1_11comp_targetILNS1_3genE10ELNS1_11target_archE1201ELNS1_3gpuE5ELNS1_3repE0EEENS1_30default_config_static_selectorELNS0_4arch9wavefront6targetE0EEEvSW_.has_dyn_sized_stack, 0
	.set _ZN7rocprim17ROCPRIM_400000_NS6detail17trampoline_kernelINS0_14default_configENS1_27upper_bound_config_selectorIxlEEZNS1_14transform_implILb0ES3_S5_N6thrust23THRUST_200600_302600_NS6detail15normal_iteratorINS8_7pointerIxNS8_11hip_rocprim5par_tENS8_11use_defaultESE_EEEENSA_INSB_IlSD_SE_SE_EEEEZNS1_13binary_searchIS3_S5_PxSG_SI_NS1_21upper_bound_search_opENS9_16wrapped_functionINS8_6system6detail7generic6detail18binary_search_lessEbEEEE10hipError_tPvRmT1_T2_T3_mmT4_T5_P12ihipStream_tbEUlRKxE_EEST_SX_SY_mSZ_S12_bEUlT_E_NS1_11comp_targetILNS1_3genE10ELNS1_11target_archE1201ELNS1_3gpuE5ELNS1_3repE0EEENS1_30default_config_static_selectorELNS0_4arch9wavefront6targetE0EEEvSW_.has_recursion, 0
	.set _ZN7rocprim17ROCPRIM_400000_NS6detail17trampoline_kernelINS0_14default_configENS1_27upper_bound_config_selectorIxlEEZNS1_14transform_implILb0ES3_S5_N6thrust23THRUST_200600_302600_NS6detail15normal_iteratorINS8_7pointerIxNS8_11hip_rocprim5par_tENS8_11use_defaultESE_EEEENSA_INSB_IlSD_SE_SE_EEEEZNS1_13binary_searchIS3_S5_PxSG_SI_NS1_21upper_bound_search_opENS9_16wrapped_functionINS8_6system6detail7generic6detail18binary_search_lessEbEEEE10hipError_tPvRmT1_T2_T3_mmT4_T5_P12ihipStream_tbEUlRKxE_EEST_SX_SY_mSZ_S12_bEUlT_E_NS1_11comp_targetILNS1_3genE10ELNS1_11target_archE1201ELNS1_3gpuE5ELNS1_3repE0EEENS1_30default_config_static_selectorELNS0_4arch9wavefront6targetE0EEEvSW_.has_indirect_call, 0
	.section	.AMDGPU.csdata,"",@progbits
; Kernel info:
; codeLenInByte = 0
; TotalNumSgprs: 0
; NumVgprs: 0
; ScratchSize: 0
; MemoryBound: 0
; FloatMode: 240
; IeeeMode: 1
; LDSByteSize: 0 bytes/workgroup (compile time only)
; SGPRBlocks: 0
; VGPRBlocks: 0
; NumSGPRsForWavesPerEU: 1
; NumVGPRsForWavesPerEU: 1
; Occupancy: 16
; WaveLimiterHint : 0
; COMPUTE_PGM_RSRC2:SCRATCH_EN: 0
; COMPUTE_PGM_RSRC2:USER_SGPR: 6
; COMPUTE_PGM_RSRC2:TRAP_HANDLER: 0
; COMPUTE_PGM_RSRC2:TGID_X_EN: 1
; COMPUTE_PGM_RSRC2:TGID_Y_EN: 0
; COMPUTE_PGM_RSRC2:TGID_Z_EN: 0
; COMPUTE_PGM_RSRC2:TIDIG_COMP_CNT: 0
	.section	.text._ZN7rocprim17ROCPRIM_400000_NS6detail17trampoline_kernelINS0_14default_configENS1_27upper_bound_config_selectorIxlEEZNS1_14transform_implILb0ES3_S5_N6thrust23THRUST_200600_302600_NS6detail15normal_iteratorINS8_7pointerIxNS8_11hip_rocprim5par_tENS8_11use_defaultESE_EEEENSA_INSB_IlSD_SE_SE_EEEEZNS1_13binary_searchIS3_S5_PxSG_SI_NS1_21upper_bound_search_opENS9_16wrapped_functionINS8_6system6detail7generic6detail18binary_search_lessEbEEEE10hipError_tPvRmT1_T2_T3_mmT4_T5_P12ihipStream_tbEUlRKxE_EEST_SX_SY_mSZ_S12_bEUlT_E_NS1_11comp_targetILNS1_3genE10ELNS1_11target_archE1200ELNS1_3gpuE4ELNS1_3repE0EEENS1_30default_config_static_selectorELNS0_4arch9wavefront6targetE0EEEvSW_,"axG",@progbits,_ZN7rocprim17ROCPRIM_400000_NS6detail17trampoline_kernelINS0_14default_configENS1_27upper_bound_config_selectorIxlEEZNS1_14transform_implILb0ES3_S5_N6thrust23THRUST_200600_302600_NS6detail15normal_iteratorINS8_7pointerIxNS8_11hip_rocprim5par_tENS8_11use_defaultESE_EEEENSA_INSB_IlSD_SE_SE_EEEEZNS1_13binary_searchIS3_S5_PxSG_SI_NS1_21upper_bound_search_opENS9_16wrapped_functionINS8_6system6detail7generic6detail18binary_search_lessEbEEEE10hipError_tPvRmT1_T2_T3_mmT4_T5_P12ihipStream_tbEUlRKxE_EEST_SX_SY_mSZ_S12_bEUlT_E_NS1_11comp_targetILNS1_3genE10ELNS1_11target_archE1200ELNS1_3gpuE4ELNS1_3repE0EEENS1_30default_config_static_selectorELNS0_4arch9wavefront6targetE0EEEvSW_,comdat
	.protected	_ZN7rocprim17ROCPRIM_400000_NS6detail17trampoline_kernelINS0_14default_configENS1_27upper_bound_config_selectorIxlEEZNS1_14transform_implILb0ES3_S5_N6thrust23THRUST_200600_302600_NS6detail15normal_iteratorINS8_7pointerIxNS8_11hip_rocprim5par_tENS8_11use_defaultESE_EEEENSA_INSB_IlSD_SE_SE_EEEEZNS1_13binary_searchIS3_S5_PxSG_SI_NS1_21upper_bound_search_opENS9_16wrapped_functionINS8_6system6detail7generic6detail18binary_search_lessEbEEEE10hipError_tPvRmT1_T2_T3_mmT4_T5_P12ihipStream_tbEUlRKxE_EEST_SX_SY_mSZ_S12_bEUlT_E_NS1_11comp_targetILNS1_3genE10ELNS1_11target_archE1200ELNS1_3gpuE4ELNS1_3repE0EEENS1_30default_config_static_selectorELNS0_4arch9wavefront6targetE0EEEvSW_ ; -- Begin function _ZN7rocprim17ROCPRIM_400000_NS6detail17trampoline_kernelINS0_14default_configENS1_27upper_bound_config_selectorIxlEEZNS1_14transform_implILb0ES3_S5_N6thrust23THRUST_200600_302600_NS6detail15normal_iteratorINS8_7pointerIxNS8_11hip_rocprim5par_tENS8_11use_defaultESE_EEEENSA_INSB_IlSD_SE_SE_EEEEZNS1_13binary_searchIS3_S5_PxSG_SI_NS1_21upper_bound_search_opENS9_16wrapped_functionINS8_6system6detail7generic6detail18binary_search_lessEbEEEE10hipError_tPvRmT1_T2_T3_mmT4_T5_P12ihipStream_tbEUlRKxE_EEST_SX_SY_mSZ_S12_bEUlT_E_NS1_11comp_targetILNS1_3genE10ELNS1_11target_archE1200ELNS1_3gpuE4ELNS1_3repE0EEENS1_30default_config_static_selectorELNS0_4arch9wavefront6targetE0EEEvSW_
	.globl	_ZN7rocprim17ROCPRIM_400000_NS6detail17trampoline_kernelINS0_14default_configENS1_27upper_bound_config_selectorIxlEEZNS1_14transform_implILb0ES3_S5_N6thrust23THRUST_200600_302600_NS6detail15normal_iteratorINS8_7pointerIxNS8_11hip_rocprim5par_tENS8_11use_defaultESE_EEEENSA_INSB_IlSD_SE_SE_EEEEZNS1_13binary_searchIS3_S5_PxSG_SI_NS1_21upper_bound_search_opENS9_16wrapped_functionINS8_6system6detail7generic6detail18binary_search_lessEbEEEE10hipError_tPvRmT1_T2_T3_mmT4_T5_P12ihipStream_tbEUlRKxE_EEST_SX_SY_mSZ_S12_bEUlT_E_NS1_11comp_targetILNS1_3genE10ELNS1_11target_archE1200ELNS1_3gpuE4ELNS1_3repE0EEENS1_30default_config_static_selectorELNS0_4arch9wavefront6targetE0EEEvSW_
	.p2align	8
	.type	_ZN7rocprim17ROCPRIM_400000_NS6detail17trampoline_kernelINS0_14default_configENS1_27upper_bound_config_selectorIxlEEZNS1_14transform_implILb0ES3_S5_N6thrust23THRUST_200600_302600_NS6detail15normal_iteratorINS8_7pointerIxNS8_11hip_rocprim5par_tENS8_11use_defaultESE_EEEENSA_INSB_IlSD_SE_SE_EEEEZNS1_13binary_searchIS3_S5_PxSG_SI_NS1_21upper_bound_search_opENS9_16wrapped_functionINS8_6system6detail7generic6detail18binary_search_lessEbEEEE10hipError_tPvRmT1_T2_T3_mmT4_T5_P12ihipStream_tbEUlRKxE_EEST_SX_SY_mSZ_S12_bEUlT_E_NS1_11comp_targetILNS1_3genE10ELNS1_11target_archE1200ELNS1_3gpuE4ELNS1_3repE0EEENS1_30default_config_static_selectorELNS0_4arch9wavefront6targetE0EEEvSW_,@function
_ZN7rocprim17ROCPRIM_400000_NS6detail17trampoline_kernelINS0_14default_configENS1_27upper_bound_config_selectorIxlEEZNS1_14transform_implILb0ES3_S5_N6thrust23THRUST_200600_302600_NS6detail15normal_iteratorINS8_7pointerIxNS8_11hip_rocprim5par_tENS8_11use_defaultESE_EEEENSA_INSB_IlSD_SE_SE_EEEEZNS1_13binary_searchIS3_S5_PxSG_SI_NS1_21upper_bound_search_opENS9_16wrapped_functionINS8_6system6detail7generic6detail18binary_search_lessEbEEEE10hipError_tPvRmT1_T2_T3_mmT4_T5_P12ihipStream_tbEUlRKxE_EEST_SX_SY_mSZ_S12_bEUlT_E_NS1_11comp_targetILNS1_3genE10ELNS1_11target_archE1200ELNS1_3gpuE4ELNS1_3repE0EEENS1_30default_config_static_selectorELNS0_4arch9wavefront6targetE0EEEvSW_: ; @_ZN7rocprim17ROCPRIM_400000_NS6detail17trampoline_kernelINS0_14default_configENS1_27upper_bound_config_selectorIxlEEZNS1_14transform_implILb0ES3_S5_N6thrust23THRUST_200600_302600_NS6detail15normal_iteratorINS8_7pointerIxNS8_11hip_rocprim5par_tENS8_11use_defaultESE_EEEENSA_INSB_IlSD_SE_SE_EEEEZNS1_13binary_searchIS3_S5_PxSG_SI_NS1_21upper_bound_search_opENS9_16wrapped_functionINS8_6system6detail7generic6detail18binary_search_lessEbEEEE10hipError_tPvRmT1_T2_T3_mmT4_T5_P12ihipStream_tbEUlRKxE_EEST_SX_SY_mSZ_S12_bEUlT_E_NS1_11comp_targetILNS1_3genE10ELNS1_11target_archE1200ELNS1_3gpuE4ELNS1_3repE0EEENS1_30default_config_static_selectorELNS0_4arch9wavefront6targetE0EEEvSW_
; %bb.0:
	.section	.rodata,"a",@progbits
	.p2align	6, 0x0
	.amdhsa_kernel _ZN7rocprim17ROCPRIM_400000_NS6detail17trampoline_kernelINS0_14default_configENS1_27upper_bound_config_selectorIxlEEZNS1_14transform_implILb0ES3_S5_N6thrust23THRUST_200600_302600_NS6detail15normal_iteratorINS8_7pointerIxNS8_11hip_rocprim5par_tENS8_11use_defaultESE_EEEENSA_INSB_IlSD_SE_SE_EEEEZNS1_13binary_searchIS3_S5_PxSG_SI_NS1_21upper_bound_search_opENS9_16wrapped_functionINS8_6system6detail7generic6detail18binary_search_lessEbEEEE10hipError_tPvRmT1_T2_T3_mmT4_T5_P12ihipStream_tbEUlRKxE_EEST_SX_SY_mSZ_S12_bEUlT_E_NS1_11comp_targetILNS1_3genE10ELNS1_11target_archE1200ELNS1_3gpuE4ELNS1_3repE0EEENS1_30default_config_static_selectorELNS0_4arch9wavefront6targetE0EEEvSW_
		.amdhsa_group_segment_fixed_size 0
		.amdhsa_private_segment_fixed_size 0
		.amdhsa_kernarg_size 56
		.amdhsa_user_sgpr_count 6
		.amdhsa_user_sgpr_private_segment_buffer 1
		.amdhsa_user_sgpr_dispatch_ptr 0
		.amdhsa_user_sgpr_queue_ptr 0
		.amdhsa_user_sgpr_kernarg_segment_ptr 1
		.amdhsa_user_sgpr_dispatch_id 0
		.amdhsa_user_sgpr_flat_scratch_init 0
		.amdhsa_user_sgpr_private_segment_size 0
		.amdhsa_wavefront_size32 1
		.amdhsa_uses_dynamic_stack 0
		.amdhsa_system_sgpr_private_segment_wavefront_offset 0
		.amdhsa_system_sgpr_workgroup_id_x 1
		.amdhsa_system_sgpr_workgroup_id_y 0
		.amdhsa_system_sgpr_workgroup_id_z 0
		.amdhsa_system_sgpr_workgroup_info 0
		.amdhsa_system_vgpr_workitem_id 0
		.amdhsa_next_free_vgpr 1
		.amdhsa_next_free_sgpr 1
		.amdhsa_reserve_vcc 0
		.amdhsa_reserve_flat_scratch 0
		.amdhsa_float_round_mode_32 0
		.amdhsa_float_round_mode_16_64 0
		.amdhsa_float_denorm_mode_32 3
		.amdhsa_float_denorm_mode_16_64 3
		.amdhsa_dx10_clamp 1
		.amdhsa_ieee_mode 1
		.amdhsa_fp16_overflow 0
		.amdhsa_workgroup_processor_mode 1
		.amdhsa_memory_ordered 1
		.amdhsa_forward_progress 1
		.amdhsa_shared_vgpr_count 0
		.amdhsa_exception_fp_ieee_invalid_op 0
		.amdhsa_exception_fp_denorm_src 0
		.amdhsa_exception_fp_ieee_div_zero 0
		.amdhsa_exception_fp_ieee_overflow 0
		.amdhsa_exception_fp_ieee_underflow 0
		.amdhsa_exception_fp_ieee_inexact 0
		.amdhsa_exception_int_div_zero 0
	.end_amdhsa_kernel
	.section	.text._ZN7rocprim17ROCPRIM_400000_NS6detail17trampoline_kernelINS0_14default_configENS1_27upper_bound_config_selectorIxlEEZNS1_14transform_implILb0ES3_S5_N6thrust23THRUST_200600_302600_NS6detail15normal_iteratorINS8_7pointerIxNS8_11hip_rocprim5par_tENS8_11use_defaultESE_EEEENSA_INSB_IlSD_SE_SE_EEEEZNS1_13binary_searchIS3_S5_PxSG_SI_NS1_21upper_bound_search_opENS9_16wrapped_functionINS8_6system6detail7generic6detail18binary_search_lessEbEEEE10hipError_tPvRmT1_T2_T3_mmT4_T5_P12ihipStream_tbEUlRKxE_EEST_SX_SY_mSZ_S12_bEUlT_E_NS1_11comp_targetILNS1_3genE10ELNS1_11target_archE1200ELNS1_3gpuE4ELNS1_3repE0EEENS1_30default_config_static_selectorELNS0_4arch9wavefront6targetE0EEEvSW_,"axG",@progbits,_ZN7rocprim17ROCPRIM_400000_NS6detail17trampoline_kernelINS0_14default_configENS1_27upper_bound_config_selectorIxlEEZNS1_14transform_implILb0ES3_S5_N6thrust23THRUST_200600_302600_NS6detail15normal_iteratorINS8_7pointerIxNS8_11hip_rocprim5par_tENS8_11use_defaultESE_EEEENSA_INSB_IlSD_SE_SE_EEEEZNS1_13binary_searchIS3_S5_PxSG_SI_NS1_21upper_bound_search_opENS9_16wrapped_functionINS8_6system6detail7generic6detail18binary_search_lessEbEEEE10hipError_tPvRmT1_T2_T3_mmT4_T5_P12ihipStream_tbEUlRKxE_EEST_SX_SY_mSZ_S12_bEUlT_E_NS1_11comp_targetILNS1_3genE10ELNS1_11target_archE1200ELNS1_3gpuE4ELNS1_3repE0EEENS1_30default_config_static_selectorELNS0_4arch9wavefront6targetE0EEEvSW_,comdat
.Lfunc_end218:
	.size	_ZN7rocprim17ROCPRIM_400000_NS6detail17trampoline_kernelINS0_14default_configENS1_27upper_bound_config_selectorIxlEEZNS1_14transform_implILb0ES3_S5_N6thrust23THRUST_200600_302600_NS6detail15normal_iteratorINS8_7pointerIxNS8_11hip_rocprim5par_tENS8_11use_defaultESE_EEEENSA_INSB_IlSD_SE_SE_EEEEZNS1_13binary_searchIS3_S5_PxSG_SI_NS1_21upper_bound_search_opENS9_16wrapped_functionINS8_6system6detail7generic6detail18binary_search_lessEbEEEE10hipError_tPvRmT1_T2_T3_mmT4_T5_P12ihipStream_tbEUlRKxE_EEST_SX_SY_mSZ_S12_bEUlT_E_NS1_11comp_targetILNS1_3genE10ELNS1_11target_archE1200ELNS1_3gpuE4ELNS1_3repE0EEENS1_30default_config_static_selectorELNS0_4arch9wavefront6targetE0EEEvSW_, .Lfunc_end218-_ZN7rocprim17ROCPRIM_400000_NS6detail17trampoline_kernelINS0_14default_configENS1_27upper_bound_config_selectorIxlEEZNS1_14transform_implILb0ES3_S5_N6thrust23THRUST_200600_302600_NS6detail15normal_iteratorINS8_7pointerIxNS8_11hip_rocprim5par_tENS8_11use_defaultESE_EEEENSA_INSB_IlSD_SE_SE_EEEEZNS1_13binary_searchIS3_S5_PxSG_SI_NS1_21upper_bound_search_opENS9_16wrapped_functionINS8_6system6detail7generic6detail18binary_search_lessEbEEEE10hipError_tPvRmT1_T2_T3_mmT4_T5_P12ihipStream_tbEUlRKxE_EEST_SX_SY_mSZ_S12_bEUlT_E_NS1_11comp_targetILNS1_3genE10ELNS1_11target_archE1200ELNS1_3gpuE4ELNS1_3repE0EEENS1_30default_config_static_selectorELNS0_4arch9wavefront6targetE0EEEvSW_
                                        ; -- End function
	.set _ZN7rocprim17ROCPRIM_400000_NS6detail17trampoline_kernelINS0_14default_configENS1_27upper_bound_config_selectorIxlEEZNS1_14transform_implILb0ES3_S5_N6thrust23THRUST_200600_302600_NS6detail15normal_iteratorINS8_7pointerIxNS8_11hip_rocprim5par_tENS8_11use_defaultESE_EEEENSA_INSB_IlSD_SE_SE_EEEEZNS1_13binary_searchIS3_S5_PxSG_SI_NS1_21upper_bound_search_opENS9_16wrapped_functionINS8_6system6detail7generic6detail18binary_search_lessEbEEEE10hipError_tPvRmT1_T2_T3_mmT4_T5_P12ihipStream_tbEUlRKxE_EEST_SX_SY_mSZ_S12_bEUlT_E_NS1_11comp_targetILNS1_3genE10ELNS1_11target_archE1200ELNS1_3gpuE4ELNS1_3repE0EEENS1_30default_config_static_selectorELNS0_4arch9wavefront6targetE0EEEvSW_.num_vgpr, 0
	.set _ZN7rocprim17ROCPRIM_400000_NS6detail17trampoline_kernelINS0_14default_configENS1_27upper_bound_config_selectorIxlEEZNS1_14transform_implILb0ES3_S5_N6thrust23THRUST_200600_302600_NS6detail15normal_iteratorINS8_7pointerIxNS8_11hip_rocprim5par_tENS8_11use_defaultESE_EEEENSA_INSB_IlSD_SE_SE_EEEEZNS1_13binary_searchIS3_S5_PxSG_SI_NS1_21upper_bound_search_opENS9_16wrapped_functionINS8_6system6detail7generic6detail18binary_search_lessEbEEEE10hipError_tPvRmT1_T2_T3_mmT4_T5_P12ihipStream_tbEUlRKxE_EEST_SX_SY_mSZ_S12_bEUlT_E_NS1_11comp_targetILNS1_3genE10ELNS1_11target_archE1200ELNS1_3gpuE4ELNS1_3repE0EEENS1_30default_config_static_selectorELNS0_4arch9wavefront6targetE0EEEvSW_.num_agpr, 0
	.set _ZN7rocprim17ROCPRIM_400000_NS6detail17trampoline_kernelINS0_14default_configENS1_27upper_bound_config_selectorIxlEEZNS1_14transform_implILb0ES3_S5_N6thrust23THRUST_200600_302600_NS6detail15normal_iteratorINS8_7pointerIxNS8_11hip_rocprim5par_tENS8_11use_defaultESE_EEEENSA_INSB_IlSD_SE_SE_EEEEZNS1_13binary_searchIS3_S5_PxSG_SI_NS1_21upper_bound_search_opENS9_16wrapped_functionINS8_6system6detail7generic6detail18binary_search_lessEbEEEE10hipError_tPvRmT1_T2_T3_mmT4_T5_P12ihipStream_tbEUlRKxE_EEST_SX_SY_mSZ_S12_bEUlT_E_NS1_11comp_targetILNS1_3genE10ELNS1_11target_archE1200ELNS1_3gpuE4ELNS1_3repE0EEENS1_30default_config_static_selectorELNS0_4arch9wavefront6targetE0EEEvSW_.numbered_sgpr, 0
	.set _ZN7rocprim17ROCPRIM_400000_NS6detail17trampoline_kernelINS0_14default_configENS1_27upper_bound_config_selectorIxlEEZNS1_14transform_implILb0ES3_S5_N6thrust23THRUST_200600_302600_NS6detail15normal_iteratorINS8_7pointerIxNS8_11hip_rocprim5par_tENS8_11use_defaultESE_EEEENSA_INSB_IlSD_SE_SE_EEEEZNS1_13binary_searchIS3_S5_PxSG_SI_NS1_21upper_bound_search_opENS9_16wrapped_functionINS8_6system6detail7generic6detail18binary_search_lessEbEEEE10hipError_tPvRmT1_T2_T3_mmT4_T5_P12ihipStream_tbEUlRKxE_EEST_SX_SY_mSZ_S12_bEUlT_E_NS1_11comp_targetILNS1_3genE10ELNS1_11target_archE1200ELNS1_3gpuE4ELNS1_3repE0EEENS1_30default_config_static_selectorELNS0_4arch9wavefront6targetE0EEEvSW_.num_named_barrier, 0
	.set _ZN7rocprim17ROCPRIM_400000_NS6detail17trampoline_kernelINS0_14default_configENS1_27upper_bound_config_selectorIxlEEZNS1_14transform_implILb0ES3_S5_N6thrust23THRUST_200600_302600_NS6detail15normal_iteratorINS8_7pointerIxNS8_11hip_rocprim5par_tENS8_11use_defaultESE_EEEENSA_INSB_IlSD_SE_SE_EEEEZNS1_13binary_searchIS3_S5_PxSG_SI_NS1_21upper_bound_search_opENS9_16wrapped_functionINS8_6system6detail7generic6detail18binary_search_lessEbEEEE10hipError_tPvRmT1_T2_T3_mmT4_T5_P12ihipStream_tbEUlRKxE_EEST_SX_SY_mSZ_S12_bEUlT_E_NS1_11comp_targetILNS1_3genE10ELNS1_11target_archE1200ELNS1_3gpuE4ELNS1_3repE0EEENS1_30default_config_static_selectorELNS0_4arch9wavefront6targetE0EEEvSW_.private_seg_size, 0
	.set _ZN7rocprim17ROCPRIM_400000_NS6detail17trampoline_kernelINS0_14default_configENS1_27upper_bound_config_selectorIxlEEZNS1_14transform_implILb0ES3_S5_N6thrust23THRUST_200600_302600_NS6detail15normal_iteratorINS8_7pointerIxNS8_11hip_rocprim5par_tENS8_11use_defaultESE_EEEENSA_INSB_IlSD_SE_SE_EEEEZNS1_13binary_searchIS3_S5_PxSG_SI_NS1_21upper_bound_search_opENS9_16wrapped_functionINS8_6system6detail7generic6detail18binary_search_lessEbEEEE10hipError_tPvRmT1_T2_T3_mmT4_T5_P12ihipStream_tbEUlRKxE_EEST_SX_SY_mSZ_S12_bEUlT_E_NS1_11comp_targetILNS1_3genE10ELNS1_11target_archE1200ELNS1_3gpuE4ELNS1_3repE0EEENS1_30default_config_static_selectorELNS0_4arch9wavefront6targetE0EEEvSW_.uses_vcc, 0
	.set _ZN7rocprim17ROCPRIM_400000_NS6detail17trampoline_kernelINS0_14default_configENS1_27upper_bound_config_selectorIxlEEZNS1_14transform_implILb0ES3_S5_N6thrust23THRUST_200600_302600_NS6detail15normal_iteratorINS8_7pointerIxNS8_11hip_rocprim5par_tENS8_11use_defaultESE_EEEENSA_INSB_IlSD_SE_SE_EEEEZNS1_13binary_searchIS3_S5_PxSG_SI_NS1_21upper_bound_search_opENS9_16wrapped_functionINS8_6system6detail7generic6detail18binary_search_lessEbEEEE10hipError_tPvRmT1_T2_T3_mmT4_T5_P12ihipStream_tbEUlRKxE_EEST_SX_SY_mSZ_S12_bEUlT_E_NS1_11comp_targetILNS1_3genE10ELNS1_11target_archE1200ELNS1_3gpuE4ELNS1_3repE0EEENS1_30default_config_static_selectorELNS0_4arch9wavefront6targetE0EEEvSW_.uses_flat_scratch, 0
	.set _ZN7rocprim17ROCPRIM_400000_NS6detail17trampoline_kernelINS0_14default_configENS1_27upper_bound_config_selectorIxlEEZNS1_14transform_implILb0ES3_S5_N6thrust23THRUST_200600_302600_NS6detail15normal_iteratorINS8_7pointerIxNS8_11hip_rocprim5par_tENS8_11use_defaultESE_EEEENSA_INSB_IlSD_SE_SE_EEEEZNS1_13binary_searchIS3_S5_PxSG_SI_NS1_21upper_bound_search_opENS9_16wrapped_functionINS8_6system6detail7generic6detail18binary_search_lessEbEEEE10hipError_tPvRmT1_T2_T3_mmT4_T5_P12ihipStream_tbEUlRKxE_EEST_SX_SY_mSZ_S12_bEUlT_E_NS1_11comp_targetILNS1_3genE10ELNS1_11target_archE1200ELNS1_3gpuE4ELNS1_3repE0EEENS1_30default_config_static_selectorELNS0_4arch9wavefront6targetE0EEEvSW_.has_dyn_sized_stack, 0
	.set _ZN7rocprim17ROCPRIM_400000_NS6detail17trampoline_kernelINS0_14default_configENS1_27upper_bound_config_selectorIxlEEZNS1_14transform_implILb0ES3_S5_N6thrust23THRUST_200600_302600_NS6detail15normal_iteratorINS8_7pointerIxNS8_11hip_rocprim5par_tENS8_11use_defaultESE_EEEENSA_INSB_IlSD_SE_SE_EEEEZNS1_13binary_searchIS3_S5_PxSG_SI_NS1_21upper_bound_search_opENS9_16wrapped_functionINS8_6system6detail7generic6detail18binary_search_lessEbEEEE10hipError_tPvRmT1_T2_T3_mmT4_T5_P12ihipStream_tbEUlRKxE_EEST_SX_SY_mSZ_S12_bEUlT_E_NS1_11comp_targetILNS1_3genE10ELNS1_11target_archE1200ELNS1_3gpuE4ELNS1_3repE0EEENS1_30default_config_static_selectorELNS0_4arch9wavefront6targetE0EEEvSW_.has_recursion, 0
	.set _ZN7rocprim17ROCPRIM_400000_NS6detail17trampoline_kernelINS0_14default_configENS1_27upper_bound_config_selectorIxlEEZNS1_14transform_implILb0ES3_S5_N6thrust23THRUST_200600_302600_NS6detail15normal_iteratorINS8_7pointerIxNS8_11hip_rocprim5par_tENS8_11use_defaultESE_EEEENSA_INSB_IlSD_SE_SE_EEEEZNS1_13binary_searchIS3_S5_PxSG_SI_NS1_21upper_bound_search_opENS9_16wrapped_functionINS8_6system6detail7generic6detail18binary_search_lessEbEEEE10hipError_tPvRmT1_T2_T3_mmT4_T5_P12ihipStream_tbEUlRKxE_EEST_SX_SY_mSZ_S12_bEUlT_E_NS1_11comp_targetILNS1_3genE10ELNS1_11target_archE1200ELNS1_3gpuE4ELNS1_3repE0EEENS1_30default_config_static_selectorELNS0_4arch9wavefront6targetE0EEEvSW_.has_indirect_call, 0
	.section	.AMDGPU.csdata,"",@progbits
; Kernel info:
; codeLenInByte = 0
; TotalNumSgprs: 0
; NumVgprs: 0
; ScratchSize: 0
; MemoryBound: 0
; FloatMode: 240
; IeeeMode: 1
; LDSByteSize: 0 bytes/workgroup (compile time only)
; SGPRBlocks: 0
; VGPRBlocks: 0
; NumSGPRsForWavesPerEU: 1
; NumVGPRsForWavesPerEU: 1
; Occupancy: 16
; WaveLimiterHint : 0
; COMPUTE_PGM_RSRC2:SCRATCH_EN: 0
; COMPUTE_PGM_RSRC2:USER_SGPR: 6
; COMPUTE_PGM_RSRC2:TRAP_HANDLER: 0
; COMPUTE_PGM_RSRC2:TGID_X_EN: 1
; COMPUTE_PGM_RSRC2:TGID_Y_EN: 0
; COMPUTE_PGM_RSRC2:TGID_Z_EN: 0
; COMPUTE_PGM_RSRC2:TIDIG_COMP_CNT: 0
	.section	.text._ZN7rocprim17ROCPRIM_400000_NS6detail17trampoline_kernelINS0_14default_configENS1_27upper_bound_config_selectorIxlEEZNS1_14transform_implILb0ES3_S5_N6thrust23THRUST_200600_302600_NS6detail15normal_iteratorINS8_7pointerIxNS8_11hip_rocprim5par_tENS8_11use_defaultESE_EEEENSA_INSB_IlSD_SE_SE_EEEEZNS1_13binary_searchIS3_S5_PxSG_SI_NS1_21upper_bound_search_opENS9_16wrapped_functionINS8_6system6detail7generic6detail18binary_search_lessEbEEEE10hipError_tPvRmT1_T2_T3_mmT4_T5_P12ihipStream_tbEUlRKxE_EEST_SX_SY_mSZ_S12_bEUlT_E_NS1_11comp_targetILNS1_3genE9ELNS1_11target_archE1100ELNS1_3gpuE3ELNS1_3repE0EEENS1_30default_config_static_selectorELNS0_4arch9wavefront6targetE0EEEvSW_,"axG",@progbits,_ZN7rocprim17ROCPRIM_400000_NS6detail17trampoline_kernelINS0_14default_configENS1_27upper_bound_config_selectorIxlEEZNS1_14transform_implILb0ES3_S5_N6thrust23THRUST_200600_302600_NS6detail15normal_iteratorINS8_7pointerIxNS8_11hip_rocprim5par_tENS8_11use_defaultESE_EEEENSA_INSB_IlSD_SE_SE_EEEEZNS1_13binary_searchIS3_S5_PxSG_SI_NS1_21upper_bound_search_opENS9_16wrapped_functionINS8_6system6detail7generic6detail18binary_search_lessEbEEEE10hipError_tPvRmT1_T2_T3_mmT4_T5_P12ihipStream_tbEUlRKxE_EEST_SX_SY_mSZ_S12_bEUlT_E_NS1_11comp_targetILNS1_3genE9ELNS1_11target_archE1100ELNS1_3gpuE3ELNS1_3repE0EEENS1_30default_config_static_selectorELNS0_4arch9wavefront6targetE0EEEvSW_,comdat
	.protected	_ZN7rocprim17ROCPRIM_400000_NS6detail17trampoline_kernelINS0_14default_configENS1_27upper_bound_config_selectorIxlEEZNS1_14transform_implILb0ES3_S5_N6thrust23THRUST_200600_302600_NS6detail15normal_iteratorINS8_7pointerIxNS8_11hip_rocprim5par_tENS8_11use_defaultESE_EEEENSA_INSB_IlSD_SE_SE_EEEEZNS1_13binary_searchIS3_S5_PxSG_SI_NS1_21upper_bound_search_opENS9_16wrapped_functionINS8_6system6detail7generic6detail18binary_search_lessEbEEEE10hipError_tPvRmT1_T2_T3_mmT4_T5_P12ihipStream_tbEUlRKxE_EEST_SX_SY_mSZ_S12_bEUlT_E_NS1_11comp_targetILNS1_3genE9ELNS1_11target_archE1100ELNS1_3gpuE3ELNS1_3repE0EEENS1_30default_config_static_selectorELNS0_4arch9wavefront6targetE0EEEvSW_ ; -- Begin function _ZN7rocprim17ROCPRIM_400000_NS6detail17trampoline_kernelINS0_14default_configENS1_27upper_bound_config_selectorIxlEEZNS1_14transform_implILb0ES3_S5_N6thrust23THRUST_200600_302600_NS6detail15normal_iteratorINS8_7pointerIxNS8_11hip_rocprim5par_tENS8_11use_defaultESE_EEEENSA_INSB_IlSD_SE_SE_EEEEZNS1_13binary_searchIS3_S5_PxSG_SI_NS1_21upper_bound_search_opENS9_16wrapped_functionINS8_6system6detail7generic6detail18binary_search_lessEbEEEE10hipError_tPvRmT1_T2_T3_mmT4_T5_P12ihipStream_tbEUlRKxE_EEST_SX_SY_mSZ_S12_bEUlT_E_NS1_11comp_targetILNS1_3genE9ELNS1_11target_archE1100ELNS1_3gpuE3ELNS1_3repE0EEENS1_30default_config_static_selectorELNS0_4arch9wavefront6targetE0EEEvSW_
	.globl	_ZN7rocprim17ROCPRIM_400000_NS6detail17trampoline_kernelINS0_14default_configENS1_27upper_bound_config_selectorIxlEEZNS1_14transform_implILb0ES3_S5_N6thrust23THRUST_200600_302600_NS6detail15normal_iteratorINS8_7pointerIxNS8_11hip_rocprim5par_tENS8_11use_defaultESE_EEEENSA_INSB_IlSD_SE_SE_EEEEZNS1_13binary_searchIS3_S5_PxSG_SI_NS1_21upper_bound_search_opENS9_16wrapped_functionINS8_6system6detail7generic6detail18binary_search_lessEbEEEE10hipError_tPvRmT1_T2_T3_mmT4_T5_P12ihipStream_tbEUlRKxE_EEST_SX_SY_mSZ_S12_bEUlT_E_NS1_11comp_targetILNS1_3genE9ELNS1_11target_archE1100ELNS1_3gpuE3ELNS1_3repE0EEENS1_30default_config_static_selectorELNS0_4arch9wavefront6targetE0EEEvSW_
	.p2align	8
	.type	_ZN7rocprim17ROCPRIM_400000_NS6detail17trampoline_kernelINS0_14default_configENS1_27upper_bound_config_selectorIxlEEZNS1_14transform_implILb0ES3_S5_N6thrust23THRUST_200600_302600_NS6detail15normal_iteratorINS8_7pointerIxNS8_11hip_rocprim5par_tENS8_11use_defaultESE_EEEENSA_INSB_IlSD_SE_SE_EEEEZNS1_13binary_searchIS3_S5_PxSG_SI_NS1_21upper_bound_search_opENS9_16wrapped_functionINS8_6system6detail7generic6detail18binary_search_lessEbEEEE10hipError_tPvRmT1_T2_T3_mmT4_T5_P12ihipStream_tbEUlRKxE_EEST_SX_SY_mSZ_S12_bEUlT_E_NS1_11comp_targetILNS1_3genE9ELNS1_11target_archE1100ELNS1_3gpuE3ELNS1_3repE0EEENS1_30default_config_static_selectorELNS0_4arch9wavefront6targetE0EEEvSW_,@function
_ZN7rocprim17ROCPRIM_400000_NS6detail17trampoline_kernelINS0_14default_configENS1_27upper_bound_config_selectorIxlEEZNS1_14transform_implILb0ES3_S5_N6thrust23THRUST_200600_302600_NS6detail15normal_iteratorINS8_7pointerIxNS8_11hip_rocprim5par_tENS8_11use_defaultESE_EEEENSA_INSB_IlSD_SE_SE_EEEEZNS1_13binary_searchIS3_S5_PxSG_SI_NS1_21upper_bound_search_opENS9_16wrapped_functionINS8_6system6detail7generic6detail18binary_search_lessEbEEEE10hipError_tPvRmT1_T2_T3_mmT4_T5_P12ihipStream_tbEUlRKxE_EEST_SX_SY_mSZ_S12_bEUlT_E_NS1_11comp_targetILNS1_3genE9ELNS1_11target_archE1100ELNS1_3gpuE3ELNS1_3repE0EEENS1_30default_config_static_selectorELNS0_4arch9wavefront6targetE0EEEvSW_: ; @_ZN7rocprim17ROCPRIM_400000_NS6detail17trampoline_kernelINS0_14default_configENS1_27upper_bound_config_selectorIxlEEZNS1_14transform_implILb0ES3_S5_N6thrust23THRUST_200600_302600_NS6detail15normal_iteratorINS8_7pointerIxNS8_11hip_rocprim5par_tENS8_11use_defaultESE_EEEENSA_INSB_IlSD_SE_SE_EEEEZNS1_13binary_searchIS3_S5_PxSG_SI_NS1_21upper_bound_search_opENS9_16wrapped_functionINS8_6system6detail7generic6detail18binary_search_lessEbEEEE10hipError_tPvRmT1_T2_T3_mmT4_T5_P12ihipStream_tbEUlRKxE_EEST_SX_SY_mSZ_S12_bEUlT_E_NS1_11comp_targetILNS1_3genE9ELNS1_11target_archE1100ELNS1_3gpuE3ELNS1_3repE0EEENS1_30default_config_static_selectorELNS0_4arch9wavefront6targetE0EEEvSW_
; %bb.0:
	.section	.rodata,"a",@progbits
	.p2align	6, 0x0
	.amdhsa_kernel _ZN7rocprim17ROCPRIM_400000_NS6detail17trampoline_kernelINS0_14default_configENS1_27upper_bound_config_selectorIxlEEZNS1_14transform_implILb0ES3_S5_N6thrust23THRUST_200600_302600_NS6detail15normal_iteratorINS8_7pointerIxNS8_11hip_rocprim5par_tENS8_11use_defaultESE_EEEENSA_INSB_IlSD_SE_SE_EEEEZNS1_13binary_searchIS3_S5_PxSG_SI_NS1_21upper_bound_search_opENS9_16wrapped_functionINS8_6system6detail7generic6detail18binary_search_lessEbEEEE10hipError_tPvRmT1_T2_T3_mmT4_T5_P12ihipStream_tbEUlRKxE_EEST_SX_SY_mSZ_S12_bEUlT_E_NS1_11comp_targetILNS1_3genE9ELNS1_11target_archE1100ELNS1_3gpuE3ELNS1_3repE0EEENS1_30default_config_static_selectorELNS0_4arch9wavefront6targetE0EEEvSW_
		.amdhsa_group_segment_fixed_size 0
		.amdhsa_private_segment_fixed_size 0
		.amdhsa_kernarg_size 56
		.amdhsa_user_sgpr_count 6
		.amdhsa_user_sgpr_private_segment_buffer 1
		.amdhsa_user_sgpr_dispatch_ptr 0
		.amdhsa_user_sgpr_queue_ptr 0
		.amdhsa_user_sgpr_kernarg_segment_ptr 1
		.amdhsa_user_sgpr_dispatch_id 0
		.amdhsa_user_sgpr_flat_scratch_init 0
		.amdhsa_user_sgpr_private_segment_size 0
		.amdhsa_wavefront_size32 1
		.amdhsa_uses_dynamic_stack 0
		.amdhsa_system_sgpr_private_segment_wavefront_offset 0
		.amdhsa_system_sgpr_workgroup_id_x 1
		.amdhsa_system_sgpr_workgroup_id_y 0
		.amdhsa_system_sgpr_workgroup_id_z 0
		.amdhsa_system_sgpr_workgroup_info 0
		.amdhsa_system_vgpr_workitem_id 0
		.amdhsa_next_free_vgpr 1
		.amdhsa_next_free_sgpr 1
		.amdhsa_reserve_vcc 0
		.amdhsa_reserve_flat_scratch 0
		.amdhsa_float_round_mode_32 0
		.amdhsa_float_round_mode_16_64 0
		.amdhsa_float_denorm_mode_32 3
		.amdhsa_float_denorm_mode_16_64 3
		.amdhsa_dx10_clamp 1
		.amdhsa_ieee_mode 1
		.amdhsa_fp16_overflow 0
		.amdhsa_workgroup_processor_mode 1
		.amdhsa_memory_ordered 1
		.amdhsa_forward_progress 1
		.amdhsa_shared_vgpr_count 0
		.amdhsa_exception_fp_ieee_invalid_op 0
		.amdhsa_exception_fp_denorm_src 0
		.amdhsa_exception_fp_ieee_div_zero 0
		.amdhsa_exception_fp_ieee_overflow 0
		.amdhsa_exception_fp_ieee_underflow 0
		.amdhsa_exception_fp_ieee_inexact 0
		.amdhsa_exception_int_div_zero 0
	.end_amdhsa_kernel
	.section	.text._ZN7rocprim17ROCPRIM_400000_NS6detail17trampoline_kernelINS0_14default_configENS1_27upper_bound_config_selectorIxlEEZNS1_14transform_implILb0ES3_S5_N6thrust23THRUST_200600_302600_NS6detail15normal_iteratorINS8_7pointerIxNS8_11hip_rocprim5par_tENS8_11use_defaultESE_EEEENSA_INSB_IlSD_SE_SE_EEEEZNS1_13binary_searchIS3_S5_PxSG_SI_NS1_21upper_bound_search_opENS9_16wrapped_functionINS8_6system6detail7generic6detail18binary_search_lessEbEEEE10hipError_tPvRmT1_T2_T3_mmT4_T5_P12ihipStream_tbEUlRKxE_EEST_SX_SY_mSZ_S12_bEUlT_E_NS1_11comp_targetILNS1_3genE9ELNS1_11target_archE1100ELNS1_3gpuE3ELNS1_3repE0EEENS1_30default_config_static_selectorELNS0_4arch9wavefront6targetE0EEEvSW_,"axG",@progbits,_ZN7rocprim17ROCPRIM_400000_NS6detail17trampoline_kernelINS0_14default_configENS1_27upper_bound_config_selectorIxlEEZNS1_14transform_implILb0ES3_S5_N6thrust23THRUST_200600_302600_NS6detail15normal_iteratorINS8_7pointerIxNS8_11hip_rocprim5par_tENS8_11use_defaultESE_EEEENSA_INSB_IlSD_SE_SE_EEEEZNS1_13binary_searchIS3_S5_PxSG_SI_NS1_21upper_bound_search_opENS9_16wrapped_functionINS8_6system6detail7generic6detail18binary_search_lessEbEEEE10hipError_tPvRmT1_T2_T3_mmT4_T5_P12ihipStream_tbEUlRKxE_EEST_SX_SY_mSZ_S12_bEUlT_E_NS1_11comp_targetILNS1_3genE9ELNS1_11target_archE1100ELNS1_3gpuE3ELNS1_3repE0EEENS1_30default_config_static_selectorELNS0_4arch9wavefront6targetE0EEEvSW_,comdat
.Lfunc_end219:
	.size	_ZN7rocprim17ROCPRIM_400000_NS6detail17trampoline_kernelINS0_14default_configENS1_27upper_bound_config_selectorIxlEEZNS1_14transform_implILb0ES3_S5_N6thrust23THRUST_200600_302600_NS6detail15normal_iteratorINS8_7pointerIxNS8_11hip_rocprim5par_tENS8_11use_defaultESE_EEEENSA_INSB_IlSD_SE_SE_EEEEZNS1_13binary_searchIS3_S5_PxSG_SI_NS1_21upper_bound_search_opENS9_16wrapped_functionINS8_6system6detail7generic6detail18binary_search_lessEbEEEE10hipError_tPvRmT1_T2_T3_mmT4_T5_P12ihipStream_tbEUlRKxE_EEST_SX_SY_mSZ_S12_bEUlT_E_NS1_11comp_targetILNS1_3genE9ELNS1_11target_archE1100ELNS1_3gpuE3ELNS1_3repE0EEENS1_30default_config_static_selectorELNS0_4arch9wavefront6targetE0EEEvSW_, .Lfunc_end219-_ZN7rocprim17ROCPRIM_400000_NS6detail17trampoline_kernelINS0_14default_configENS1_27upper_bound_config_selectorIxlEEZNS1_14transform_implILb0ES3_S5_N6thrust23THRUST_200600_302600_NS6detail15normal_iteratorINS8_7pointerIxNS8_11hip_rocprim5par_tENS8_11use_defaultESE_EEEENSA_INSB_IlSD_SE_SE_EEEEZNS1_13binary_searchIS3_S5_PxSG_SI_NS1_21upper_bound_search_opENS9_16wrapped_functionINS8_6system6detail7generic6detail18binary_search_lessEbEEEE10hipError_tPvRmT1_T2_T3_mmT4_T5_P12ihipStream_tbEUlRKxE_EEST_SX_SY_mSZ_S12_bEUlT_E_NS1_11comp_targetILNS1_3genE9ELNS1_11target_archE1100ELNS1_3gpuE3ELNS1_3repE0EEENS1_30default_config_static_selectorELNS0_4arch9wavefront6targetE0EEEvSW_
                                        ; -- End function
	.set _ZN7rocprim17ROCPRIM_400000_NS6detail17trampoline_kernelINS0_14default_configENS1_27upper_bound_config_selectorIxlEEZNS1_14transform_implILb0ES3_S5_N6thrust23THRUST_200600_302600_NS6detail15normal_iteratorINS8_7pointerIxNS8_11hip_rocprim5par_tENS8_11use_defaultESE_EEEENSA_INSB_IlSD_SE_SE_EEEEZNS1_13binary_searchIS3_S5_PxSG_SI_NS1_21upper_bound_search_opENS9_16wrapped_functionINS8_6system6detail7generic6detail18binary_search_lessEbEEEE10hipError_tPvRmT1_T2_T3_mmT4_T5_P12ihipStream_tbEUlRKxE_EEST_SX_SY_mSZ_S12_bEUlT_E_NS1_11comp_targetILNS1_3genE9ELNS1_11target_archE1100ELNS1_3gpuE3ELNS1_3repE0EEENS1_30default_config_static_selectorELNS0_4arch9wavefront6targetE0EEEvSW_.num_vgpr, 0
	.set _ZN7rocprim17ROCPRIM_400000_NS6detail17trampoline_kernelINS0_14default_configENS1_27upper_bound_config_selectorIxlEEZNS1_14transform_implILb0ES3_S5_N6thrust23THRUST_200600_302600_NS6detail15normal_iteratorINS8_7pointerIxNS8_11hip_rocprim5par_tENS8_11use_defaultESE_EEEENSA_INSB_IlSD_SE_SE_EEEEZNS1_13binary_searchIS3_S5_PxSG_SI_NS1_21upper_bound_search_opENS9_16wrapped_functionINS8_6system6detail7generic6detail18binary_search_lessEbEEEE10hipError_tPvRmT1_T2_T3_mmT4_T5_P12ihipStream_tbEUlRKxE_EEST_SX_SY_mSZ_S12_bEUlT_E_NS1_11comp_targetILNS1_3genE9ELNS1_11target_archE1100ELNS1_3gpuE3ELNS1_3repE0EEENS1_30default_config_static_selectorELNS0_4arch9wavefront6targetE0EEEvSW_.num_agpr, 0
	.set _ZN7rocprim17ROCPRIM_400000_NS6detail17trampoline_kernelINS0_14default_configENS1_27upper_bound_config_selectorIxlEEZNS1_14transform_implILb0ES3_S5_N6thrust23THRUST_200600_302600_NS6detail15normal_iteratorINS8_7pointerIxNS8_11hip_rocprim5par_tENS8_11use_defaultESE_EEEENSA_INSB_IlSD_SE_SE_EEEEZNS1_13binary_searchIS3_S5_PxSG_SI_NS1_21upper_bound_search_opENS9_16wrapped_functionINS8_6system6detail7generic6detail18binary_search_lessEbEEEE10hipError_tPvRmT1_T2_T3_mmT4_T5_P12ihipStream_tbEUlRKxE_EEST_SX_SY_mSZ_S12_bEUlT_E_NS1_11comp_targetILNS1_3genE9ELNS1_11target_archE1100ELNS1_3gpuE3ELNS1_3repE0EEENS1_30default_config_static_selectorELNS0_4arch9wavefront6targetE0EEEvSW_.numbered_sgpr, 0
	.set _ZN7rocprim17ROCPRIM_400000_NS6detail17trampoline_kernelINS0_14default_configENS1_27upper_bound_config_selectorIxlEEZNS1_14transform_implILb0ES3_S5_N6thrust23THRUST_200600_302600_NS6detail15normal_iteratorINS8_7pointerIxNS8_11hip_rocprim5par_tENS8_11use_defaultESE_EEEENSA_INSB_IlSD_SE_SE_EEEEZNS1_13binary_searchIS3_S5_PxSG_SI_NS1_21upper_bound_search_opENS9_16wrapped_functionINS8_6system6detail7generic6detail18binary_search_lessEbEEEE10hipError_tPvRmT1_T2_T3_mmT4_T5_P12ihipStream_tbEUlRKxE_EEST_SX_SY_mSZ_S12_bEUlT_E_NS1_11comp_targetILNS1_3genE9ELNS1_11target_archE1100ELNS1_3gpuE3ELNS1_3repE0EEENS1_30default_config_static_selectorELNS0_4arch9wavefront6targetE0EEEvSW_.num_named_barrier, 0
	.set _ZN7rocprim17ROCPRIM_400000_NS6detail17trampoline_kernelINS0_14default_configENS1_27upper_bound_config_selectorIxlEEZNS1_14transform_implILb0ES3_S5_N6thrust23THRUST_200600_302600_NS6detail15normal_iteratorINS8_7pointerIxNS8_11hip_rocprim5par_tENS8_11use_defaultESE_EEEENSA_INSB_IlSD_SE_SE_EEEEZNS1_13binary_searchIS3_S5_PxSG_SI_NS1_21upper_bound_search_opENS9_16wrapped_functionINS8_6system6detail7generic6detail18binary_search_lessEbEEEE10hipError_tPvRmT1_T2_T3_mmT4_T5_P12ihipStream_tbEUlRKxE_EEST_SX_SY_mSZ_S12_bEUlT_E_NS1_11comp_targetILNS1_3genE9ELNS1_11target_archE1100ELNS1_3gpuE3ELNS1_3repE0EEENS1_30default_config_static_selectorELNS0_4arch9wavefront6targetE0EEEvSW_.private_seg_size, 0
	.set _ZN7rocprim17ROCPRIM_400000_NS6detail17trampoline_kernelINS0_14default_configENS1_27upper_bound_config_selectorIxlEEZNS1_14transform_implILb0ES3_S5_N6thrust23THRUST_200600_302600_NS6detail15normal_iteratorINS8_7pointerIxNS8_11hip_rocprim5par_tENS8_11use_defaultESE_EEEENSA_INSB_IlSD_SE_SE_EEEEZNS1_13binary_searchIS3_S5_PxSG_SI_NS1_21upper_bound_search_opENS9_16wrapped_functionINS8_6system6detail7generic6detail18binary_search_lessEbEEEE10hipError_tPvRmT1_T2_T3_mmT4_T5_P12ihipStream_tbEUlRKxE_EEST_SX_SY_mSZ_S12_bEUlT_E_NS1_11comp_targetILNS1_3genE9ELNS1_11target_archE1100ELNS1_3gpuE3ELNS1_3repE0EEENS1_30default_config_static_selectorELNS0_4arch9wavefront6targetE0EEEvSW_.uses_vcc, 0
	.set _ZN7rocprim17ROCPRIM_400000_NS6detail17trampoline_kernelINS0_14default_configENS1_27upper_bound_config_selectorIxlEEZNS1_14transform_implILb0ES3_S5_N6thrust23THRUST_200600_302600_NS6detail15normal_iteratorINS8_7pointerIxNS8_11hip_rocprim5par_tENS8_11use_defaultESE_EEEENSA_INSB_IlSD_SE_SE_EEEEZNS1_13binary_searchIS3_S5_PxSG_SI_NS1_21upper_bound_search_opENS9_16wrapped_functionINS8_6system6detail7generic6detail18binary_search_lessEbEEEE10hipError_tPvRmT1_T2_T3_mmT4_T5_P12ihipStream_tbEUlRKxE_EEST_SX_SY_mSZ_S12_bEUlT_E_NS1_11comp_targetILNS1_3genE9ELNS1_11target_archE1100ELNS1_3gpuE3ELNS1_3repE0EEENS1_30default_config_static_selectorELNS0_4arch9wavefront6targetE0EEEvSW_.uses_flat_scratch, 0
	.set _ZN7rocprim17ROCPRIM_400000_NS6detail17trampoline_kernelINS0_14default_configENS1_27upper_bound_config_selectorIxlEEZNS1_14transform_implILb0ES3_S5_N6thrust23THRUST_200600_302600_NS6detail15normal_iteratorINS8_7pointerIxNS8_11hip_rocprim5par_tENS8_11use_defaultESE_EEEENSA_INSB_IlSD_SE_SE_EEEEZNS1_13binary_searchIS3_S5_PxSG_SI_NS1_21upper_bound_search_opENS9_16wrapped_functionINS8_6system6detail7generic6detail18binary_search_lessEbEEEE10hipError_tPvRmT1_T2_T3_mmT4_T5_P12ihipStream_tbEUlRKxE_EEST_SX_SY_mSZ_S12_bEUlT_E_NS1_11comp_targetILNS1_3genE9ELNS1_11target_archE1100ELNS1_3gpuE3ELNS1_3repE0EEENS1_30default_config_static_selectorELNS0_4arch9wavefront6targetE0EEEvSW_.has_dyn_sized_stack, 0
	.set _ZN7rocprim17ROCPRIM_400000_NS6detail17trampoline_kernelINS0_14default_configENS1_27upper_bound_config_selectorIxlEEZNS1_14transform_implILb0ES3_S5_N6thrust23THRUST_200600_302600_NS6detail15normal_iteratorINS8_7pointerIxNS8_11hip_rocprim5par_tENS8_11use_defaultESE_EEEENSA_INSB_IlSD_SE_SE_EEEEZNS1_13binary_searchIS3_S5_PxSG_SI_NS1_21upper_bound_search_opENS9_16wrapped_functionINS8_6system6detail7generic6detail18binary_search_lessEbEEEE10hipError_tPvRmT1_T2_T3_mmT4_T5_P12ihipStream_tbEUlRKxE_EEST_SX_SY_mSZ_S12_bEUlT_E_NS1_11comp_targetILNS1_3genE9ELNS1_11target_archE1100ELNS1_3gpuE3ELNS1_3repE0EEENS1_30default_config_static_selectorELNS0_4arch9wavefront6targetE0EEEvSW_.has_recursion, 0
	.set _ZN7rocprim17ROCPRIM_400000_NS6detail17trampoline_kernelINS0_14default_configENS1_27upper_bound_config_selectorIxlEEZNS1_14transform_implILb0ES3_S5_N6thrust23THRUST_200600_302600_NS6detail15normal_iteratorINS8_7pointerIxNS8_11hip_rocprim5par_tENS8_11use_defaultESE_EEEENSA_INSB_IlSD_SE_SE_EEEEZNS1_13binary_searchIS3_S5_PxSG_SI_NS1_21upper_bound_search_opENS9_16wrapped_functionINS8_6system6detail7generic6detail18binary_search_lessEbEEEE10hipError_tPvRmT1_T2_T3_mmT4_T5_P12ihipStream_tbEUlRKxE_EEST_SX_SY_mSZ_S12_bEUlT_E_NS1_11comp_targetILNS1_3genE9ELNS1_11target_archE1100ELNS1_3gpuE3ELNS1_3repE0EEENS1_30default_config_static_selectorELNS0_4arch9wavefront6targetE0EEEvSW_.has_indirect_call, 0
	.section	.AMDGPU.csdata,"",@progbits
; Kernel info:
; codeLenInByte = 0
; TotalNumSgprs: 0
; NumVgprs: 0
; ScratchSize: 0
; MemoryBound: 0
; FloatMode: 240
; IeeeMode: 1
; LDSByteSize: 0 bytes/workgroup (compile time only)
; SGPRBlocks: 0
; VGPRBlocks: 0
; NumSGPRsForWavesPerEU: 1
; NumVGPRsForWavesPerEU: 1
; Occupancy: 16
; WaveLimiterHint : 0
; COMPUTE_PGM_RSRC2:SCRATCH_EN: 0
; COMPUTE_PGM_RSRC2:USER_SGPR: 6
; COMPUTE_PGM_RSRC2:TRAP_HANDLER: 0
; COMPUTE_PGM_RSRC2:TGID_X_EN: 1
; COMPUTE_PGM_RSRC2:TGID_Y_EN: 0
; COMPUTE_PGM_RSRC2:TGID_Z_EN: 0
; COMPUTE_PGM_RSRC2:TIDIG_COMP_CNT: 0
	.section	.text._ZN7rocprim17ROCPRIM_400000_NS6detail17trampoline_kernelINS0_14default_configENS1_27upper_bound_config_selectorIxlEEZNS1_14transform_implILb0ES3_S5_N6thrust23THRUST_200600_302600_NS6detail15normal_iteratorINS8_7pointerIxNS8_11hip_rocprim5par_tENS8_11use_defaultESE_EEEENSA_INSB_IlSD_SE_SE_EEEEZNS1_13binary_searchIS3_S5_PxSG_SI_NS1_21upper_bound_search_opENS9_16wrapped_functionINS8_6system6detail7generic6detail18binary_search_lessEbEEEE10hipError_tPvRmT1_T2_T3_mmT4_T5_P12ihipStream_tbEUlRKxE_EEST_SX_SY_mSZ_S12_bEUlT_E_NS1_11comp_targetILNS1_3genE8ELNS1_11target_archE1030ELNS1_3gpuE2ELNS1_3repE0EEENS1_30default_config_static_selectorELNS0_4arch9wavefront6targetE0EEEvSW_,"axG",@progbits,_ZN7rocprim17ROCPRIM_400000_NS6detail17trampoline_kernelINS0_14default_configENS1_27upper_bound_config_selectorIxlEEZNS1_14transform_implILb0ES3_S5_N6thrust23THRUST_200600_302600_NS6detail15normal_iteratorINS8_7pointerIxNS8_11hip_rocprim5par_tENS8_11use_defaultESE_EEEENSA_INSB_IlSD_SE_SE_EEEEZNS1_13binary_searchIS3_S5_PxSG_SI_NS1_21upper_bound_search_opENS9_16wrapped_functionINS8_6system6detail7generic6detail18binary_search_lessEbEEEE10hipError_tPvRmT1_T2_T3_mmT4_T5_P12ihipStream_tbEUlRKxE_EEST_SX_SY_mSZ_S12_bEUlT_E_NS1_11comp_targetILNS1_3genE8ELNS1_11target_archE1030ELNS1_3gpuE2ELNS1_3repE0EEENS1_30default_config_static_selectorELNS0_4arch9wavefront6targetE0EEEvSW_,comdat
	.protected	_ZN7rocprim17ROCPRIM_400000_NS6detail17trampoline_kernelINS0_14default_configENS1_27upper_bound_config_selectorIxlEEZNS1_14transform_implILb0ES3_S5_N6thrust23THRUST_200600_302600_NS6detail15normal_iteratorINS8_7pointerIxNS8_11hip_rocprim5par_tENS8_11use_defaultESE_EEEENSA_INSB_IlSD_SE_SE_EEEEZNS1_13binary_searchIS3_S5_PxSG_SI_NS1_21upper_bound_search_opENS9_16wrapped_functionINS8_6system6detail7generic6detail18binary_search_lessEbEEEE10hipError_tPvRmT1_T2_T3_mmT4_T5_P12ihipStream_tbEUlRKxE_EEST_SX_SY_mSZ_S12_bEUlT_E_NS1_11comp_targetILNS1_3genE8ELNS1_11target_archE1030ELNS1_3gpuE2ELNS1_3repE0EEENS1_30default_config_static_selectorELNS0_4arch9wavefront6targetE0EEEvSW_ ; -- Begin function _ZN7rocprim17ROCPRIM_400000_NS6detail17trampoline_kernelINS0_14default_configENS1_27upper_bound_config_selectorIxlEEZNS1_14transform_implILb0ES3_S5_N6thrust23THRUST_200600_302600_NS6detail15normal_iteratorINS8_7pointerIxNS8_11hip_rocprim5par_tENS8_11use_defaultESE_EEEENSA_INSB_IlSD_SE_SE_EEEEZNS1_13binary_searchIS3_S5_PxSG_SI_NS1_21upper_bound_search_opENS9_16wrapped_functionINS8_6system6detail7generic6detail18binary_search_lessEbEEEE10hipError_tPvRmT1_T2_T3_mmT4_T5_P12ihipStream_tbEUlRKxE_EEST_SX_SY_mSZ_S12_bEUlT_E_NS1_11comp_targetILNS1_3genE8ELNS1_11target_archE1030ELNS1_3gpuE2ELNS1_3repE0EEENS1_30default_config_static_selectorELNS0_4arch9wavefront6targetE0EEEvSW_
	.globl	_ZN7rocprim17ROCPRIM_400000_NS6detail17trampoline_kernelINS0_14default_configENS1_27upper_bound_config_selectorIxlEEZNS1_14transform_implILb0ES3_S5_N6thrust23THRUST_200600_302600_NS6detail15normal_iteratorINS8_7pointerIxNS8_11hip_rocprim5par_tENS8_11use_defaultESE_EEEENSA_INSB_IlSD_SE_SE_EEEEZNS1_13binary_searchIS3_S5_PxSG_SI_NS1_21upper_bound_search_opENS9_16wrapped_functionINS8_6system6detail7generic6detail18binary_search_lessEbEEEE10hipError_tPvRmT1_T2_T3_mmT4_T5_P12ihipStream_tbEUlRKxE_EEST_SX_SY_mSZ_S12_bEUlT_E_NS1_11comp_targetILNS1_3genE8ELNS1_11target_archE1030ELNS1_3gpuE2ELNS1_3repE0EEENS1_30default_config_static_selectorELNS0_4arch9wavefront6targetE0EEEvSW_
	.p2align	8
	.type	_ZN7rocprim17ROCPRIM_400000_NS6detail17trampoline_kernelINS0_14default_configENS1_27upper_bound_config_selectorIxlEEZNS1_14transform_implILb0ES3_S5_N6thrust23THRUST_200600_302600_NS6detail15normal_iteratorINS8_7pointerIxNS8_11hip_rocprim5par_tENS8_11use_defaultESE_EEEENSA_INSB_IlSD_SE_SE_EEEEZNS1_13binary_searchIS3_S5_PxSG_SI_NS1_21upper_bound_search_opENS9_16wrapped_functionINS8_6system6detail7generic6detail18binary_search_lessEbEEEE10hipError_tPvRmT1_T2_T3_mmT4_T5_P12ihipStream_tbEUlRKxE_EEST_SX_SY_mSZ_S12_bEUlT_E_NS1_11comp_targetILNS1_3genE8ELNS1_11target_archE1030ELNS1_3gpuE2ELNS1_3repE0EEENS1_30default_config_static_selectorELNS0_4arch9wavefront6targetE0EEEvSW_,@function
_ZN7rocprim17ROCPRIM_400000_NS6detail17trampoline_kernelINS0_14default_configENS1_27upper_bound_config_selectorIxlEEZNS1_14transform_implILb0ES3_S5_N6thrust23THRUST_200600_302600_NS6detail15normal_iteratorINS8_7pointerIxNS8_11hip_rocprim5par_tENS8_11use_defaultESE_EEEENSA_INSB_IlSD_SE_SE_EEEEZNS1_13binary_searchIS3_S5_PxSG_SI_NS1_21upper_bound_search_opENS9_16wrapped_functionINS8_6system6detail7generic6detail18binary_search_lessEbEEEE10hipError_tPvRmT1_T2_T3_mmT4_T5_P12ihipStream_tbEUlRKxE_EEST_SX_SY_mSZ_S12_bEUlT_E_NS1_11comp_targetILNS1_3genE8ELNS1_11target_archE1030ELNS1_3gpuE2ELNS1_3repE0EEENS1_30default_config_static_selectorELNS0_4arch9wavefront6targetE0EEEvSW_: ; @_ZN7rocprim17ROCPRIM_400000_NS6detail17trampoline_kernelINS0_14default_configENS1_27upper_bound_config_selectorIxlEEZNS1_14transform_implILb0ES3_S5_N6thrust23THRUST_200600_302600_NS6detail15normal_iteratorINS8_7pointerIxNS8_11hip_rocprim5par_tENS8_11use_defaultESE_EEEENSA_INSB_IlSD_SE_SE_EEEEZNS1_13binary_searchIS3_S5_PxSG_SI_NS1_21upper_bound_search_opENS9_16wrapped_functionINS8_6system6detail7generic6detail18binary_search_lessEbEEEE10hipError_tPvRmT1_T2_T3_mmT4_T5_P12ihipStream_tbEUlRKxE_EEST_SX_SY_mSZ_S12_bEUlT_E_NS1_11comp_targetILNS1_3genE8ELNS1_11target_archE1030ELNS1_3gpuE2ELNS1_3repE0EEENS1_30default_config_static_selectorELNS0_4arch9wavefront6targetE0EEEvSW_
; %bb.0:
	s_clause 0x3
	s_load_dwordx4 s[16:19], s[4:5], 0x0
	s_load_dwordx4 s[0:3], s[4:5], 0x18
	s_load_dword s15, s[4:5], 0x38
	s_load_dwordx2 s[10:11], s[4:5], 0x28
	s_waitcnt lgkmcnt(0)
	s_lshl_b64 s[8:9], s[18:19], 3
	s_add_u32 s13, s16, s8
	s_addc_u32 s14, s17, s9
	s_add_u32 s7, s0, s8
	s_addc_u32 s12, s1, s9
	s_add_i32 s15, s15, -1
	s_lshl_b32 s8, s6, 8
	s_mov_b32 s9, 0
	s_cmp_lg_u32 s6, s15
	s_mov_b32 s0, -1
	s_cbranch_scc0 .LBB220_7
; %bb.1:
	s_cmp_eq_u64 s[10:11], 0
	s_cbranch_scc1 .LBB220_5
; %bb.2:
	v_lshlrev_b32_e32 v1, 3, v0
	s_lshl_b64 s[0:1], s[8:9], 3
	v_mov_b32_e32 v5, s10
	s_add_u32 s0, s13, s0
	s_addc_u32 s1, s14, s1
	v_add_co_u32 v1, s0, s0, v1
	v_add_co_ci_u32_e64 v2, null, s1, 0, s0
	v_mov_b32_e32 v6, s11
	s_mov_b32 s1, 0
	flat_load_dwordx2 v[3:4], v[1:2]
	v_mov_b32_e32 v1, 0
	v_mov_b32_e32 v2, 0
	s_inst_prefetch 0x1
	.p2align	6
.LBB220_3:                              ; =>This Inner Loop Header: Depth=1
	v_sub_co_u32 v7, vcc_lo, v5, v1
	v_sub_co_ci_u32_e64 v8, null, v6, v2, vcc_lo
	v_lshrrev_b64 v[9:10], 1, v[7:8]
	v_lshrrev_b64 v[7:8], 6, v[7:8]
	v_add_co_u32 v9, vcc_lo, v9, v1
	v_add_co_ci_u32_e64 v10, null, v10, v2, vcc_lo
	v_add_co_u32 v7, vcc_lo, v9, v7
	v_add_co_ci_u32_e64 v8, null, v10, v8, vcc_lo
	v_lshlrev_b64 v[9:10], 3, v[7:8]
	v_add_co_u32 v9, vcc_lo, s2, v9
	v_add_co_ci_u32_e64 v10, null, s3, v10, vcc_lo
	v_add_co_u32 v11, vcc_lo, v7, 1
	global_load_dwordx2 v[9:10], v[9:10], off
	s_waitcnt vmcnt(0) lgkmcnt(0)
	v_cmp_lt_i64_e64 s0, v[3:4], v[9:10]
	v_add_co_ci_u32_e64 v9, null, 0, v8, vcc_lo
	v_cndmask_b32_e64 v6, v6, v8, s0
	v_cndmask_b32_e64 v5, v5, v7, s0
	;; [unrolled: 1-line block ×4, first 2 shown]
	v_cmp_ge_u64_e32 vcc_lo, v[1:2], v[5:6]
	s_or_b32 s1, vcc_lo, s1
	s_andn2_b32 exec_lo, exec_lo, s1
	s_cbranch_execnz .LBB220_3
; %bb.4:
	s_inst_prefetch 0x2
	s_or_b32 exec_lo, exec_lo, s1
	s_branch .LBB220_6
.LBB220_5:
	v_mov_b32_e32 v1, 0
	v_mov_b32_e32 v2, 0
.LBB220_6:
	v_lshlrev_b32_e32 v3, 3, v0
	s_lshl_b64 s[0:1], s[8:9], 3
	s_add_u32 s0, s7, s0
	s_addc_u32 s1, s12, s1
	v_add_co_u32 v3, s0, s0, v3
	v_add_co_ci_u32_e64 v4, null, s1, 0, s0
	s_mov_b32 s0, 0
	flat_store_dwordx2 v[3:4], v[1:2]
.LBB220_7:
	s_and_b32 vcc_lo, exec_lo, s0
	s_cbranch_vccz .LBB220_16
; %bb.8:
	s_load_dword s0, s[4:5], 0x10
                                        ; implicit-def: $vgpr3_vgpr4
	s_waitcnt lgkmcnt(0)
	s_sub_i32 s1, s0, s8
	v_cmp_le_u32_e64 s0, s1, v0
	v_cmp_gt_u32_e32 vcc_lo, s1, v0
	s_and_saveexec_b32 s1, vcc_lo
	s_cbranch_execz .LBB220_10
; %bb.9:
	v_lshlrev_b32_e32 v1, 3, v0
	s_lshl_b64 s[4:5], s[8:9], 3
	s_add_u32 s4, s13, s4
	s_addc_u32 s5, s14, s5
	v_add_co_u32 v1, s4, s4, v1
	v_add_co_ci_u32_e64 v2, null, s5, 0, s4
	flat_load_dwordx2 v[3:4], v[1:2]
.LBB220_10:
	s_or_b32 exec_lo, exec_lo, s1
	s_cmp_lg_u64 s[10:11], 0
	v_mov_b32_e32 v1, 0
	v_mov_b32_e32 v2, 0
	s_cselect_b32 s1, -1, 0
	s_xor_b32 s0, s0, -1
	s_and_b32 s0, s0, s1
	s_and_saveexec_b32 s4, s0
	s_cbranch_execz .LBB220_14
; %bb.11:
	v_mov_b32_e32 v1, 0
	v_mov_b32_e32 v5, s10
	;; [unrolled: 1-line block ×4, first 2 shown]
	s_mov_b32 s5, 0
	s_inst_prefetch 0x1
	.p2align	6
.LBB220_12:                             ; =>This Inner Loop Header: Depth=1
	v_sub_co_u32 v7, s0, v5, v1
	v_sub_co_ci_u32_e64 v8, null, v6, v2, s0
	v_lshrrev_b64 v[9:10], 1, v[7:8]
	v_lshrrev_b64 v[7:8], 6, v[7:8]
	v_add_co_u32 v9, s0, v9, v1
	v_add_co_ci_u32_e64 v10, null, v10, v2, s0
	v_add_co_u32 v7, s0, v9, v7
	v_add_co_ci_u32_e64 v8, null, v10, v8, s0
	v_lshlrev_b64 v[9:10], 3, v[7:8]
	v_add_co_u32 v9, s0, s2, v9
	v_add_co_ci_u32_e64 v10, null, s3, v10, s0
	v_add_co_u32 v11, s0, v7, 1
	global_load_dwordx2 v[9:10], v[9:10], off
	s_waitcnt vmcnt(0) lgkmcnt(0)
	v_cmp_lt_i64_e64 s1, v[3:4], v[9:10]
	v_add_co_ci_u32_e64 v9, null, 0, v8, s0
	v_cndmask_b32_e64 v6, v6, v8, s1
	v_cndmask_b32_e64 v5, v5, v7, s1
	;; [unrolled: 1-line block ×4, first 2 shown]
	v_cmp_ge_u64_e64 s0, v[1:2], v[5:6]
	s_or_b32 s5, s0, s5
	s_andn2_b32 exec_lo, exec_lo, s5
	s_cbranch_execnz .LBB220_12
; %bb.13:
	s_inst_prefetch 0x2
	s_or_b32 exec_lo, exec_lo, s5
.LBB220_14:
	s_or_b32 exec_lo, exec_lo, s4
	s_and_saveexec_b32 s0, vcc_lo
	s_cbranch_execz .LBB220_16
; %bb.15:
	v_lshlrev_b32_e32 v0, 3, v0
	s_lshl_b64 s[0:1], s[8:9], 3
	s_add_u32 s0, s7, s0
	s_addc_u32 s1, s12, s1
	s_waitcnt vmcnt(0) lgkmcnt(0)
	v_add_co_u32 v3, s0, s0, v0
	v_add_co_ci_u32_e64 v4, null, s1, 0, s0
	flat_store_dwordx2 v[3:4], v[1:2]
.LBB220_16:
	s_endpgm
	.section	.rodata,"a",@progbits
	.p2align	6, 0x0
	.amdhsa_kernel _ZN7rocprim17ROCPRIM_400000_NS6detail17trampoline_kernelINS0_14default_configENS1_27upper_bound_config_selectorIxlEEZNS1_14transform_implILb0ES3_S5_N6thrust23THRUST_200600_302600_NS6detail15normal_iteratorINS8_7pointerIxNS8_11hip_rocprim5par_tENS8_11use_defaultESE_EEEENSA_INSB_IlSD_SE_SE_EEEEZNS1_13binary_searchIS3_S5_PxSG_SI_NS1_21upper_bound_search_opENS9_16wrapped_functionINS8_6system6detail7generic6detail18binary_search_lessEbEEEE10hipError_tPvRmT1_T2_T3_mmT4_T5_P12ihipStream_tbEUlRKxE_EEST_SX_SY_mSZ_S12_bEUlT_E_NS1_11comp_targetILNS1_3genE8ELNS1_11target_archE1030ELNS1_3gpuE2ELNS1_3repE0EEENS1_30default_config_static_selectorELNS0_4arch9wavefront6targetE0EEEvSW_
		.amdhsa_group_segment_fixed_size 0
		.amdhsa_private_segment_fixed_size 0
		.amdhsa_kernarg_size 312
		.amdhsa_user_sgpr_count 6
		.amdhsa_user_sgpr_private_segment_buffer 1
		.amdhsa_user_sgpr_dispatch_ptr 0
		.amdhsa_user_sgpr_queue_ptr 0
		.amdhsa_user_sgpr_kernarg_segment_ptr 1
		.amdhsa_user_sgpr_dispatch_id 0
		.amdhsa_user_sgpr_flat_scratch_init 0
		.amdhsa_user_sgpr_private_segment_size 0
		.amdhsa_wavefront_size32 1
		.amdhsa_uses_dynamic_stack 0
		.amdhsa_system_sgpr_private_segment_wavefront_offset 0
		.amdhsa_system_sgpr_workgroup_id_x 1
		.amdhsa_system_sgpr_workgroup_id_y 0
		.amdhsa_system_sgpr_workgroup_id_z 0
		.amdhsa_system_sgpr_workgroup_info 0
		.amdhsa_system_vgpr_workitem_id 0
		.amdhsa_next_free_vgpr 12
		.amdhsa_next_free_sgpr 20
		.amdhsa_reserve_vcc 1
		.amdhsa_reserve_flat_scratch 0
		.amdhsa_float_round_mode_32 0
		.amdhsa_float_round_mode_16_64 0
		.amdhsa_float_denorm_mode_32 3
		.amdhsa_float_denorm_mode_16_64 3
		.amdhsa_dx10_clamp 1
		.amdhsa_ieee_mode 1
		.amdhsa_fp16_overflow 0
		.amdhsa_workgroup_processor_mode 1
		.amdhsa_memory_ordered 1
		.amdhsa_forward_progress 1
		.amdhsa_shared_vgpr_count 0
		.amdhsa_exception_fp_ieee_invalid_op 0
		.amdhsa_exception_fp_denorm_src 0
		.amdhsa_exception_fp_ieee_div_zero 0
		.amdhsa_exception_fp_ieee_overflow 0
		.amdhsa_exception_fp_ieee_underflow 0
		.amdhsa_exception_fp_ieee_inexact 0
		.amdhsa_exception_int_div_zero 0
	.end_amdhsa_kernel
	.section	.text._ZN7rocprim17ROCPRIM_400000_NS6detail17trampoline_kernelINS0_14default_configENS1_27upper_bound_config_selectorIxlEEZNS1_14transform_implILb0ES3_S5_N6thrust23THRUST_200600_302600_NS6detail15normal_iteratorINS8_7pointerIxNS8_11hip_rocprim5par_tENS8_11use_defaultESE_EEEENSA_INSB_IlSD_SE_SE_EEEEZNS1_13binary_searchIS3_S5_PxSG_SI_NS1_21upper_bound_search_opENS9_16wrapped_functionINS8_6system6detail7generic6detail18binary_search_lessEbEEEE10hipError_tPvRmT1_T2_T3_mmT4_T5_P12ihipStream_tbEUlRKxE_EEST_SX_SY_mSZ_S12_bEUlT_E_NS1_11comp_targetILNS1_3genE8ELNS1_11target_archE1030ELNS1_3gpuE2ELNS1_3repE0EEENS1_30default_config_static_selectorELNS0_4arch9wavefront6targetE0EEEvSW_,"axG",@progbits,_ZN7rocprim17ROCPRIM_400000_NS6detail17trampoline_kernelINS0_14default_configENS1_27upper_bound_config_selectorIxlEEZNS1_14transform_implILb0ES3_S5_N6thrust23THRUST_200600_302600_NS6detail15normal_iteratorINS8_7pointerIxNS8_11hip_rocprim5par_tENS8_11use_defaultESE_EEEENSA_INSB_IlSD_SE_SE_EEEEZNS1_13binary_searchIS3_S5_PxSG_SI_NS1_21upper_bound_search_opENS9_16wrapped_functionINS8_6system6detail7generic6detail18binary_search_lessEbEEEE10hipError_tPvRmT1_T2_T3_mmT4_T5_P12ihipStream_tbEUlRKxE_EEST_SX_SY_mSZ_S12_bEUlT_E_NS1_11comp_targetILNS1_3genE8ELNS1_11target_archE1030ELNS1_3gpuE2ELNS1_3repE0EEENS1_30default_config_static_selectorELNS0_4arch9wavefront6targetE0EEEvSW_,comdat
.Lfunc_end220:
	.size	_ZN7rocprim17ROCPRIM_400000_NS6detail17trampoline_kernelINS0_14default_configENS1_27upper_bound_config_selectorIxlEEZNS1_14transform_implILb0ES3_S5_N6thrust23THRUST_200600_302600_NS6detail15normal_iteratorINS8_7pointerIxNS8_11hip_rocprim5par_tENS8_11use_defaultESE_EEEENSA_INSB_IlSD_SE_SE_EEEEZNS1_13binary_searchIS3_S5_PxSG_SI_NS1_21upper_bound_search_opENS9_16wrapped_functionINS8_6system6detail7generic6detail18binary_search_lessEbEEEE10hipError_tPvRmT1_T2_T3_mmT4_T5_P12ihipStream_tbEUlRKxE_EEST_SX_SY_mSZ_S12_bEUlT_E_NS1_11comp_targetILNS1_3genE8ELNS1_11target_archE1030ELNS1_3gpuE2ELNS1_3repE0EEENS1_30default_config_static_selectorELNS0_4arch9wavefront6targetE0EEEvSW_, .Lfunc_end220-_ZN7rocprim17ROCPRIM_400000_NS6detail17trampoline_kernelINS0_14default_configENS1_27upper_bound_config_selectorIxlEEZNS1_14transform_implILb0ES3_S5_N6thrust23THRUST_200600_302600_NS6detail15normal_iteratorINS8_7pointerIxNS8_11hip_rocprim5par_tENS8_11use_defaultESE_EEEENSA_INSB_IlSD_SE_SE_EEEEZNS1_13binary_searchIS3_S5_PxSG_SI_NS1_21upper_bound_search_opENS9_16wrapped_functionINS8_6system6detail7generic6detail18binary_search_lessEbEEEE10hipError_tPvRmT1_T2_T3_mmT4_T5_P12ihipStream_tbEUlRKxE_EEST_SX_SY_mSZ_S12_bEUlT_E_NS1_11comp_targetILNS1_3genE8ELNS1_11target_archE1030ELNS1_3gpuE2ELNS1_3repE0EEENS1_30default_config_static_selectorELNS0_4arch9wavefront6targetE0EEEvSW_
                                        ; -- End function
	.set _ZN7rocprim17ROCPRIM_400000_NS6detail17trampoline_kernelINS0_14default_configENS1_27upper_bound_config_selectorIxlEEZNS1_14transform_implILb0ES3_S5_N6thrust23THRUST_200600_302600_NS6detail15normal_iteratorINS8_7pointerIxNS8_11hip_rocprim5par_tENS8_11use_defaultESE_EEEENSA_INSB_IlSD_SE_SE_EEEEZNS1_13binary_searchIS3_S5_PxSG_SI_NS1_21upper_bound_search_opENS9_16wrapped_functionINS8_6system6detail7generic6detail18binary_search_lessEbEEEE10hipError_tPvRmT1_T2_T3_mmT4_T5_P12ihipStream_tbEUlRKxE_EEST_SX_SY_mSZ_S12_bEUlT_E_NS1_11comp_targetILNS1_3genE8ELNS1_11target_archE1030ELNS1_3gpuE2ELNS1_3repE0EEENS1_30default_config_static_selectorELNS0_4arch9wavefront6targetE0EEEvSW_.num_vgpr, 12
	.set _ZN7rocprim17ROCPRIM_400000_NS6detail17trampoline_kernelINS0_14default_configENS1_27upper_bound_config_selectorIxlEEZNS1_14transform_implILb0ES3_S5_N6thrust23THRUST_200600_302600_NS6detail15normal_iteratorINS8_7pointerIxNS8_11hip_rocprim5par_tENS8_11use_defaultESE_EEEENSA_INSB_IlSD_SE_SE_EEEEZNS1_13binary_searchIS3_S5_PxSG_SI_NS1_21upper_bound_search_opENS9_16wrapped_functionINS8_6system6detail7generic6detail18binary_search_lessEbEEEE10hipError_tPvRmT1_T2_T3_mmT4_T5_P12ihipStream_tbEUlRKxE_EEST_SX_SY_mSZ_S12_bEUlT_E_NS1_11comp_targetILNS1_3genE8ELNS1_11target_archE1030ELNS1_3gpuE2ELNS1_3repE0EEENS1_30default_config_static_selectorELNS0_4arch9wavefront6targetE0EEEvSW_.num_agpr, 0
	.set _ZN7rocprim17ROCPRIM_400000_NS6detail17trampoline_kernelINS0_14default_configENS1_27upper_bound_config_selectorIxlEEZNS1_14transform_implILb0ES3_S5_N6thrust23THRUST_200600_302600_NS6detail15normal_iteratorINS8_7pointerIxNS8_11hip_rocprim5par_tENS8_11use_defaultESE_EEEENSA_INSB_IlSD_SE_SE_EEEEZNS1_13binary_searchIS3_S5_PxSG_SI_NS1_21upper_bound_search_opENS9_16wrapped_functionINS8_6system6detail7generic6detail18binary_search_lessEbEEEE10hipError_tPvRmT1_T2_T3_mmT4_T5_P12ihipStream_tbEUlRKxE_EEST_SX_SY_mSZ_S12_bEUlT_E_NS1_11comp_targetILNS1_3genE8ELNS1_11target_archE1030ELNS1_3gpuE2ELNS1_3repE0EEENS1_30default_config_static_selectorELNS0_4arch9wavefront6targetE0EEEvSW_.numbered_sgpr, 20
	.set _ZN7rocprim17ROCPRIM_400000_NS6detail17trampoline_kernelINS0_14default_configENS1_27upper_bound_config_selectorIxlEEZNS1_14transform_implILb0ES3_S5_N6thrust23THRUST_200600_302600_NS6detail15normal_iteratorINS8_7pointerIxNS8_11hip_rocprim5par_tENS8_11use_defaultESE_EEEENSA_INSB_IlSD_SE_SE_EEEEZNS1_13binary_searchIS3_S5_PxSG_SI_NS1_21upper_bound_search_opENS9_16wrapped_functionINS8_6system6detail7generic6detail18binary_search_lessEbEEEE10hipError_tPvRmT1_T2_T3_mmT4_T5_P12ihipStream_tbEUlRKxE_EEST_SX_SY_mSZ_S12_bEUlT_E_NS1_11comp_targetILNS1_3genE8ELNS1_11target_archE1030ELNS1_3gpuE2ELNS1_3repE0EEENS1_30default_config_static_selectorELNS0_4arch9wavefront6targetE0EEEvSW_.num_named_barrier, 0
	.set _ZN7rocprim17ROCPRIM_400000_NS6detail17trampoline_kernelINS0_14default_configENS1_27upper_bound_config_selectorIxlEEZNS1_14transform_implILb0ES3_S5_N6thrust23THRUST_200600_302600_NS6detail15normal_iteratorINS8_7pointerIxNS8_11hip_rocprim5par_tENS8_11use_defaultESE_EEEENSA_INSB_IlSD_SE_SE_EEEEZNS1_13binary_searchIS3_S5_PxSG_SI_NS1_21upper_bound_search_opENS9_16wrapped_functionINS8_6system6detail7generic6detail18binary_search_lessEbEEEE10hipError_tPvRmT1_T2_T3_mmT4_T5_P12ihipStream_tbEUlRKxE_EEST_SX_SY_mSZ_S12_bEUlT_E_NS1_11comp_targetILNS1_3genE8ELNS1_11target_archE1030ELNS1_3gpuE2ELNS1_3repE0EEENS1_30default_config_static_selectorELNS0_4arch9wavefront6targetE0EEEvSW_.private_seg_size, 0
	.set _ZN7rocprim17ROCPRIM_400000_NS6detail17trampoline_kernelINS0_14default_configENS1_27upper_bound_config_selectorIxlEEZNS1_14transform_implILb0ES3_S5_N6thrust23THRUST_200600_302600_NS6detail15normal_iteratorINS8_7pointerIxNS8_11hip_rocprim5par_tENS8_11use_defaultESE_EEEENSA_INSB_IlSD_SE_SE_EEEEZNS1_13binary_searchIS3_S5_PxSG_SI_NS1_21upper_bound_search_opENS9_16wrapped_functionINS8_6system6detail7generic6detail18binary_search_lessEbEEEE10hipError_tPvRmT1_T2_T3_mmT4_T5_P12ihipStream_tbEUlRKxE_EEST_SX_SY_mSZ_S12_bEUlT_E_NS1_11comp_targetILNS1_3genE8ELNS1_11target_archE1030ELNS1_3gpuE2ELNS1_3repE0EEENS1_30default_config_static_selectorELNS0_4arch9wavefront6targetE0EEEvSW_.uses_vcc, 1
	.set _ZN7rocprim17ROCPRIM_400000_NS6detail17trampoline_kernelINS0_14default_configENS1_27upper_bound_config_selectorIxlEEZNS1_14transform_implILb0ES3_S5_N6thrust23THRUST_200600_302600_NS6detail15normal_iteratorINS8_7pointerIxNS8_11hip_rocprim5par_tENS8_11use_defaultESE_EEEENSA_INSB_IlSD_SE_SE_EEEEZNS1_13binary_searchIS3_S5_PxSG_SI_NS1_21upper_bound_search_opENS9_16wrapped_functionINS8_6system6detail7generic6detail18binary_search_lessEbEEEE10hipError_tPvRmT1_T2_T3_mmT4_T5_P12ihipStream_tbEUlRKxE_EEST_SX_SY_mSZ_S12_bEUlT_E_NS1_11comp_targetILNS1_3genE8ELNS1_11target_archE1030ELNS1_3gpuE2ELNS1_3repE0EEENS1_30default_config_static_selectorELNS0_4arch9wavefront6targetE0EEEvSW_.uses_flat_scratch, 0
	.set _ZN7rocprim17ROCPRIM_400000_NS6detail17trampoline_kernelINS0_14default_configENS1_27upper_bound_config_selectorIxlEEZNS1_14transform_implILb0ES3_S5_N6thrust23THRUST_200600_302600_NS6detail15normal_iteratorINS8_7pointerIxNS8_11hip_rocprim5par_tENS8_11use_defaultESE_EEEENSA_INSB_IlSD_SE_SE_EEEEZNS1_13binary_searchIS3_S5_PxSG_SI_NS1_21upper_bound_search_opENS9_16wrapped_functionINS8_6system6detail7generic6detail18binary_search_lessEbEEEE10hipError_tPvRmT1_T2_T3_mmT4_T5_P12ihipStream_tbEUlRKxE_EEST_SX_SY_mSZ_S12_bEUlT_E_NS1_11comp_targetILNS1_3genE8ELNS1_11target_archE1030ELNS1_3gpuE2ELNS1_3repE0EEENS1_30default_config_static_selectorELNS0_4arch9wavefront6targetE0EEEvSW_.has_dyn_sized_stack, 0
	.set _ZN7rocprim17ROCPRIM_400000_NS6detail17trampoline_kernelINS0_14default_configENS1_27upper_bound_config_selectorIxlEEZNS1_14transform_implILb0ES3_S5_N6thrust23THRUST_200600_302600_NS6detail15normal_iteratorINS8_7pointerIxNS8_11hip_rocprim5par_tENS8_11use_defaultESE_EEEENSA_INSB_IlSD_SE_SE_EEEEZNS1_13binary_searchIS3_S5_PxSG_SI_NS1_21upper_bound_search_opENS9_16wrapped_functionINS8_6system6detail7generic6detail18binary_search_lessEbEEEE10hipError_tPvRmT1_T2_T3_mmT4_T5_P12ihipStream_tbEUlRKxE_EEST_SX_SY_mSZ_S12_bEUlT_E_NS1_11comp_targetILNS1_3genE8ELNS1_11target_archE1030ELNS1_3gpuE2ELNS1_3repE0EEENS1_30default_config_static_selectorELNS0_4arch9wavefront6targetE0EEEvSW_.has_recursion, 0
	.set _ZN7rocprim17ROCPRIM_400000_NS6detail17trampoline_kernelINS0_14default_configENS1_27upper_bound_config_selectorIxlEEZNS1_14transform_implILb0ES3_S5_N6thrust23THRUST_200600_302600_NS6detail15normal_iteratorINS8_7pointerIxNS8_11hip_rocprim5par_tENS8_11use_defaultESE_EEEENSA_INSB_IlSD_SE_SE_EEEEZNS1_13binary_searchIS3_S5_PxSG_SI_NS1_21upper_bound_search_opENS9_16wrapped_functionINS8_6system6detail7generic6detail18binary_search_lessEbEEEE10hipError_tPvRmT1_T2_T3_mmT4_T5_P12ihipStream_tbEUlRKxE_EEST_SX_SY_mSZ_S12_bEUlT_E_NS1_11comp_targetILNS1_3genE8ELNS1_11target_archE1030ELNS1_3gpuE2ELNS1_3repE0EEENS1_30default_config_static_selectorELNS0_4arch9wavefront6targetE0EEEvSW_.has_indirect_call, 0
	.section	.AMDGPU.csdata,"",@progbits
; Kernel info:
; codeLenInByte = 820
; TotalNumSgprs: 22
; NumVgprs: 12
; ScratchSize: 0
; MemoryBound: 0
; FloatMode: 240
; IeeeMode: 1
; LDSByteSize: 0 bytes/workgroup (compile time only)
; SGPRBlocks: 0
; VGPRBlocks: 1
; NumSGPRsForWavesPerEU: 22
; NumVGPRsForWavesPerEU: 12
; Occupancy: 16
; WaveLimiterHint : 0
; COMPUTE_PGM_RSRC2:SCRATCH_EN: 0
; COMPUTE_PGM_RSRC2:USER_SGPR: 6
; COMPUTE_PGM_RSRC2:TRAP_HANDLER: 0
; COMPUTE_PGM_RSRC2:TGID_X_EN: 1
; COMPUTE_PGM_RSRC2:TGID_Y_EN: 0
; COMPUTE_PGM_RSRC2:TGID_Z_EN: 0
; COMPUTE_PGM_RSRC2:TIDIG_COMP_CNT: 0
	.section	.text._Z18upper_bound_kernelIiEvmPT_Pl,"axG",@progbits,_Z18upper_bound_kernelIiEvmPT_Pl,comdat
	.protected	_Z18upper_bound_kernelIiEvmPT_Pl ; -- Begin function _Z18upper_bound_kernelIiEvmPT_Pl
	.globl	_Z18upper_bound_kernelIiEvmPT_Pl
	.p2align	8
	.type	_Z18upper_bound_kernelIiEvmPT_Pl,@function
_Z18upper_bound_kernelIiEvmPT_Pl:       ; @_Z18upper_bound_kernelIiEvmPT_Pl
; %bb.0:
	s_clause 0x1
	s_load_dwordx4 s[0:3], s[4:5], 0x0
	s_load_dwordx2 s[4:5], s[4:5], 0x10
	s_waitcnt lgkmcnt(0)
	s_lshl_b64 s[0:1], s[0:1], 2
	s_add_u32 s0, s2, s0
	s_addc_u32 s1, s3, s1
	s_sub_u32 s0, s0, s2
	s_subb_u32 s1, s1, s3
	s_ashr_i64 s[6:7], s[0:1], 2
	s_mov_b32 s1, -1
	v_cmp_lt_i64_e64 s0, s[6:7], 1
	s_and_b32 s0, exec_lo, s0
	s_mov_b32 vcc_lo, s0
	s_cbranch_vccz .LBB221_2
; %bb.1:
	v_mov_b32_e32 v0, 0
	s_mov_b32 s1, 0
	v_mov_b32_e32 v1, v0
	global_store_dwordx2 v0, v[0:1], s[4:5]
.LBB221_2:
	s_andn2_b32 vcc_lo, exec_lo, s1
	s_mov_b64 s[8:9], 0
	s_cbranch_vccnz .LBB221_7
; %bb.3:
	s_mov_b64 s[10:11], s[6:7]
	.p2align	6
.LBB221_4:                              ; =>This Inner Loop Header: Depth=1
	s_sub_u32 s12, s10, s8
	s_subb_u32 s13, s11, s9
	s_lshr_b64 s[12:13], s[12:13], 1
	s_add_u32 s12, s12, s8
	s_addc_u32 s13, s13, s9
	s_lshl_b64 s[14:15], s[12:13], 2
	s_add_u32 s14, s2, s14
	s_addc_u32 s15, s3, s15
	s_load_dword s1, s[14:15], 0x0
	s_add_u32 s14, s12, 1
	s_addc_u32 s15, s13, 0
	s_waitcnt lgkmcnt(0)
	s_cmp_gt_i32 s1, 0
	s_cselect_b32 s9, s9, s15
	s_cselect_b32 s8, s8, s14
	;; [unrolled: 1-line block ×4, first 2 shown]
	v_cmp_lt_i64_e64 s1, s[8:9], s[10:11]
	s_and_b32 vcc_lo, exec_lo, s1
	s_cbranch_vccnz .LBB221_4
; %bb.5:
	s_lshl_b64 s[8:9], s[8:9], 2
	v_mov_b32_e32 v2, 0
	s_add_u32 s1, s2, s8
	s_addc_u32 s9, s3, s9
	s_sub_u32 s8, s1, s2
	s_subb_u32 s9, s9, s3
	s_mov_b64 s[10:11], s[6:7]
	s_ashr_i64 s[8:9], s[8:9], 2
	v_mov_b32_e32 v0, s8
	v_mov_b32_e32 v1, s9
	s_mov_b64 s[8:9], 0
	global_store_dwordx2 v2, v[0:1], s[4:5]
	.p2align	6
.LBB221_6:                              ; =>This Inner Loop Header: Depth=1
	s_sub_u32 s12, s10, s8
	s_subb_u32 s13, s11, s9
	s_lshr_b64 s[12:13], s[12:13], 1
	s_add_u32 s12, s12, s8
	s_addc_u32 s13, s13, s9
	s_lshl_b64 s[14:15], s[12:13], 2
	s_add_u32 s14, s2, s14
	s_addc_u32 s15, s3, s15
	s_load_dword s1, s[14:15], 0x0
	s_add_u32 s14, s12, 1
	s_addc_u32 s15, s13, 0
	s_waitcnt lgkmcnt(0)
	s_cmp_gt_i32 s1, 1
	s_cselect_b32 s9, s9, s15
	s_cselect_b32 s8, s8, s14
	;; [unrolled: 1-line block ×4, first 2 shown]
	v_cmp_ge_i64_e64 s1, s[8:9], s[10:11]
	s_and_b32 vcc_lo, exec_lo, s1
	s_cbranch_vccz .LBB221_6
.LBB221_7:
	s_lshl_b64 s[8:9], s[8:9], 2
	v_mov_b32_e32 v0, 0
	s_add_u32 s1, s2, s8
	s_addc_u32 s9, s3, s9
	s_sub_u32 s8, s1, s2
	s_subb_u32 s9, s9, s3
	s_mov_b32 s1, -1
	s_ashr_i64 s[8:9], s[8:9], 2
	s_mov_b32 vcc_lo, s0
	v_mov_b32_e32 v1, s8
	v_mov_b32_e32 v2, s9
	global_store_dwordx2 v0, v[1:2], s[4:5] offset:8
	s_cbranch_vccz .LBB221_9
; %bb.8:
	v_mov_b32_e32 v1, v0
	s_mov_b32 s1, 0
	global_store_dwordx2 v0, v[0:1], s[4:5] offset:16
.LBB221_9:
	s_andn2_b32 vcc_lo, exec_lo, s1
	s_mov_b64 s[8:9], 0
	s_cbranch_vccnz .LBB221_14
; %bb.10:
	s_mov_b64 s[10:11], s[6:7]
	.p2align	6
.LBB221_11:                             ; =>This Inner Loop Header: Depth=1
	s_sub_u32 s12, s10, s8
	s_subb_u32 s13, s11, s9
	s_lshr_b64 s[12:13], s[12:13], 1
	s_add_u32 s12, s12, s8
	s_addc_u32 s13, s13, s9
	s_lshl_b64 s[14:15], s[12:13], 2
	s_add_u32 s14, s2, s14
	s_addc_u32 s15, s3, s15
	s_load_dword s1, s[14:15], 0x0
	s_add_u32 s14, s12, 1
	s_addc_u32 s15, s13, 0
	s_waitcnt lgkmcnt(0)
	s_cmp_gt_i32 s1, 2
	s_cselect_b32 s9, s9, s15
	s_cselect_b32 s8, s8, s14
	;; [unrolled: 1-line block ×4, first 2 shown]
	v_cmp_lt_i64_e64 s1, s[8:9], s[10:11]
	s_and_b32 vcc_lo, exec_lo, s1
	s_cbranch_vccnz .LBB221_11
; %bb.12:
	s_lshl_b64 s[8:9], s[8:9], 2
	v_mov_b32_e32 v2, 0
	s_add_u32 s1, s2, s8
	s_addc_u32 s9, s3, s9
	s_sub_u32 s8, s1, s2
	s_subb_u32 s9, s9, s3
	s_mov_b64 s[10:11], s[6:7]
	s_ashr_i64 s[8:9], s[8:9], 2
	v_mov_b32_e32 v0, s8
	v_mov_b32_e32 v1, s9
	s_mov_b64 s[8:9], 0
	global_store_dwordx2 v2, v[0:1], s[4:5] offset:16
	.p2align	6
.LBB221_13:                             ; =>This Inner Loop Header: Depth=1
	s_sub_u32 s12, s10, s8
	s_subb_u32 s13, s11, s9
	s_lshr_b64 s[12:13], s[12:13], 1
	s_add_u32 s12, s12, s8
	s_addc_u32 s13, s13, s9
	s_lshl_b64 s[14:15], s[12:13], 2
	s_add_u32 s14, s2, s14
	s_addc_u32 s15, s3, s15
	s_load_dword s1, s[14:15], 0x0
	s_add_u32 s14, s12, 1
	s_addc_u32 s15, s13, 0
	s_waitcnt lgkmcnt(0)
	s_cmp_gt_i32 s1, 3
	s_cselect_b32 s9, s9, s15
	s_cselect_b32 s8, s8, s14
	;; [unrolled: 1-line block ×4, first 2 shown]
	v_cmp_ge_i64_e64 s1, s[8:9], s[10:11]
	s_and_b32 vcc_lo, exec_lo, s1
	s_cbranch_vccz .LBB221_13
.LBB221_14:
	s_lshl_b64 s[8:9], s[8:9], 2
	v_mov_b32_e32 v0, 0
	s_add_u32 s1, s2, s8
	s_addc_u32 s9, s3, s9
	s_sub_u32 s8, s1, s2
	s_subb_u32 s9, s9, s3
	s_mov_b32 s1, -1
	s_ashr_i64 s[8:9], s[8:9], 2
	s_mov_b32 vcc_lo, s0
	v_mov_b32_e32 v1, s8
	v_mov_b32_e32 v2, s9
	global_store_dwordx2 v0, v[1:2], s[4:5] offset:24
	s_cbranch_vccz .LBB221_16
; %bb.15:
	v_mov_b32_e32 v1, v0
	s_mov_b32 s1, 0
	global_store_dwordx2 v0, v[0:1], s[4:5] offset:32
.LBB221_16:
	s_andn2_b32 vcc_lo, exec_lo, s1
	s_mov_b64 s[8:9], 0
	s_cbranch_vccnz .LBB221_21
; %bb.17:
	s_mov_b64 s[10:11], s[6:7]
	.p2align	6
.LBB221_18:                             ; =>This Inner Loop Header: Depth=1
	s_sub_u32 s12, s10, s8
	s_subb_u32 s13, s11, s9
	s_lshr_b64 s[12:13], s[12:13], 1
	s_add_u32 s12, s12, s8
	s_addc_u32 s13, s13, s9
	s_lshl_b64 s[14:15], s[12:13], 2
	s_add_u32 s14, s2, s14
	s_addc_u32 s15, s3, s15
	s_load_dword s1, s[14:15], 0x0
	s_add_u32 s14, s12, 1
	s_addc_u32 s15, s13, 0
	s_waitcnt lgkmcnt(0)
	s_cmp_gt_i32 s1, 4
	s_cselect_b32 s9, s9, s15
	s_cselect_b32 s8, s8, s14
	s_cselect_b32 s11, s13, s11
	s_cselect_b32 s10, s12, s10
	v_cmp_lt_i64_e64 s1, s[8:9], s[10:11]
	s_and_b32 vcc_lo, exec_lo, s1
	s_cbranch_vccnz .LBB221_18
; %bb.19:
	s_lshl_b64 s[8:9], s[8:9], 2
	v_mov_b32_e32 v2, 0
	s_add_u32 s1, s2, s8
	s_addc_u32 s9, s3, s9
	s_sub_u32 s8, s1, s2
	s_subb_u32 s9, s9, s3
	s_mov_b64 s[10:11], s[6:7]
	s_ashr_i64 s[8:9], s[8:9], 2
	v_mov_b32_e32 v0, s8
	v_mov_b32_e32 v1, s9
	s_mov_b64 s[8:9], 0
	global_store_dwordx2 v2, v[0:1], s[4:5] offset:32
	.p2align	6
.LBB221_20:                             ; =>This Inner Loop Header: Depth=1
	s_sub_u32 s12, s10, s8
	s_subb_u32 s13, s11, s9
	s_lshr_b64 s[12:13], s[12:13], 1
	s_add_u32 s12, s12, s8
	s_addc_u32 s13, s13, s9
	s_lshl_b64 s[14:15], s[12:13], 2
	s_add_u32 s14, s2, s14
	s_addc_u32 s15, s3, s15
	s_load_dword s1, s[14:15], 0x0
	s_add_u32 s14, s12, 1
	s_addc_u32 s15, s13, 0
	s_waitcnt lgkmcnt(0)
	s_cmp_gt_i32 s1, 5
	s_cselect_b32 s9, s9, s15
	s_cselect_b32 s8, s8, s14
	;; [unrolled: 1-line block ×4, first 2 shown]
	v_cmp_ge_i64_e64 s1, s[8:9], s[10:11]
	s_and_b32 vcc_lo, exec_lo, s1
	s_cbranch_vccz .LBB221_20
.LBB221_21:
	s_lshl_b64 s[8:9], s[8:9], 2
	v_mov_b32_e32 v0, 0
	s_add_u32 s1, s2, s8
	s_addc_u32 s9, s3, s9
	s_sub_u32 s8, s1, s2
	s_subb_u32 s9, s9, s3
	s_mov_b32 s1, -1
	s_ashr_i64 s[8:9], s[8:9], 2
	s_mov_b32 vcc_lo, s0
	v_mov_b32_e32 v1, s8
	v_mov_b32_e32 v2, s9
	global_store_dwordx2 v0, v[1:2], s[4:5] offset:40
	s_cbranch_vccz .LBB221_23
; %bb.22:
	v_mov_b32_e32 v1, v0
	s_mov_b32 s1, 0
	global_store_dwordx2 v0, v[0:1], s[4:5] offset:48
.LBB221_23:
	s_andn2_b32 vcc_lo, exec_lo, s1
	s_mov_b64 s[8:9], 0
	s_cbranch_vccnz .LBB221_28
; %bb.24:
	s_mov_b64 s[10:11], s[6:7]
	.p2align	6
.LBB221_25:                             ; =>This Inner Loop Header: Depth=1
	s_sub_u32 s12, s10, s8
	s_subb_u32 s13, s11, s9
	s_lshr_b64 s[12:13], s[12:13], 1
	s_add_u32 s12, s12, s8
	s_addc_u32 s13, s13, s9
	s_lshl_b64 s[14:15], s[12:13], 2
	s_add_u32 s14, s2, s14
	s_addc_u32 s15, s3, s15
	s_load_dword s1, s[14:15], 0x0
	s_add_u32 s14, s12, 1
	s_addc_u32 s15, s13, 0
	s_waitcnt lgkmcnt(0)
	s_cmp_gt_i32 s1, 6
	s_cselect_b32 s9, s9, s15
	s_cselect_b32 s8, s8, s14
	;; [unrolled: 1-line block ×4, first 2 shown]
	v_cmp_lt_i64_e64 s1, s[8:9], s[10:11]
	s_and_b32 vcc_lo, exec_lo, s1
	s_cbranch_vccnz .LBB221_25
; %bb.26:
	s_lshl_b64 s[8:9], s[8:9], 2
	v_mov_b32_e32 v2, 0
	s_add_u32 s1, s2, s8
	s_addc_u32 s9, s3, s9
	s_sub_u32 s8, s1, s2
	s_subb_u32 s9, s9, s3
	s_mov_b64 s[10:11], s[6:7]
	s_ashr_i64 s[8:9], s[8:9], 2
	v_mov_b32_e32 v0, s8
	v_mov_b32_e32 v1, s9
	s_mov_b64 s[8:9], 0
	global_store_dwordx2 v2, v[0:1], s[4:5] offset:48
	.p2align	6
.LBB221_27:                             ; =>This Inner Loop Header: Depth=1
	s_sub_u32 s12, s10, s8
	s_subb_u32 s13, s11, s9
	s_lshr_b64 s[12:13], s[12:13], 1
	s_add_u32 s12, s12, s8
	s_addc_u32 s13, s13, s9
	s_lshl_b64 s[14:15], s[12:13], 2
	s_add_u32 s14, s2, s14
	s_addc_u32 s15, s3, s15
	s_load_dword s1, s[14:15], 0x0
	s_add_u32 s14, s12, 1
	s_addc_u32 s15, s13, 0
	s_waitcnt lgkmcnt(0)
	s_cmp_gt_i32 s1, 7
	s_cselect_b32 s9, s9, s15
	s_cselect_b32 s8, s8, s14
	;; [unrolled: 1-line block ×4, first 2 shown]
	v_cmp_ge_i64_e64 s1, s[8:9], s[10:11]
	s_and_b32 vcc_lo, exec_lo, s1
	s_cbranch_vccz .LBB221_27
.LBB221_28:
	s_lshl_b64 s[8:9], s[8:9], 2
	v_mov_b32_e32 v0, 0
	s_add_u32 s1, s2, s8
	s_addc_u32 s9, s3, s9
	s_sub_u32 s8, s1, s2
	s_subb_u32 s9, s9, s3
	s_mov_b32 s1, -1
	s_ashr_i64 s[8:9], s[8:9], 2
	s_mov_b32 vcc_lo, s0
	v_mov_b32_e32 v1, s8
	v_mov_b32_e32 v2, s9
	global_store_dwordx2 v0, v[1:2], s[4:5] offset:56
	s_cbranch_vccz .LBB221_30
; %bb.29:
	v_mov_b32_e32 v1, v0
	s_mov_b32 s1, 0
	global_store_dwordx2 v0, v[0:1], s[4:5] offset:64
.LBB221_30:
	s_andn2_b32 vcc_lo, exec_lo, s1
	s_mov_b64 s[0:1], 0
	s_cbranch_vccnz .LBB221_35
; %bb.31:
	s_mov_b64 s[8:9], s[6:7]
	.p2align	6
.LBB221_32:                             ; =>This Inner Loop Header: Depth=1
	s_sub_u32 s10, s8, s0
	s_subb_u32 s11, s9, s1
	s_lshr_b64 s[10:11], s[10:11], 1
	s_add_u32 s10, s10, s0
	s_addc_u32 s11, s11, s1
	s_lshl_b64 s[12:13], s[10:11], 2
	s_add_u32 s12, s2, s12
	s_addc_u32 s13, s3, s13
	s_load_dword s12, s[12:13], 0x0
	s_add_u32 s13, s10, 1
	s_addc_u32 s14, s11, 0
	s_waitcnt lgkmcnt(0)
	s_cmp_gt_i32 s12, 8
	s_cselect_b32 s1, s1, s14
	s_cselect_b32 s0, s0, s13
	;; [unrolled: 1-line block ×4, first 2 shown]
	v_cmp_lt_i64_e64 s10, s[0:1], s[8:9]
	s_and_b32 vcc_lo, exec_lo, s10
	s_cbranch_vccnz .LBB221_32
; %bb.33:
	s_lshl_b64 s[0:1], s[0:1], 2
	v_mov_b32_e32 v2, 0
	s_add_u32 s0, s2, s0
	s_addc_u32 s1, s3, s1
	s_sub_u32 s0, s0, s2
	s_subb_u32 s1, s1, s3
	s_ashr_i64 s[0:1], s[0:1], 2
	v_mov_b32_e32 v0, s0
	v_mov_b32_e32 v1, s1
	s_mov_b64 s[0:1], 0
	global_store_dwordx2 v2, v[0:1], s[4:5] offset:64
	.p2align	6
.LBB221_34:                             ; =>This Inner Loop Header: Depth=1
	s_sub_u32 s8, s6, s0
	s_subb_u32 s9, s7, s1
	s_lshr_b64 s[8:9], s[8:9], 1
	s_add_u32 s8, s8, s0
	s_addc_u32 s9, s9, s1
	s_lshl_b64 s[10:11], s[8:9], 2
	s_add_u32 s10, s2, s10
	s_addc_u32 s11, s3, s11
	s_load_dword s10, s[10:11], 0x0
	s_add_u32 s11, s8, 1
	s_addc_u32 s12, s9, 0
	s_waitcnt lgkmcnt(0)
	s_cmp_gt_i32 s10, 9
	s_cselect_b32 s1, s1, s12
	s_cselect_b32 s0, s0, s11
	;; [unrolled: 1-line block ×4, first 2 shown]
	v_cmp_ge_i64_e64 s8, s[0:1], s[6:7]
	s_and_b32 vcc_lo, exec_lo, s8
	s_cbranch_vccz .LBB221_34
.LBB221_35:
	s_lshl_b64 s[0:1], s[0:1], 2
	v_mov_b32_e32 v2, 0
	s_add_u32 s0, s2, s0
	s_addc_u32 s1, s3, s1
	s_sub_u32 s0, s0, s2
	s_subb_u32 s1, s1, s3
	s_ashr_i64 s[0:1], s[0:1], 2
	v_mov_b32_e32 v0, s0
	v_mov_b32_e32 v1, s1
	global_store_dwordx2 v2, v[0:1], s[4:5] offset:72
	s_endpgm
	.section	.rodata,"a",@progbits
	.p2align	6, 0x0
	.amdhsa_kernel _Z18upper_bound_kernelIiEvmPT_Pl
		.amdhsa_group_segment_fixed_size 0
		.amdhsa_private_segment_fixed_size 0
		.amdhsa_kernarg_size 24
		.amdhsa_user_sgpr_count 6
		.amdhsa_user_sgpr_private_segment_buffer 1
		.amdhsa_user_sgpr_dispatch_ptr 0
		.amdhsa_user_sgpr_queue_ptr 0
		.amdhsa_user_sgpr_kernarg_segment_ptr 1
		.amdhsa_user_sgpr_dispatch_id 0
		.amdhsa_user_sgpr_flat_scratch_init 0
		.amdhsa_user_sgpr_private_segment_size 0
		.amdhsa_wavefront_size32 1
		.amdhsa_uses_dynamic_stack 0
		.amdhsa_system_sgpr_private_segment_wavefront_offset 0
		.amdhsa_system_sgpr_workgroup_id_x 1
		.amdhsa_system_sgpr_workgroup_id_y 0
		.amdhsa_system_sgpr_workgroup_id_z 0
		.amdhsa_system_sgpr_workgroup_info 0
		.amdhsa_system_vgpr_workitem_id 0
		.amdhsa_next_free_vgpr 3
		.amdhsa_next_free_sgpr 16
		.amdhsa_reserve_vcc 1
		.amdhsa_reserve_flat_scratch 0
		.amdhsa_float_round_mode_32 0
		.amdhsa_float_round_mode_16_64 0
		.amdhsa_float_denorm_mode_32 3
		.amdhsa_float_denorm_mode_16_64 3
		.amdhsa_dx10_clamp 1
		.amdhsa_ieee_mode 1
		.amdhsa_fp16_overflow 0
		.amdhsa_workgroup_processor_mode 1
		.amdhsa_memory_ordered 1
		.amdhsa_forward_progress 1
		.amdhsa_shared_vgpr_count 0
		.amdhsa_exception_fp_ieee_invalid_op 0
		.amdhsa_exception_fp_denorm_src 0
		.amdhsa_exception_fp_ieee_div_zero 0
		.amdhsa_exception_fp_ieee_overflow 0
		.amdhsa_exception_fp_ieee_underflow 0
		.amdhsa_exception_fp_ieee_inexact 0
		.amdhsa_exception_int_div_zero 0
	.end_amdhsa_kernel
	.section	.text._Z18upper_bound_kernelIiEvmPT_Pl,"axG",@progbits,_Z18upper_bound_kernelIiEvmPT_Pl,comdat
.Lfunc_end221:
	.size	_Z18upper_bound_kernelIiEvmPT_Pl, .Lfunc_end221-_Z18upper_bound_kernelIiEvmPT_Pl
                                        ; -- End function
	.set _Z18upper_bound_kernelIiEvmPT_Pl.num_vgpr, 3
	.set _Z18upper_bound_kernelIiEvmPT_Pl.num_agpr, 0
	.set _Z18upper_bound_kernelIiEvmPT_Pl.numbered_sgpr, 16
	.set _Z18upper_bound_kernelIiEvmPT_Pl.num_named_barrier, 0
	.set _Z18upper_bound_kernelIiEvmPT_Pl.private_seg_size, 0
	.set _Z18upper_bound_kernelIiEvmPT_Pl.uses_vcc, 1
	.set _Z18upper_bound_kernelIiEvmPT_Pl.uses_flat_scratch, 0
	.set _Z18upper_bound_kernelIiEvmPT_Pl.has_dyn_sized_stack, 0
	.set _Z18upper_bound_kernelIiEvmPT_Pl.has_recursion, 0
	.set _Z18upper_bound_kernelIiEvmPT_Pl.has_indirect_call, 0
	.section	.AMDGPU.csdata,"",@progbits
; Kernel info:
; codeLenInByte = 1992
; TotalNumSgprs: 18
; NumVgprs: 3
; ScratchSize: 0
; MemoryBound: 0
; FloatMode: 240
; IeeeMode: 1
; LDSByteSize: 0 bytes/workgroup (compile time only)
; SGPRBlocks: 0
; VGPRBlocks: 0
; NumSGPRsForWavesPerEU: 18
; NumVGPRsForWavesPerEU: 3
; Occupancy: 16
; WaveLimiterHint : 0
; COMPUTE_PGM_RSRC2:SCRATCH_EN: 0
; COMPUTE_PGM_RSRC2:USER_SGPR: 6
; COMPUTE_PGM_RSRC2:TRAP_HANDLER: 0
; COMPUTE_PGM_RSRC2:TGID_X_EN: 1
; COMPUTE_PGM_RSRC2:TGID_Y_EN: 0
; COMPUTE_PGM_RSRC2:TGID_Z_EN: 0
; COMPUTE_PGM_RSRC2:TIDIG_COMP_CNT: 0
	.section	.text._ZN7rocprim17ROCPRIM_400000_NS6detail17trampoline_kernelINS0_14default_configENS1_27upper_bound_config_selectorIilEEZNS1_14transform_implILb0ES3_S5_N6thrust23THRUST_200600_302600_NS6detail15normal_iteratorINS8_7pointerIiNS8_11hip_rocprim5par_tENS8_11use_defaultESE_EEEENSA_INSB_IlSD_SE_SE_EEEEZNS1_13binary_searchIS3_S5_PiSG_SI_NS1_21upper_bound_search_opENS9_16wrapped_functionINS8_6system6detail7generic6detail18binary_search_lessEbEEEE10hipError_tPvRmT1_T2_T3_mmT4_T5_P12ihipStream_tbEUlRKiE_EEST_SX_SY_mSZ_S12_bEUlT_E_NS1_11comp_targetILNS1_3genE0ELNS1_11target_archE4294967295ELNS1_3gpuE0ELNS1_3repE0EEENS1_30default_config_static_selectorELNS0_4arch9wavefront6targetE0EEEvSW_,"axG",@progbits,_ZN7rocprim17ROCPRIM_400000_NS6detail17trampoline_kernelINS0_14default_configENS1_27upper_bound_config_selectorIilEEZNS1_14transform_implILb0ES3_S5_N6thrust23THRUST_200600_302600_NS6detail15normal_iteratorINS8_7pointerIiNS8_11hip_rocprim5par_tENS8_11use_defaultESE_EEEENSA_INSB_IlSD_SE_SE_EEEEZNS1_13binary_searchIS3_S5_PiSG_SI_NS1_21upper_bound_search_opENS9_16wrapped_functionINS8_6system6detail7generic6detail18binary_search_lessEbEEEE10hipError_tPvRmT1_T2_T3_mmT4_T5_P12ihipStream_tbEUlRKiE_EEST_SX_SY_mSZ_S12_bEUlT_E_NS1_11comp_targetILNS1_3genE0ELNS1_11target_archE4294967295ELNS1_3gpuE0ELNS1_3repE0EEENS1_30default_config_static_selectorELNS0_4arch9wavefront6targetE0EEEvSW_,comdat
	.protected	_ZN7rocprim17ROCPRIM_400000_NS6detail17trampoline_kernelINS0_14default_configENS1_27upper_bound_config_selectorIilEEZNS1_14transform_implILb0ES3_S5_N6thrust23THRUST_200600_302600_NS6detail15normal_iteratorINS8_7pointerIiNS8_11hip_rocprim5par_tENS8_11use_defaultESE_EEEENSA_INSB_IlSD_SE_SE_EEEEZNS1_13binary_searchIS3_S5_PiSG_SI_NS1_21upper_bound_search_opENS9_16wrapped_functionINS8_6system6detail7generic6detail18binary_search_lessEbEEEE10hipError_tPvRmT1_T2_T3_mmT4_T5_P12ihipStream_tbEUlRKiE_EEST_SX_SY_mSZ_S12_bEUlT_E_NS1_11comp_targetILNS1_3genE0ELNS1_11target_archE4294967295ELNS1_3gpuE0ELNS1_3repE0EEENS1_30default_config_static_selectorELNS0_4arch9wavefront6targetE0EEEvSW_ ; -- Begin function _ZN7rocprim17ROCPRIM_400000_NS6detail17trampoline_kernelINS0_14default_configENS1_27upper_bound_config_selectorIilEEZNS1_14transform_implILb0ES3_S5_N6thrust23THRUST_200600_302600_NS6detail15normal_iteratorINS8_7pointerIiNS8_11hip_rocprim5par_tENS8_11use_defaultESE_EEEENSA_INSB_IlSD_SE_SE_EEEEZNS1_13binary_searchIS3_S5_PiSG_SI_NS1_21upper_bound_search_opENS9_16wrapped_functionINS8_6system6detail7generic6detail18binary_search_lessEbEEEE10hipError_tPvRmT1_T2_T3_mmT4_T5_P12ihipStream_tbEUlRKiE_EEST_SX_SY_mSZ_S12_bEUlT_E_NS1_11comp_targetILNS1_3genE0ELNS1_11target_archE4294967295ELNS1_3gpuE0ELNS1_3repE0EEENS1_30default_config_static_selectorELNS0_4arch9wavefront6targetE0EEEvSW_
	.globl	_ZN7rocprim17ROCPRIM_400000_NS6detail17trampoline_kernelINS0_14default_configENS1_27upper_bound_config_selectorIilEEZNS1_14transform_implILb0ES3_S5_N6thrust23THRUST_200600_302600_NS6detail15normal_iteratorINS8_7pointerIiNS8_11hip_rocprim5par_tENS8_11use_defaultESE_EEEENSA_INSB_IlSD_SE_SE_EEEEZNS1_13binary_searchIS3_S5_PiSG_SI_NS1_21upper_bound_search_opENS9_16wrapped_functionINS8_6system6detail7generic6detail18binary_search_lessEbEEEE10hipError_tPvRmT1_T2_T3_mmT4_T5_P12ihipStream_tbEUlRKiE_EEST_SX_SY_mSZ_S12_bEUlT_E_NS1_11comp_targetILNS1_3genE0ELNS1_11target_archE4294967295ELNS1_3gpuE0ELNS1_3repE0EEENS1_30default_config_static_selectorELNS0_4arch9wavefront6targetE0EEEvSW_
	.p2align	8
	.type	_ZN7rocprim17ROCPRIM_400000_NS6detail17trampoline_kernelINS0_14default_configENS1_27upper_bound_config_selectorIilEEZNS1_14transform_implILb0ES3_S5_N6thrust23THRUST_200600_302600_NS6detail15normal_iteratorINS8_7pointerIiNS8_11hip_rocprim5par_tENS8_11use_defaultESE_EEEENSA_INSB_IlSD_SE_SE_EEEEZNS1_13binary_searchIS3_S5_PiSG_SI_NS1_21upper_bound_search_opENS9_16wrapped_functionINS8_6system6detail7generic6detail18binary_search_lessEbEEEE10hipError_tPvRmT1_T2_T3_mmT4_T5_P12ihipStream_tbEUlRKiE_EEST_SX_SY_mSZ_S12_bEUlT_E_NS1_11comp_targetILNS1_3genE0ELNS1_11target_archE4294967295ELNS1_3gpuE0ELNS1_3repE0EEENS1_30default_config_static_selectorELNS0_4arch9wavefront6targetE0EEEvSW_,@function
_ZN7rocprim17ROCPRIM_400000_NS6detail17trampoline_kernelINS0_14default_configENS1_27upper_bound_config_selectorIilEEZNS1_14transform_implILb0ES3_S5_N6thrust23THRUST_200600_302600_NS6detail15normal_iteratorINS8_7pointerIiNS8_11hip_rocprim5par_tENS8_11use_defaultESE_EEEENSA_INSB_IlSD_SE_SE_EEEEZNS1_13binary_searchIS3_S5_PiSG_SI_NS1_21upper_bound_search_opENS9_16wrapped_functionINS8_6system6detail7generic6detail18binary_search_lessEbEEEE10hipError_tPvRmT1_T2_T3_mmT4_T5_P12ihipStream_tbEUlRKiE_EEST_SX_SY_mSZ_S12_bEUlT_E_NS1_11comp_targetILNS1_3genE0ELNS1_11target_archE4294967295ELNS1_3gpuE0ELNS1_3repE0EEENS1_30default_config_static_selectorELNS0_4arch9wavefront6targetE0EEEvSW_: ; @_ZN7rocprim17ROCPRIM_400000_NS6detail17trampoline_kernelINS0_14default_configENS1_27upper_bound_config_selectorIilEEZNS1_14transform_implILb0ES3_S5_N6thrust23THRUST_200600_302600_NS6detail15normal_iteratorINS8_7pointerIiNS8_11hip_rocprim5par_tENS8_11use_defaultESE_EEEENSA_INSB_IlSD_SE_SE_EEEEZNS1_13binary_searchIS3_S5_PiSG_SI_NS1_21upper_bound_search_opENS9_16wrapped_functionINS8_6system6detail7generic6detail18binary_search_lessEbEEEE10hipError_tPvRmT1_T2_T3_mmT4_T5_P12ihipStream_tbEUlRKiE_EEST_SX_SY_mSZ_S12_bEUlT_E_NS1_11comp_targetILNS1_3genE0ELNS1_11target_archE4294967295ELNS1_3gpuE0ELNS1_3repE0EEENS1_30default_config_static_selectorELNS0_4arch9wavefront6targetE0EEEvSW_
; %bb.0:
	.section	.rodata,"a",@progbits
	.p2align	6, 0x0
	.amdhsa_kernel _ZN7rocprim17ROCPRIM_400000_NS6detail17trampoline_kernelINS0_14default_configENS1_27upper_bound_config_selectorIilEEZNS1_14transform_implILb0ES3_S5_N6thrust23THRUST_200600_302600_NS6detail15normal_iteratorINS8_7pointerIiNS8_11hip_rocprim5par_tENS8_11use_defaultESE_EEEENSA_INSB_IlSD_SE_SE_EEEEZNS1_13binary_searchIS3_S5_PiSG_SI_NS1_21upper_bound_search_opENS9_16wrapped_functionINS8_6system6detail7generic6detail18binary_search_lessEbEEEE10hipError_tPvRmT1_T2_T3_mmT4_T5_P12ihipStream_tbEUlRKiE_EEST_SX_SY_mSZ_S12_bEUlT_E_NS1_11comp_targetILNS1_3genE0ELNS1_11target_archE4294967295ELNS1_3gpuE0ELNS1_3repE0EEENS1_30default_config_static_selectorELNS0_4arch9wavefront6targetE0EEEvSW_
		.amdhsa_group_segment_fixed_size 0
		.amdhsa_private_segment_fixed_size 0
		.amdhsa_kernarg_size 56
		.amdhsa_user_sgpr_count 6
		.amdhsa_user_sgpr_private_segment_buffer 1
		.amdhsa_user_sgpr_dispatch_ptr 0
		.amdhsa_user_sgpr_queue_ptr 0
		.amdhsa_user_sgpr_kernarg_segment_ptr 1
		.amdhsa_user_sgpr_dispatch_id 0
		.amdhsa_user_sgpr_flat_scratch_init 0
		.amdhsa_user_sgpr_private_segment_size 0
		.amdhsa_wavefront_size32 1
		.amdhsa_uses_dynamic_stack 0
		.amdhsa_system_sgpr_private_segment_wavefront_offset 0
		.amdhsa_system_sgpr_workgroup_id_x 1
		.amdhsa_system_sgpr_workgroup_id_y 0
		.amdhsa_system_sgpr_workgroup_id_z 0
		.amdhsa_system_sgpr_workgroup_info 0
		.amdhsa_system_vgpr_workitem_id 0
		.amdhsa_next_free_vgpr 1
		.amdhsa_next_free_sgpr 1
		.amdhsa_reserve_vcc 0
		.amdhsa_reserve_flat_scratch 0
		.amdhsa_float_round_mode_32 0
		.amdhsa_float_round_mode_16_64 0
		.amdhsa_float_denorm_mode_32 3
		.amdhsa_float_denorm_mode_16_64 3
		.amdhsa_dx10_clamp 1
		.amdhsa_ieee_mode 1
		.amdhsa_fp16_overflow 0
		.amdhsa_workgroup_processor_mode 1
		.amdhsa_memory_ordered 1
		.amdhsa_forward_progress 1
		.amdhsa_shared_vgpr_count 0
		.amdhsa_exception_fp_ieee_invalid_op 0
		.amdhsa_exception_fp_denorm_src 0
		.amdhsa_exception_fp_ieee_div_zero 0
		.amdhsa_exception_fp_ieee_overflow 0
		.amdhsa_exception_fp_ieee_underflow 0
		.amdhsa_exception_fp_ieee_inexact 0
		.amdhsa_exception_int_div_zero 0
	.end_amdhsa_kernel
	.section	.text._ZN7rocprim17ROCPRIM_400000_NS6detail17trampoline_kernelINS0_14default_configENS1_27upper_bound_config_selectorIilEEZNS1_14transform_implILb0ES3_S5_N6thrust23THRUST_200600_302600_NS6detail15normal_iteratorINS8_7pointerIiNS8_11hip_rocprim5par_tENS8_11use_defaultESE_EEEENSA_INSB_IlSD_SE_SE_EEEEZNS1_13binary_searchIS3_S5_PiSG_SI_NS1_21upper_bound_search_opENS9_16wrapped_functionINS8_6system6detail7generic6detail18binary_search_lessEbEEEE10hipError_tPvRmT1_T2_T3_mmT4_T5_P12ihipStream_tbEUlRKiE_EEST_SX_SY_mSZ_S12_bEUlT_E_NS1_11comp_targetILNS1_3genE0ELNS1_11target_archE4294967295ELNS1_3gpuE0ELNS1_3repE0EEENS1_30default_config_static_selectorELNS0_4arch9wavefront6targetE0EEEvSW_,"axG",@progbits,_ZN7rocprim17ROCPRIM_400000_NS6detail17trampoline_kernelINS0_14default_configENS1_27upper_bound_config_selectorIilEEZNS1_14transform_implILb0ES3_S5_N6thrust23THRUST_200600_302600_NS6detail15normal_iteratorINS8_7pointerIiNS8_11hip_rocprim5par_tENS8_11use_defaultESE_EEEENSA_INSB_IlSD_SE_SE_EEEEZNS1_13binary_searchIS3_S5_PiSG_SI_NS1_21upper_bound_search_opENS9_16wrapped_functionINS8_6system6detail7generic6detail18binary_search_lessEbEEEE10hipError_tPvRmT1_T2_T3_mmT4_T5_P12ihipStream_tbEUlRKiE_EEST_SX_SY_mSZ_S12_bEUlT_E_NS1_11comp_targetILNS1_3genE0ELNS1_11target_archE4294967295ELNS1_3gpuE0ELNS1_3repE0EEENS1_30default_config_static_selectorELNS0_4arch9wavefront6targetE0EEEvSW_,comdat
.Lfunc_end222:
	.size	_ZN7rocprim17ROCPRIM_400000_NS6detail17trampoline_kernelINS0_14default_configENS1_27upper_bound_config_selectorIilEEZNS1_14transform_implILb0ES3_S5_N6thrust23THRUST_200600_302600_NS6detail15normal_iteratorINS8_7pointerIiNS8_11hip_rocprim5par_tENS8_11use_defaultESE_EEEENSA_INSB_IlSD_SE_SE_EEEEZNS1_13binary_searchIS3_S5_PiSG_SI_NS1_21upper_bound_search_opENS9_16wrapped_functionINS8_6system6detail7generic6detail18binary_search_lessEbEEEE10hipError_tPvRmT1_T2_T3_mmT4_T5_P12ihipStream_tbEUlRKiE_EEST_SX_SY_mSZ_S12_bEUlT_E_NS1_11comp_targetILNS1_3genE0ELNS1_11target_archE4294967295ELNS1_3gpuE0ELNS1_3repE0EEENS1_30default_config_static_selectorELNS0_4arch9wavefront6targetE0EEEvSW_, .Lfunc_end222-_ZN7rocprim17ROCPRIM_400000_NS6detail17trampoline_kernelINS0_14default_configENS1_27upper_bound_config_selectorIilEEZNS1_14transform_implILb0ES3_S5_N6thrust23THRUST_200600_302600_NS6detail15normal_iteratorINS8_7pointerIiNS8_11hip_rocprim5par_tENS8_11use_defaultESE_EEEENSA_INSB_IlSD_SE_SE_EEEEZNS1_13binary_searchIS3_S5_PiSG_SI_NS1_21upper_bound_search_opENS9_16wrapped_functionINS8_6system6detail7generic6detail18binary_search_lessEbEEEE10hipError_tPvRmT1_T2_T3_mmT4_T5_P12ihipStream_tbEUlRKiE_EEST_SX_SY_mSZ_S12_bEUlT_E_NS1_11comp_targetILNS1_3genE0ELNS1_11target_archE4294967295ELNS1_3gpuE0ELNS1_3repE0EEENS1_30default_config_static_selectorELNS0_4arch9wavefront6targetE0EEEvSW_
                                        ; -- End function
	.set _ZN7rocprim17ROCPRIM_400000_NS6detail17trampoline_kernelINS0_14default_configENS1_27upper_bound_config_selectorIilEEZNS1_14transform_implILb0ES3_S5_N6thrust23THRUST_200600_302600_NS6detail15normal_iteratorINS8_7pointerIiNS8_11hip_rocprim5par_tENS8_11use_defaultESE_EEEENSA_INSB_IlSD_SE_SE_EEEEZNS1_13binary_searchIS3_S5_PiSG_SI_NS1_21upper_bound_search_opENS9_16wrapped_functionINS8_6system6detail7generic6detail18binary_search_lessEbEEEE10hipError_tPvRmT1_T2_T3_mmT4_T5_P12ihipStream_tbEUlRKiE_EEST_SX_SY_mSZ_S12_bEUlT_E_NS1_11comp_targetILNS1_3genE0ELNS1_11target_archE4294967295ELNS1_3gpuE0ELNS1_3repE0EEENS1_30default_config_static_selectorELNS0_4arch9wavefront6targetE0EEEvSW_.num_vgpr, 0
	.set _ZN7rocprim17ROCPRIM_400000_NS6detail17trampoline_kernelINS0_14default_configENS1_27upper_bound_config_selectorIilEEZNS1_14transform_implILb0ES3_S5_N6thrust23THRUST_200600_302600_NS6detail15normal_iteratorINS8_7pointerIiNS8_11hip_rocprim5par_tENS8_11use_defaultESE_EEEENSA_INSB_IlSD_SE_SE_EEEEZNS1_13binary_searchIS3_S5_PiSG_SI_NS1_21upper_bound_search_opENS9_16wrapped_functionINS8_6system6detail7generic6detail18binary_search_lessEbEEEE10hipError_tPvRmT1_T2_T3_mmT4_T5_P12ihipStream_tbEUlRKiE_EEST_SX_SY_mSZ_S12_bEUlT_E_NS1_11comp_targetILNS1_3genE0ELNS1_11target_archE4294967295ELNS1_3gpuE0ELNS1_3repE0EEENS1_30default_config_static_selectorELNS0_4arch9wavefront6targetE0EEEvSW_.num_agpr, 0
	.set _ZN7rocprim17ROCPRIM_400000_NS6detail17trampoline_kernelINS0_14default_configENS1_27upper_bound_config_selectorIilEEZNS1_14transform_implILb0ES3_S5_N6thrust23THRUST_200600_302600_NS6detail15normal_iteratorINS8_7pointerIiNS8_11hip_rocprim5par_tENS8_11use_defaultESE_EEEENSA_INSB_IlSD_SE_SE_EEEEZNS1_13binary_searchIS3_S5_PiSG_SI_NS1_21upper_bound_search_opENS9_16wrapped_functionINS8_6system6detail7generic6detail18binary_search_lessEbEEEE10hipError_tPvRmT1_T2_T3_mmT4_T5_P12ihipStream_tbEUlRKiE_EEST_SX_SY_mSZ_S12_bEUlT_E_NS1_11comp_targetILNS1_3genE0ELNS1_11target_archE4294967295ELNS1_3gpuE0ELNS1_3repE0EEENS1_30default_config_static_selectorELNS0_4arch9wavefront6targetE0EEEvSW_.numbered_sgpr, 0
	.set _ZN7rocprim17ROCPRIM_400000_NS6detail17trampoline_kernelINS0_14default_configENS1_27upper_bound_config_selectorIilEEZNS1_14transform_implILb0ES3_S5_N6thrust23THRUST_200600_302600_NS6detail15normal_iteratorINS8_7pointerIiNS8_11hip_rocprim5par_tENS8_11use_defaultESE_EEEENSA_INSB_IlSD_SE_SE_EEEEZNS1_13binary_searchIS3_S5_PiSG_SI_NS1_21upper_bound_search_opENS9_16wrapped_functionINS8_6system6detail7generic6detail18binary_search_lessEbEEEE10hipError_tPvRmT1_T2_T3_mmT4_T5_P12ihipStream_tbEUlRKiE_EEST_SX_SY_mSZ_S12_bEUlT_E_NS1_11comp_targetILNS1_3genE0ELNS1_11target_archE4294967295ELNS1_3gpuE0ELNS1_3repE0EEENS1_30default_config_static_selectorELNS0_4arch9wavefront6targetE0EEEvSW_.num_named_barrier, 0
	.set _ZN7rocprim17ROCPRIM_400000_NS6detail17trampoline_kernelINS0_14default_configENS1_27upper_bound_config_selectorIilEEZNS1_14transform_implILb0ES3_S5_N6thrust23THRUST_200600_302600_NS6detail15normal_iteratorINS8_7pointerIiNS8_11hip_rocprim5par_tENS8_11use_defaultESE_EEEENSA_INSB_IlSD_SE_SE_EEEEZNS1_13binary_searchIS3_S5_PiSG_SI_NS1_21upper_bound_search_opENS9_16wrapped_functionINS8_6system6detail7generic6detail18binary_search_lessEbEEEE10hipError_tPvRmT1_T2_T3_mmT4_T5_P12ihipStream_tbEUlRKiE_EEST_SX_SY_mSZ_S12_bEUlT_E_NS1_11comp_targetILNS1_3genE0ELNS1_11target_archE4294967295ELNS1_3gpuE0ELNS1_3repE0EEENS1_30default_config_static_selectorELNS0_4arch9wavefront6targetE0EEEvSW_.private_seg_size, 0
	.set _ZN7rocprim17ROCPRIM_400000_NS6detail17trampoline_kernelINS0_14default_configENS1_27upper_bound_config_selectorIilEEZNS1_14transform_implILb0ES3_S5_N6thrust23THRUST_200600_302600_NS6detail15normal_iteratorINS8_7pointerIiNS8_11hip_rocprim5par_tENS8_11use_defaultESE_EEEENSA_INSB_IlSD_SE_SE_EEEEZNS1_13binary_searchIS3_S5_PiSG_SI_NS1_21upper_bound_search_opENS9_16wrapped_functionINS8_6system6detail7generic6detail18binary_search_lessEbEEEE10hipError_tPvRmT1_T2_T3_mmT4_T5_P12ihipStream_tbEUlRKiE_EEST_SX_SY_mSZ_S12_bEUlT_E_NS1_11comp_targetILNS1_3genE0ELNS1_11target_archE4294967295ELNS1_3gpuE0ELNS1_3repE0EEENS1_30default_config_static_selectorELNS0_4arch9wavefront6targetE0EEEvSW_.uses_vcc, 0
	.set _ZN7rocprim17ROCPRIM_400000_NS6detail17trampoline_kernelINS0_14default_configENS1_27upper_bound_config_selectorIilEEZNS1_14transform_implILb0ES3_S5_N6thrust23THRUST_200600_302600_NS6detail15normal_iteratorINS8_7pointerIiNS8_11hip_rocprim5par_tENS8_11use_defaultESE_EEEENSA_INSB_IlSD_SE_SE_EEEEZNS1_13binary_searchIS3_S5_PiSG_SI_NS1_21upper_bound_search_opENS9_16wrapped_functionINS8_6system6detail7generic6detail18binary_search_lessEbEEEE10hipError_tPvRmT1_T2_T3_mmT4_T5_P12ihipStream_tbEUlRKiE_EEST_SX_SY_mSZ_S12_bEUlT_E_NS1_11comp_targetILNS1_3genE0ELNS1_11target_archE4294967295ELNS1_3gpuE0ELNS1_3repE0EEENS1_30default_config_static_selectorELNS0_4arch9wavefront6targetE0EEEvSW_.uses_flat_scratch, 0
	.set _ZN7rocprim17ROCPRIM_400000_NS6detail17trampoline_kernelINS0_14default_configENS1_27upper_bound_config_selectorIilEEZNS1_14transform_implILb0ES3_S5_N6thrust23THRUST_200600_302600_NS6detail15normal_iteratorINS8_7pointerIiNS8_11hip_rocprim5par_tENS8_11use_defaultESE_EEEENSA_INSB_IlSD_SE_SE_EEEEZNS1_13binary_searchIS3_S5_PiSG_SI_NS1_21upper_bound_search_opENS9_16wrapped_functionINS8_6system6detail7generic6detail18binary_search_lessEbEEEE10hipError_tPvRmT1_T2_T3_mmT4_T5_P12ihipStream_tbEUlRKiE_EEST_SX_SY_mSZ_S12_bEUlT_E_NS1_11comp_targetILNS1_3genE0ELNS1_11target_archE4294967295ELNS1_3gpuE0ELNS1_3repE0EEENS1_30default_config_static_selectorELNS0_4arch9wavefront6targetE0EEEvSW_.has_dyn_sized_stack, 0
	.set _ZN7rocprim17ROCPRIM_400000_NS6detail17trampoline_kernelINS0_14default_configENS1_27upper_bound_config_selectorIilEEZNS1_14transform_implILb0ES3_S5_N6thrust23THRUST_200600_302600_NS6detail15normal_iteratorINS8_7pointerIiNS8_11hip_rocprim5par_tENS8_11use_defaultESE_EEEENSA_INSB_IlSD_SE_SE_EEEEZNS1_13binary_searchIS3_S5_PiSG_SI_NS1_21upper_bound_search_opENS9_16wrapped_functionINS8_6system6detail7generic6detail18binary_search_lessEbEEEE10hipError_tPvRmT1_T2_T3_mmT4_T5_P12ihipStream_tbEUlRKiE_EEST_SX_SY_mSZ_S12_bEUlT_E_NS1_11comp_targetILNS1_3genE0ELNS1_11target_archE4294967295ELNS1_3gpuE0ELNS1_3repE0EEENS1_30default_config_static_selectorELNS0_4arch9wavefront6targetE0EEEvSW_.has_recursion, 0
	.set _ZN7rocprim17ROCPRIM_400000_NS6detail17trampoline_kernelINS0_14default_configENS1_27upper_bound_config_selectorIilEEZNS1_14transform_implILb0ES3_S5_N6thrust23THRUST_200600_302600_NS6detail15normal_iteratorINS8_7pointerIiNS8_11hip_rocprim5par_tENS8_11use_defaultESE_EEEENSA_INSB_IlSD_SE_SE_EEEEZNS1_13binary_searchIS3_S5_PiSG_SI_NS1_21upper_bound_search_opENS9_16wrapped_functionINS8_6system6detail7generic6detail18binary_search_lessEbEEEE10hipError_tPvRmT1_T2_T3_mmT4_T5_P12ihipStream_tbEUlRKiE_EEST_SX_SY_mSZ_S12_bEUlT_E_NS1_11comp_targetILNS1_3genE0ELNS1_11target_archE4294967295ELNS1_3gpuE0ELNS1_3repE0EEENS1_30default_config_static_selectorELNS0_4arch9wavefront6targetE0EEEvSW_.has_indirect_call, 0
	.section	.AMDGPU.csdata,"",@progbits
; Kernel info:
; codeLenInByte = 0
; TotalNumSgprs: 0
; NumVgprs: 0
; ScratchSize: 0
; MemoryBound: 0
; FloatMode: 240
; IeeeMode: 1
; LDSByteSize: 0 bytes/workgroup (compile time only)
; SGPRBlocks: 0
; VGPRBlocks: 0
; NumSGPRsForWavesPerEU: 1
; NumVGPRsForWavesPerEU: 1
; Occupancy: 16
; WaveLimiterHint : 0
; COMPUTE_PGM_RSRC2:SCRATCH_EN: 0
; COMPUTE_PGM_RSRC2:USER_SGPR: 6
; COMPUTE_PGM_RSRC2:TRAP_HANDLER: 0
; COMPUTE_PGM_RSRC2:TGID_X_EN: 1
; COMPUTE_PGM_RSRC2:TGID_Y_EN: 0
; COMPUTE_PGM_RSRC2:TGID_Z_EN: 0
; COMPUTE_PGM_RSRC2:TIDIG_COMP_CNT: 0
	.section	.text._ZN7rocprim17ROCPRIM_400000_NS6detail17trampoline_kernelINS0_14default_configENS1_27upper_bound_config_selectorIilEEZNS1_14transform_implILb0ES3_S5_N6thrust23THRUST_200600_302600_NS6detail15normal_iteratorINS8_7pointerIiNS8_11hip_rocprim5par_tENS8_11use_defaultESE_EEEENSA_INSB_IlSD_SE_SE_EEEEZNS1_13binary_searchIS3_S5_PiSG_SI_NS1_21upper_bound_search_opENS9_16wrapped_functionINS8_6system6detail7generic6detail18binary_search_lessEbEEEE10hipError_tPvRmT1_T2_T3_mmT4_T5_P12ihipStream_tbEUlRKiE_EEST_SX_SY_mSZ_S12_bEUlT_E_NS1_11comp_targetILNS1_3genE5ELNS1_11target_archE942ELNS1_3gpuE9ELNS1_3repE0EEENS1_30default_config_static_selectorELNS0_4arch9wavefront6targetE0EEEvSW_,"axG",@progbits,_ZN7rocprim17ROCPRIM_400000_NS6detail17trampoline_kernelINS0_14default_configENS1_27upper_bound_config_selectorIilEEZNS1_14transform_implILb0ES3_S5_N6thrust23THRUST_200600_302600_NS6detail15normal_iteratorINS8_7pointerIiNS8_11hip_rocprim5par_tENS8_11use_defaultESE_EEEENSA_INSB_IlSD_SE_SE_EEEEZNS1_13binary_searchIS3_S5_PiSG_SI_NS1_21upper_bound_search_opENS9_16wrapped_functionINS8_6system6detail7generic6detail18binary_search_lessEbEEEE10hipError_tPvRmT1_T2_T3_mmT4_T5_P12ihipStream_tbEUlRKiE_EEST_SX_SY_mSZ_S12_bEUlT_E_NS1_11comp_targetILNS1_3genE5ELNS1_11target_archE942ELNS1_3gpuE9ELNS1_3repE0EEENS1_30default_config_static_selectorELNS0_4arch9wavefront6targetE0EEEvSW_,comdat
	.protected	_ZN7rocprim17ROCPRIM_400000_NS6detail17trampoline_kernelINS0_14default_configENS1_27upper_bound_config_selectorIilEEZNS1_14transform_implILb0ES3_S5_N6thrust23THRUST_200600_302600_NS6detail15normal_iteratorINS8_7pointerIiNS8_11hip_rocprim5par_tENS8_11use_defaultESE_EEEENSA_INSB_IlSD_SE_SE_EEEEZNS1_13binary_searchIS3_S5_PiSG_SI_NS1_21upper_bound_search_opENS9_16wrapped_functionINS8_6system6detail7generic6detail18binary_search_lessEbEEEE10hipError_tPvRmT1_T2_T3_mmT4_T5_P12ihipStream_tbEUlRKiE_EEST_SX_SY_mSZ_S12_bEUlT_E_NS1_11comp_targetILNS1_3genE5ELNS1_11target_archE942ELNS1_3gpuE9ELNS1_3repE0EEENS1_30default_config_static_selectorELNS0_4arch9wavefront6targetE0EEEvSW_ ; -- Begin function _ZN7rocprim17ROCPRIM_400000_NS6detail17trampoline_kernelINS0_14default_configENS1_27upper_bound_config_selectorIilEEZNS1_14transform_implILb0ES3_S5_N6thrust23THRUST_200600_302600_NS6detail15normal_iteratorINS8_7pointerIiNS8_11hip_rocprim5par_tENS8_11use_defaultESE_EEEENSA_INSB_IlSD_SE_SE_EEEEZNS1_13binary_searchIS3_S5_PiSG_SI_NS1_21upper_bound_search_opENS9_16wrapped_functionINS8_6system6detail7generic6detail18binary_search_lessEbEEEE10hipError_tPvRmT1_T2_T3_mmT4_T5_P12ihipStream_tbEUlRKiE_EEST_SX_SY_mSZ_S12_bEUlT_E_NS1_11comp_targetILNS1_3genE5ELNS1_11target_archE942ELNS1_3gpuE9ELNS1_3repE0EEENS1_30default_config_static_selectorELNS0_4arch9wavefront6targetE0EEEvSW_
	.globl	_ZN7rocprim17ROCPRIM_400000_NS6detail17trampoline_kernelINS0_14default_configENS1_27upper_bound_config_selectorIilEEZNS1_14transform_implILb0ES3_S5_N6thrust23THRUST_200600_302600_NS6detail15normal_iteratorINS8_7pointerIiNS8_11hip_rocprim5par_tENS8_11use_defaultESE_EEEENSA_INSB_IlSD_SE_SE_EEEEZNS1_13binary_searchIS3_S5_PiSG_SI_NS1_21upper_bound_search_opENS9_16wrapped_functionINS8_6system6detail7generic6detail18binary_search_lessEbEEEE10hipError_tPvRmT1_T2_T3_mmT4_T5_P12ihipStream_tbEUlRKiE_EEST_SX_SY_mSZ_S12_bEUlT_E_NS1_11comp_targetILNS1_3genE5ELNS1_11target_archE942ELNS1_3gpuE9ELNS1_3repE0EEENS1_30default_config_static_selectorELNS0_4arch9wavefront6targetE0EEEvSW_
	.p2align	8
	.type	_ZN7rocprim17ROCPRIM_400000_NS6detail17trampoline_kernelINS0_14default_configENS1_27upper_bound_config_selectorIilEEZNS1_14transform_implILb0ES3_S5_N6thrust23THRUST_200600_302600_NS6detail15normal_iteratorINS8_7pointerIiNS8_11hip_rocprim5par_tENS8_11use_defaultESE_EEEENSA_INSB_IlSD_SE_SE_EEEEZNS1_13binary_searchIS3_S5_PiSG_SI_NS1_21upper_bound_search_opENS9_16wrapped_functionINS8_6system6detail7generic6detail18binary_search_lessEbEEEE10hipError_tPvRmT1_T2_T3_mmT4_T5_P12ihipStream_tbEUlRKiE_EEST_SX_SY_mSZ_S12_bEUlT_E_NS1_11comp_targetILNS1_3genE5ELNS1_11target_archE942ELNS1_3gpuE9ELNS1_3repE0EEENS1_30default_config_static_selectorELNS0_4arch9wavefront6targetE0EEEvSW_,@function
_ZN7rocprim17ROCPRIM_400000_NS6detail17trampoline_kernelINS0_14default_configENS1_27upper_bound_config_selectorIilEEZNS1_14transform_implILb0ES3_S5_N6thrust23THRUST_200600_302600_NS6detail15normal_iteratorINS8_7pointerIiNS8_11hip_rocprim5par_tENS8_11use_defaultESE_EEEENSA_INSB_IlSD_SE_SE_EEEEZNS1_13binary_searchIS3_S5_PiSG_SI_NS1_21upper_bound_search_opENS9_16wrapped_functionINS8_6system6detail7generic6detail18binary_search_lessEbEEEE10hipError_tPvRmT1_T2_T3_mmT4_T5_P12ihipStream_tbEUlRKiE_EEST_SX_SY_mSZ_S12_bEUlT_E_NS1_11comp_targetILNS1_3genE5ELNS1_11target_archE942ELNS1_3gpuE9ELNS1_3repE0EEENS1_30default_config_static_selectorELNS0_4arch9wavefront6targetE0EEEvSW_: ; @_ZN7rocprim17ROCPRIM_400000_NS6detail17trampoline_kernelINS0_14default_configENS1_27upper_bound_config_selectorIilEEZNS1_14transform_implILb0ES3_S5_N6thrust23THRUST_200600_302600_NS6detail15normal_iteratorINS8_7pointerIiNS8_11hip_rocprim5par_tENS8_11use_defaultESE_EEEENSA_INSB_IlSD_SE_SE_EEEEZNS1_13binary_searchIS3_S5_PiSG_SI_NS1_21upper_bound_search_opENS9_16wrapped_functionINS8_6system6detail7generic6detail18binary_search_lessEbEEEE10hipError_tPvRmT1_T2_T3_mmT4_T5_P12ihipStream_tbEUlRKiE_EEST_SX_SY_mSZ_S12_bEUlT_E_NS1_11comp_targetILNS1_3genE5ELNS1_11target_archE942ELNS1_3gpuE9ELNS1_3repE0EEENS1_30default_config_static_selectorELNS0_4arch9wavefront6targetE0EEEvSW_
; %bb.0:
	.section	.rodata,"a",@progbits
	.p2align	6, 0x0
	.amdhsa_kernel _ZN7rocprim17ROCPRIM_400000_NS6detail17trampoline_kernelINS0_14default_configENS1_27upper_bound_config_selectorIilEEZNS1_14transform_implILb0ES3_S5_N6thrust23THRUST_200600_302600_NS6detail15normal_iteratorINS8_7pointerIiNS8_11hip_rocprim5par_tENS8_11use_defaultESE_EEEENSA_INSB_IlSD_SE_SE_EEEEZNS1_13binary_searchIS3_S5_PiSG_SI_NS1_21upper_bound_search_opENS9_16wrapped_functionINS8_6system6detail7generic6detail18binary_search_lessEbEEEE10hipError_tPvRmT1_T2_T3_mmT4_T5_P12ihipStream_tbEUlRKiE_EEST_SX_SY_mSZ_S12_bEUlT_E_NS1_11comp_targetILNS1_3genE5ELNS1_11target_archE942ELNS1_3gpuE9ELNS1_3repE0EEENS1_30default_config_static_selectorELNS0_4arch9wavefront6targetE0EEEvSW_
		.amdhsa_group_segment_fixed_size 0
		.amdhsa_private_segment_fixed_size 0
		.amdhsa_kernarg_size 56
		.amdhsa_user_sgpr_count 6
		.amdhsa_user_sgpr_private_segment_buffer 1
		.amdhsa_user_sgpr_dispatch_ptr 0
		.amdhsa_user_sgpr_queue_ptr 0
		.amdhsa_user_sgpr_kernarg_segment_ptr 1
		.amdhsa_user_sgpr_dispatch_id 0
		.amdhsa_user_sgpr_flat_scratch_init 0
		.amdhsa_user_sgpr_private_segment_size 0
		.amdhsa_wavefront_size32 1
		.amdhsa_uses_dynamic_stack 0
		.amdhsa_system_sgpr_private_segment_wavefront_offset 0
		.amdhsa_system_sgpr_workgroup_id_x 1
		.amdhsa_system_sgpr_workgroup_id_y 0
		.amdhsa_system_sgpr_workgroup_id_z 0
		.amdhsa_system_sgpr_workgroup_info 0
		.amdhsa_system_vgpr_workitem_id 0
		.amdhsa_next_free_vgpr 1
		.amdhsa_next_free_sgpr 1
		.amdhsa_reserve_vcc 0
		.amdhsa_reserve_flat_scratch 0
		.amdhsa_float_round_mode_32 0
		.amdhsa_float_round_mode_16_64 0
		.amdhsa_float_denorm_mode_32 3
		.amdhsa_float_denorm_mode_16_64 3
		.amdhsa_dx10_clamp 1
		.amdhsa_ieee_mode 1
		.amdhsa_fp16_overflow 0
		.amdhsa_workgroup_processor_mode 1
		.amdhsa_memory_ordered 1
		.amdhsa_forward_progress 1
		.amdhsa_shared_vgpr_count 0
		.amdhsa_exception_fp_ieee_invalid_op 0
		.amdhsa_exception_fp_denorm_src 0
		.amdhsa_exception_fp_ieee_div_zero 0
		.amdhsa_exception_fp_ieee_overflow 0
		.amdhsa_exception_fp_ieee_underflow 0
		.amdhsa_exception_fp_ieee_inexact 0
		.amdhsa_exception_int_div_zero 0
	.end_amdhsa_kernel
	.section	.text._ZN7rocprim17ROCPRIM_400000_NS6detail17trampoline_kernelINS0_14default_configENS1_27upper_bound_config_selectorIilEEZNS1_14transform_implILb0ES3_S5_N6thrust23THRUST_200600_302600_NS6detail15normal_iteratorINS8_7pointerIiNS8_11hip_rocprim5par_tENS8_11use_defaultESE_EEEENSA_INSB_IlSD_SE_SE_EEEEZNS1_13binary_searchIS3_S5_PiSG_SI_NS1_21upper_bound_search_opENS9_16wrapped_functionINS8_6system6detail7generic6detail18binary_search_lessEbEEEE10hipError_tPvRmT1_T2_T3_mmT4_T5_P12ihipStream_tbEUlRKiE_EEST_SX_SY_mSZ_S12_bEUlT_E_NS1_11comp_targetILNS1_3genE5ELNS1_11target_archE942ELNS1_3gpuE9ELNS1_3repE0EEENS1_30default_config_static_selectorELNS0_4arch9wavefront6targetE0EEEvSW_,"axG",@progbits,_ZN7rocprim17ROCPRIM_400000_NS6detail17trampoline_kernelINS0_14default_configENS1_27upper_bound_config_selectorIilEEZNS1_14transform_implILb0ES3_S5_N6thrust23THRUST_200600_302600_NS6detail15normal_iteratorINS8_7pointerIiNS8_11hip_rocprim5par_tENS8_11use_defaultESE_EEEENSA_INSB_IlSD_SE_SE_EEEEZNS1_13binary_searchIS3_S5_PiSG_SI_NS1_21upper_bound_search_opENS9_16wrapped_functionINS8_6system6detail7generic6detail18binary_search_lessEbEEEE10hipError_tPvRmT1_T2_T3_mmT4_T5_P12ihipStream_tbEUlRKiE_EEST_SX_SY_mSZ_S12_bEUlT_E_NS1_11comp_targetILNS1_3genE5ELNS1_11target_archE942ELNS1_3gpuE9ELNS1_3repE0EEENS1_30default_config_static_selectorELNS0_4arch9wavefront6targetE0EEEvSW_,comdat
.Lfunc_end223:
	.size	_ZN7rocprim17ROCPRIM_400000_NS6detail17trampoline_kernelINS0_14default_configENS1_27upper_bound_config_selectorIilEEZNS1_14transform_implILb0ES3_S5_N6thrust23THRUST_200600_302600_NS6detail15normal_iteratorINS8_7pointerIiNS8_11hip_rocprim5par_tENS8_11use_defaultESE_EEEENSA_INSB_IlSD_SE_SE_EEEEZNS1_13binary_searchIS3_S5_PiSG_SI_NS1_21upper_bound_search_opENS9_16wrapped_functionINS8_6system6detail7generic6detail18binary_search_lessEbEEEE10hipError_tPvRmT1_T2_T3_mmT4_T5_P12ihipStream_tbEUlRKiE_EEST_SX_SY_mSZ_S12_bEUlT_E_NS1_11comp_targetILNS1_3genE5ELNS1_11target_archE942ELNS1_3gpuE9ELNS1_3repE0EEENS1_30default_config_static_selectorELNS0_4arch9wavefront6targetE0EEEvSW_, .Lfunc_end223-_ZN7rocprim17ROCPRIM_400000_NS6detail17trampoline_kernelINS0_14default_configENS1_27upper_bound_config_selectorIilEEZNS1_14transform_implILb0ES3_S5_N6thrust23THRUST_200600_302600_NS6detail15normal_iteratorINS8_7pointerIiNS8_11hip_rocprim5par_tENS8_11use_defaultESE_EEEENSA_INSB_IlSD_SE_SE_EEEEZNS1_13binary_searchIS3_S5_PiSG_SI_NS1_21upper_bound_search_opENS9_16wrapped_functionINS8_6system6detail7generic6detail18binary_search_lessEbEEEE10hipError_tPvRmT1_T2_T3_mmT4_T5_P12ihipStream_tbEUlRKiE_EEST_SX_SY_mSZ_S12_bEUlT_E_NS1_11comp_targetILNS1_3genE5ELNS1_11target_archE942ELNS1_3gpuE9ELNS1_3repE0EEENS1_30default_config_static_selectorELNS0_4arch9wavefront6targetE0EEEvSW_
                                        ; -- End function
	.set _ZN7rocprim17ROCPRIM_400000_NS6detail17trampoline_kernelINS0_14default_configENS1_27upper_bound_config_selectorIilEEZNS1_14transform_implILb0ES3_S5_N6thrust23THRUST_200600_302600_NS6detail15normal_iteratorINS8_7pointerIiNS8_11hip_rocprim5par_tENS8_11use_defaultESE_EEEENSA_INSB_IlSD_SE_SE_EEEEZNS1_13binary_searchIS3_S5_PiSG_SI_NS1_21upper_bound_search_opENS9_16wrapped_functionINS8_6system6detail7generic6detail18binary_search_lessEbEEEE10hipError_tPvRmT1_T2_T3_mmT4_T5_P12ihipStream_tbEUlRKiE_EEST_SX_SY_mSZ_S12_bEUlT_E_NS1_11comp_targetILNS1_3genE5ELNS1_11target_archE942ELNS1_3gpuE9ELNS1_3repE0EEENS1_30default_config_static_selectorELNS0_4arch9wavefront6targetE0EEEvSW_.num_vgpr, 0
	.set _ZN7rocprim17ROCPRIM_400000_NS6detail17trampoline_kernelINS0_14default_configENS1_27upper_bound_config_selectorIilEEZNS1_14transform_implILb0ES3_S5_N6thrust23THRUST_200600_302600_NS6detail15normal_iteratorINS8_7pointerIiNS8_11hip_rocprim5par_tENS8_11use_defaultESE_EEEENSA_INSB_IlSD_SE_SE_EEEEZNS1_13binary_searchIS3_S5_PiSG_SI_NS1_21upper_bound_search_opENS9_16wrapped_functionINS8_6system6detail7generic6detail18binary_search_lessEbEEEE10hipError_tPvRmT1_T2_T3_mmT4_T5_P12ihipStream_tbEUlRKiE_EEST_SX_SY_mSZ_S12_bEUlT_E_NS1_11comp_targetILNS1_3genE5ELNS1_11target_archE942ELNS1_3gpuE9ELNS1_3repE0EEENS1_30default_config_static_selectorELNS0_4arch9wavefront6targetE0EEEvSW_.num_agpr, 0
	.set _ZN7rocprim17ROCPRIM_400000_NS6detail17trampoline_kernelINS0_14default_configENS1_27upper_bound_config_selectorIilEEZNS1_14transform_implILb0ES3_S5_N6thrust23THRUST_200600_302600_NS6detail15normal_iteratorINS8_7pointerIiNS8_11hip_rocprim5par_tENS8_11use_defaultESE_EEEENSA_INSB_IlSD_SE_SE_EEEEZNS1_13binary_searchIS3_S5_PiSG_SI_NS1_21upper_bound_search_opENS9_16wrapped_functionINS8_6system6detail7generic6detail18binary_search_lessEbEEEE10hipError_tPvRmT1_T2_T3_mmT4_T5_P12ihipStream_tbEUlRKiE_EEST_SX_SY_mSZ_S12_bEUlT_E_NS1_11comp_targetILNS1_3genE5ELNS1_11target_archE942ELNS1_3gpuE9ELNS1_3repE0EEENS1_30default_config_static_selectorELNS0_4arch9wavefront6targetE0EEEvSW_.numbered_sgpr, 0
	.set _ZN7rocprim17ROCPRIM_400000_NS6detail17trampoline_kernelINS0_14default_configENS1_27upper_bound_config_selectorIilEEZNS1_14transform_implILb0ES3_S5_N6thrust23THRUST_200600_302600_NS6detail15normal_iteratorINS8_7pointerIiNS8_11hip_rocprim5par_tENS8_11use_defaultESE_EEEENSA_INSB_IlSD_SE_SE_EEEEZNS1_13binary_searchIS3_S5_PiSG_SI_NS1_21upper_bound_search_opENS9_16wrapped_functionINS8_6system6detail7generic6detail18binary_search_lessEbEEEE10hipError_tPvRmT1_T2_T3_mmT4_T5_P12ihipStream_tbEUlRKiE_EEST_SX_SY_mSZ_S12_bEUlT_E_NS1_11comp_targetILNS1_3genE5ELNS1_11target_archE942ELNS1_3gpuE9ELNS1_3repE0EEENS1_30default_config_static_selectorELNS0_4arch9wavefront6targetE0EEEvSW_.num_named_barrier, 0
	.set _ZN7rocprim17ROCPRIM_400000_NS6detail17trampoline_kernelINS0_14default_configENS1_27upper_bound_config_selectorIilEEZNS1_14transform_implILb0ES3_S5_N6thrust23THRUST_200600_302600_NS6detail15normal_iteratorINS8_7pointerIiNS8_11hip_rocprim5par_tENS8_11use_defaultESE_EEEENSA_INSB_IlSD_SE_SE_EEEEZNS1_13binary_searchIS3_S5_PiSG_SI_NS1_21upper_bound_search_opENS9_16wrapped_functionINS8_6system6detail7generic6detail18binary_search_lessEbEEEE10hipError_tPvRmT1_T2_T3_mmT4_T5_P12ihipStream_tbEUlRKiE_EEST_SX_SY_mSZ_S12_bEUlT_E_NS1_11comp_targetILNS1_3genE5ELNS1_11target_archE942ELNS1_3gpuE9ELNS1_3repE0EEENS1_30default_config_static_selectorELNS0_4arch9wavefront6targetE0EEEvSW_.private_seg_size, 0
	.set _ZN7rocprim17ROCPRIM_400000_NS6detail17trampoline_kernelINS0_14default_configENS1_27upper_bound_config_selectorIilEEZNS1_14transform_implILb0ES3_S5_N6thrust23THRUST_200600_302600_NS6detail15normal_iteratorINS8_7pointerIiNS8_11hip_rocprim5par_tENS8_11use_defaultESE_EEEENSA_INSB_IlSD_SE_SE_EEEEZNS1_13binary_searchIS3_S5_PiSG_SI_NS1_21upper_bound_search_opENS9_16wrapped_functionINS8_6system6detail7generic6detail18binary_search_lessEbEEEE10hipError_tPvRmT1_T2_T3_mmT4_T5_P12ihipStream_tbEUlRKiE_EEST_SX_SY_mSZ_S12_bEUlT_E_NS1_11comp_targetILNS1_3genE5ELNS1_11target_archE942ELNS1_3gpuE9ELNS1_3repE0EEENS1_30default_config_static_selectorELNS0_4arch9wavefront6targetE0EEEvSW_.uses_vcc, 0
	.set _ZN7rocprim17ROCPRIM_400000_NS6detail17trampoline_kernelINS0_14default_configENS1_27upper_bound_config_selectorIilEEZNS1_14transform_implILb0ES3_S5_N6thrust23THRUST_200600_302600_NS6detail15normal_iteratorINS8_7pointerIiNS8_11hip_rocprim5par_tENS8_11use_defaultESE_EEEENSA_INSB_IlSD_SE_SE_EEEEZNS1_13binary_searchIS3_S5_PiSG_SI_NS1_21upper_bound_search_opENS9_16wrapped_functionINS8_6system6detail7generic6detail18binary_search_lessEbEEEE10hipError_tPvRmT1_T2_T3_mmT4_T5_P12ihipStream_tbEUlRKiE_EEST_SX_SY_mSZ_S12_bEUlT_E_NS1_11comp_targetILNS1_3genE5ELNS1_11target_archE942ELNS1_3gpuE9ELNS1_3repE0EEENS1_30default_config_static_selectorELNS0_4arch9wavefront6targetE0EEEvSW_.uses_flat_scratch, 0
	.set _ZN7rocprim17ROCPRIM_400000_NS6detail17trampoline_kernelINS0_14default_configENS1_27upper_bound_config_selectorIilEEZNS1_14transform_implILb0ES3_S5_N6thrust23THRUST_200600_302600_NS6detail15normal_iteratorINS8_7pointerIiNS8_11hip_rocprim5par_tENS8_11use_defaultESE_EEEENSA_INSB_IlSD_SE_SE_EEEEZNS1_13binary_searchIS3_S5_PiSG_SI_NS1_21upper_bound_search_opENS9_16wrapped_functionINS8_6system6detail7generic6detail18binary_search_lessEbEEEE10hipError_tPvRmT1_T2_T3_mmT4_T5_P12ihipStream_tbEUlRKiE_EEST_SX_SY_mSZ_S12_bEUlT_E_NS1_11comp_targetILNS1_3genE5ELNS1_11target_archE942ELNS1_3gpuE9ELNS1_3repE0EEENS1_30default_config_static_selectorELNS0_4arch9wavefront6targetE0EEEvSW_.has_dyn_sized_stack, 0
	.set _ZN7rocprim17ROCPRIM_400000_NS6detail17trampoline_kernelINS0_14default_configENS1_27upper_bound_config_selectorIilEEZNS1_14transform_implILb0ES3_S5_N6thrust23THRUST_200600_302600_NS6detail15normal_iteratorINS8_7pointerIiNS8_11hip_rocprim5par_tENS8_11use_defaultESE_EEEENSA_INSB_IlSD_SE_SE_EEEEZNS1_13binary_searchIS3_S5_PiSG_SI_NS1_21upper_bound_search_opENS9_16wrapped_functionINS8_6system6detail7generic6detail18binary_search_lessEbEEEE10hipError_tPvRmT1_T2_T3_mmT4_T5_P12ihipStream_tbEUlRKiE_EEST_SX_SY_mSZ_S12_bEUlT_E_NS1_11comp_targetILNS1_3genE5ELNS1_11target_archE942ELNS1_3gpuE9ELNS1_3repE0EEENS1_30default_config_static_selectorELNS0_4arch9wavefront6targetE0EEEvSW_.has_recursion, 0
	.set _ZN7rocprim17ROCPRIM_400000_NS6detail17trampoline_kernelINS0_14default_configENS1_27upper_bound_config_selectorIilEEZNS1_14transform_implILb0ES3_S5_N6thrust23THRUST_200600_302600_NS6detail15normal_iteratorINS8_7pointerIiNS8_11hip_rocprim5par_tENS8_11use_defaultESE_EEEENSA_INSB_IlSD_SE_SE_EEEEZNS1_13binary_searchIS3_S5_PiSG_SI_NS1_21upper_bound_search_opENS9_16wrapped_functionINS8_6system6detail7generic6detail18binary_search_lessEbEEEE10hipError_tPvRmT1_T2_T3_mmT4_T5_P12ihipStream_tbEUlRKiE_EEST_SX_SY_mSZ_S12_bEUlT_E_NS1_11comp_targetILNS1_3genE5ELNS1_11target_archE942ELNS1_3gpuE9ELNS1_3repE0EEENS1_30default_config_static_selectorELNS0_4arch9wavefront6targetE0EEEvSW_.has_indirect_call, 0
	.section	.AMDGPU.csdata,"",@progbits
; Kernel info:
; codeLenInByte = 0
; TotalNumSgprs: 0
; NumVgprs: 0
; ScratchSize: 0
; MemoryBound: 0
; FloatMode: 240
; IeeeMode: 1
; LDSByteSize: 0 bytes/workgroup (compile time only)
; SGPRBlocks: 0
; VGPRBlocks: 0
; NumSGPRsForWavesPerEU: 1
; NumVGPRsForWavesPerEU: 1
; Occupancy: 16
; WaveLimiterHint : 0
; COMPUTE_PGM_RSRC2:SCRATCH_EN: 0
; COMPUTE_PGM_RSRC2:USER_SGPR: 6
; COMPUTE_PGM_RSRC2:TRAP_HANDLER: 0
; COMPUTE_PGM_RSRC2:TGID_X_EN: 1
; COMPUTE_PGM_RSRC2:TGID_Y_EN: 0
; COMPUTE_PGM_RSRC2:TGID_Z_EN: 0
; COMPUTE_PGM_RSRC2:TIDIG_COMP_CNT: 0
	.section	.text._ZN7rocprim17ROCPRIM_400000_NS6detail17trampoline_kernelINS0_14default_configENS1_27upper_bound_config_selectorIilEEZNS1_14transform_implILb0ES3_S5_N6thrust23THRUST_200600_302600_NS6detail15normal_iteratorINS8_7pointerIiNS8_11hip_rocprim5par_tENS8_11use_defaultESE_EEEENSA_INSB_IlSD_SE_SE_EEEEZNS1_13binary_searchIS3_S5_PiSG_SI_NS1_21upper_bound_search_opENS9_16wrapped_functionINS8_6system6detail7generic6detail18binary_search_lessEbEEEE10hipError_tPvRmT1_T2_T3_mmT4_T5_P12ihipStream_tbEUlRKiE_EEST_SX_SY_mSZ_S12_bEUlT_E_NS1_11comp_targetILNS1_3genE4ELNS1_11target_archE910ELNS1_3gpuE8ELNS1_3repE0EEENS1_30default_config_static_selectorELNS0_4arch9wavefront6targetE0EEEvSW_,"axG",@progbits,_ZN7rocprim17ROCPRIM_400000_NS6detail17trampoline_kernelINS0_14default_configENS1_27upper_bound_config_selectorIilEEZNS1_14transform_implILb0ES3_S5_N6thrust23THRUST_200600_302600_NS6detail15normal_iteratorINS8_7pointerIiNS8_11hip_rocprim5par_tENS8_11use_defaultESE_EEEENSA_INSB_IlSD_SE_SE_EEEEZNS1_13binary_searchIS3_S5_PiSG_SI_NS1_21upper_bound_search_opENS9_16wrapped_functionINS8_6system6detail7generic6detail18binary_search_lessEbEEEE10hipError_tPvRmT1_T2_T3_mmT4_T5_P12ihipStream_tbEUlRKiE_EEST_SX_SY_mSZ_S12_bEUlT_E_NS1_11comp_targetILNS1_3genE4ELNS1_11target_archE910ELNS1_3gpuE8ELNS1_3repE0EEENS1_30default_config_static_selectorELNS0_4arch9wavefront6targetE0EEEvSW_,comdat
	.protected	_ZN7rocprim17ROCPRIM_400000_NS6detail17trampoline_kernelINS0_14default_configENS1_27upper_bound_config_selectorIilEEZNS1_14transform_implILb0ES3_S5_N6thrust23THRUST_200600_302600_NS6detail15normal_iteratorINS8_7pointerIiNS8_11hip_rocprim5par_tENS8_11use_defaultESE_EEEENSA_INSB_IlSD_SE_SE_EEEEZNS1_13binary_searchIS3_S5_PiSG_SI_NS1_21upper_bound_search_opENS9_16wrapped_functionINS8_6system6detail7generic6detail18binary_search_lessEbEEEE10hipError_tPvRmT1_T2_T3_mmT4_T5_P12ihipStream_tbEUlRKiE_EEST_SX_SY_mSZ_S12_bEUlT_E_NS1_11comp_targetILNS1_3genE4ELNS1_11target_archE910ELNS1_3gpuE8ELNS1_3repE0EEENS1_30default_config_static_selectorELNS0_4arch9wavefront6targetE0EEEvSW_ ; -- Begin function _ZN7rocprim17ROCPRIM_400000_NS6detail17trampoline_kernelINS0_14default_configENS1_27upper_bound_config_selectorIilEEZNS1_14transform_implILb0ES3_S5_N6thrust23THRUST_200600_302600_NS6detail15normal_iteratorINS8_7pointerIiNS8_11hip_rocprim5par_tENS8_11use_defaultESE_EEEENSA_INSB_IlSD_SE_SE_EEEEZNS1_13binary_searchIS3_S5_PiSG_SI_NS1_21upper_bound_search_opENS9_16wrapped_functionINS8_6system6detail7generic6detail18binary_search_lessEbEEEE10hipError_tPvRmT1_T2_T3_mmT4_T5_P12ihipStream_tbEUlRKiE_EEST_SX_SY_mSZ_S12_bEUlT_E_NS1_11comp_targetILNS1_3genE4ELNS1_11target_archE910ELNS1_3gpuE8ELNS1_3repE0EEENS1_30default_config_static_selectorELNS0_4arch9wavefront6targetE0EEEvSW_
	.globl	_ZN7rocprim17ROCPRIM_400000_NS6detail17trampoline_kernelINS0_14default_configENS1_27upper_bound_config_selectorIilEEZNS1_14transform_implILb0ES3_S5_N6thrust23THRUST_200600_302600_NS6detail15normal_iteratorINS8_7pointerIiNS8_11hip_rocprim5par_tENS8_11use_defaultESE_EEEENSA_INSB_IlSD_SE_SE_EEEEZNS1_13binary_searchIS3_S5_PiSG_SI_NS1_21upper_bound_search_opENS9_16wrapped_functionINS8_6system6detail7generic6detail18binary_search_lessEbEEEE10hipError_tPvRmT1_T2_T3_mmT4_T5_P12ihipStream_tbEUlRKiE_EEST_SX_SY_mSZ_S12_bEUlT_E_NS1_11comp_targetILNS1_3genE4ELNS1_11target_archE910ELNS1_3gpuE8ELNS1_3repE0EEENS1_30default_config_static_selectorELNS0_4arch9wavefront6targetE0EEEvSW_
	.p2align	8
	.type	_ZN7rocprim17ROCPRIM_400000_NS6detail17trampoline_kernelINS0_14default_configENS1_27upper_bound_config_selectorIilEEZNS1_14transform_implILb0ES3_S5_N6thrust23THRUST_200600_302600_NS6detail15normal_iteratorINS8_7pointerIiNS8_11hip_rocprim5par_tENS8_11use_defaultESE_EEEENSA_INSB_IlSD_SE_SE_EEEEZNS1_13binary_searchIS3_S5_PiSG_SI_NS1_21upper_bound_search_opENS9_16wrapped_functionINS8_6system6detail7generic6detail18binary_search_lessEbEEEE10hipError_tPvRmT1_T2_T3_mmT4_T5_P12ihipStream_tbEUlRKiE_EEST_SX_SY_mSZ_S12_bEUlT_E_NS1_11comp_targetILNS1_3genE4ELNS1_11target_archE910ELNS1_3gpuE8ELNS1_3repE0EEENS1_30default_config_static_selectorELNS0_4arch9wavefront6targetE0EEEvSW_,@function
_ZN7rocprim17ROCPRIM_400000_NS6detail17trampoline_kernelINS0_14default_configENS1_27upper_bound_config_selectorIilEEZNS1_14transform_implILb0ES3_S5_N6thrust23THRUST_200600_302600_NS6detail15normal_iteratorINS8_7pointerIiNS8_11hip_rocprim5par_tENS8_11use_defaultESE_EEEENSA_INSB_IlSD_SE_SE_EEEEZNS1_13binary_searchIS3_S5_PiSG_SI_NS1_21upper_bound_search_opENS9_16wrapped_functionINS8_6system6detail7generic6detail18binary_search_lessEbEEEE10hipError_tPvRmT1_T2_T3_mmT4_T5_P12ihipStream_tbEUlRKiE_EEST_SX_SY_mSZ_S12_bEUlT_E_NS1_11comp_targetILNS1_3genE4ELNS1_11target_archE910ELNS1_3gpuE8ELNS1_3repE0EEENS1_30default_config_static_selectorELNS0_4arch9wavefront6targetE0EEEvSW_: ; @_ZN7rocprim17ROCPRIM_400000_NS6detail17trampoline_kernelINS0_14default_configENS1_27upper_bound_config_selectorIilEEZNS1_14transform_implILb0ES3_S5_N6thrust23THRUST_200600_302600_NS6detail15normal_iteratorINS8_7pointerIiNS8_11hip_rocprim5par_tENS8_11use_defaultESE_EEEENSA_INSB_IlSD_SE_SE_EEEEZNS1_13binary_searchIS3_S5_PiSG_SI_NS1_21upper_bound_search_opENS9_16wrapped_functionINS8_6system6detail7generic6detail18binary_search_lessEbEEEE10hipError_tPvRmT1_T2_T3_mmT4_T5_P12ihipStream_tbEUlRKiE_EEST_SX_SY_mSZ_S12_bEUlT_E_NS1_11comp_targetILNS1_3genE4ELNS1_11target_archE910ELNS1_3gpuE8ELNS1_3repE0EEENS1_30default_config_static_selectorELNS0_4arch9wavefront6targetE0EEEvSW_
; %bb.0:
	.section	.rodata,"a",@progbits
	.p2align	6, 0x0
	.amdhsa_kernel _ZN7rocprim17ROCPRIM_400000_NS6detail17trampoline_kernelINS0_14default_configENS1_27upper_bound_config_selectorIilEEZNS1_14transform_implILb0ES3_S5_N6thrust23THRUST_200600_302600_NS6detail15normal_iteratorINS8_7pointerIiNS8_11hip_rocprim5par_tENS8_11use_defaultESE_EEEENSA_INSB_IlSD_SE_SE_EEEEZNS1_13binary_searchIS3_S5_PiSG_SI_NS1_21upper_bound_search_opENS9_16wrapped_functionINS8_6system6detail7generic6detail18binary_search_lessEbEEEE10hipError_tPvRmT1_T2_T3_mmT4_T5_P12ihipStream_tbEUlRKiE_EEST_SX_SY_mSZ_S12_bEUlT_E_NS1_11comp_targetILNS1_3genE4ELNS1_11target_archE910ELNS1_3gpuE8ELNS1_3repE0EEENS1_30default_config_static_selectorELNS0_4arch9wavefront6targetE0EEEvSW_
		.amdhsa_group_segment_fixed_size 0
		.amdhsa_private_segment_fixed_size 0
		.amdhsa_kernarg_size 56
		.amdhsa_user_sgpr_count 6
		.amdhsa_user_sgpr_private_segment_buffer 1
		.amdhsa_user_sgpr_dispatch_ptr 0
		.amdhsa_user_sgpr_queue_ptr 0
		.amdhsa_user_sgpr_kernarg_segment_ptr 1
		.amdhsa_user_sgpr_dispatch_id 0
		.amdhsa_user_sgpr_flat_scratch_init 0
		.amdhsa_user_sgpr_private_segment_size 0
		.amdhsa_wavefront_size32 1
		.amdhsa_uses_dynamic_stack 0
		.amdhsa_system_sgpr_private_segment_wavefront_offset 0
		.amdhsa_system_sgpr_workgroup_id_x 1
		.amdhsa_system_sgpr_workgroup_id_y 0
		.amdhsa_system_sgpr_workgroup_id_z 0
		.amdhsa_system_sgpr_workgroup_info 0
		.amdhsa_system_vgpr_workitem_id 0
		.amdhsa_next_free_vgpr 1
		.amdhsa_next_free_sgpr 1
		.amdhsa_reserve_vcc 0
		.amdhsa_reserve_flat_scratch 0
		.amdhsa_float_round_mode_32 0
		.amdhsa_float_round_mode_16_64 0
		.amdhsa_float_denorm_mode_32 3
		.amdhsa_float_denorm_mode_16_64 3
		.amdhsa_dx10_clamp 1
		.amdhsa_ieee_mode 1
		.amdhsa_fp16_overflow 0
		.amdhsa_workgroup_processor_mode 1
		.amdhsa_memory_ordered 1
		.amdhsa_forward_progress 1
		.amdhsa_shared_vgpr_count 0
		.amdhsa_exception_fp_ieee_invalid_op 0
		.amdhsa_exception_fp_denorm_src 0
		.amdhsa_exception_fp_ieee_div_zero 0
		.amdhsa_exception_fp_ieee_overflow 0
		.amdhsa_exception_fp_ieee_underflow 0
		.amdhsa_exception_fp_ieee_inexact 0
		.amdhsa_exception_int_div_zero 0
	.end_amdhsa_kernel
	.section	.text._ZN7rocprim17ROCPRIM_400000_NS6detail17trampoline_kernelINS0_14default_configENS1_27upper_bound_config_selectorIilEEZNS1_14transform_implILb0ES3_S5_N6thrust23THRUST_200600_302600_NS6detail15normal_iteratorINS8_7pointerIiNS8_11hip_rocprim5par_tENS8_11use_defaultESE_EEEENSA_INSB_IlSD_SE_SE_EEEEZNS1_13binary_searchIS3_S5_PiSG_SI_NS1_21upper_bound_search_opENS9_16wrapped_functionINS8_6system6detail7generic6detail18binary_search_lessEbEEEE10hipError_tPvRmT1_T2_T3_mmT4_T5_P12ihipStream_tbEUlRKiE_EEST_SX_SY_mSZ_S12_bEUlT_E_NS1_11comp_targetILNS1_3genE4ELNS1_11target_archE910ELNS1_3gpuE8ELNS1_3repE0EEENS1_30default_config_static_selectorELNS0_4arch9wavefront6targetE0EEEvSW_,"axG",@progbits,_ZN7rocprim17ROCPRIM_400000_NS6detail17trampoline_kernelINS0_14default_configENS1_27upper_bound_config_selectorIilEEZNS1_14transform_implILb0ES3_S5_N6thrust23THRUST_200600_302600_NS6detail15normal_iteratorINS8_7pointerIiNS8_11hip_rocprim5par_tENS8_11use_defaultESE_EEEENSA_INSB_IlSD_SE_SE_EEEEZNS1_13binary_searchIS3_S5_PiSG_SI_NS1_21upper_bound_search_opENS9_16wrapped_functionINS8_6system6detail7generic6detail18binary_search_lessEbEEEE10hipError_tPvRmT1_T2_T3_mmT4_T5_P12ihipStream_tbEUlRKiE_EEST_SX_SY_mSZ_S12_bEUlT_E_NS1_11comp_targetILNS1_3genE4ELNS1_11target_archE910ELNS1_3gpuE8ELNS1_3repE0EEENS1_30default_config_static_selectorELNS0_4arch9wavefront6targetE0EEEvSW_,comdat
.Lfunc_end224:
	.size	_ZN7rocprim17ROCPRIM_400000_NS6detail17trampoline_kernelINS0_14default_configENS1_27upper_bound_config_selectorIilEEZNS1_14transform_implILb0ES3_S5_N6thrust23THRUST_200600_302600_NS6detail15normal_iteratorINS8_7pointerIiNS8_11hip_rocprim5par_tENS8_11use_defaultESE_EEEENSA_INSB_IlSD_SE_SE_EEEEZNS1_13binary_searchIS3_S5_PiSG_SI_NS1_21upper_bound_search_opENS9_16wrapped_functionINS8_6system6detail7generic6detail18binary_search_lessEbEEEE10hipError_tPvRmT1_T2_T3_mmT4_T5_P12ihipStream_tbEUlRKiE_EEST_SX_SY_mSZ_S12_bEUlT_E_NS1_11comp_targetILNS1_3genE4ELNS1_11target_archE910ELNS1_3gpuE8ELNS1_3repE0EEENS1_30default_config_static_selectorELNS0_4arch9wavefront6targetE0EEEvSW_, .Lfunc_end224-_ZN7rocprim17ROCPRIM_400000_NS6detail17trampoline_kernelINS0_14default_configENS1_27upper_bound_config_selectorIilEEZNS1_14transform_implILb0ES3_S5_N6thrust23THRUST_200600_302600_NS6detail15normal_iteratorINS8_7pointerIiNS8_11hip_rocprim5par_tENS8_11use_defaultESE_EEEENSA_INSB_IlSD_SE_SE_EEEEZNS1_13binary_searchIS3_S5_PiSG_SI_NS1_21upper_bound_search_opENS9_16wrapped_functionINS8_6system6detail7generic6detail18binary_search_lessEbEEEE10hipError_tPvRmT1_T2_T3_mmT4_T5_P12ihipStream_tbEUlRKiE_EEST_SX_SY_mSZ_S12_bEUlT_E_NS1_11comp_targetILNS1_3genE4ELNS1_11target_archE910ELNS1_3gpuE8ELNS1_3repE0EEENS1_30default_config_static_selectorELNS0_4arch9wavefront6targetE0EEEvSW_
                                        ; -- End function
	.set _ZN7rocprim17ROCPRIM_400000_NS6detail17trampoline_kernelINS0_14default_configENS1_27upper_bound_config_selectorIilEEZNS1_14transform_implILb0ES3_S5_N6thrust23THRUST_200600_302600_NS6detail15normal_iteratorINS8_7pointerIiNS8_11hip_rocprim5par_tENS8_11use_defaultESE_EEEENSA_INSB_IlSD_SE_SE_EEEEZNS1_13binary_searchIS3_S5_PiSG_SI_NS1_21upper_bound_search_opENS9_16wrapped_functionINS8_6system6detail7generic6detail18binary_search_lessEbEEEE10hipError_tPvRmT1_T2_T3_mmT4_T5_P12ihipStream_tbEUlRKiE_EEST_SX_SY_mSZ_S12_bEUlT_E_NS1_11comp_targetILNS1_3genE4ELNS1_11target_archE910ELNS1_3gpuE8ELNS1_3repE0EEENS1_30default_config_static_selectorELNS0_4arch9wavefront6targetE0EEEvSW_.num_vgpr, 0
	.set _ZN7rocprim17ROCPRIM_400000_NS6detail17trampoline_kernelINS0_14default_configENS1_27upper_bound_config_selectorIilEEZNS1_14transform_implILb0ES3_S5_N6thrust23THRUST_200600_302600_NS6detail15normal_iteratorINS8_7pointerIiNS8_11hip_rocprim5par_tENS8_11use_defaultESE_EEEENSA_INSB_IlSD_SE_SE_EEEEZNS1_13binary_searchIS3_S5_PiSG_SI_NS1_21upper_bound_search_opENS9_16wrapped_functionINS8_6system6detail7generic6detail18binary_search_lessEbEEEE10hipError_tPvRmT1_T2_T3_mmT4_T5_P12ihipStream_tbEUlRKiE_EEST_SX_SY_mSZ_S12_bEUlT_E_NS1_11comp_targetILNS1_3genE4ELNS1_11target_archE910ELNS1_3gpuE8ELNS1_3repE0EEENS1_30default_config_static_selectorELNS0_4arch9wavefront6targetE0EEEvSW_.num_agpr, 0
	.set _ZN7rocprim17ROCPRIM_400000_NS6detail17trampoline_kernelINS0_14default_configENS1_27upper_bound_config_selectorIilEEZNS1_14transform_implILb0ES3_S5_N6thrust23THRUST_200600_302600_NS6detail15normal_iteratorINS8_7pointerIiNS8_11hip_rocprim5par_tENS8_11use_defaultESE_EEEENSA_INSB_IlSD_SE_SE_EEEEZNS1_13binary_searchIS3_S5_PiSG_SI_NS1_21upper_bound_search_opENS9_16wrapped_functionINS8_6system6detail7generic6detail18binary_search_lessEbEEEE10hipError_tPvRmT1_T2_T3_mmT4_T5_P12ihipStream_tbEUlRKiE_EEST_SX_SY_mSZ_S12_bEUlT_E_NS1_11comp_targetILNS1_3genE4ELNS1_11target_archE910ELNS1_3gpuE8ELNS1_3repE0EEENS1_30default_config_static_selectorELNS0_4arch9wavefront6targetE0EEEvSW_.numbered_sgpr, 0
	.set _ZN7rocprim17ROCPRIM_400000_NS6detail17trampoline_kernelINS0_14default_configENS1_27upper_bound_config_selectorIilEEZNS1_14transform_implILb0ES3_S5_N6thrust23THRUST_200600_302600_NS6detail15normal_iteratorINS8_7pointerIiNS8_11hip_rocprim5par_tENS8_11use_defaultESE_EEEENSA_INSB_IlSD_SE_SE_EEEEZNS1_13binary_searchIS3_S5_PiSG_SI_NS1_21upper_bound_search_opENS9_16wrapped_functionINS8_6system6detail7generic6detail18binary_search_lessEbEEEE10hipError_tPvRmT1_T2_T3_mmT4_T5_P12ihipStream_tbEUlRKiE_EEST_SX_SY_mSZ_S12_bEUlT_E_NS1_11comp_targetILNS1_3genE4ELNS1_11target_archE910ELNS1_3gpuE8ELNS1_3repE0EEENS1_30default_config_static_selectorELNS0_4arch9wavefront6targetE0EEEvSW_.num_named_barrier, 0
	.set _ZN7rocprim17ROCPRIM_400000_NS6detail17trampoline_kernelINS0_14default_configENS1_27upper_bound_config_selectorIilEEZNS1_14transform_implILb0ES3_S5_N6thrust23THRUST_200600_302600_NS6detail15normal_iteratorINS8_7pointerIiNS8_11hip_rocprim5par_tENS8_11use_defaultESE_EEEENSA_INSB_IlSD_SE_SE_EEEEZNS1_13binary_searchIS3_S5_PiSG_SI_NS1_21upper_bound_search_opENS9_16wrapped_functionINS8_6system6detail7generic6detail18binary_search_lessEbEEEE10hipError_tPvRmT1_T2_T3_mmT4_T5_P12ihipStream_tbEUlRKiE_EEST_SX_SY_mSZ_S12_bEUlT_E_NS1_11comp_targetILNS1_3genE4ELNS1_11target_archE910ELNS1_3gpuE8ELNS1_3repE0EEENS1_30default_config_static_selectorELNS0_4arch9wavefront6targetE0EEEvSW_.private_seg_size, 0
	.set _ZN7rocprim17ROCPRIM_400000_NS6detail17trampoline_kernelINS0_14default_configENS1_27upper_bound_config_selectorIilEEZNS1_14transform_implILb0ES3_S5_N6thrust23THRUST_200600_302600_NS6detail15normal_iteratorINS8_7pointerIiNS8_11hip_rocprim5par_tENS8_11use_defaultESE_EEEENSA_INSB_IlSD_SE_SE_EEEEZNS1_13binary_searchIS3_S5_PiSG_SI_NS1_21upper_bound_search_opENS9_16wrapped_functionINS8_6system6detail7generic6detail18binary_search_lessEbEEEE10hipError_tPvRmT1_T2_T3_mmT4_T5_P12ihipStream_tbEUlRKiE_EEST_SX_SY_mSZ_S12_bEUlT_E_NS1_11comp_targetILNS1_3genE4ELNS1_11target_archE910ELNS1_3gpuE8ELNS1_3repE0EEENS1_30default_config_static_selectorELNS0_4arch9wavefront6targetE0EEEvSW_.uses_vcc, 0
	.set _ZN7rocprim17ROCPRIM_400000_NS6detail17trampoline_kernelINS0_14default_configENS1_27upper_bound_config_selectorIilEEZNS1_14transform_implILb0ES3_S5_N6thrust23THRUST_200600_302600_NS6detail15normal_iteratorINS8_7pointerIiNS8_11hip_rocprim5par_tENS8_11use_defaultESE_EEEENSA_INSB_IlSD_SE_SE_EEEEZNS1_13binary_searchIS3_S5_PiSG_SI_NS1_21upper_bound_search_opENS9_16wrapped_functionINS8_6system6detail7generic6detail18binary_search_lessEbEEEE10hipError_tPvRmT1_T2_T3_mmT4_T5_P12ihipStream_tbEUlRKiE_EEST_SX_SY_mSZ_S12_bEUlT_E_NS1_11comp_targetILNS1_3genE4ELNS1_11target_archE910ELNS1_3gpuE8ELNS1_3repE0EEENS1_30default_config_static_selectorELNS0_4arch9wavefront6targetE0EEEvSW_.uses_flat_scratch, 0
	.set _ZN7rocprim17ROCPRIM_400000_NS6detail17trampoline_kernelINS0_14default_configENS1_27upper_bound_config_selectorIilEEZNS1_14transform_implILb0ES3_S5_N6thrust23THRUST_200600_302600_NS6detail15normal_iteratorINS8_7pointerIiNS8_11hip_rocprim5par_tENS8_11use_defaultESE_EEEENSA_INSB_IlSD_SE_SE_EEEEZNS1_13binary_searchIS3_S5_PiSG_SI_NS1_21upper_bound_search_opENS9_16wrapped_functionINS8_6system6detail7generic6detail18binary_search_lessEbEEEE10hipError_tPvRmT1_T2_T3_mmT4_T5_P12ihipStream_tbEUlRKiE_EEST_SX_SY_mSZ_S12_bEUlT_E_NS1_11comp_targetILNS1_3genE4ELNS1_11target_archE910ELNS1_3gpuE8ELNS1_3repE0EEENS1_30default_config_static_selectorELNS0_4arch9wavefront6targetE0EEEvSW_.has_dyn_sized_stack, 0
	.set _ZN7rocprim17ROCPRIM_400000_NS6detail17trampoline_kernelINS0_14default_configENS1_27upper_bound_config_selectorIilEEZNS1_14transform_implILb0ES3_S5_N6thrust23THRUST_200600_302600_NS6detail15normal_iteratorINS8_7pointerIiNS8_11hip_rocprim5par_tENS8_11use_defaultESE_EEEENSA_INSB_IlSD_SE_SE_EEEEZNS1_13binary_searchIS3_S5_PiSG_SI_NS1_21upper_bound_search_opENS9_16wrapped_functionINS8_6system6detail7generic6detail18binary_search_lessEbEEEE10hipError_tPvRmT1_T2_T3_mmT4_T5_P12ihipStream_tbEUlRKiE_EEST_SX_SY_mSZ_S12_bEUlT_E_NS1_11comp_targetILNS1_3genE4ELNS1_11target_archE910ELNS1_3gpuE8ELNS1_3repE0EEENS1_30default_config_static_selectorELNS0_4arch9wavefront6targetE0EEEvSW_.has_recursion, 0
	.set _ZN7rocprim17ROCPRIM_400000_NS6detail17trampoline_kernelINS0_14default_configENS1_27upper_bound_config_selectorIilEEZNS1_14transform_implILb0ES3_S5_N6thrust23THRUST_200600_302600_NS6detail15normal_iteratorINS8_7pointerIiNS8_11hip_rocprim5par_tENS8_11use_defaultESE_EEEENSA_INSB_IlSD_SE_SE_EEEEZNS1_13binary_searchIS3_S5_PiSG_SI_NS1_21upper_bound_search_opENS9_16wrapped_functionINS8_6system6detail7generic6detail18binary_search_lessEbEEEE10hipError_tPvRmT1_T2_T3_mmT4_T5_P12ihipStream_tbEUlRKiE_EEST_SX_SY_mSZ_S12_bEUlT_E_NS1_11comp_targetILNS1_3genE4ELNS1_11target_archE910ELNS1_3gpuE8ELNS1_3repE0EEENS1_30default_config_static_selectorELNS0_4arch9wavefront6targetE0EEEvSW_.has_indirect_call, 0
	.section	.AMDGPU.csdata,"",@progbits
; Kernel info:
; codeLenInByte = 0
; TotalNumSgprs: 0
; NumVgprs: 0
; ScratchSize: 0
; MemoryBound: 0
; FloatMode: 240
; IeeeMode: 1
; LDSByteSize: 0 bytes/workgroup (compile time only)
; SGPRBlocks: 0
; VGPRBlocks: 0
; NumSGPRsForWavesPerEU: 1
; NumVGPRsForWavesPerEU: 1
; Occupancy: 16
; WaveLimiterHint : 0
; COMPUTE_PGM_RSRC2:SCRATCH_EN: 0
; COMPUTE_PGM_RSRC2:USER_SGPR: 6
; COMPUTE_PGM_RSRC2:TRAP_HANDLER: 0
; COMPUTE_PGM_RSRC2:TGID_X_EN: 1
; COMPUTE_PGM_RSRC2:TGID_Y_EN: 0
; COMPUTE_PGM_RSRC2:TGID_Z_EN: 0
; COMPUTE_PGM_RSRC2:TIDIG_COMP_CNT: 0
	.section	.text._ZN7rocprim17ROCPRIM_400000_NS6detail17trampoline_kernelINS0_14default_configENS1_27upper_bound_config_selectorIilEEZNS1_14transform_implILb0ES3_S5_N6thrust23THRUST_200600_302600_NS6detail15normal_iteratorINS8_7pointerIiNS8_11hip_rocprim5par_tENS8_11use_defaultESE_EEEENSA_INSB_IlSD_SE_SE_EEEEZNS1_13binary_searchIS3_S5_PiSG_SI_NS1_21upper_bound_search_opENS9_16wrapped_functionINS8_6system6detail7generic6detail18binary_search_lessEbEEEE10hipError_tPvRmT1_T2_T3_mmT4_T5_P12ihipStream_tbEUlRKiE_EEST_SX_SY_mSZ_S12_bEUlT_E_NS1_11comp_targetILNS1_3genE3ELNS1_11target_archE908ELNS1_3gpuE7ELNS1_3repE0EEENS1_30default_config_static_selectorELNS0_4arch9wavefront6targetE0EEEvSW_,"axG",@progbits,_ZN7rocprim17ROCPRIM_400000_NS6detail17trampoline_kernelINS0_14default_configENS1_27upper_bound_config_selectorIilEEZNS1_14transform_implILb0ES3_S5_N6thrust23THRUST_200600_302600_NS6detail15normal_iteratorINS8_7pointerIiNS8_11hip_rocprim5par_tENS8_11use_defaultESE_EEEENSA_INSB_IlSD_SE_SE_EEEEZNS1_13binary_searchIS3_S5_PiSG_SI_NS1_21upper_bound_search_opENS9_16wrapped_functionINS8_6system6detail7generic6detail18binary_search_lessEbEEEE10hipError_tPvRmT1_T2_T3_mmT4_T5_P12ihipStream_tbEUlRKiE_EEST_SX_SY_mSZ_S12_bEUlT_E_NS1_11comp_targetILNS1_3genE3ELNS1_11target_archE908ELNS1_3gpuE7ELNS1_3repE0EEENS1_30default_config_static_selectorELNS0_4arch9wavefront6targetE0EEEvSW_,comdat
	.protected	_ZN7rocprim17ROCPRIM_400000_NS6detail17trampoline_kernelINS0_14default_configENS1_27upper_bound_config_selectorIilEEZNS1_14transform_implILb0ES3_S5_N6thrust23THRUST_200600_302600_NS6detail15normal_iteratorINS8_7pointerIiNS8_11hip_rocprim5par_tENS8_11use_defaultESE_EEEENSA_INSB_IlSD_SE_SE_EEEEZNS1_13binary_searchIS3_S5_PiSG_SI_NS1_21upper_bound_search_opENS9_16wrapped_functionINS8_6system6detail7generic6detail18binary_search_lessEbEEEE10hipError_tPvRmT1_T2_T3_mmT4_T5_P12ihipStream_tbEUlRKiE_EEST_SX_SY_mSZ_S12_bEUlT_E_NS1_11comp_targetILNS1_3genE3ELNS1_11target_archE908ELNS1_3gpuE7ELNS1_3repE0EEENS1_30default_config_static_selectorELNS0_4arch9wavefront6targetE0EEEvSW_ ; -- Begin function _ZN7rocprim17ROCPRIM_400000_NS6detail17trampoline_kernelINS0_14default_configENS1_27upper_bound_config_selectorIilEEZNS1_14transform_implILb0ES3_S5_N6thrust23THRUST_200600_302600_NS6detail15normal_iteratorINS8_7pointerIiNS8_11hip_rocprim5par_tENS8_11use_defaultESE_EEEENSA_INSB_IlSD_SE_SE_EEEEZNS1_13binary_searchIS3_S5_PiSG_SI_NS1_21upper_bound_search_opENS9_16wrapped_functionINS8_6system6detail7generic6detail18binary_search_lessEbEEEE10hipError_tPvRmT1_T2_T3_mmT4_T5_P12ihipStream_tbEUlRKiE_EEST_SX_SY_mSZ_S12_bEUlT_E_NS1_11comp_targetILNS1_3genE3ELNS1_11target_archE908ELNS1_3gpuE7ELNS1_3repE0EEENS1_30default_config_static_selectorELNS0_4arch9wavefront6targetE0EEEvSW_
	.globl	_ZN7rocprim17ROCPRIM_400000_NS6detail17trampoline_kernelINS0_14default_configENS1_27upper_bound_config_selectorIilEEZNS1_14transform_implILb0ES3_S5_N6thrust23THRUST_200600_302600_NS6detail15normal_iteratorINS8_7pointerIiNS8_11hip_rocprim5par_tENS8_11use_defaultESE_EEEENSA_INSB_IlSD_SE_SE_EEEEZNS1_13binary_searchIS3_S5_PiSG_SI_NS1_21upper_bound_search_opENS9_16wrapped_functionINS8_6system6detail7generic6detail18binary_search_lessEbEEEE10hipError_tPvRmT1_T2_T3_mmT4_T5_P12ihipStream_tbEUlRKiE_EEST_SX_SY_mSZ_S12_bEUlT_E_NS1_11comp_targetILNS1_3genE3ELNS1_11target_archE908ELNS1_3gpuE7ELNS1_3repE0EEENS1_30default_config_static_selectorELNS0_4arch9wavefront6targetE0EEEvSW_
	.p2align	8
	.type	_ZN7rocprim17ROCPRIM_400000_NS6detail17trampoline_kernelINS0_14default_configENS1_27upper_bound_config_selectorIilEEZNS1_14transform_implILb0ES3_S5_N6thrust23THRUST_200600_302600_NS6detail15normal_iteratorINS8_7pointerIiNS8_11hip_rocprim5par_tENS8_11use_defaultESE_EEEENSA_INSB_IlSD_SE_SE_EEEEZNS1_13binary_searchIS3_S5_PiSG_SI_NS1_21upper_bound_search_opENS9_16wrapped_functionINS8_6system6detail7generic6detail18binary_search_lessEbEEEE10hipError_tPvRmT1_T2_T3_mmT4_T5_P12ihipStream_tbEUlRKiE_EEST_SX_SY_mSZ_S12_bEUlT_E_NS1_11comp_targetILNS1_3genE3ELNS1_11target_archE908ELNS1_3gpuE7ELNS1_3repE0EEENS1_30default_config_static_selectorELNS0_4arch9wavefront6targetE0EEEvSW_,@function
_ZN7rocprim17ROCPRIM_400000_NS6detail17trampoline_kernelINS0_14default_configENS1_27upper_bound_config_selectorIilEEZNS1_14transform_implILb0ES3_S5_N6thrust23THRUST_200600_302600_NS6detail15normal_iteratorINS8_7pointerIiNS8_11hip_rocprim5par_tENS8_11use_defaultESE_EEEENSA_INSB_IlSD_SE_SE_EEEEZNS1_13binary_searchIS3_S5_PiSG_SI_NS1_21upper_bound_search_opENS9_16wrapped_functionINS8_6system6detail7generic6detail18binary_search_lessEbEEEE10hipError_tPvRmT1_T2_T3_mmT4_T5_P12ihipStream_tbEUlRKiE_EEST_SX_SY_mSZ_S12_bEUlT_E_NS1_11comp_targetILNS1_3genE3ELNS1_11target_archE908ELNS1_3gpuE7ELNS1_3repE0EEENS1_30default_config_static_selectorELNS0_4arch9wavefront6targetE0EEEvSW_: ; @_ZN7rocprim17ROCPRIM_400000_NS6detail17trampoline_kernelINS0_14default_configENS1_27upper_bound_config_selectorIilEEZNS1_14transform_implILb0ES3_S5_N6thrust23THRUST_200600_302600_NS6detail15normal_iteratorINS8_7pointerIiNS8_11hip_rocprim5par_tENS8_11use_defaultESE_EEEENSA_INSB_IlSD_SE_SE_EEEEZNS1_13binary_searchIS3_S5_PiSG_SI_NS1_21upper_bound_search_opENS9_16wrapped_functionINS8_6system6detail7generic6detail18binary_search_lessEbEEEE10hipError_tPvRmT1_T2_T3_mmT4_T5_P12ihipStream_tbEUlRKiE_EEST_SX_SY_mSZ_S12_bEUlT_E_NS1_11comp_targetILNS1_3genE3ELNS1_11target_archE908ELNS1_3gpuE7ELNS1_3repE0EEENS1_30default_config_static_selectorELNS0_4arch9wavefront6targetE0EEEvSW_
; %bb.0:
	.section	.rodata,"a",@progbits
	.p2align	6, 0x0
	.amdhsa_kernel _ZN7rocprim17ROCPRIM_400000_NS6detail17trampoline_kernelINS0_14default_configENS1_27upper_bound_config_selectorIilEEZNS1_14transform_implILb0ES3_S5_N6thrust23THRUST_200600_302600_NS6detail15normal_iteratorINS8_7pointerIiNS8_11hip_rocprim5par_tENS8_11use_defaultESE_EEEENSA_INSB_IlSD_SE_SE_EEEEZNS1_13binary_searchIS3_S5_PiSG_SI_NS1_21upper_bound_search_opENS9_16wrapped_functionINS8_6system6detail7generic6detail18binary_search_lessEbEEEE10hipError_tPvRmT1_T2_T3_mmT4_T5_P12ihipStream_tbEUlRKiE_EEST_SX_SY_mSZ_S12_bEUlT_E_NS1_11comp_targetILNS1_3genE3ELNS1_11target_archE908ELNS1_3gpuE7ELNS1_3repE0EEENS1_30default_config_static_selectorELNS0_4arch9wavefront6targetE0EEEvSW_
		.amdhsa_group_segment_fixed_size 0
		.amdhsa_private_segment_fixed_size 0
		.amdhsa_kernarg_size 56
		.amdhsa_user_sgpr_count 6
		.amdhsa_user_sgpr_private_segment_buffer 1
		.amdhsa_user_sgpr_dispatch_ptr 0
		.amdhsa_user_sgpr_queue_ptr 0
		.amdhsa_user_sgpr_kernarg_segment_ptr 1
		.amdhsa_user_sgpr_dispatch_id 0
		.amdhsa_user_sgpr_flat_scratch_init 0
		.amdhsa_user_sgpr_private_segment_size 0
		.amdhsa_wavefront_size32 1
		.amdhsa_uses_dynamic_stack 0
		.amdhsa_system_sgpr_private_segment_wavefront_offset 0
		.amdhsa_system_sgpr_workgroup_id_x 1
		.amdhsa_system_sgpr_workgroup_id_y 0
		.amdhsa_system_sgpr_workgroup_id_z 0
		.amdhsa_system_sgpr_workgroup_info 0
		.amdhsa_system_vgpr_workitem_id 0
		.amdhsa_next_free_vgpr 1
		.amdhsa_next_free_sgpr 1
		.amdhsa_reserve_vcc 0
		.amdhsa_reserve_flat_scratch 0
		.amdhsa_float_round_mode_32 0
		.amdhsa_float_round_mode_16_64 0
		.amdhsa_float_denorm_mode_32 3
		.amdhsa_float_denorm_mode_16_64 3
		.amdhsa_dx10_clamp 1
		.amdhsa_ieee_mode 1
		.amdhsa_fp16_overflow 0
		.amdhsa_workgroup_processor_mode 1
		.amdhsa_memory_ordered 1
		.amdhsa_forward_progress 1
		.amdhsa_shared_vgpr_count 0
		.amdhsa_exception_fp_ieee_invalid_op 0
		.amdhsa_exception_fp_denorm_src 0
		.amdhsa_exception_fp_ieee_div_zero 0
		.amdhsa_exception_fp_ieee_overflow 0
		.amdhsa_exception_fp_ieee_underflow 0
		.amdhsa_exception_fp_ieee_inexact 0
		.amdhsa_exception_int_div_zero 0
	.end_amdhsa_kernel
	.section	.text._ZN7rocprim17ROCPRIM_400000_NS6detail17trampoline_kernelINS0_14default_configENS1_27upper_bound_config_selectorIilEEZNS1_14transform_implILb0ES3_S5_N6thrust23THRUST_200600_302600_NS6detail15normal_iteratorINS8_7pointerIiNS8_11hip_rocprim5par_tENS8_11use_defaultESE_EEEENSA_INSB_IlSD_SE_SE_EEEEZNS1_13binary_searchIS3_S5_PiSG_SI_NS1_21upper_bound_search_opENS9_16wrapped_functionINS8_6system6detail7generic6detail18binary_search_lessEbEEEE10hipError_tPvRmT1_T2_T3_mmT4_T5_P12ihipStream_tbEUlRKiE_EEST_SX_SY_mSZ_S12_bEUlT_E_NS1_11comp_targetILNS1_3genE3ELNS1_11target_archE908ELNS1_3gpuE7ELNS1_3repE0EEENS1_30default_config_static_selectorELNS0_4arch9wavefront6targetE0EEEvSW_,"axG",@progbits,_ZN7rocprim17ROCPRIM_400000_NS6detail17trampoline_kernelINS0_14default_configENS1_27upper_bound_config_selectorIilEEZNS1_14transform_implILb0ES3_S5_N6thrust23THRUST_200600_302600_NS6detail15normal_iteratorINS8_7pointerIiNS8_11hip_rocprim5par_tENS8_11use_defaultESE_EEEENSA_INSB_IlSD_SE_SE_EEEEZNS1_13binary_searchIS3_S5_PiSG_SI_NS1_21upper_bound_search_opENS9_16wrapped_functionINS8_6system6detail7generic6detail18binary_search_lessEbEEEE10hipError_tPvRmT1_T2_T3_mmT4_T5_P12ihipStream_tbEUlRKiE_EEST_SX_SY_mSZ_S12_bEUlT_E_NS1_11comp_targetILNS1_3genE3ELNS1_11target_archE908ELNS1_3gpuE7ELNS1_3repE0EEENS1_30default_config_static_selectorELNS0_4arch9wavefront6targetE0EEEvSW_,comdat
.Lfunc_end225:
	.size	_ZN7rocprim17ROCPRIM_400000_NS6detail17trampoline_kernelINS0_14default_configENS1_27upper_bound_config_selectorIilEEZNS1_14transform_implILb0ES3_S5_N6thrust23THRUST_200600_302600_NS6detail15normal_iteratorINS8_7pointerIiNS8_11hip_rocprim5par_tENS8_11use_defaultESE_EEEENSA_INSB_IlSD_SE_SE_EEEEZNS1_13binary_searchIS3_S5_PiSG_SI_NS1_21upper_bound_search_opENS9_16wrapped_functionINS8_6system6detail7generic6detail18binary_search_lessEbEEEE10hipError_tPvRmT1_T2_T3_mmT4_T5_P12ihipStream_tbEUlRKiE_EEST_SX_SY_mSZ_S12_bEUlT_E_NS1_11comp_targetILNS1_3genE3ELNS1_11target_archE908ELNS1_3gpuE7ELNS1_3repE0EEENS1_30default_config_static_selectorELNS0_4arch9wavefront6targetE0EEEvSW_, .Lfunc_end225-_ZN7rocprim17ROCPRIM_400000_NS6detail17trampoline_kernelINS0_14default_configENS1_27upper_bound_config_selectorIilEEZNS1_14transform_implILb0ES3_S5_N6thrust23THRUST_200600_302600_NS6detail15normal_iteratorINS8_7pointerIiNS8_11hip_rocprim5par_tENS8_11use_defaultESE_EEEENSA_INSB_IlSD_SE_SE_EEEEZNS1_13binary_searchIS3_S5_PiSG_SI_NS1_21upper_bound_search_opENS9_16wrapped_functionINS8_6system6detail7generic6detail18binary_search_lessEbEEEE10hipError_tPvRmT1_T2_T3_mmT4_T5_P12ihipStream_tbEUlRKiE_EEST_SX_SY_mSZ_S12_bEUlT_E_NS1_11comp_targetILNS1_3genE3ELNS1_11target_archE908ELNS1_3gpuE7ELNS1_3repE0EEENS1_30default_config_static_selectorELNS0_4arch9wavefront6targetE0EEEvSW_
                                        ; -- End function
	.set _ZN7rocprim17ROCPRIM_400000_NS6detail17trampoline_kernelINS0_14default_configENS1_27upper_bound_config_selectorIilEEZNS1_14transform_implILb0ES3_S5_N6thrust23THRUST_200600_302600_NS6detail15normal_iteratorINS8_7pointerIiNS8_11hip_rocprim5par_tENS8_11use_defaultESE_EEEENSA_INSB_IlSD_SE_SE_EEEEZNS1_13binary_searchIS3_S5_PiSG_SI_NS1_21upper_bound_search_opENS9_16wrapped_functionINS8_6system6detail7generic6detail18binary_search_lessEbEEEE10hipError_tPvRmT1_T2_T3_mmT4_T5_P12ihipStream_tbEUlRKiE_EEST_SX_SY_mSZ_S12_bEUlT_E_NS1_11comp_targetILNS1_3genE3ELNS1_11target_archE908ELNS1_3gpuE7ELNS1_3repE0EEENS1_30default_config_static_selectorELNS0_4arch9wavefront6targetE0EEEvSW_.num_vgpr, 0
	.set _ZN7rocprim17ROCPRIM_400000_NS6detail17trampoline_kernelINS0_14default_configENS1_27upper_bound_config_selectorIilEEZNS1_14transform_implILb0ES3_S5_N6thrust23THRUST_200600_302600_NS6detail15normal_iteratorINS8_7pointerIiNS8_11hip_rocprim5par_tENS8_11use_defaultESE_EEEENSA_INSB_IlSD_SE_SE_EEEEZNS1_13binary_searchIS3_S5_PiSG_SI_NS1_21upper_bound_search_opENS9_16wrapped_functionINS8_6system6detail7generic6detail18binary_search_lessEbEEEE10hipError_tPvRmT1_T2_T3_mmT4_T5_P12ihipStream_tbEUlRKiE_EEST_SX_SY_mSZ_S12_bEUlT_E_NS1_11comp_targetILNS1_3genE3ELNS1_11target_archE908ELNS1_3gpuE7ELNS1_3repE0EEENS1_30default_config_static_selectorELNS0_4arch9wavefront6targetE0EEEvSW_.num_agpr, 0
	.set _ZN7rocprim17ROCPRIM_400000_NS6detail17trampoline_kernelINS0_14default_configENS1_27upper_bound_config_selectorIilEEZNS1_14transform_implILb0ES3_S5_N6thrust23THRUST_200600_302600_NS6detail15normal_iteratorINS8_7pointerIiNS8_11hip_rocprim5par_tENS8_11use_defaultESE_EEEENSA_INSB_IlSD_SE_SE_EEEEZNS1_13binary_searchIS3_S5_PiSG_SI_NS1_21upper_bound_search_opENS9_16wrapped_functionINS8_6system6detail7generic6detail18binary_search_lessEbEEEE10hipError_tPvRmT1_T2_T3_mmT4_T5_P12ihipStream_tbEUlRKiE_EEST_SX_SY_mSZ_S12_bEUlT_E_NS1_11comp_targetILNS1_3genE3ELNS1_11target_archE908ELNS1_3gpuE7ELNS1_3repE0EEENS1_30default_config_static_selectorELNS0_4arch9wavefront6targetE0EEEvSW_.numbered_sgpr, 0
	.set _ZN7rocprim17ROCPRIM_400000_NS6detail17trampoline_kernelINS0_14default_configENS1_27upper_bound_config_selectorIilEEZNS1_14transform_implILb0ES3_S5_N6thrust23THRUST_200600_302600_NS6detail15normal_iteratorINS8_7pointerIiNS8_11hip_rocprim5par_tENS8_11use_defaultESE_EEEENSA_INSB_IlSD_SE_SE_EEEEZNS1_13binary_searchIS3_S5_PiSG_SI_NS1_21upper_bound_search_opENS9_16wrapped_functionINS8_6system6detail7generic6detail18binary_search_lessEbEEEE10hipError_tPvRmT1_T2_T3_mmT4_T5_P12ihipStream_tbEUlRKiE_EEST_SX_SY_mSZ_S12_bEUlT_E_NS1_11comp_targetILNS1_3genE3ELNS1_11target_archE908ELNS1_3gpuE7ELNS1_3repE0EEENS1_30default_config_static_selectorELNS0_4arch9wavefront6targetE0EEEvSW_.num_named_barrier, 0
	.set _ZN7rocprim17ROCPRIM_400000_NS6detail17trampoline_kernelINS0_14default_configENS1_27upper_bound_config_selectorIilEEZNS1_14transform_implILb0ES3_S5_N6thrust23THRUST_200600_302600_NS6detail15normal_iteratorINS8_7pointerIiNS8_11hip_rocprim5par_tENS8_11use_defaultESE_EEEENSA_INSB_IlSD_SE_SE_EEEEZNS1_13binary_searchIS3_S5_PiSG_SI_NS1_21upper_bound_search_opENS9_16wrapped_functionINS8_6system6detail7generic6detail18binary_search_lessEbEEEE10hipError_tPvRmT1_T2_T3_mmT4_T5_P12ihipStream_tbEUlRKiE_EEST_SX_SY_mSZ_S12_bEUlT_E_NS1_11comp_targetILNS1_3genE3ELNS1_11target_archE908ELNS1_3gpuE7ELNS1_3repE0EEENS1_30default_config_static_selectorELNS0_4arch9wavefront6targetE0EEEvSW_.private_seg_size, 0
	.set _ZN7rocprim17ROCPRIM_400000_NS6detail17trampoline_kernelINS0_14default_configENS1_27upper_bound_config_selectorIilEEZNS1_14transform_implILb0ES3_S5_N6thrust23THRUST_200600_302600_NS6detail15normal_iteratorINS8_7pointerIiNS8_11hip_rocprim5par_tENS8_11use_defaultESE_EEEENSA_INSB_IlSD_SE_SE_EEEEZNS1_13binary_searchIS3_S5_PiSG_SI_NS1_21upper_bound_search_opENS9_16wrapped_functionINS8_6system6detail7generic6detail18binary_search_lessEbEEEE10hipError_tPvRmT1_T2_T3_mmT4_T5_P12ihipStream_tbEUlRKiE_EEST_SX_SY_mSZ_S12_bEUlT_E_NS1_11comp_targetILNS1_3genE3ELNS1_11target_archE908ELNS1_3gpuE7ELNS1_3repE0EEENS1_30default_config_static_selectorELNS0_4arch9wavefront6targetE0EEEvSW_.uses_vcc, 0
	.set _ZN7rocprim17ROCPRIM_400000_NS6detail17trampoline_kernelINS0_14default_configENS1_27upper_bound_config_selectorIilEEZNS1_14transform_implILb0ES3_S5_N6thrust23THRUST_200600_302600_NS6detail15normal_iteratorINS8_7pointerIiNS8_11hip_rocprim5par_tENS8_11use_defaultESE_EEEENSA_INSB_IlSD_SE_SE_EEEEZNS1_13binary_searchIS3_S5_PiSG_SI_NS1_21upper_bound_search_opENS9_16wrapped_functionINS8_6system6detail7generic6detail18binary_search_lessEbEEEE10hipError_tPvRmT1_T2_T3_mmT4_T5_P12ihipStream_tbEUlRKiE_EEST_SX_SY_mSZ_S12_bEUlT_E_NS1_11comp_targetILNS1_3genE3ELNS1_11target_archE908ELNS1_3gpuE7ELNS1_3repE0EEENS1_30default_config_static_selectorELNS0_4arch9wavefront6targetE0EEEvSW_.uses_flat_scratch, 0
	.set _ZN7rocprim17ROCPRIM_400000_NS6detail17trampoline_kernelINS0_14default_configENS1_27upper_bound_config_selectorIilEEZNS1_14transform_implILb0ES3_S5_N6thrust23THRUST_200600_302600_NS6detail15normal_iteratorINS8_7pointerIiNS8_11hip_rocprim5par_tENS8_11use_defaultESE_EEEENSA_INSB_IlSD_SE_SE_EEEEZNS1_13binary_searchIS3_S5_PiSG_SI_NS1_21upper_bound_search_opENS9_16wrapped_functionINS8_6system6detail7generic6detail18binary_search_lessEbEEEE10hipError_tPvRmT1_T2_T3_mmT4_T5_P12ihipStream_tbEUlRKiE_EEST_SX_SY_mSZ_S12_bEUlT_E_NS1_11comp_targetILNS1_3genE3ELNS1_11target_archE908ELNS1_3gpuE7ELNS1_3repE0EEENS1_30default_config_static_selectorELNS0_4arch9wavefront6targetE0EEEvSW_.has_dyn_sized_stack, 0
	.set _ZN7rocprim17ROCPRIM_400000_NS6detail17trampoline_kernelINS0_14default_configENS1_27upper_bound_config_selectorIilEEZNS1_14transform_implILb0ES3_S5_N6thrust23THRUST_200600_302600_NS6detail15normal_iteratorINS8_7pointerIiNS8_11hip_rocprim5par_tENS8_11use_defaultESE_EEEENSA_INSB_IlSD_SE_SE_EEEEZNS1_13binary_searchIS3_S5_PiSG_SI_NS1_21upper_bound_search_opENS9_16wrapped_functionINS8_6system6detail7generic6detail18binary_search_lessEbEEEE10hipError_tPvRmT1_T2_T3_mmT4_T5_P12ihipStream_tbEUlRKiE_EEST_SX_SY_mSZ_S12_bEUlT_E_NS1_11comp_targetILNS1_3genE3ELNS1_11target_archE908ELNS1_3gpuE7ELNS1_3repE0EEENS1_30default_config_static_selectorELNS0_4arch9wavefront6targetE0EEEvSW_.has_recursion, 0
	.set _ZN7rocprim17ROCPRIM_400000_NS6detail17trampoline_kernelINS0_14default_configENS1_27upper_bound_config_selectorIilEEZNS1_14transform_implILb0ES3_S5_N6thrust23THRUST_200600_302600_NS6detail15normal_iteratorINS8_7pointerIiNS8_11hip_rocprim5par_tENS8_11use_defaultESE_EEEENSA_INSB_IlSD_SE_SE_EEEEZNS1_13binary_searchIS3_S5_PiSG_SI_NS1_21upper_bound_search_opENS9_16wrapped_functionINS8_6system6detail7generic6detail18binary_search_lessEbEEEE10hipError_tPvRmT1_T2_T3_mmT4_T5_P12ihipStream_tbEUlRKiE_EEST_SX_SY_mSZ_S12_bEUlT_E_NS1_11comp_targetILNS1_3genE3ELNS1_11target_archE908ELNS1_3gpuE7ELNS1_3repE0EEENS1_30default_config_static_selectorELNS0_4arch9wavefront6targetE0EEEvSW_.has_indirect_call, 0
	.section	.AMDGPU.csdata,"",@progbits
; Kernel info:
; codeLenInByte = 0
; TotalNumSgprs: 0
; NumVgprs: 0
; ScratchSize: 0
; MemoryBound: 0
; FloatMode: 240
; IeeeMode: 1
; LDSByteSize: 0 bytes/workgroup (compile time only)
; SGPRBlocks: 0
; VGPRBlocks: 0
; NumSGPRsForWavesPerEU: 1
; NumVGPRsForWavesPerEU: 1
; Occupancy: 16
; WaveLimiterHint : 0
; COMPUTE_PGM_RSRC2:SCRATCH_EN: 0
; COMPUTE_PGM_RSRC2:USER_SGPR: 6
; COMPUTE_PGM_RSRC2:TRAP_HANDLER: 0
; COMPUTE_PGM_RSRC2:TGID_X_EN: 1
; COMPUTE_PGM_RSRC2:TGID_Y_EN: 0
; COMPUTE_PGM_RSRC2:TGID_Z_EN: 0
; COMPUTE_PGM_RSRC2:TIDIG_COMP_CNT: 0
	.section	.text._ZN7rocprim17ROCPRIM_400000_NS6detail17trampoline_kernelINS0_14default_configENS1_27upper_bound_config_selectorIilEEZNS1_14transform_implILb0ES3_S5_N6thrust23THRUST_200600_302600_NS6detail15normal_iteratorINS8_7pointerIiNS8_11hip_rocprim5par_tENS8_11use_defaultESE_EEEENSA_INSB_IlSD_SE_SE_EEEEZNS1_13binary_searchIS3_S5_PiSG_SI_NS1_21upper_bound_search_opENS9_16wrapped_functionINS8_6system6detail7generic6detail18binary_search_lessEbEEEE10hipError_tPvRmT1_T2_T3_mmT4_T5_P12ihipStream_tbEUlRKiE_EEST_SX_SY_mSZ_S12_bEUlT_E_NS1_11comp_targetILNS1_3genE2ELNS1_11target_archE906ELNS1_3gpuE6ELNS1_3repE0EEENS1_30default_config_static_selectorELNS0_4arch9wavefront6targetE0EEEvSW_,"axG",@progbits,_ZN7rocprim17ROCPRIM_400000_NS6detail17trampoline_kernelINS0_14default_configENS1_27upper_bound_config_selectorIilEEZNS1_14transform_implILb0ES3_S5_N6thrust23THRUST_200600_302600_NS6detail15normal_iteratorINS8_7pointerIiNS8_11hip_rocprim5par_tENS8_11use_defaultESE_EEEENSA_INSB_IlSD_SE_SE_EEEEZNS1_13binary_searchIS3_S5_PiSG_SI_NS1_21upper_bound_search_opENS9_16wrapped_functionINS8_6system6detail7generic6detail18binary_search_lessEbEEEE10hipError_tPvRmT1_T2_T3_mmT4_T5_P12ihipStream_tbEUlRKiE_EEST_SX_SY_mSZ_S12_bEUlT_E_NS1_11comp_targetILNS1_3genE2ELNS1_11target_archE906ELNS1_3gpuE6ELNS1_3repE0EEENS1_30default_config_static_selectorELNS0_4arch9wavefront6targetE0EEEvSW_,comdat
	.protected	_ZN7rocprim17ROCPRIM_400000_NS6detail17trampoline_kernelINS0_14default_configENS1_27upper_bound_config_selectorIilEEZNS1_14transform_implILb0ES3_S5_N6thrust23THRUST_200600_302600_NS6detail15normal_iteratorINS8_7pointerIiNS8_11hip_rocprim5par_tENS8_11use_defaultESE_EEEENSA_INSB_IlSD_SE_SE_EEEEZNS1_13binary_searchIS3_S5_PiSG_SI_NS1_21upper_bound_search_opENS9_16wrapped_functionINS8_6system6detail7generic6detail18binary_search_lessEbEEEE10hipError_tPvRmT1_T2_T3_mmT4_T5_P12ihipStream_tbEUlRKiE_EEST_SX_SY_mSZ_S12_bEUlT_E_NS1_11comp_targetILNS1_3genE2ELNS1_11target_archE906ELNS1_3gpuE6ELNS1_3repE0EEENS1_30default_config_static_selectorELNS0_4arch9wavefront6targetE0EEEvSW_ ; -- Begin function _ZN7rocprim17ROCPRIM_400000_NS6detail17trampoline_kernelINS0_14default_configENS1_27upper_bound_config_selectorIilEEZNS1_14transform_implILb0ES3_S5_N6thrust23THRUST_200600_302600_NS6detail15normal_iteratorINS8_7pointerIiNS8_11hip_rocprim5par_tENS8_11use_defaultESE_EEEENSA_INSB_IlSD_SE_SE_EEEEZNS1_13binary_searchIS3_S5_PiSG_SI_NS1_21upper_bound_search_opENS9_16wrapped_functionINS8_6system6detail7generic6detail18binary_search_lessEbEEEE10hipError_tPvRmT1_T2_T3_mmT4_T5_P12ihipStream_tbEUlRKiE_EEST_SX_SY_mSZ_S12_bEUlT_E_NS1_11comp_targetILNS1_3genE2ELNS1_11target_archE906ELNS1_3gpuE6ELNS1_3repE0EEENS1_30default_config_static_selectorELNS0_4arch9wavefront6targetE0EEEvSW_
	.globl	_ZN7rocprim17ROCPRIM_400000_NS6detail17trampoline_kernelINS0_14default_configENS1_27upper_bound_config_selectorIilEEZNS1_14transform_implILb0ES3_S5_N6thrust23THRUST_200600_302600_NS6detail15normal_iteratorINS8_7pointerIiNS8_11hip_rocprim5par_tENS8_11use_defaultESE_EEEENSA_INSB_IlSD_SE_SE_EEEEZNS1_13binary_searchIS3_S5_PiSG_SI_NS1_21upper_bound_search_opENS9_16wrapped_functionINS8_6system6detail7generic6detail18binary_search_lessEbEEEE10hipError_tPvRmT1_T2_T3_mmT4_T5_P12ihipStream_tbEUlRKiE_EEST_SX_SY_mSZ_S12_bEUlT_E_NS1_11comp_targetILNS1_3genE2ELNS1_11target_archE906ELNS1_3gpuE6ELNS1_3repE0EEENS1_30default_config_static_selectorELNS0_4arch9wavefront6targetE0EEEvSW_
	.p2align	8
	.type	_ZN7rocprim17ROCPRIM_400000_NS6detail17trampoline_kernelINS0_14default_configENS1_27upper_bound_config_selectorIilEEZNS1_14transform_implILb0ES3_S5_N6thrust23THRUST_200600_302600_NS6detail15normal_iteratorINS8_7pointerIiNS8_11hip_rocprim5par_tENS8_11use_defaultESE_EEEENSA_INSB_IlSD_SE_SE_EEEEZNS1_13binary_searchIS3_S5_PiSG_SI_NS1_21upper_bound_search_opENS9_16wrapped_functionINS8_6system6detail7generic6detail18binary_search_lessEbEEEE10hipError_tPvRmT1_T2_T3_mmT4_T5_P12ihipStream_tbEUlRKiE_EEST_SX_SY_mSZ_S12_bEUlT_E_NS1_11comp_targetILNS1_3genE2ELNS1_11target_archE906ELNS1_3gpuE6ELNS1_3repE0EEENS1_30default_config_static_selectorELNS0_4arch9wavefront6targetE0EEEvSW_,@function
_ZN7rocprim17ROCPRIM_400000_NS6detail17trampoline_kernelINS0_14default_configENS1_27upper_bound_config_selectorIilEEZNS1_14transform_implILb0ES3_S5_N6thrust23THRUST_200600_302600_NS6detail15normal_iteratorINS8_7pointerIiNS8_11hip_rocprim5par_tENS8_11use_defaultESE_EEEENSA_INSB_IlSD_SE_SE_EEEEZNS1_13binary_searchIS3_S5_PiSG_SI_NS1_21upper_bound_search_opENS9_16wrapped_functionINS8_6system6detail7generic6detail18binary_search_lessEbEEEE10hipError_tPvRmT1_T2_T3_mmT4_T5_P12ihipStream_tbEUlRKiE_EEST_SX_SY_mSZ_S12_bEUlT_E_NS1_11comp_targetILNS1_3genE2ELNS1_11target_archE906ELNS1_3gpuE6ELNS1_3repE0EEENS1_30default_config_static_selectorELNS0_4arch9wavefront6targetE0EEEvSW_: ; @_ZN7rocprim17ROCPRIM_400000_NS6detail17trampoline_kernelINS0_14default_configENS1_27upper_bound_config_selectorIilEEZNS1_14transform_implILb0ES3_S5_N6thrust23THRUST_200600_302600_NS6detail15normal_iteratorINS8_7pointerIiNS8_11hip_rocprim5par_tENS8_11use_defaultESE_EEEENSA_INSB_IlSD_SE_SE_EEEEZNS1_13binary_searchIS3_S5_PiSG_SI_NS1_21upper_bound_search_opENS9_16wrapped_functionINS8_6system6detail7generic6detail18binary_search_lessEbEEEE10hipError_tPvRmT1_T2_T3_mmT4_T5_P12ihipStream_tbEUlRKiE_EEST_SX_SY_mSZ_S12_bEUlT_E_NS1_11comp_targetILNS1_3genE2ELNS1_11target_archE906ELNS1_3gpuE6ELNS1_3repE0EEENS1_30default_config_static_selectorELNS0_4arch9wavefront6targetE0EEEvSW_
; %bb.0:
	.section	.rodata,"a",@progbits
	.p2align	6, 0x0
	.amdhsa_kernel _ZN7rocprim17ROCPRIM_400000_NS6detail17trampoline_kernelINS0_14default_configENS1_27upper_bound_config_selectorIilEEZNS1_14transform_implILb0ES3_S5_N6thrust23THRUST_200600_302600_NS6detail15normal_iteratorINS8_7pointerIiNS8_11hip_rocprim5par_tENS8_11use_defaultESE_EEEENSA_INSB_IlSD_SE_SE_EEEEZNS1_13binary_searchIS3_S5_PiSG_SI_NS1_21upper_bound_search_opENS9_16wrapped_functionINS8_6system6detail7generic6detail18binary_search_lessEbEEEE10hipError_tPvRmT1_T2_T3_mmT4_T5_P12ihipStream_tbEUlRKiE_EEST_SX_SY_mSZ_S12_bEUlT_E_NS1_11comp_targetILNS1_3genE2ELNS1_11target_archE906ELNS1_3gpuE6ELNS1_3repE0EEENS1_30default_config_static_selectorELNS0_4arch9wavefront6targetE0EEEvSW_
		.amdhsa_group_segment_fixed_size 0
		.amdhsa_private_segment_fixed_size 0
		.amdhsa_kernarg_size 56
		.amdhsa_user_sgpr_count 6
		.amdhsa_user_sgpr_private_segment_buffer 1
		.amdhsa_user_sgpr_dispatch_ptr 0
		.amdhsa_user_sgpr_queue_ptr 0
		.amdhsa_user_sgpr_kernarg_segment_ptr 1
		.amdhsa_user_sgpr_dispatch_id 0
		.amdhsa_user_sgpr_flat_scratch_init 0
		.amdhsa_user_sgpr_private_segment_size 0
		.amdhsa_wavefront_size32 1
		.amdhsa_uses_dynamic_stack 0
		.amdhsa_system_sgpr_private_segment_wavefront_offset 0
		.amdhsa_system_sgpr_workgroup_id_x 1
		.amdhsa_system_sgpr_workgroup_id_y 0
		.amdhsa_system_sgpr_workgroup_id_z 0
		.amdhsa_system_sgpr_workgroup_info 0
		.amdhsa_system_vgpr_workitem_id 0
		.amdhsa_next_free_vgpr 1
		.amdhsa_next_free_sgpr 1
		.amdhsa_reserve_vcc 0
		.amdhsa_reserve_flat_scratch 0
		.amdhsa_float_round_mode_32 0
		.amdhsa_float_round_mode_16_64 0
		.amdhsa_float_denorm_mode_32 3
		.amdhsa_float_denorm_mode_16_64 3
		.amdhsa_dx10_clamp 1
		.amdhsa_ieee_mode 1
		.amdhsa_fp16_overflow 0
		.amdhsa_workgroup_processor_mode 1
		.amdhsa_memory_ordered 1
		.amdhsa_forward_progress 1
		.amdhsa_shared_vgpr_count 0
		.amdhsa_exception_fp_ieee_invalid_op 0
		.amdhsa_exception_fp_denorm_src 0
		.amdhsa_exception_fp_ieee_div_zero 0
		.amdhsa_exception_fp_ieee_overflow 0
		.amdhsa_exception_fp_ieee_underflow 0
		.amdhsa_exception_fp_ieee_inexact 0
		.amdhsa_exception_int_div_zero 0
	.end_amdhsa_kernel
	.section	.text._ZN7rocprim17ROCPRIM_400000_NS6detail17trampoline_kernelINS0_14default_configENS1_27upper_bound_config_selectorIilEEZNS1_14transform_implILb0ES3_S5_N6thrust23THRUST_200600_302600_NS6detail15normal_iteratorINS8_7pointerIiNS8_11hip_rocprim5par_tENS8_11use_defaultESE_EEEENSA_INSB_IlSD_SE_SE_EEEEZNS1_13binary_searchIS3_S5_PiSG_SI_NS1_21upper_bound_search_opENS9_16wrapped_functionINS8_6system6detail7generic6detail18binary_search_lessEbEEEE10hipError_tPvRmT1_T2_T3_mmT4_T5_P12ihipStream_tbEUlRKiE_EEST_SX_SY_mSZ_S12_bEUlT_E_NS1_11comp_targetILNS1_3genE2ELNS1_11target_archE906ELNS1_3gpuE6ELNS1_3repE0EEENS1_30default_config_static_selectorELNS0_4arch9wavefront6targetE0EEEvSW_,"axG",@progbits,_ZN7rocprim17ROCPRIM_400000_NS6detail17trampoline_kernelINS0_14default_configENS1_27upper_bound_config_selectorIilEEZNS1_14transform_implILb0ES3_S5_N6thrust23THRUST_200600_302600_NS6detail15normal_iteratorINS8_7pointerIiNS8_11hip_rocprim5par_tENS8_11use_defaultESE_EEEENSA_INSB_IlSD_SE_SE_EEEEZNS1_13binary_searchIS3_S5_PiSG_SI_NS1_21upper_bound_search_opENS9_16wrapped_functionINS8_6system6detail7generic6detail18binary_search_lessEbEEEE10hipError_tPvRmT1_T2_T3_mmT4_T5_P12ihipStream_tbEUlRKiE_EEST_SX_SY_mSZ_S12_bEUlT_E_NS1_11comp_targetILNS1_3genE2ELNS1_11target_archE906ELNS1_3gpuE6ELNS1_3repE0EEENS1_30default_config_static_selectorELNS0_4arch9wavefront6targetE0EEEvSW_,comdat
.Lfunc_end226:
	.size	_ZN7rocprim17ROCPRIM_400000_NS6detail17trampoline_kernelINS0_14default_configENS1_27upper_bound_config_selectorIilEEZNS1_14transform_implILb0ES3_S5_N6thrust23THRUST_200600_302600_NS6detail15normal_iteratorINS8_7pointerIiNS8_11hip_rocprim5par_tENS8_11use_defaultESE_EEEENSA_INSB_IlSD_SE_SE_EEEEZNS1_13binary_searchIS3_S5_PiSG_SI_NS1_21upper_bound_search_opENS9_16wrapped_functionINS8_6system6detail7generic6detail18binary_search_lessEbEEEE10hipError_tPvRmT1_T2_T3_mmT4_T5_P12ihipStream_tbEUlRKiE_EEST_SX_SY_mSZ_S12_bEUlT_E_NS1_11comp_targetILNS1_3genE2ELNS1_11target_archE906ELNS1_3gpuE6ELNS1_3repE0EEENS1_30default_config_static_selectorELNS0_4arch9wavefront6targetE0EEEvSW_, .Lfunc_end226-_ZN7rocprim17ROCPRIM_400000_NS6detail17trampoline_kernelINS0_14default_configENS1_27upper_bound_config_selectorIilEEZNS1_14transform_implILb0ES3_S5_N6thrust23THRUST_200600_302600_NS6detail15normal_iteratorINS8_7pointerIiNS8_11hip_rocprim5par_tENS8_11use_defaultESE_EEEENSA_INSB_IlSD_SE_SE_EEEEZNS1_13binary_searchIS3_S5_PiSG_SI_NS1_21upper_bound_search_opENS9_16wrapped_functionINS8_6system6detail7generic6detail18binary_search_lessEbEEEE10hipError_tPvRmT1_T2_T3_mmT4_T5_P12ihipStream_tbEUlRKiE_EEST_SX_SY_mSZ_S12_bEUlT_E_NS1_11comp_targetILNS1_3genE2ELNS1_11target_archE906ELNS1_3gpuE6ELNS1_3repE0EEENS1_30default_config_static_selectorELNS0_4arch9wavefront6targetE0EEEvSW_
                                        ; -- End function
	.set _ZN7rocprim17ROCPRIM_400000_NS6detail17trampoline_kernelINS0_14default_configENS1_27upper_bound_config_selectorIilEEZNS1_14transform_implILb0ES3_S5_N6thrust23THRUST_200600_302600_NS6detail15normal_iteratorINS8_7pointerIiNS8_11hip_rocprim5par_tENS8_11use_defaultESE_EEEENSA_INSB_IlSD_SE_SE_EEEEZNS1_13binary_searchIS3_S5_PiSG_SI_NS1_21upper_bound_search_opENS9_16wrapped_functionINS8_6system6detail7generic6detail18binary_search_lessEbEEEE10hipError_tPvRmT1_T2_T3_mmT4_T5_P12ihipStream_tbEUlRKiE_EEST_SX_SY_mSZ_S12_bEUlT_E_NS1_11comp_targetILNS1_3genE2ELNS1_11target_archE906ELNS1_3gpuE6ELNS1_3repE0EEENS1_30default_config_static_selectorELNS0_4arch9wavefront6targetE0EEEvSW_.num_vgpr, 0
	.set _ZN7rocprim17ROCPRIM_400000_NS6detail17trampoline_kernelINS0_14default_configENS1_27upper_bound_config_selectorIilEEZNS1_14transform_implILb0ES3_S5_N6thrust23THRUST_200600_302600_NS6detail15normal_iteratorINS8_7pointerIiNS8_11hip_rocprim5par_tENS8_11use_defaultESE_EEEENSA_INSB_IlSD_SE_SE_EEEEZNS1_13binary_searchIS3_S5_PiSG_SI_NS1_21upper_bound_search_opENS9_16wrapped_functionINS8_6system6detail7generic6detail18binary_search_lessEbEEEE10hipError_tPvRmT1_T2_T3_mmT4_T5_P12ihipStream_tbEUlRKiE_EEST_SX_SY_mSZ_S12_bEUlT_E_NS1_11comp_targetILNS1_3genE2ELNS1_11target_archE906ELNS1_3gpuE6ELNS1_3repE0EEENS1_30default_config_static_selectorELNS0_4arch9wavefront6targetE0EEEvSW_.num_agpr, 0
	.set _ZN7rocprim17ROCPRIM_400000_NS6detail17trampoline_kernelINS0_14default_configENS1_27upper_bound_config_selectorIilEEZNS1_14transform_implILb0ES3_S5_N6thrust23THRUST_200600_302600_NS6detail15normal_iteratorINS8_7pointerIiNS8_11hip_rocprim5par_tENS8_11use_defaultESE_EEEENSA_INSB_IlSD_SE_SE_EEEEZNS1_13binary_searchIS3_S5_PiSG_SI_NS1_21upper_bound_search_opENS9_16wrapped_functionINS8_6system6detail7generic6detail18binary_search_lessEbEEEE10hipError_tPvRmT1_T2_T3_mmT4_T5_P12ihipStream_tbEUlRKiE_EEST_SX_SY_mSZ_S12_bEUlT_E_NS1_11comp_targetILNS1_3genE2ELNS1_11target_archE906ELNS1_3gpuE6ELNS1_3repE0EEENS1_30default_config_static_selectorELNS0_4arch9wavefront6targetE0EEEvSW_.numbered_sgpr, 0
	.set _ZN7rocprim17ROCPRIM_400000_NS6detail17trampoline_kernelINS0_14default_configENS1_27upper_bound_config_selectorIilEEZNS1_14transform_implILb0ES3_S5_N6thrust23THRUST_200600_302600_NS6detail15normal_iteratorINS8_7pointerIiNS8_11hip_rocprim5par_tENS8_11use_defaultESE_EEEENSA_INSB_IlSD_SE_SE_EEEEZNS1_13binary_searchIS3_S5_PiSG_SI_NS1_21upper_bound_search_opENS9_16wrapped_functionINS8_6system6detail7generic6detail18binary_search_lessEbEEEE10hipError_tPvRmT1_T2_T3_mmT4_T5_P12ihipStream_tbEUlRKiE_EEST_SX_SY_mSZ_S12_bEUlT_E_NS1_11comp_targetILNS1_3genE2ELNS1_11target_archE906ELNS1_3gpuE6ELNS1_3repE0EEENS1_30default_config_static_selectorELNS0_4arch9wavefront6targetE0EEEvSW_.num_named_barrier, 0
	.set _ZN7rocprim17ROCPRIM_400000_NS6detail17trampoline_kernelINS0_14default_configENS1_27upper_bound_config_selectorIilEEZNS1_14transform_implILb0ES3_S5_N6thrust23THRUST_200600_302600_NS6detail15normal_iteratorINS8_7pointerIiNS8_11hip_rocprim5par_tENS8_11use_defaultESE_EEEENSA_INSB_IlSD_SE_SE_EEEEZNS1_13binary_searchIS3_S5_PiSG_SI_NS1_21upper_bound_search_opENS9_16wrapped_functionINS8_6system6detail7generic6detail18binary_search_lessEbEEEE10hipError_tPvRmT1_T2_T3_mmT4_T5_P12ihipStream_tbEUlRKiE_EEST_SX_SY_mSZ_S12_bEUlT_E_NS1_11comp_targetILNS1_3genE2ELNS1_11target_archE906ELNS1_3gpuE6ELNS1_3repE0EEENS1_30default_config_static_selectorELNS0_4arch9wavefront6targetE0EEEvSW_.private_seg_size, 0
	.set _ZN7rocprim17ROCPRIM_400000_NS6detail17trampoline_kernelINS0_14default_configENS1_27upper_bound_config_selectorIilEEZNS1_14transform_implILb0ES3_S5_N6thrust23THRUST_200600_302600_NS6detail15normal_iteratorINS8_7pointerIiNS8_11hip_rocprim5par_tENS8_11use_defaultESE_EEEENSA_INSB_IlSD_SE_SE_EEEEZNS1_13binary_searchIS3_S5_PiSG_SI_NS1_21upper_bound_search_opENS9_16wrapped_functionINS8_6system6detail7generic6detail18binary_search_lessEbEEEE10hipError_tPvRmT1_T2_T3_mmT4_T5_P12ihipStream_tbEUlRKiE_EEST_SX_SY_mSZ_S12_bEUlT_E_NS1_11comp_targetILNS1_3genE2ELNS1_11target_archE906ELNS1_3gpuE6ELNS1_3repE0EEENS1_30default_config_static_selectorELNS0_4arch9wavefront6targetE0EEEvSW_.uses_vcc, 0
	.set _ZN7rocprim17ROCPRIM_400000_NS6detail17trampoline_kernelINS0_14default_configENS1_27upper_bound_config_selectorIilEEZNS1_14transform_implILb0ES3_S5_N6thrust23THRUST_200600_302600_NS6detail15normal_iteratorINS8_7pointerIiNS8_11hip_rocprim5par_tENS8_11use_defaultESE_EEEENSA_INSB_IlSD_SE_SE_EEEEZNS1_13binary_searchIS3_S5_PiSG_SI_NS1_21upper_bound_search_opENS9_16wrapped_functionINS8_6system6detail7generic6detail18binary_search_lessEbEEEE10hipError_tPvRmT1_T2_T3_mmT4_T5_P12ihipStream_tbEUlRKiE_EEST_SX_SY_mSZ_S12_bEUlT_E_NS1_11comp_targetILNS1_3genE2ELNS1_11target_archE906ELNS1_3gpuE6ELNS1_3repE0EEENS1_30default_config_static_selectorELNS0_4arch9wavefront6targetE0EEEvSW_.uses_flat_scratch, 0
	.set _ZN7rocprim17ROCPRIM_400000_NS6detail17trampoline_kernelINS0_14default_configENS1_27upper_bound_config_selectorIilEEZNS1_14transform_implILb0ES3_S5_N6thrust23THRUST_200600_302600_NS6detail15normal_iteratorINS8_7pointerIiNS8_11hip_rocprim5par_tENS8_11use_defaultESE_EEEENSA_INSB_IlSD_SE_SE_EEEEZNS1_13binary_searchIS3_S5_PiSG_SI_NS1_21upper_bound_search_opENS9_16wrapped_functionINS8_6system6detail7generic6detail18binary_search_lessEbEEEE10hipError_tPvRmT1_T2_T3_mmT4_T5_P12ihipStream_tbEUlRKiE_EEST_SX_SY_mSZ_S12_bEUlT_E_NS1_11comp_targetILNS1_3genE2ELNS1_11target_archE906ELNS1_3gpuE6ELNS1_3repE0EEENS1_30default_config_static_selectorELNS0_4arch9wavefront6targetE0EEEvSW_.has_dyn_sized_stack, 0
	.set _ZN7rocprim17ROCPRIM_400000_NS6detail17trampoline_kernelINS0_14default_configENS1_27upper_bound_config_selectorIilEEZNS1_14transform_implILb0ES3_S5_N6thrust23THRUST_200600_302600_NS6detail15normal_iteratorINS8_7pointerIiNS8_11hip_rocprim5par_tENS8_11use_defaultESE_EEEENSA_INSB_IlSD_SE_SE_EEEEZNS1_13binary_searchIS3_S5_PiSG_SI_NS1_21upper_bound_search_opENS9_16wrapped_functionINS8_6system6detail7generic6detail18binary_search_lessEbEEEE10hipError_tPvRmT1_T2_T3_mmT4_T5_P12ihipStream_tbEUlRKiE_EEST_SX_SY_mSZ_S12_bEUlT_E_NS1_11comp_targetILNS1_3genE2ELNS1_11target_archE906ELNS1_3gpuE6ELNS1_3repE0EEENS1_30default_config_static_selectorELNS0_4arch9wavefront6targetE0EEEvSW_.has_recursion, 0
	.set _ZN7rocprim17ROCPRIM_400000_NS6detail17trampoline_kernelINS0_14default_configENS1_27upper_bound_config_selectorIilEEZNS1_14transform_implILb0ES3_S5_N6thrust23THRUST_200600_302600_NS6detail15normal_iteratorINS8_7pointerIiNS8_11hip_rocprim5par_tENS8_11use_defaultESE_EEEENSA_INSB_IlSD_SE_SE_EEEEZNS1_13binary_searchIS3_S5_PiSG_SI_NS1_21upper_bound_search_opENS9_16wrapped_functionINS8_6system6detail7generic6detail18binary_search_lessEbEEEE10hipError_tPvRmT1_T2_T3_mmT4_T5_P12ihipStream_tbEUlRKiE_EEST_SX_SY_mSZ_S12_bEUlT_E_NS1_11comp_targetILNS1_3genE2ELNS1_11target_archE906ELNS1_3gpuE6ELNS1_3repE0EEENS1_30default_config_static_selectorELNS0_4arch9wavefront6targetE0EEEvSW_.has_indirect_call, 0
	.section	.AMDGPU.csdata,"",@progbits
; Kernel info:
; codeLenInByte = 0
; TotalNumSgprs: 0
; NumVgprs: 0
; ScratchSize: 0
; MemoryBound: 0
; FloatMode: 240
; IeeeMode: 1
; LDSByteSize: 0 bytes/workgroup (compile time only)
; SGPRBlocks: 0
; VGPRBlocks: 0
; NumSGPRsForWavesPerEU: 1
; NumVGPRsForWavesPerEU: 1
; Occupancy: 16
; WaveLimiterHint : 0
; COMPUTE_PGM_RSRC2:SCRATCH_EN: 0
; COMPUTE_PGM_RSRC2:USER_SGPR: 6
; COMPUTE_PGM_RSRC2:TRAP_HANDLER: 0
; COMPUTE_PGM_RSRC2:TGID_X_EN: 1
; COMPUTE_PGM_RSRC2:TGID_Y_EN: 0
; COMPUTE_PGM_RSRC2:TGID_Z_EN: 0
; COMPUTE_PGM_RSRC2:TIDIG_COMP_CNT: 0
	.section	.text._ZN7rocprim17ROCPRIM_400000_NS6detail17trampoline_kernelINS0_14default_configENS1_27upper_bound_config_selectorIilEEZNS1_14transform_implILb0ES3_S5_N6thrust23THRUST_200600_302600_NS6detail15normal_iteratorINS8_7pointerIiNS8_11hip_rocprim5par_tENS8_11use_defaultESE_EEEENSA_INSB_IlSD_SE_SE_EEEEZNS1_13binary_searchIS3_S5_PiSG_SI_NS1_21upper_bound_search_opENS9_16wrapped_functionINS8_6system6detail7generic6detail18binary_search_lessEbEEEE10hipError_tPvRmT1_T2_T3_mmT4_T5_P12ihipStream_tbEUlRKiE_EEST_SX_SY_mSZ_S12_bEUlT_E_NS1_11comp_targetILNS1_3genE10ELNS1_11target_archE1201ELNS1_3gpuE5ELNS1_3repE0EEENS1_30default_config_static_selectorELNS0_4arch9wavefront6targetE0EEEvSW_,"axG",@progbits,_ZN7rocprim17ROCPRIM_400000_NS6detail17trampoline_kernelINS0_14default_configENS1_27upper_bound_config_selectorIilEEZNS1_14transform_implILb0ES3_S5_N6thrust23THRUST_200600_302600_NS6detail15normal_iteratorINS8_7pointerIiNS8_11hip_rocprim5par_tENS8_11use_defaultESE_EEEENSA_INSB_IlSD_SE_SE_EEEEZNS1_13binary_searchIS3_S5_PiSG_SI_NS1_21upper_bound_search_opENS9_16wrapped_functionINS8_6system6detail7generic6detail18binary_search_lessEbEEEE10hipError_tPvRmT1_T2_T3_mmT4_T5_P12ihipStream_tbEUlRKiE_EEST_SX_SY_mSZ_S12_bEUlT_E_NS1_11comp_targetILNS1_3genE10ELNS1_11target_archE1201ELNS1_3gpuE5ELNS1_3repE0EEENS1_30default_config_static_selectorELNS0_4arch9wavefront6targetE0EEEvSW_,comdat
	.protected	_ZN7rocprim17ROCPRIM_400000_NS6detail17trampoline_kernelINS0_14default_configENS1_27upper_bound_config_selectorIilEEZNS1_14transform_implILb0ES3_S5_N6thrust23THRUST_200600_302600_NS6detail15normal_iteratorINS8_7pointerIiNS8_11hip_rocprim5par_tENS8_11use_defaultESE_EEEENSA_INSB_IlSD_SE_SE_EEEEZNS1_13binary_searchIS3_S5_PiSG_SI_NS1_21upper_bound_search_opENS9_16wrapped_functionINS8_6system6detail7generic6detail18binary_search_lessEbEEEE10hipError_tPvRmT1_T2_T3_mmT4_T5_P12ihipStream_tbEUlRKiE_EEST_SX_SY_mSZ_S12_bEUlT_E_NS1_11comp_targetILNS1_3genE10ELNS1_11target_archE1201ELNS1_3gpuE5ELNS1_3repE0EEENS1_30default_config_static_selectorELNS0_4arch9wavefront6targetE0EEEvSW_ ; -- Begin function _ZN7rocprim17ROCPRIM_400000_NS6detail17trampoline_kernelINS0_14default_configENS1_27upper_bound_config_selectorIilEEZNS1_14transform_implILb0ES3_S5_N6thrust23THRUST_200600_302600_NS6detail15normal_iteratorINS8_7pointerIiNS8_11hip_rocprim5par_tENS8_11use_defaultESE_EEEENSA_INSB_IlSD_SE_SE_EEEEZNS1_13binary_searchIS3_S5_PiSG_SI_NS1_21upper_bound_search_opENS9_16wrapped_functionINS8_6system6detail7generic6detail18binary_search_lessEbEEEE10hipError_tPvRmT1_T2_T3_mmT4_T5_P12ihipStream_tbEUlRKiE_EEST_SX_SY_mSZ_S12_bEUlT_E_NS1_11comp_targetILNS1_3genE10ELNS1_11target_archE1201ELNS1_3gpuE5ELNS1_3repE0EEENS1_30default_config_static_selectorELNS0_4arch9wavefront6targetE0EEEvSW_
	.globl	_ZN7rocprim17ROCPRIM_400000_NS6detail17trampoline_kernelINS0_14default_configENS1_27upper_bound_config_selectorIilEEZNS1_14transform_implILb0ES3_S5_N6thrust23THRUST_200600_302600_NS6detail15normal_iteratorINS8_7pointerIiNS8_11hip_rocprim5par_tENS8_11use_defaultESE_EEEENSA_INSB_IlSD_SE_SE_EEEEZNS1_13binary_searchIS3_S5_PiSG_SI_NS1_21upper_bound_search_opENS9_16wrapped_functionINS8_6system6detail7generic6detail18binary_search_lessEbEEEE10hipError_tPvRmT1_T2_T3_mmT4_T5_P12ihipStream_tbEUlRKiE_EEST_SX_SY_mSZ_S12_bEUlT_E_NS1_11comp_targetILNS1_3genE10ELNS1_11target_archE1201ELNS1_3gpuE5ELNS1_3repE0EEENS1_30default_config_static_selectorELNS0_4arch9wavefront6targetE0EEEvSW_
	.p2align	8
	.type	_ZN7rocprim17ROCPRIM_400000_NS6detail17trampoline_kernelINS0_14default_configENS1_27upper_bound_config_selectorIilEEZNS1_14transform_implILb0ES3_S5_N6thrust23THRUST_200600_302600_NS6detail15normal_iteratorINS8_7pointerIiNS8_11hip_rocprim5par_tENS8_11use_defaultESE_EEEENSA_INSB_IlSD_SE_SE_EEEEZNS1_13binary_searchIS3_S5_PiSG_SI_NS1_21upper_bound_search_opENS9_16wrapped_functionINS8_6system6detail7generic6detail18binary_search_lessEbEEEE10hipError_tPvRmT1_T2_T3_mmT4_T5_P12ihipStream_tbEUlRKiE_EEST_SX_SY_mSZ_S12_bEUlT_E_NS1_11comp_targetILNS1_3genE10ELNS1_11target_archE1201ELNS1_3gpuE5ELNS1_3repE0EEENS1_30default_config_static_selectorELNS0_4arch9wavefront6targetE0EEEvSW_,@function
_ZN7rocprim17ROCPRIM_400000_NS6detail17trampoline_kernelINS0_14default_configENS1_27upper_bound_config_selectorIilEEZNS1_14transform_implILb0ES3_S5_N6thrust23THRUST_200600_302600_NS6detail15normal_iteratorINS8_7pointerIiNS8_11hip_rocprim5par_tENS8_11use_defaultESE_EEEENSA_INSB_IlSD_SE_SE_EEEEZNS1_13binary_searchIS3_S5_PiSG_SI_NS1_21upper_bound_search_opENS9_16wrapped_functionINS8_6system6detail7generic6detail18binary_search_lessEbEEEE10hipError_tPvRmT1_T2_T3_mmT4_T5_P12ihipStream_tbEUlRKiE_EEST_SX_SY_mSZ_S12_bEUlT_E_NS1_11comp_targetILNS1_3genE10ELNS1_11target_archE1201ELNS1_3gpuE5ELNS1_3repE0EEENS1_30default_config_static_selectorELNS0_4arch9wavefront6targetE0EEEvSW_: ; @_ZN7rocprim17ROCPRIM_400000_NS6detail17trampoline_kernelINS0_14default_configENS1_27upper_bound_config_selectorIilEEZNS1_14transform_implILb0ES3_S5_N6thrust23THRUST_200600_302600_NS6detail15normal_iteratorINS8_7pointerIiNS8_11hip_rocprim5par_tENS8_11use_defaultESE_EEEENSA_INSB_IlSD_SE_SE_EEEEZNS1_13binary_searchIS3_S5_PiSG_SI_NS1_21upper_bound_search_opENS9_16wrapped_functionINS8_6system6detail7generic6detail18binary_search_lessEbEEEE10hipError_tPvRmT1_T2_T3_mmT4_T5_P12ihipStream_tbEUlRKiE_EEST_SX_SY_mSZ_S12_bEUlT_E_NS1_11comp_targetILNS1_3genE10ELNS1_11target_archE1201ELNS1_3gpuE5ELNS1_3repE0EEENS1_30default_config_static_selectorELNS0_4arch9wavefront6targetE0EEEvSW_
; %bb.0:
	.section	.rodata,"a",@progbits
	.p2align	6, 0x0
	.amdhsa_kernel _ZN7rocprim17ROCPRIM_400000_NS6detail17trampoline_kernelINS0_14default_configENS1_27upper_bound_config_selectorIilEEZNS1_14transform_implILb0ES3_S5_N6thrust23THRUST_200600_302600_NS6detail15normal_iteratorINS8_7pointerIiNS8_11hip_rocprim5par_tENS8_11use_defaultESE_EEEENSA_INSB_IlSD_SE_SE_EEEEZNS1_13binary_searchIS3_S5_PiSG_SI_NS1_21upper_bound_search_opENS9_16wrapped_functionINS8_6system6detail7generic6detail18binary_search_lessEbEEEE10hipError_tPvRmT1_T2_T3_mmT4_T5_P12ihipStream_tbEUlRKiE_EEST_SX_SY_mSZ_S12_bEUlT_E_NS1_11comp_targetILNS1_3genE10ELNS1_11target_archE1201ELNS1_3gpuE5ELNS1_3repE0EEENS1_30default_config_static_selectorELNS0_4arch9wavefront6targetE0EEEvSW_
		.amdhsa_group_segment_fixed_size 0
		.amdhsa_private_segment_fixed_size 0
		.amdhsa_kernarg_size 56
		.amdhsa_user_sgpr_count 6
		.amdhsa_user_sgpr_private_segment_buffer 1
		.amdhsa_user_sgpr_dispatch_ptr 0
		.amdhsa_user_sgpr_queue_ptr 0
		.amdhsa_user_sgpr_kernarg_segment_ptr 1
		.amdhsa_user_sgpr_dispatch_id 0
		.amdhsa_user_sgpr_flat_scratch_init 0
		.amdhsa_user_sgpr_private_segment_size 0
		.amdhsa_wavefront_size32 1
		.amdhsa_uses_dynamic_stack 0
		.amdhsa_system_sgpr_private_segment_wavefront_offset 0
		.amdhsa_system_sgpr_workgroup_id_x 1
		.amdhsa_system_sgpr_workgroup_id_y 0
		.amdhsa_system_sgpr_workgroup_id_z 0
		.amdhsa_system_sgpr_workgroup_info 0
		.amdhsa_system_vgpr_workitem_id 0
		.amdhsa_next_free_vgpr 1
		.amdhsa_next_free_sgpr 1
		.amdhsa_reserve_vcc 0
		.amdhsa_reserve_flat_scratch 0
		.amdhsa_float_round_mode_32 0
		.amdhsa_float_round_mode_16_64 0
		.amdhsa_float_denorm_mode_32 3
		.amdhsa_float_denorm_mode_16_64 3
		.amdhsa_dx10_clamp 1
		.amdhsa_ieee_mode 1
		.amdhsa_fp16_overflow 0
		.amdhsa_workgroup_processor_mode 1
		.amdhsa_memory_ordered 1
		.amdhsa_forward_progress 1
		.amdhsa_shared_vgpr_count 0
		.amdhsa_exception_fp_ieee_invalid_op 0
		.amdhsa_exception_fp_denorm_src 0
		.amdhsa_exception_fp_ieee_div_zero 0
		.amdhsa_exception_fp_ieee_overflow 0
		.amdhsa_exception_fp_ieee_underflow 0
		.amdhsa_exception_fp_ieee_inexact 0
		.amdhsa_exception_int_div_zero 0
	.end_amdhsa_kernel
	.section	.text._ZN7rocprim17ROCPRIM_400000_NS6detail17trampoline_kernelINS0_14default_configENS1_27upper_bound_config_selectorIilEEZNS1_14transform_implILb0ES3_S5_N6thrust23THRUST_200600_302600_NS6detail15normal_iteratorINS8_7pointerIiNS8_11hip_rocprim5par_tENS8_11use_defaultESE_EEEENSA_INSB_IlSD_SE_SE_EEEEZNS1_13binary_searchIS3_S5_PiSG_SI_NS1_21upper_bound_search_opENS9_16wrapped_functionINS8_6system6detail7generic6detail18binary_search_lessEbEEEE10hipError_tPvRmT1_T2_T3_mmT4_T5_P12ihipStream_tbEUlRKiE_EEST_SX_SY_mSZ_S12_bEUlT_E_NS1_11comp_targetILNS1_3genE10ELNS1_11target_archE1201ELNS1_3gpuE5ELNS1_3repE0EEENS1_30default_config_static_selectorELNS0_4arch9wavefront6targetE0EEEvSW_,"axG",@progbits,_ZN7rocprim17ROCPRIM_400000_NS6detail17trampoline_kernelINS0_14default_configENS1_27upper_bound_config_selectorIilEEZNS1_14transform_implILb0ES3_S5_N6thrust23THRUST_200600_302600_NS6detail15normal_iteratorINS8_7pointerIiNS8_11hip_rocprim5par_tENS8_11use_defaultESE_EEEENSA_INSB_IlSD_SE_SE_EEEEZNS1_13binary_searchIS3_S5_PiSG_SI_NS1_21upper_bound_search_opENS9_16wrapped_functionINS8_6system6detail7generic6detail18binary_search_lessEbEEEE10hipError_tPvRmT1_T2_T3_mmT4_T5_P12ihipStream_tbEUlRKiE_EEST_SX_SY_mSZ_S12_bEUlT_E_NS1_11comp_targetILNS1_3genE10ELNS1_11target_archE1201ELNS1_3gpuE5ELNS1_3repE0EEENS1_30default_config_static_selectorELNS0_4arch9wavefront6targetE0EEEvSW_,comdat
.Lfunc_end227:
	.size	_ZN7rocprim17ROCPRIM_400000_NS6detail17trampoline_kernelINS0_14default_configENS1_27upper_bound_config_selectorIilEEZNS1_14transform_implILb0ES3_S5_N6thrust23THRUST_200600_302600_NS6detail15normal_iteratorINS8_7pointerIiNS8_11hip_rocprim5par_tENS8_11use_defaultESE_EEEENSA_INSB_IlSD_SE_SE_EEEEZNS1_13binary_searchIS3_S5_PiSG_SI_NS1_21upper_bound_search_opENS9_16wrapped_functionINS8_6system6detail7generic6detail18binary_search_lessEbEEEE10hipError_tPvRmT1_T2_T3_mmT4_T5_P12ihipStream_tbEUlRKiE_EEST_SX_SY_mSZ_S12_bEUlT_E_NS1_11comp_targetILNS1_3genE10ELNS1_11target_archE1201ELNS1_3gpuE5ELNS1_3repE0EEENS1_30default_config_static_selectorELNS0_4arch9wavefront6targetE0EEEvSW_, .Lfunc_end227-_ZN7rocprim17ROCPRIM_400000_NS6detail17trampoline_kernelINS0_14default_configENS1_27upper_bound_config_selectorIilEEZNS1_14transform_implILb0ES3_S5_N6thrust23THRUST_200600_302600_NS6detail15normal_iteratorINS8_7pointerIiNS8_11hip_rocprim5par_tENS8_11use_defaultESE_EEEENSA_INSB_IlSD_SE_SE_EEEEZNS1_13binary_searchIS3_S5_PiSG_SI_NS1_21upper_bound_search_opENS9_16wrapped_functionINS8_6system6detail7generic6detail18binary_search_lessEbEEEE10hipError_tPvRmT1_T2_T3_mmT4_T5_P12ihipStream_tbEUlRKiE_EEST_SX_SY_mSZ_S12_bEUlT_E_NS1_11comp_targetILNS1_3genE10ELNS1_11target_archE1201ELNS1_3gpuE5ELNS1_3repE0EEENS1_30default_config_static_selectorELNS0_4arch9wavefront6targetE0EEEvSW_
                                        ; -- End function
	.set _ZN7rocprim17ROCPRIM_400000_NS6detail17trampoline_kernelINS0_14default_configENS1_27upper_bound_config_selectorIilEEZNS1_14transform_implILb0ES3_S5_N6thrust23THRUST_200600_302600_NS6detail15normal_iteratorINS8_7pointerIiNS8_11hip_rocprim5par_tENS8_11use_defaultESE_EEEENSA_INSB_IlSD_SE_SE_EEEEZNS1_13binary_searchIS3_S5_PiSG_SI_NS1_21upper_bound_search_opENS9_16wrapped_functionINS8_6system6detail7generic6detail18binary_search_lessEbEEEE10hipError_tPvRmT1_T2_T3_mmT4_T5_P12ihipStream_tbEUlRKiE_EEST_SX_SY_mSZ_S12_bEUlT_E_NS1_11comp_targetILNS1_3genE10ELNS1_11target_archE1201ELNS1_3gpuE5ELNS1_3repE0EEENS1_30default_config_static_selectorELNS0_4arch9wavefront6targetE0EEEvSW_.num_vgpr, 0
	.set _ZN7rocprim17ROCPRIM_400000_NS6detail17trampoline_kernelINS0_14default_configENS1_27upper_bound_config_selectorIilEEZNS1_14transform_implILb0ES3_S5_N6thrust23THRUST_200600_302600_NS6detail15normal_iteratorINS8_7pointerIiNS8_11hip_rocprim5par_tENS8_11use_defaultESE_EEEENSA_INSB_IlSD_SE_SE_EEEEZNS1_13binary_searchIS3_S5_PiSG_SI_NS1_21upper_bound_search_opENS9_16wrapped_functionINS8_6system6detail7generic6detail18binary_search_lessEbEEEE10hipError_tPvRmT1_T2_T3_mmT4_T5_P12ihipStream_tbEUlRKiE_EEST_SX_SY_mSZ_S12_bEUlT_E_NS1_11comp_targetILNS1_3genE10ELNS1_11target_archE1201ELNS1_3gpuE5ELNS1_3repE0EEENS1_30default_config_static_selectorELNS0_4arch9wavefront6targetE0EEEvSW_.num_agpr, 0
	.set _ZN7rocprim17ROCPRIM_400000_NS6detail17trampoline_kernelINS0_14default_configENS1_27upper_bound_config_selectorIilEEZNS1_14transform_implILb0ES3_S5_N6thrust23THRUST_200600_302600_NS6detail15normal_iteratorINS8_7pointerIiNS8_11hip_rocprim5par_tENS8_11use_defaultESE_EEEENSA_INSB_IlSD_SE_SE_EEEEZNS1_13binary_searchIS3_S5_PiSG_SI_NS1_21upper_bound_search_opENS9_16wrapped_functionINS8_6system6detail7generic6detail18binary_search_lessEbEEEE10hipError_tPvRmT1_T2_T3_mmT4_T5_P12ihipStream_tbEUlRKiE_EEST_SX_SY_mSZ_S12_bEUlT_E_NS1_11comp_targetILNS1_3genE10ELNS1_11target_archE1201ELNS1_3gpuE5ELNS1_3repE0EEENS1_30default_config_static_selectorELNS0_4arch9wavefront6targetE0EEEvSW_.numbered_sgpr, 0
	.set _ZN7rocprim17ROCPRIM_400000_NS6detail17trampoline_kernelINS0_14default_configENS1_27upper_bound_config_selectorIilEEZNS1_14transform_implILb0ES3_S5_N6thrust23THRUST_200600_302600_NS6detail15normal_iteratorINS8_7pointerIiNS8_11hip_rocprim5par_tENS8_11use_defaultESE_EEEENSA_INSB_IlSD_SE_SE_EEEEZNS1_13binary_searchIS3_S5_PiSG_SI_NS1_21upper_bound_search_opENS9_16wrapped_functionINS8_6system6detail7generic6detail18binary_search_lessEbEEEE10hipError_tPvRmT1_T2_T3_mmT4_T5_P12ihipStream_tbEUlRKiE_EEST_SX_SY_mSZ_S12_bEUlT_E_NS1_11comp_targetILNS1_3genE10ELNS1_11target_archE1201ELNS1_3gpuE5ELNS1_3repE0EEENS1_30default_config_static_selectorELNS0_4arch9wavefront6targetE0EEEvSW_.num_named_barrier, 0
	.set _ZN7rocprim17ROCPRIM_400000_NS6detail17trampoline_kernelINS0_14default_configENS1_27upper_bound_config_selectorIilEEZNS1_14transform_implILb0ES3_S5_N6thrust23THRUST_200600_302600_NS6detail15normal_iteratorINS8_7pointerIiNS8_11hip_rocprim5par_tENS8_11use_defaultESE_EEEENSA_INSB_IlSD_SE_SE_EEEEZNS1_13binary_searchIS3_S5_PiSG_SI_NS1_21upper_bound_search_opENS9_16wrapped_functionINS8_6system6detail7generic6detail18binary_search_lessEbEEEE10hipError_tPvRmT1_T2_T3_mmT4_T5_P12ihipStream_tbEUlRKiE_EEST_SX_SY_mSZ_S12_bEUlT_E_NS1_11comp_targetILNS1_3genE10ELNS1_11target_archE1201ELNS1_3gpuE5ELNS1_3repE0EEENS1_30default_config_static_selectorELNS0_4arch9wavefront6targetE0EEEvSW_.private_seg_size, 0
	.set _ZN7rocprim17ROCPRIM_400000_NS6detail17trampoline_kernelINS0_14default_configENS1_27upper_bound_config_selectorIilEEZNS1_14transform_implILb0ES3_S5_N6thrust23THRUST_200600_302600_NS6detail15normal_iteratorINS8_7pointerIiNS8_11hip_rocprim5par_tENS8_11use_defaultESE_EEEENSA_INSB_IlSD_SE_SE_EEEEZNS1_13binary_searchIS3_S5_PiSG_SI_NS1_21upper_bound_search_opENS9_16wrapped_functionINS8_6system6detail7generic6detail18binary_search_lessEbEEEE10hipError_tPvRmT1_T2_T3_mmT4_T5_P12ihipStream_tbEUlRKiE_EEST_SX_SY_mSZ_S12_bEUlT_E_NS1_11comp_targetILNS1_3genE10ELNS1_11target_archE1201ELNS1_3gpuE5ELNS1_3repE0EEENS1_30default_config_static_selectorELNS0_4arch9wavefront6targetE0EEEvSW_.uses_vcc, 0
	.set _ZN7rocprim17ROCPRIM_400000_NS6detail17trampoline_kernelINS0_14default_configENS1_27upper_bound_config_selectorIilEEZNS1_14transform_implILb0ES3_S5_N6thrust23THRUST_200600_302600_NS6detail15normal_iteratorINS8_7pointerIiNS8_11hip_rocprim5par_tENS8_11use_defaultESE_EEEENSA_INSB_IlSD_SE_SE_EEEEZNS1_13binary_searchIS3_S5_PiSG_SI_NS1_21upper_bound_search_opENS9_16wrapped_functionINS8_6system6detail7generic6detail18binary_search_lessEbEEEE10hipError_tPvRmT1_T2_T3_mmT4_T5_P12ihipStream_tbEUlRKiE_EEST_SX_SY_mSZ_S12_bEUlT_E_NS1_11comp_targetILNS1_3genE10ELNS1_11target_archE1201ELNS1_3gpuE5ELNS1_3repE0EEENS1_30default_config_static_selectorELNS0_4arch9wavefront6targetE0EEEvSW_.uses_flat_scratch, 0
	.set _ZN7rocprim17ROCPRIM_400000_NS6detail17trampoline_kernelINS0_14default_configENS1_27upper_bound_config_selectorIilEEZNS1_14transform_implILb0ES3_S5_N6thrust23THRUST_200600_302600_NS6detail15normal_iteratorINS8_7pointerIiNS8_11hip_rocprim5par_tENS8_11use_defaultESE_EEEENSA_INSB_IlSD_SE_SE_EEEEZNS1_13binary_searchIS3_S5_PiSG_SI_NS1_21upper_bound_search_opENS9_16wrapped_functionINS8_6system6detail7generic6detail18binary_search_lessEbEEEE10hipError_tPvRmT1_T2_T3_mmT4_T5_P12ihipStream_tbEUlRKiE_EEST_SX_SY_mSZ_S12_bEUlT_E_NS1_11comp_targetILNS1_3genE10ELNS1_11target_archE1201ELNS1_3gpuE5ELNS1_3repE0EEENS1_30default_config_static_selectorELNS0_4arch9wavefront6targetE0EEEvSW_.has_dyn_sized_stack, 0
	.set _ZN7rocprim17ROCPRIM_400000_NS6detail17trampoline_kernelINS0_14default_configENS1_27upper_bound_config_selectorIilEEZNS1_14transform_implILb0ES3_S5_N6thrust23THRUST_200600_302600_NS6detail15normal_iteratorINS8_7pointerIiNS8_11hip_rocprim5par_tENS8_11use_defaultESE_EEEENSA_INSB_IlSD_SE_SE_EEEEZNS1_13binary_searchIS3_S5_PiSG_SI_NS1_21upper_bound_search_opENS9_16wrapped_functionINS8_6system6detail7generic6detail18binary_search_lessEbEEEE10hipError_tPvRmT1_T2_T3_mmT4_T5_P12ihipStream_tbEUlRKiE_EEST_SX_SY_mSZ_S12_bEUlT_E_NS1_11comp_targetILNS1_3genE10ELNS1_11target_archE1201ELNS1_3gpuE5ELNS1_3repE0EEENS1_30default_config_static_selectorELNS0_4arch9wavefront6targetE0EEEvSW_.has_recursion, 0
	.set _ZN7rocprim17ROCPRIM_400000_NS6detail17trampoline_kernelINS0_14default_configENS1_27upper_bound_config_selectorIilEEZNS1_14transform_implILb0ES3_S5_N6thrust23THRUST_200600_302600_NS6detail15normal_iteratorINS8_7pointerIiNS8_11hip_rocprim5par_tENS8_11use_defaultESE_EEEENSA_INSB_IlSD_SE_SE_EEEEZNS1_13binary_searchIS3_S5_PiSG_SI_NS1_21upper_bound_search_opENS9_16wrapped_functionINS8_6system6detail7generic6detail18binary_search_lessEbEEEE10hipError_tPvRmT1_T2_T3_mmT4_T5_P12ihipStream_tbEUlRKiE_EEST_SX_SY_mSZ_S12_bEUlT_E_NS1_11comp_targetILNS1_3genE10ELNS1_11target_archE1201ELNS1_3gpuE5ELNS1_3repE0EEENS1_30default_config_static_selectorELNS0_4arch9wavefront6targetE0EEEvSW_.has_indirect_call, 0
	.section	.AMDGPU.csdata,"",@progbits
; Kernel info:
; codeLenInByte = 0
; TotalNumSgprs: 0
; NumVgprs: 0
; ScratchSize: 0
; MemoryBound: 0
; FloatMode: 240
; IeeeMode: 1
; LDSByteSize: 0 bytes/workgroup (compile time only)
; SGPRBlocks: 0
; VGPRBlocks: 0
; NumSGPRsForWavesPerEU: 1
; NumVGPRsForWavesPerEU: 1
; Occupancy: 16
; WaveLimiterHint : 0
; COMPUTE_PGM_RSRC2:SCRATCH_EN: 0
; COMPUTE_PGM_RSRC2:USER_SGPR: 6
; COMPUTE_PGM_RSRC2:TRAP_HANDLER: 0
; COMPUTE_PGM_RSRC2:TGID_X_EN: 1
; COMPUTE_PGM_RSRC2:TGID_Y_EN: 0
; COMPUTE_PGM_RSRC2:TGID_Z_EN: 0
; COMPUTE_PGM_RSRC2:TIDIG_COMP_CNT: 0
	.section	.text._ZN7rocprim17ROCPRIM_400000_NS6detail17trampoline_kernelINS0_14default_configENS1_27upper_bound_config_selectorIilEEZNS1_14transform_implILb0ES3_S5_N6thrust23THRUST_200600_302600_NS6detail15normal_iteratorINS8_7pointerIiNS8_11hip_rocprim5par_tENS8_11use_defaultESE_EEEENSA_INSB_IlSD_SE_SE_EEEEZNS1_13binary_searchIS3_S5_PiSG_SI_NS1_21upper_bound_search_opENS9_16wrapped_functionINS8_6system6detail7generic6detail18binary_search_lessEbEEEE10hipError_tPvRmT1_T2_T3_mmT4_T5_P12ihipStream_tbEUlRKiE_EEST_SX_SY_mSZ_S12_bEUlT_E_NS1_11comp_targetILNS1_3genE10ELNS1_11target_archE1200ELNS1_3gpuE4ELNS1_3repE0EEENS1_30default_config_static_selectorELNS0_4arch9wavefront6targetE0EEEvSW_,"axG",@progbits,_ZN7rocprim17ROCPRIM_400000_NS6detail17trampoline_kernelINS0_14default_configENS1_27upper_bound_config_selectorIilEEZNS1_14transform_implILb0ES3_S5_N6thrust23THRUST_200600_302600_NS6detail15normal_iteratorINS8_7pointerIiNS8_11hip_rocprim5par_tENS8_11use_defaultESE_EEEENSA_INSB_IlSD_SE_SE_EEEEZNS1_13binary_searchIS3_S5_PiSG_SI_NS1_21upper_bound_search_opENS9_16wrapped_functionINS8_6system6detail7generic6detail18binary_search_lessEbEEEE10hipError_tPvRmT1_T2_T3_mmT4_T5_P12ihipStream_tbEUlRKiE_EEST_SX_SY_mSZ_S12_bEUlT_E_NS1_11comp_targetILNS1_3genE10ELNS1_11target_archE1200ELNS1_3gpuE4ELNS1_3repE0EEENS1_30default_config_static_selectorELNS0_4arch9wavefront6targetE0EEEvSW_,comdat
	.protected	_ZN7rocprim17ROCPRIM_400000_NS6detail17trampoline_kernelINS0_14default_configENS1_27upper_bound_config_selectorIilEEZNS1_14transform_implILb0ES3_S5_N6thrust23THRUST_200600_302600_NS6detail15normal_iteratorINS8_7pointerIiNS8_11hip_rocprim5par_tENS8_11use_defaultESE_EEEENSA_INSB_IlSD_SE_SE_EEEEZNS1_13binary_searchIS3_S5_PiSG_SI_NS1_21upper_bound_search_opENS9_16wrapped_functionINS8_6system6detail7generic6detail18binary_search_lessEbEEEE10hipError_tPvRmT1_T2_T3_mmT4_T5_P12ihipStream_tbEUlRKiE_EEST_SX_SY_mSZ_S12_bEUlT_E_NS1_11comp_targetILNS1_3genE10ELNS1_11target_archE1200ELNS1_3gpuE4ELNS1_3repE0EEENS1_30default_config_static_selectorELNS0_4arch9wavefront6targetE0EEEvSW_ ; -- Begin function _ZN7rocprim17ROCPRIM_400000_NS6detail17trampoline_kernelINS0_14default_configENS1_27upper_bound_config_selectorIilEEZNS1_14transform_implILb0ES3_S5_N6thrust23THRUST_200600_302600_NS6detail15normal_iteratorINS8_7pointerIiNS8_11hip_rocprim5par_tENS8_11use_defaultESE_EEEENSA_INSB_IlSD_SE_SE_EEEEZNS1_13binary_searchIS3_S5_PiSG_SI_NS1_21upper_bound_search_opENS9_16wrapped_functionINS8_6system6detail7generic6detail18binary_search_lessEbEEEE10hipError_tPvRmT1_T2_T3_mmT4_T5_P12ihipStream_tbEUlRKiE_EEST_SX_SY_mSZ_S12_bEUlT_E_NS1_11comp_targetILNS1_3genE10ELNS1_11target_archE1200ELNS1_3gpuE4ELNS1_3repE0EEENS1_30default_config_static_selectorELNS0_4arch9wavefront6targetE0EEEvSW_
	.globl	_ZN7rocprim17ROCPRIM_400000_NS6detail17trampoline_kernelINS0_14default_configENS1_27upper_bound_config_selectorIilEEZNS1_14transform_implILb0ES3_S5_N6thrust23THRUST_200600_302600_NS6detail15normal_iteratorINS8_7pointerIiNS8_11hip_rocprim5par_tENS8_11use_defaultESE_EEEENSA_INSB_IlSD_SE_SE_EEEEZNS1_13binary_searchIS3_S5_PiSG_SI_NS1_21upper_bound_search_opENS9_16wrapped_functionINS8_6system6detail7generic6detail18binary_search_lessEbEEEE10hipError_tPvRmT1_T2_T3_mmT4_T5_P12ihipStream_tbEUlRKiE_EEST_SX_SY_mSZ_S12_bEUlT_E_NS1_11comp_targetILNS1_3genE10ELNS1_11target_archE1200ELNS1_3gpuE4ELNS1_3repE0EEENS1_30default_config_static_selectorELNS0_4arch9wavefront6targetE0EEEvSW_
	.p2align	8
	.type	_ZN7rocprim17ROCPRIM_400000_NS6detail17trampoline_kernelINS0_14default_configENS1_27upper_bound_config_selectorIilEEZNS1_14transform_implILb0ES3_S5_N6thrust23THRUST_200600_302600_NS6detail15normal_iteratorINS8_7pointerIiNS8_11hip_rocprim5par_tENS8_11use_defaultESE_EEEENSA_INSB_IlSD_SE_SE_EEEEZNS1_13binary_searchIS3_S5_PiSG_SI_NS1_21upper_bound_search_opENS9_16wrapped_functionINS8_6system6detail7generic6detail18binary_search_lessEbEEEE10hipError_tPvRmT1_T2_T3_mmT4_T5_P12ihipStream_tbEUlRKiE_EEST_SX_SY_mSZ_S12_bEUlT_E_NS1_11comp_targetILNS1_3genE10ELNS1_11target_archE1200ELNS1_3gpuE4ELNS1_3repE0EEENS1_30default_config_static_selectorELNS0_4arch9wavefront6targetE0EEEvSW_,@function
_ZN7rocprim17ROCPRIM_400000_NS6detail17trampoline_kernelINS0_14default_configENS1_27upper_bound_config_selectorIilEEZNS1_14transform_implILb0ES3_S5_N6thrust23THRUST_200600_302600_NS6detail15normal_iteratorINS8_7pointerIiNS8_11hip_rocprim5par_tENS8_11use_defaultESE_EEEENSA_INSB_IlSD_SE_SE_EEEEZNS1_13binary_searchIS3_S5_PiSG_SI_NS1_21upper_bound_search_opENS9_16wrapped_functionINS8_6system6detail7generic6detail18binary_search_lessEbEEEE10hipError_tPvRmT1_T2_T3_mmT4_T5_P12ihipStream_tbEUlRKiE_EEST_SX_SY_mSZ_S12_bEUlT_E_NS1_11comp_targetILNS1_3genE10ELNS1_11target_archE1200ELNS1_3gpuE4ELNS1_3repE0EEENS1_30default_config_static_selectorELNS0_4arch9wavefront6targetE0EEEvSW_: ; @_ZN7rocprim17ROCPRIM_400000_NS6detail17trampoline_kernelINS0_14default_configENS1_27upper_bound_config_selectorIilEEZNS1_14transform_implILb0ES3_S5_N6thrust23THRUST_200600_302600_NS6detail15normal_iteratorINS8_7pointerIiNS8_11hip_rocprim5par_tENS8_11use_defaultESE_EEEENSA_INSB_IlSD_SE_SE_EEEEZNS1_13binary_searchIS3_S5_PiSG_SI_NS1_21upper_bound_search_opENS9_16wrapped_functionINS8_6system6detail7generic6detail18binary_search_lessEbEEEE10hipError_tPvRmT1_T2_T3_mmT4_T5_P12ihipStream_tbEUlRKiE_EEST_SX_SY_mSZ_S12_bEUlT_E_NS1_11comp_targetILNS1_3genE10ELNS1_11target_archE1200ELNS1_3gpuE4ELNS1_3repE0EEENS1_30default_config_static_selectorELNS0_4arch9wavefront6targetE0EEEvSW_
; %bb.0:
	.section	.rodata,"a",@progbits
	.p2align	6, 0x0
	.amdhsa_kernel _ZN7rocprim17ROCPRIM_400000_NS6detail17trampoline_kernelINS0_14default_configENS1_27upper_bound_config_selectorIilEEZNS1_14transform_implILb0ES3_S5_N6thrust23THRUST_200600_302600_NS6detail15normal_iteratorINS8_7pointerIiNS8_11hip_rocprim5par_tENS8_11use_defaultESE_EEEENSA_INSB_IlSD_SE_SE_EEEEZNS1_13binary_searchIS3_S5_PiSG_SI_NS1_21upper_bound_search_opENS9_16wrapped_functionINS8_6system6detail7generic6detail18binary_search_lessEbEEEE10hipError_tPvRmT1_T2_T3_mmT4_T5_P12ihipStream_tbEUlRKiE_EEST_SX_SY_mSZ_S12_bEUlT_E_NS1_11comp_targetILNS1_3genE10ELNS1_11target_archE1200ELNS1_3gpuE4ELNS1_3repE0EEENS1_30default_config_static_selectorELNS0_4arch9wavefront6targetE0EEEvSW_
		.amdhsa_group_segment_fixed_size 0
		.amdhsa_private_segment_fixed_size 0
		.amdhsa_kernarg_size 56
		.amdhsa_user_sgpr_count 6
		.amdhsa_user_sgpr_private_segment_buffer 1
		.amdhsa_user_sgpr_dispatch_ptr 0
		.amdhsa_user_sgpr_queue_ptr 0
		.amdhsa_user_sgpr_kernarg_segment_ptr 1
		.amdhsa_user_sgpr_dispatch_id 0
		.amdhsa_user_sgpr_flat_scratch_init 0
		.amdhsa_user_sgpr_private_segment_size 0
		.amdhsa_wavefront_size32 1
		.amdhsa_uses_dynamic_stack 0
		.amdhsa_system_sgpr_private_segment_wavefront_offset 0
		.amdhsa_system_sgpr_workgroup_id_x 1
		.amdhsa_system_sgpr_workgroup_id_y 0
		.amdhsa_system_sgpr_workgroup_id_z 0
		.amdhsa_system_sgpr_workgroup_info 0
		.amdhsa_system_vgpr_workitem_id 0
		.amdhsa_next_free_vgpr 1
		.amdhsa_next_free_sgpr 1
		.amdhsa_reserve_vcc 0
		.amdhsa_reserve_flat_scratch 0
		.amdhsa_float_round_mode_32 0
		.amdhsa_float_round_mode_16_64 0
		.amdhsa_float_denorm_mode_32 3
		.amdhsa_float_denorm_mode_16_64 3
		.amdhsa_dx10_clamp 1
		.amdhsa_ieee_mode 1
		.amdhsa_fp16_overflow 0
		.amdhsa_workgroup_processor_mode 1
		.amdhsa_memory_ordered 1
		.amdhsa_forward_progress 1
		.amdhsa_shared_vgpr_count 0
		.amdhsa_exception_fp_ieee_invalid_op 0
		.amdhsa_exception_fp_denorm_src 0
		.amdhsa_exception_fp_ieee_div_zero 0
		.amdhsa_exception_fp_ieee_overflow 0
		.amdhsa_exception_fp_ieee_underflow 0
		.amdhsa_exception_fp_ieee_inexact 0
		.amdhsa_exception_int_div_zero 0
	.end_amdhsa_kernel
	.section	.text._ZN7rocprim17ROCPRIM_400000_NS6detail17trampoline_kernelINS0_14default_configENS1_27upper_bound_config_selectorIilEEZNS1_14transform_implILb0ES3_S5_N6thrust23THRUST_200600_302600_NS6detail15normal_iteratorINS8_7pointerIiNS8_11hip_rocprim5par_tENS8_11use_defaultESE_EEEENSA_INSB_IlSD_SE_SE_EEEEZNS1_13binary_searchIS3_S5_PiSG_SI_NS1_21upper_bound_search_opENS9_16wrapped_functionINS8_6system6detail7generic6detail18binary_search_lessEbEEEE10hipError_tPvRmT1_T2_T3_mmT4_T5_P12ihipStream_tbEUlRKiE_EEST_SX_SY_mSZ_S12_bEUlT_E_NS1_11comp_targetILNS1_3genE10ELNS1_11target_archE1200ELNS1_3gpuE4ELNS1_3repE0EEENS1_30default_config_static_selectorELNS0_4arch9wavefront6targetE0EEEvSW_,"axG",@progbits,_ZN7rocprim17ROCPRIM_400000_NS6detail17trampoline_kernelINS0_14default_configENS1_27upper_bound_config_selectorIilEEZNS1_14transform_implILb0ES3_S5_N6thrust23THRUST_200600_302600_NS6detail15normal_iteratorINS8_7pointerIiNS8_11hip_rocprim5par_tENS8_11use_defaultESE_EEEENSA_INSB_IlSD_SE_SE_EEEEZNS1_13binary_searchIS3_S5_PiSG_SI_NS1_21upper_bound_search_opENS9_16wrapped_functionINS8_6system6detail7generic6detail18binary_search_lessEbEEEE10hipError_tPvRmT1_T2_T3_mmT4_T5_P12ihipStream_tbEUlRKiE_EEST_SX_SY_mSZ_S12_bEUlT_E_NS1_11comp_targetILNS1_3genE10ELNS1_11target_archE1200ELNS1_3gpuE4ELNS1_3repE0EEENS1_30default_config_static_selectorELNS0_4arch9wavefront6targetE0EEEvSW_,comdat
.Lfunc_end228:
	.size	_ZN7rocprim17ROCPRIM_400000_NS6detail17trampoline_kernelINS0_14default_configENS1_27upper_bound_config_selectorIilEEZNS1_14transform_implILb0ES3_S5_N6thrust23THRUST_200600_302600_NS6detail15normal_iteratorINS8_7pointerIiNS8_11hip_rocprim5par_tENS8_11use_defaultESE_EEEENSA_INSB_IlSD_SE_SE_EEEEZNS1_13binary_searchIS3_S5_PiSG_SI_NS1_21upper_bound_search_opENS9_16wrapped_functionINS8_6system6detail7generic6detail18binary_search_lessEbEEEE10hipError_tPvRmT1_T2_T3_mmT4_T5_P12ihipStream_tbEUlRKiE_EEST_SX_SY_mSZ_S12_bEUlT_E_NS1_11comp_targetILNS1_3genE10ELNS1_11target_archE1200ELNS1_3gpuE4ELNS1_3repE0EEENS1_30default_config_static_selectorELNS0_4arch9wavefront6targetE0EEEvSW_, .Lfunc_end228-_ZN7rocprim17ROCPRIM_400000_NS6detail17trampoline_kernelINS0_14default_configENS1_27upper_bound_config_selectorIilEEZNS1_14transform_implILb0ES3_S5_N6thrust23THRUST_200600_302600_NS6detail15normal_iteratorINS8_7pointerIiNS8_11hip_rocprim5par_tENS8_11use_defaultESE_EEEENSA_INSB_IlSD_SE_SE_EEEEZNS1_13binary_searchIS3_S5_PiSG_SI_NS1_21upper_bound_search_opENS9_16wrapped_functionINS8_6system6detail7generic6detail18binary_search_lessEbEEEE10hipError_tPvRmT1_T2_T3_mmT4_T5_P12ihipStream_tbEUlRKiE_EEST_SX_SY_mSZ_S12_bEUlT_E_NS1_11comp_targetILNS1_3genE10ELNS1_11target_archE1200ELNS1_3gpuE4ELNS1_3repE0EEENS1_30default_config_static_selectorELNS0_4arch9wavefront6targetE0EEEvSW_
                                        ; -- End function
	.set _ZN7rocprim17ROCPRIM_400000_NS6detail17trampoline_kernelINS0_14default_configENS1_27upper_bound_config_selectorIilEEZNS1_14transform_implILb0ES3_S5_N6thrust23THRUST_200600_302600_NS6detail15normal_iteratorINS8_7pointerIiNS8_11hip_rocprim5par_tENS8_11use_defaultESE_EEEENSA_INSB_IlSD_SE_SE_EEEEZNS1_13binary_searchIS3_S5_PiSG_SI_NS1_21upper_bound_search_opENS9_16wrapped_functionINS8_6system6detail7generic6detail18binary_search_lessEbEEEE10hipError_tPvRmT1_T2_T3_mmT4_T5_P12ihipStream_tbEUlRKiE_EEST_SX_SY_mSZ_S12_bEUlT_E_NS1_11comp_targetILNS1_3genE10ELNS1_11target_archE1200ELNS1_3gpuE4ELNS1_3repE0EEENS1_30default_config_static_selectorELNS0_4arch9wavefront6targetE0EEEvSW_.num_vgpr, 0
	.set _ZN7rocprim17ROCPRIM_400000_NS6detail17trampoline_kernelINS0_14default_configENS1_27upper_bound_config_selectorIilEEZNS1_14transform_implILb0ES3_S5_N6thrust23THRUST_200600_302600_NS6detail15normal_iteratorINS8_7pointerIiNS8_11hip_rocprim5par_tENS8_11use_defaultESE_EEEENSA_INSB_IlSD_SE_SE_EEEEZNS1_13binary_searchIS3_S5_PiSG_SI_NS1_21upper_bound_search_opENS9_16wrapped_functionINS8_6system6detail7generic6detail18binary_search_lessEbEEEE10hipError_tPvRmT1_T2_T3_mmT4_T5_P12ihipStream_tbEUlRKiE_EEST_SX_SY_mSZ_S12_bEUlT_E_NS1_11comp_targetILNS1_3genE10ELNS1_11target_archE1200ELNS1_3gpuE4ELNS1_3repE0EEENS1_30default_config_static_selectorELNS0_4arch9wavefront6targetE0EEEvSW_.num_agpr, 0
	.set _ZN7rocprim17ROCPRIM_400000_NS6detail17trampoline_kernelINS0_14default_configENS1_27upper_bound_config_selectorIilEEZNS1_14transform_implILb0ES3_S5_N6thrust23THRUST_200600_302600_NS6detail15normal_iteratorINS8_7pointerIiNS8_11hip_rocprim5par_tENS8_11use_defaultESE_EEEENSA_INSB_IlSD_SE_SE_EEEEZNS1_13binary_searchIS3_S5_PiSG_SI_NS1_21upper_bound_search_opENS9_16wrapped_functionINS8_6system6detail7generic6detail18binary_search_lessEbEEEE10hipError_tPvRmT1_T2_T3_mmT4_T5_P12ihipStream_tbEUlRKiE_EEST_SX_SY_mSZ_S12_bEUlT_E_NS1_11comp_targetILNS1_3genE10ELNS1_11target_archE1200ELNS1_3gpuE4ELNS1_3repE0EEENS1_30default_config_static_selectorELNS0_4arch9wavefront6targetE0EEEvSW_.numbered_sgpr, 0
	.set _ZN7rocprim17ROCPRIM_400000_NS6detail17trampoline_kernelINS0_14default_configENS1_27upper_bound_config_selectorIilEEZNS1_14transform_implILb0ES3_S5_N6thrust23THRUST_200600_302600_NS6detail15normal_iteratorINS8_7pointerIiNS8_11hip_rocprim5par_tENS8_11use_defaultESE_EEEENSA_INSB_IlSD_SE_SE_EEEEZNS1_13binary_searchIS3_S5_PiSG_SI_NS1_21upper_bound_search_opENS9_16wrapped_functionINS8_6system6detail7generic6detail18binary_search_lessEbEEEE10hipError_tPvRmT1_T2_T3_mmT4_T5_P12ihipStream_tbEUlRKiE_EEST_SX_SY_mSZ_S12_bEUlT_E_NS1_11comp_targetILNS1_3genE10ELNS1_11target_archE1200ELNS1_3gpuE4ELNS1_3repE0EEENS1_30default_config_static_selectorELNS0_4arch9wavefront6targetE0EEEvSW_.num_named_barrier, 0
	.set _ZN7rocprim17ROCPRIM_400000_NS6detail17trampoline_kernelINS0_14default_configENS1_27upper_bound_config_selectorIilEEZNS1_14transform_implILb0ES3_S5_N6thrust23THRUST_200600_302600_NS6detail15normal_iteratorINS8_7pointerIiNS8_11hip_rocprim5par_tENS8_11use_defaultESE_EEEENSA_INSB_IlSD_SE_SE_EEEEZNS1_13binary_searchIS3_S5_PiSG_SI_NS1_21upper_bound_search_opENS9_16wrapped_functionINS8_6system6detail7generic6detail18binary_search_lessEbEEEE10hipError_tPvRmT1_T2_T3_mmT4_T5_P12ihipStream_tbEUlRKiE_EEST_SX_SY_mSZ_S12_bEUlT_E_NS1_11comp_targetILNS1_3genE10ELNS1_11target_archE1200ELNS1_3gpuE4ELNS1_3repE0EEENS1_30default_config_static_selectorELNS0_4arch9wavefront6targetE0EEEvSW_.private_seg_size, 0
	.set _ZN7rocprim17ROCPRIM_400000_NS6detail17trampoline_kernelINS0_14default_configENS1_27upper_bound_config_selectorIilEEZNS1_14transform_implILb0ES3_S5_N6thrust23THRUST_200600_302600_NS6detail15normal_iteratorINS8_7pointerIiNS8_11hip_rocprim5par_tENS8_11use_defaultESE_EEEENSA_INSB_IlSD_SE_SE_EEEEZNS1_13binary_searchIS3_S5_PiSG_SI_NS1_21upper_bound_search_opENS9_16wrapped_functionINS8_6system6detail7generic6detail18binary_search_lessEbEEEE10hipError_tPvRmT1_T2_T3_mmT4_T5_P12ihipStream_tbEUlRKiE_EEST_SX_SY_mSZ_S12_bEUlT_E_NS1_11comp_targetILNS1_3genE10ELNS1_11target_archE1200ELNS1_3gpuE4ELNS1_3repE0EEENS1_30default_config_static_selectorELNS0_4arch9wavefront6targetE0EEEvSW_.uses_vcc, 0
	.set _ZN7rocprim17ROCPRIM_400000_NS6detail17trampoline_kernelINS0_14default_configENS1_27upper_bound_config_selectorIilEEZNS1_14transform_implILb0ES3_S5_N6thrust23THRUST_200600_302600_NS6detail15normal_iteratorINS8_7pointerIiNS8_11hip_rocprim5par_tENS8_11use_defaultESE_EEEENSA_INSB_IlSD_SE_SE_EEEEZNS1_13binary_searchIS3_S5_PiSG_SI_NS1_21upper_bound_search_opENS9_16wrapped_functionINS8_6system6detail7generic6detail18binary_search_lessEbEEEE10hipError_tPvRmT1_T2_T3_mmT4_T5_P12ihipStream_tbEUlRKiE_EEST_SX_SY_mSZ_S12_bEUlT_E_NS1_11comp_targetILNS1_3genE10ELNS1_11target_archE1200ELNS1_3gpuE4ELNS1_3repE0EEENS1_30default_config_static_selectorELNS0_4arch9wavefront6targetE0EEEvSW_.uses_flat_scratch, 0
	.set _ZN7rocprim17ROCPRIM_400000_NS6detail17trampoline_kernelINS0_14default_configENS1_27upper_bound_config_selectorIilEEZNS1_14transform_implILb0ES3_S5_N6thrust23THRUST_200600_302600_NS6detail15normal_iteratorINS8_7pointerIiNS8_11hip_rocprim5par_tENS8_11use_defaultESE_EEEENSA_INSB_IlSD_SE_SE_EEEEZNS1_13binary_searchIS3_S5_PiSG_SI_NS1_21upper_bound_search_opENS9_16wrapped_functionINS8_6system6detail7generic6detail18binary_search_lessEbEEEE10hipError_tPvRmT1_T2_T3_mmT4_T5_P12ihipStream_tbEUlRKiE_EEST_SX_SY_mSZ_S12_bEUlT_E_NS1_11comp_targetILNS1_3genE10ELNS1_11target_archE1200ELNS1_3gpuE4ELNS1_3repE0EEENS1_30default_config_static_selectorELNS0_4arch9wavefront6targetE0EEEvSW_.has_dyn_sized_stack, 0
	.set _ZN7rocprim17ROCPRIM_400000_NS6detail17trampoline_kernelINS0_14default_configENS1_27upper_bound_config_selectorIilEEZNS1_14transform_implILb0ES3_S5_N6thrust23THRUST_200600_302600_NS6detail15normal_iteratorINS8_7pointerIiNS8_11hip_rocprim5par_tENS8_11use_defaultESE_EEEENSA_INSB_IlSD_SE_SE_EEEEZNS1_13binary_searchIS3_S5_PiSG_SI_NS1_21upper_bound_search_opENS9_16wrapped_functionINS8_6system6detail7generic6detail18binary_search_lessEbEEEE10hipError_tPvRmT1_T2_T3_mmT4_T5_P12ihipStream_tbEUlRKiE_EEST_SX_SY_mSZ_S12_bEUlT_E_NS1_11comp_targetILNS1_3genE10ELNS1_11target_archE1200ELNS1_3gpuE4ELNS1_3repE0EEENS1_30default_config_static_selectorELNS0_4arch9wavefront6targetE0EEEvSW_.has_recursion, 0
	.set _ZN7rocprim17ROCPRIM_400000_NS6detail17trampoline_kernelINS0_14default_configENS1_27upper_bound_config_selectorIilEEZNS1_14transform_implILb0ES3_S5_N6thrust23THRUST_200600_302600_NS6detail15normal_iteratorINS8_7pointerIiNS8_11hip_rocprim5par_tENS8_11use_defaultESE_EEEENSA_INSB_IlSD_SE_SE_EEEEZNS1_13binary_searchIS3_S5_PiSG_SI_NS1_21upper_bound_search_opENS9_16wrapped_functionINS8_6system6detail7generic6detail18binary_search_lessEbEEEE10hipError_tPvRmT1_T2_T3_mmT4_T5_P12ihipStream_tbEUlRKiE_EEST_SX_SY_mSZ_S12_bEUlT_E_NS1_11comp_targetILNS1_3genE10ELNS1_11target_archE1200ELNS1_3gpuE4ELNS1_3repE0EEENS1_30default_config_static_selectorELNS0_4arch9wavefront6targetE0EEEvSW_.has_indirect_call, 0
	.section	.AMDGPU.csdata,"",@progbits
; Kernel info:
; codeLenInByte = 0
; TotalNumSgprs: 0
; NumVgprs: 0
; ScratchSize: 0
; MemoryBound: 0
; FloatMode: 240
; IeeeMode: 1
; LDSByteSize: 0 bytes/workgroup (compile time only)
; SGPRBlocks: 0
; VGPRBlocks: 0
; NumSGPRsForWavesPerEU: 1
; NumVGPRsForWavesPerEU: 1
; Occupancy: 16
; WaveLimiterHint : 0
; COMPUTE_PGM_RSRC2:SCRATCH_EN: 0
; COMPUTE_PGM_RSRC2:USER_SGPR: 6
; COMPUTE_PGM_RSRC2:TRAP_HANDLER: 0
; COMPUTE_PGM_RSRC2:TGID_X_EN: 1
; COMPUTE_PGM_RSRC2:TGID_Y_EN: 0
; COMPUTE_PGM_RSRC2:TGID_Z_EN: 0
; COMPUTE_PGM_RSRC2:TIDIG_COMP_CNT: 0
	.section	.text._ZN7rocprim17ROCPRIM_400000_NS6detail17trampoline_kernelINS0_14default_configENS1_27upper_bound_config_selectorIilEEZNS1_14transform_implILb0ES3_S5_N6thrust23THRUST_200600_302600_NS6detail15normal_iteratorINS8_7pointerIiNS8_11hip_rocprim5par_tENS8_11use_defaultESE_EEEENSA_INSB_IlSD_SE_SE_EEEEZNS1_13binary_searchIS3_S5_PiSG_SI_NS1_21upper_bound_search_opENS9_16wrapped_functionINS8_6system6detail7generic6detail18binary_search_lessEbEEEE10hipError_tPvRmT1_T2_T3_mmT4_T5_P12ihipStream_tbEUlRKiE_EEST_SX_SY_mSZ_S12_bEUlT_E_NS1_11comp_targetILNS1_3genE9ELNS1_11target_archE1100ELNS1_3gpuE3ELNS1_3repE0EEENS1_30default_config_static_selectorELNS0_4arch9wavefront6targetE0EEEvSW_,"axG",@progbits,_ZN7rocprim17ROCPRIM_400000_NS6detail17trampoline_kernelINS0_14default_configENS1_27upper_bound_config_selectorIilEEZNS1_14transform_implILb0ES3_S5_N6thrust23THRUST_200600_302600_NS6detail15normal_iteratorINS8_7pointerIiNS8_11hip_rocprim5par_tENS8_11use_defaultESE_EEEENSA_INSB_IlSD_SE_SE_EEEEZNS1_13binary_searchIS3_S5_PiSG_SI_NS1_21upper_bound_search_opENS9_16wrapped_functionINS8_6system6detail7generic6detail18binary_search_lessEbEEEE10hipError_tPvRmT1_T2_T3_mmT4_T5_P12ihipStream_tbEUlRKiE_EEST_SX_SY_mSZ_S12_bEUlT_E_NS1_11comp_targetILNS1_3genE9ELNS1_11target_archE1100ELNS1_3gpuE3ELNS1_3repE0EEENS1_30default_config_static_selectorELNS0_4arch9wavefront6targetE0EEEvSW_,comdat
	.protected	_ZN7rocprim17ROCPRIM_400000_NS6detail17trampoline_kernelINS0_14default_configENS1_27upper_bound_config_selectorIilEEZNS1_14transform_implILb0ES3_S5_N6thrust23THRUST_200600_302600_NS6detail15normal_iteratorINS8_7pointerIiNS8_11hip_rocprim5par_tENS8_11use_defaultESE_EEEENSA_INSB_IlSD_SE_SE_EEEEZNS1_13binary_searchIS3_S5_PiSG_SI_NS1_21upper_bound_search_opENS9_16wrapped_functionINS8_6system6detail7generic6detail18binary_search_lessEbEEEE10hipError_tPvRmT1_T2_T3_mmT4_T5_P12ihipStream_tbEUlRKiE_EEST_SX_SY_mSZ_S12_bEUlT_E_NS1_11comp_targetILNS1_3genE9ELNS1_11target_archE1100ELNS1_3gpuE3ELNS1_3repE0EEENS1_30default_config_static_selectorELNS0_4arch9wavefront6targetE0EEEvSW_ ; -- Begin function _ZN7rocprim17ROCPRIM_400000_NS6detail17trampoline_kernelINS0_14default_configENS1_27upper_bound_config_selectorIilEEZNS1_14transform_implILb0ES3_S5_N6thrust23THRUST_200600_302600_NS6detail15normal_iteratorINS8_7pointerIiNS8_11hip_rocprim5par_tENS8_11use_defaultESE_EEEENSA_INSB_IlSD_SE_SE_EEEEZNS1_13binary_searchIS3_S5_PiSG_SI_NS1_21upper_bound_search_opENS9_16wrapped_functionINS8_6system6detail7generic6detail18binary_search_lessEbEEEE10hipError_tPvRmT1_T2_T3_mmT4_T5_P12ihipStream_tbEUlRKiE_EEST_SX_SY_mSZ_S12_bEUlT_E_NS1_11comp_targetILNS1_3genE9ELNS1_11target_archE1100ELNS1_3gpuE3ELNS1_3repE0EEENS1_30default_config_static_selectorELNS0_4arch9wavefront6targetE0EEEvSW_
	.globl	_ZN7rocprim17ROCPRIM_400000_NS6detail17trampoline_kernelINS0_14default_configENS1_27upper_bound_config_selectorIilEEZNS1_14transform_implILb0ES3_S5_N6thrust23THRUST_200600_302600_NS6detail15normal_iteratorINS8_7pointerIiNS8_11hip_rocprim5par_tENS8_11use_defaultESE_EEEENSA_INSB_IlSD_SE_SE_EEEEZNS1_13binary_searchIS3_S5_PiSG_SI_NS1_21upper_bound_search_opENS9_16wrapped_functionINS8_6system6detail7generic6detail18binary_search_lessEbEEEE10hipError_tPvRmT1_T2_T3_mmT4_T5_P12ihipStream_tbEUlRKiE_EEST_SX_SY_mSZ_S12_bEUlT_E_NS1_11comp_targetILNS1_3genE9ELNS1_11target_archE1100ELNS1_3gpuE3ELNS1_3repE0EEENS1_30default_config_static_selectorELNS0_4arch9wavefront6targetE0EEEvSW_
	.p2align	8
	.type	_ZN7rocprim17ROCPRIM_400000_NS6detail17trampoline_kernelINS0_14default_configENS1_27upper_bound_config_selectorIilEEZNS1_14transform_implILb0ES3_S5_N6thrust23THRUST_200600_302600_NS6detail15normal_iteratorINS8_7pointerIiNS8_11hip_rocprim5par_tENS8_11use_defaultESE_EEEENSA_INSB_IlSD_SE_SE_EEEEZNS1_13binary_searchIS3_S5_PiSG_SI_NS1_21upper_bound_search_opENS9_16wrapped_functionINS8_6system6detail7generic6detail18binary_search_lessEbEEEE10hipError_tPvRmT1_T2_T3_mmT4_T5_P12ihipStream_tbEUlRKiE_EEST_SX_SY_mSZ_S12_bEUlT_E_NS1_11comp_targetILNS1_3genE9ELNS1_11target_archE1100ELNS1_3gpuE3ELNS1_3repE0EEENS1_30default_config_static_selectorELNS0_4arch9wavefront6targetE0EEEvSW_,@function
_ZN7rocprim17ROCPRIM_400000_NS6detail17trampoline_kernelINS0_14default_configENS1_27upper_bound_config_selectorIilEEZNS1_14transform_implILb0ES3_S5_N6thrust23THRUST_200600_302600_NS6detail15normal_iteratorINS8_7pointerIiNS8_11hip_rocprim5par_tENS8_11use_defaultESE_EEEENSA_INSB_IlSD_SE_SE_EEEEZNS1_13binary_searchIS3_S5_PiSG_SI_NS1_21upper_bound_search_opENS9_16wrapped_functionINS8_6system6detail7generic6detail18binary_search_lessEbEEEE10hipError_tPvRmT1_T2_T3_mmT4_T5_P12ihipStream_tbEUlRKiE_EEST_SX_SY_mSZ_S12_bEUlT_E_NS1_11comp_targetILNS1_3genE9ELNS1_11target_archE1100ELNS1_3gpuE3ELNS1_3repE0EEENS1_30default_config_static_selectorELNS0_4arch9wavefront6targetE0EEEvSW_: ; @_ZN7rocprim17ROCPRIM_400000_NS6detail17trampoline_kernelINS0_14default_configENS1_27upper_bound_config_selectorIilEEZNS1_14transform_implILb0ES3_S5_N6thrust23THRUST_200600_302600_NS6detail15normal_iteratorINS8_7pointerIiNS8_11hip_rocprim5par_tENS8_11use_defaultESE_EEEENSA_INSB_IlSD_SE_SE_EEEEZNS1_13binary_searchIS3_S5_PiSG_SI_NS1_21upper_bound_search_opENS9_16wrapped_functionINS8_6system6detail7generic6detail18binary_search_lessEbEEEE10hipError_tPvRmT1_T2_T3_mmT4_T5_P12ihipStream_tbEUlRKiE_EEST_SX_SY_mSZ_S12_bEUlT_E_NS1_11comp_targetILNS1_3genE9ELNS1_11target_archE1100ELNS1_3gpuE3ELNS1_3repE0EEENS1_30default_config_static_selectorELNS0_4arch9wavefront6targetE0EEEvSW_
; %bb.0:
	.section	.rodata,"a",@progbits
	.p2align	6, 0x0
	.amdhsa_kernel _ZN7rocprim17ROCPRIM_400000_NS6detail17trampoline_kernelINS0_14default_configENS1_27upper_bound_config_selectorIilEEZNS1_14transform_implILb0ES3_S5_N6thrust23THRUST_200600_302600_NS6detail15normal_iteratorINS8_7pointerIiNS8_11hip_rocprim5par_tENS8_11use_defaultESE_EEEENSA_INSB_IlSD_SE_SE_EEEEZNS1_13binary_searchIS3_S5_PiSG_SI_NS1_21upper_bound_search_opENS9_16wrapped_functionINS8_6system6detail7generic6detail18binary_search_lessEbEEEE10hipError_tPvRmT1_T2_T3_mmT4_T5_P12ihipStream_tbEUlRKiE_EEST_SX_SY_mSZ_S12_bEUlT_E_NS1_11comp_targetILNS1_3genE9ELNS1_11target_archE1100ELNS1_3gpuE3ELNS1_3repE0EEENS1_30default_config_static_selectorELNS0_4arch9wavefront6targetE0EEEvSW_
		.amdhsa_group_segment_fixed_size 0
		.amdhsa_private_segment_fixed_size 0
		.amdhsa_kernarg_size 56
		.amdhsa_user_sgpr_count 6
		.amdhsa_user_sgpr_private_segment_buffer 1
		.amdhsa_user_sgpr_dispatch_ptr 0
		.amdhsa_user_sgpr_queue_ptr 0
		.amdhsa_user_sgpr_kernarg_segment_ptr 1
		.amdhsa_user_sgpr_dispatch_id 0
		.amdhsa_user_sgpr_flat_scratch_init 0
		.amdhsa_user_sgpr_private_segment_size 0
		.amdhsa_wavefront_size32 1
		.amdhsa_uses_dynamic_stack 0
		.amdhsa_system_sgpr_private_segment_wavefront_offset 0
		.amdhsa_system_sgpr_workgroup_id_x 1
		.amdhsa_system_sgpr_workgroup_id_y 0
		.amdhsa_system_sgpr_workgroup_id_z 0
		.amdhsa_system_sgpr_workgroup_info 0
		.amdhsa_system_vgpr_workitem_id 0
		.amdhsa_next_free_vgpr 1
		.amdhsa_next_free_sgpr 1
		.amdhsa_reserve_vcc 0
		.amdhsa_reserve_flat_scratch 0
		.amdhsa_float_round_mode_32 0
		.amdhsa_float_round_mode_16_64 0
		.amdhsa_float_denorm_mode_32 3
		.amdhsa_float_denorm_mode_16_64 3
		.amdhsa_dx10_clamp 1
		.amdhsa_ieee_mode 1
		.amdhsa_fp16_overflow 0
		.amdhsa_workgroup_processor_mode 1
		.amdhsa_memory_ordered 1
		.amdhsa_forward_progress 1
		.amdhsa_shared_vgpr_count 0
		.amdhsa_exception_fp_ieee_invalid_op 0
		.amdhsa_exception_fp_denorm_src 0
		.amdhsa_exception_fp_ieee_div_zero 0
		.amdhsa_exception_fp_ieee_overflow 0
		.amdhsa_exception_fp_ieee_underflow 0
		.amdhsa_exception_fp_ieee_inexact 0
		.amdhsa_exception_int_div_zero 0
	.end_amdhsa_kernel
	.section	.text._ZN7rocprim17ROCPRIM_400000_NS6detail17trampoline_kernelINS0_14default_configENS1_27upper_bound_config_selectorIilEEZNS1_14transform_implILb0ES3_S5_N6thrust23THRUST_200600_302600_NS6detail15normal_iteratorINS8_7pointerIiNS8_11hip_rocprim5par_tENS8_11use_defaultESE_EEEENSA_INSB_IlSD_SE_SE_EEEEZNS1_13binary_searchIS3_S5_PiSG_SI_NS1_21upper_bound_search_opENS9_16wrapped_functionINS8_6system6detail7generic6detail18binary_search_lessEbEEEE10hipError_tPvRmT1_T2_T3_mmT4_T5_P12ihipStream_tbEUlRKiE_EEST_SX_SY_mSZ_S12_bEUlT_E_NS1_11comp_targetILNS1_3genE9ELNS1_11target_archE1100ELNS1_3gpuE3ELNS1_3repE0EEENS1_30default_config_static_selectorELNS0_4arch9wavefront6targetE0EEEvSW_,"axG",@progbits,_ZN7rocprim17ROCPRIM_400000_NS6detail17trampoline_kernelINS0_14default_configENS1_27upper_bound_config_selectorIilEEZNS1_14transform_implILb0ES3_S5_N6thrust23THRUST_200600_302600_NS6detail15normal_iteratorINS8_7pointerIiNS8_11hip_rocprim5par_tENS8_11use_defaultESE_EEEENSA_INSB_IlSD_SE_SE_EEEEZNS1_13binary_searchIS3_S5_PiSG_SI_NS1_21upper_bound_search_opENS9_16wrapped_functionINS8_6system6detail7generic6detail18binary_search_lessEbEEEE10hipError_tPvRmT1_T2_T3_mmT4_T5_P12ihipStream_tbEUlRKiE_EEST_SX_SY_mSZ_S12_bEUlT_E_NS1_11comp_targetILNS1_3genE9ELNS1_11target_archE1100ELNS1_3gpuE3ELNS1_3repE0EEENS1_30default_config_static_selectorELNS0_4arch9wavefront6targetE0EEEvSW_,comdat
.Lfunc_end229:
	.size	_ZN7rocprim17ROCPRIM_400000_NS6detail17trampoline_kernelINS0_14default_configENS1_27upper_bound_config_selectorIilEEZNS1_14transform_implILb0ES3_S5_N6thrust23THRUST_200600_302600_NS6detail15normal_iteratorINS8_7pointerIiNS8_11hip_rocprim5par_tENS8_11use_defaultESE_EEEENSA_INSB_IlSD_SE_SE_EEEEZNS1_13binary_searchIS3_S5_PiSG_SI_NS1_21upper_bound_search_opENS9_16wrapped_functionINS8_6system6detail7generic6detail18binary_search_lessEbEEEE10hipError_tPvRmT1_T2_T3_mmT4_T5_P12ihipStream_tbEUlRKiE_EEST_SX_SY_mSZ_S12_bEUlT_E_NS1_11comp_targetILNS1_3genE9ELNS1_11target_archE1100ELNS1_3gpuE3ELNS1_3repE0EEENS1_30default_config_static_selectorELNS0_4arch9wavefront6targetE0EEEvSW_, .Lfunc_end229-_ZN7rocprim17ROCPRIM_400000_NS6detail17trampoline_kernelINS0_14default_configENS1_27upper_bound_config_selectorIilEEZNS1_14transform_implILb0ES3_S5_N6thrust23THRUST_200600_302600_NS6detail15normal_iteratorINS8_7pointerIiNS8_11hip_rocprim5par_tENS8_11use_defaultESE_EEEENSA_INSB_IlSD_SE_SE_EEEEZNS1_13binary_searchIS3_S5_PiSG_SI_NS1_21upper_bound_search_opENS9_16wrapped_functionINS8_6system6detail7generic6detail18binary_search_lessEbEEEE10hipError_tPvRmT1_T2_T3_mmT4_T5_P12ihipStream_tbEUlRKiE_EEST_SX_SY_mSZ_S12_bEUlT_E_NS1_11comp_targetILNS1_3genE9ELNS1_11target_archE1100ELNS1_3gpuE3ELNS1_3repE0EEENS1_30default_config_static_selectorELNS0_4arch9wavefront6targetE0EEEvSW_
                                        ; -- End function
	.set _ZN7rocprim17ROCPRIM_400000_NS6detail17trampoline_kernelINS0_14default_configENS1_27upper_bound_config_selectorIilEEZNS1_14transform_implILb0ES3_S5_N6thrust23THRUST_200600_302600_NS6detail15normal_iteratorINS8_7pointerIiNS8_11hip_rocprim5par_tENS8_11use_defaultESE_EEEENSA_INSB_IlSD_SE_SE_EEEEZNS1_13binary_searchIS3_S5_PiSG_SI_NS1_21upper_bound_search_opENS9_16wrapped_functionINS8_6system6detail7generic6detail18binary_search_lessEbEEEE10hipError_tPvRmT1_T2_T3_mmT4_T5_P12ihipStream_tbEUlRKiE_EEST_SX_SY_mSZ_S12_bEUlT_E_NS1_11comp_targetILNS1_3genE9ELNS1_11target_archE1100ELNS1_3gpuE3ELNS1_3repE0EEENS1_30default_config_static_selectorELNS0_4arch9wavefront6targetE0EEEvSW_.num_vgpr, 0
	.set _ZN7rocprim17ROCPRIM_400000_NS6detail17trampoline_kernelINS0_14default_configENS1_27upper_bound_config_selectorIilEEZNS1_14transform_implILb0ES3_S5_N6thrust23THRUST_200600_302600_NS6detail15normal_iteratorINS8_7pointerIiNS8_11hip_rocprim5par_tENS8_11use_defaultESE_EEEENSA_INSB_IlSD_SE_SE_EEEEZNS1_13binary_searchIS3_S5_PiSG_SI_NS1_21upper_bound_search_opENS9_16wrapped_functionINS8_6system6detail7generic6detail18binary_search_lessEbEEEE10hipError_tPvRmT1_T2_T3_mmT4_T5_P12ihipStream_tbEUlRKiE_EEST_SX_SY_mSZ_S12_bEUlT_E_NS1_11comp_targetILNS1_3genE9ELNS1_11target_archE1100ELNS1_3gpuE3ELNS1_3repE0EEENS1_30default_config_static_selectorELNS0_4arch9wavefront6targetE0EEEvSW_.num_agpr, 0
	.set _ZN7rocprim17ROCPRIM_400000_NS6detail17trampoline_kernelINS0_14default_configENS1_27upper_bound_config_selectorIilEEZNS1_14transform_implILb0ES3_S5_N6thrust23THRUST_200600_302600_NS6detail15normal_iteratorINS8_7pointerIiNS8_11hip_rocprim5par_tENS8_11use_defaultESE_EEEENSA_INSB_IlSD_SE_SE_EEEEZNS1_13binary_searchIS3_S5_PiSG_SI_NS1_21upper_bound_search_opENS9_16wrapped_functionINS8_6system6detail7generic6detail18binary_search_lessEbEEEE10hipError_tPvRmT1_T2_T3_mmT4_T5_P12ihipStream_tbEUlRKiE_EEST_SX_SY_mSZ_S12_bEUlT_E_NS1_11comp_targetILNS1_3genE9ELNS1_11target_archE1100ELNS1_3gpuE3ELNS1_3repE0EEENS1_30default_config_static_selectorELNS0_4arch9wavefront6targetE0EEEvSW_.numbered_sgpr, 0
	.set _ZN7rocprim17ROCPRIM_400000_NS6detail17trampoline_kernelINS0_14default_configENS1_27upper_bound_config_selectorIilEEZNS1_14transform_implILb0ES3_S5_N6thrust23THRUST_200600_302600_NS6detail15normal_iteratorINS8_7pointerIiNS8_11hip_rocprim5par_tENS8_11use_defaultESE_EEEENSA_INSB_IlSD_SE_SE_EEEEZNS1_13binary_searchIS3_S5_PiSG_SI_NS1_21upper_bound_search_opENS9_16wrapped_functionINS8_6system6detail7generic6detail18binary_search_lessEbEEEE10hipError_tPvRmT1_T2_T3_mmT4_T5_P12ihipStream_tbEUlRKiE_EEST_SX_SY_mSZ_S12_bEUlT_E_NS1_11comp_targetILNS1_3genE9ELNS1_11target_archE1100ELNS1_3gpuE3ELNS1_3repE0EEENS1_30default_config_static_selectorELNS0_4arch9wavefront6targetE0EEEvSW_.num_named_barrier, 0
	.set _ZN7rocprim17ROCPRIM_400000_NS6detail17trampoline_kernelINS0_14default_configENS1_27upper_bound_config_selectorIilEEZNS1_14transform_implILb0ES3_S5_N6thrust23THRUST_200600_302600_NS6detail15normal_iteratorINS8_7pointerIiNS8_11hip_rocprim5par_tENS8_11use_defaultESE_EEEENSA_INSB_IlSD_SE_SE_EEEEZNS1_13binary_searchIS3_S5_PiSG_SI_NS1_21upper_bound_search_opENS9_16wrapped_functionINS8_6system6detail7generic6detail18binary_search_lessEbEEEE10hipError_tPvRmT1_T2_T3_mmT4_T5_P12ihipStream_tbEUlRKiE_EEST_SX_SY_mSZ_S12_bEUlT_E_NS1_11comp_targetILNS1_3genE9ELNS1_11target_archE1100ELNS1_3gpuE3ELNS1_3repE0EEENS1_30default_config_static_selectorELNS0_4arch9wavefront6targetE0EEEvSW_.private_seg_size, 0
	.set _ZN7rocprim17ROCPRIM_400000_NS6detail17trampoline_kernelINS0_14default_configENS1_27upper_bound_config_selectorIilEEZNS1_14transform_implILb0ES3_S5_N6thrust23THRUST_200600_302600_NS6detail15normal_iteratorINS8_7pointerIiNS8_11hip_rocprim5par_tENS8_11use_defaultESE_EEEENSA_INSB_IlSD_SE_SE_EEEEZNS1_13binary_searchIS3_S5_PiSG_SI_NS1_21upper_bound_search_opENS9_16wrapped_functionINS8_6system6detail7generic6detail18binary_search_lessEbEEEE10hipError_tPvRmT1_T2_T3_mmT4_T5_P12ihipStream_tbEUlRKiE_EEST_SX_SY_mSZ_S12_bEUlT_E_NS1_11comp_targetILNS1_3genE9ELNS1_11target_archE1100ELNS1_3gpuE3ELNS1_3repE0EEENS1_30default_config_static_selectorELNS0_4arch9wavefront6targetE0EEEvSW_.uses_vcc, 0
	.set _ZN7rocprim17ROCPRIM_400000_NS6detail17trampoline_kernelINS0_14default_configENS1_27upper_bound_config_selectorIilEEZNS1_14transform_implILb0ES3_S5_N6thrust23THRUST_200600_302600_NS6detail15normal_iteratorINS8_7pointerIiNS8_11hip_rocprim5par_tENS8_11use_defaultESE_EEEENSA_INSB_IlSD_SE_SE_EEEEZNS1_13binary_searchIS3_S5_PiSG_SI_NS1_21upper_bound_search_opENS9_16wrapped_functionINS8_6system6detail7generic6detail18binary_search_lessEbEEEE10hipError_tPvRmT1_T2_T3_mmT4_T5_P12ihipStream_tbEUlRKiE_EEST_SX_SY_mSZ_S12_bEUlT_E_NS1_11comp_targetILNS1_3genE9ELNS1_11target_archE1100ELNS1_3gpuE3ELNS1_3repE0EEENS1_30default_config_static_selectorELNS0_4arch9wavefront6targetE0EEEvSW_.uses_flat_scratch, 0
	.set _ZN7rocprim17ROCPRIM_400000_NS6detail17trampoline_kernelINS0_14default_configENS1_27upper_bound_config_selectorIilEEZNS1_14transform_implILb0ES3_S5_N6thrust23THRUST_200600_302600_NS6detail15normal_iteratorINS8_7pointerIiNS8_11hip_rocprim5par_tENS8_11use_defaultESE_EEEENSA_INSB_IlSD_SE_SE_EEEEZNS1_13binary_searchIS3_S5_PiSG_SI_NS1_21upper_bound_search_opENS9_16wrapped_functionINS8_6system6detail7generic6detail18binary_search_lessEbEEEE10hipError_tPvRmT1_T2_T3_mmT4_T5_P12ihipStream_tbEUlRKiE_EEST_SX_SY_mSZ_S12_bEUlT_E_NS1_11comp_targetILNS1_3genE9ELNS1_11target_archE1100ELNS1_3gpuE3ELNS1_3repE0EEENS1_30default_config_static_selectorELNS0_4arch9wavefront6targetE0EEEvSW_.has_dyn_sized_stack, 0
	.set _ZN7rocprim17ROCPRIM_400000_NS6detail17trampoline_kernelINS0_14default_configENS1_27upper_bound_config_selectorIilEEZNS1_14transform_implILb0ES3_S5_N6thrust23THRUST_200600_302600_NS6detail15normal_iteratorINS8_7pointerIiNS8_11hip_rocprim5par_tENS8_11use_defaultESE_EEEENSA_INSB_IlSD_SE_SE_EEEEZNS1_13binary_searchIS3_S5_PiSG_SI_NS1_21upper_bound_search_opENS9_16wrapped_functionINS8_6system6detail7generic6detail18binary_search_lessEbEEEE10hipError_tPvRmT1_T2_T3_mmT4_T5_P12ihipStream_tbEUlRKiE_EEST_SX_SY_mSZ_S12_bEUlT_E_NS1_11comp_targetILNS1_3genE9ELNS1_11target_archE1100ELNS1_3gpuE3ELNS1_3repE0EEENS1_30default_config_static_selectorELNS0_4arch9wavefront6targetE0EEEvSW_.has_recursion, 0
	.set _ZN7rocprim17ROCPRIM_400000_NS6detail17trampoline_kernelINS0_14default_configENS1_27upper_bound_config_selectorIilEEZNS1_14transform_implILb0ES3_S5_N6thrust23THRUST_200600_302600_NS6detail15normal_iteratorINS8_7pointerIiNS8_11hip_rocprim5par_tENS8_11use_defaultESE_EEEENSA_INSB_IlSD_SE_SE_EEEEZNS1_13binary_searchIS3_S5_PiSG_SI_NS1_21upper_bound_search_opENS9_16wrapped_functionINS8_6system6detail7generic6detail18binary_search_lessEbEEEE10hipError_tPvRmT1_T2_T3_mmT4_T5_P12ihipStream_tbEUlRKiE_EEST_SX_SY_mSZ_S12_bEUlT_E_NS1_11comp_targetILNS1_3genE9ELNS1_11target_archE1100ELNS1_3gpuE3ELNS1_3repE0EEENS1_30default_config_static_selectorELNS0_4arch9wavefront6targetE0EEEvSW_.has_indirect_call, 0
	.section	.AMDGPU.csdata,"",@progbits
; Kernel info:
; codeLenInByte = 0
; TotalNumSgprs: 0
; NumVgprs: 0
; ScratchSize: 0
; MemoryBound: 0
; FloatMode: 240
; IeeeMode: 1
; LDSByteSize: 0 bytes/workgroup (compile time only)
; SGPRBlocks: 0
; VGPRBlocks: 0
; NumSGPRsForWavesPerEU: 1
; NumVGPRsForWavesPerEU: 1
; Occupancy: 16
; WaveLimiterHint : 0
; COMPUTE_PGM_RSRC2:SCRATCH_EN: 0
; COMPUTE_PGM_RSRC2:USER_SGPR: 6
; COMPUTE_PGM_RSRC2:TRAP_HANDLER: 0
; COMPUTE_PGM_RSRC2:TGID_X_EN: 1
; COMPUTE_PGM_RSRC2:TGID_Y_EN: 0
; COMPUTE_PGM_RSRC2:TGID_Z_EN: 0
; COMPUTE_PGM_RSRC2:TIDIG_COMP_CNT: 0
	.section	.text._ZN7rocprim17ROCPRIM_400000_NS6detail17trampoline_kernelINS0_14default_configENS1_27upper_bound_config_selectorIilEEZNS1_14transform_implILb0ES3_S5_N6thrust23THRUST_200600_302600_NS6detail15normal_iteratorINS8_7pointerIiNS8_11hip_rocprim5par_tENS8_11use_defaultESE_EEEENSA_INSB_IlSD_SE_SE_EEEEZNS1_13binary_searchIS3_S5_PiSG_SI_NS1_21upper_bound_search_opENS9_16wrapped_functionINS8_6system6detail7generic6detail18binary_search_lessEbEEEE10hipError_tPvRmT1_T2_T3_mmT4_T5_P12ihipStream_tbEUlRKiE_EEST_SX_SY_mSZ_S12_bEUlT_E_NS1_11comp_targetILNS1_3genE8ELNS1_11target_archE1030ELNS1_3gpuE2ELNS1_3repE0EEENS1_30default_config_static_selectorELNS0_4arch9wavefront6targetE0EEEvSW_,"axG",@progbits,_ZN7rocprim17ROCPRIM_400000_NS6detail17trampoline_kernelINS0_14default_configENS1_27upper_bound_config_selectorIilEEZNS1_14transform_implILb0ES3_S5_N6thrust23THRUST_200600_302600_NS6detail15normal_iteratorINS8_7pointerIiNS8_11hip_rocprim5par_tENS8_11use_defaultESE_EEEENSA_INSB_IlSD_SE_SE_EEEEZNS1_13binary_searchIS3_S5_PiSG_SI_NS1_21upper_bound_search_opENS9_16wrapped_functionINS8_6system6detail7generic6detail18binary_search_lessEbEEEE10hipError_tPvRmT1_T2_T3_mmT4_T5_P12ihipStream_tbEUlRKiE_EEST_SX_SY_mSZ_S12_bEUlT_E_NS1_11comp_targetILNS1_3genE8ELNS1_11target_archE1030ELNS1_3gpuE2ELNS1_3repE0EEENS1_30default_config_static_selectorELNS0_4arch9wavefront6targetE0EEEvSW_,comdat
	.protected	_ZN7rocprim17ROCPRIM_400000_NS6detail17trampoline_kernelINS0_14default_configENS1_27upper_bound_config_selectorIilEEZNS1_14transform_implILb0ES3_S5_N6thrust23THRUST_200600_302600_NS6detail15normal_iteratorINS8_7pointerIiNS8_11hip_rocprim5par_tENS8_11use_defaultESE_EEEENSA_INSB_IlSD_SE_SE_EEEEZNS1_13binary_searchIS3_S5_PiSG_SI_NS1_21upper_bound_search_opENS9_16wrapped_functionINS8_6system6detail7generic6detail18binary_search_lessEbEEEE10hipError_tPvRmT1_T2_T3_mmT4_T5_P12ihipStream_tbEUlRKiE_EEST_SX_SY_mSZ_S12_bEUlT_E_NS1_11comp_targetILNS1_3genE8ELNS1_11target_archE1030ELNS1_3gpuE2ELNS1_3repE0EEENS1_30default_config_static_selectorELNS0_4arch9wavefront6targetE0EEEvSW_ ; -- Begin function _ZN7rocprim17ROCPRIM_400000_NS6detail17trampoline_kernelINS0_14default_configENS1_27upper_bound_config_selectorIilEEZNS1_14transform_implILb0ES3_S5_N6thrust23THRUST_200600_302600_NS6detail15normal_iteratorINS8_7pointerIiNS8_11hip_rocprim5par_tENS8_11use_defaultESE_EEEENSA_INSB_IlSD_SE_SE_EEEEZNS1_13binary_searchIS3_S5_PiSG_SI_NS1_21upper_bound_search_opENS9_16wrapped_functionINS8_6system6detail7generic6detail18binary_search_lessEbEEEE10hipError_tPvRmT1_T2_T3_mmT4_T5_P12ihipStream_tbEUlRKiE_EEST_SX_SY_mSZ_S12_bEUlT_E_NS1_11comp_targetILNS1_3genE8ELNS1_11target_archE1030ELNS1_3gpuE2ELNS1_3repE0EEENS1_30default_config_static_selectorELNS0_4arch9wavefront6targetE0EEEvSW_
	.globl	_ZN7rocprim17ROCPRIM_400000_NS6detail17trampoline_kernelINS0_14default_configENS1_27upper_bound_config_selectorIilEEZNS1_14transform_implILb0ES3_S5_N6thrust23THRUST_200600_302600_NS6detail15normal_iteratorINS8_7pointerIiNS8_11hip_rocprim5par_tENS8_11use_defaultESE_EEEENSA_INSB_IlSD_SE_SE_EEEEZNS1_13binary_searchIS3_S5_PiSG_SI_NS1_21upper_bound_search_opENS9_16wrapped_functionINS8_6system6detail7generic6detail18binary_search_lessEbEEEE10hipError_tPvRmT1_T2_T3_mmT4_T5_P12ihipStream_tbEUlRKiE_EEST_SX_SY_mSZ_S12_bEUlT_E_NS1_11comp_targetILNS1_3genE8ELNS1_11target_archE1030ELNS1_3gpuE2ELNS1_3repE0EEENS1_30default_config_static_selectorELNS0_4arch9wavefront6targetE0EEEvSW_
	.p2align	8
	.type	_ZN7rocprim17ROCPRIM_400000_NS6detail17trampoline_kernelINS0_14default_configENS1_27upper_bound_config_selectorIilEEZNS1_14transform_implILb0ES3_S5_N6thrust23THRUST_200600_302600_NS6detail15normal_iteratorINS8_7pointerIiNS8_11hip_rocprim5par_tENS8_11use_defaultESE_EEEENSA_INSB_IlSD_SE_SE_EEEEZNS1_13binary_searchIS3_S5_PiSG_SI_NS1_21upper_bound_search_opENS9_16wrapped_functionINS8_6system6detail7generic6detail18binary_search_lessEbEEEE10hipError_tPvRmT1_T2_T3_mmT4_T5_P12ihipStream_tbEUlRKiE_EEST_SX_SY_mSZ_S12_bEUlT_E_NS1_11comp_targetILNS1_3genE8ELNS1_11target_archE1030ELNS1_3gpuE2ELNS1_3repE0EEENS1_30default_config_static_selectorELNS0_4arch9wavefront6targetE0EEEvSW_,@function
_ZN7rocprim17ROCPRIM_400000_NS6detail17trampoline_kernelINS0_14default_configENS1_27upper_bound_config_selectorIilEEZNS1_14transform_implILb0ES3_S5_N6thrust23THRUST_200600_302600_NS6detail15normal_iteratorINS8_7pointerIiNS8_11hip_rocprim5par_tENS8_11use_defaultESE_EEEENSA_INSB_IlSD_SE_SE_EEEEZNS1_13binary_searchIS3_S5_PiSG_SI_NS1_21upper_bound_search_opENS9_16wrapped_functionINS8_6system6detail7generic6detail18binary_search_lessEbEEEE10hipError_tPvRmT1_T2_T3_mmT4_T5_P12ihipStream_tbEUlRKiE_EEST_SX_SY_mSZ_S12_bEUlT_E_NS1_11comp_targetILNS1_3genE8ELNS1_11target_archE1030ELNS1_3gpuE2ELNS1_3repE0EEENS1_30default_config_static_selectorELNS0_4arch9wavefront6targetE0EEEvSW_: ; @_ZN7rocprim17ROCPRIM_400000_NS6detail17trampoline_kernelINS0_14default_configENS1_27upper_bound_config_selectorIilEEZNS1_14transform_implILb0ES3_S5_N6thrust23THRUST_200600_302600_NS6detail15normal_iteratorINS8_7pointerIiNS8_11hip_rocprim5par_tENS8_11use_defaultESE_EEEENSA_INSB_IlSD_SE_SE_EEEEZNS1_13binary_searchIS3_S5_PiSG_SI_NS1_21upper_bound_search_opENS9_16wrapped_functionINS8_6system6detail7generic6detail18binary_search_lessEbEEEE10hipError_tPvRmT1_T2_T3_mmT4_T5_P12ihipStream_tbEUlRKiE_EEST_SX_SY_mSZ_S12_bEUlT_E_NS1_11comp_targetILNS1_3genE8ELNS1_11target_archE1030ELNS1_3gpuE2ELNS1_3repE0EEENS1_30default_config_static_selectorELNS0_4arch9wavefront6targetE0EEEvSW_
; %bb.0:
	s_clause 0x3
	s_load_dwordx4 s[12:15], s[4:5], 0x0
	s_load_dwordx4 s[0:3], s[4:5], 0x18
	s_load_dword s16, s[4:5], 0x38
	s_load_dwordx2 s[10:11], s[4:5], 0x28
	s_waitcnt lgkmcnt(0)
	s_lshl_b64 s[8:9], s[14:15], 2
	s_add_u32 s12, s12, s8
	s_addc_u32 s13, s13, s9
	s_lshl_b64 s[8:9], s[14:15], 3
	s_add_u32 s7, s0, s8
	s_addc_u32 s1, s1, s9
	s_add_i32 s16, s16, -1
	s_lshl_b32 s8, s6, 8
	s_mov_b32 s9, 0
	s_cmp_lg_u32 s6, s16
	s_mov_b32 s0, -1
	s_cbranch_scc0 .LBB230_7
; %bb.1:
	s_cmp_eq_u64 s[10:11], 0
	s_cbranch_scc1 .LBB230_5
; %bb.2:
	v_lshlrev_b32_e32 v1, 2, v0
	s_lshl_b64 s[14:15], s[8:9], 2
	v_mov_b32_e32 v3, s10
	s_add_u32 s0, s12, s14
	s_addc_u32 s6, s13, s15
	v_add_co_u32 v1, s0, s0, v1
	v_add_co_ci_u32_e64 v2, null, s6, 0, s0
	v_mov_b32_e32 v4, s11
	s_mov_b32 s0, 0
	flat_load_dword v5, v[1:2]
	v_mov_b32_e32 v1, 0
	v_mov_b32_e32 v2, 0
	s_inst_prefetch 0x1
	.p2align	6
.LBB230_3:                              ; =>This Inner Loop Header: Depth=1
	v_sub_co_u32 v6, vcc_lo, v3, v1
	v_sub_co_ci_u32_e64 v7, null, v4, v2, vcc_lo
	v_lshrrev_b64 v[8:9], 1, v[6:7]
	v_lshrrev_b64 v[6:7], 6, v[6:7]
	v_add_co_u32 v8, vcc_lo, v8, v1
	v_add_co_ci_u32_e64 v9, null, v9, v2, vcc_lo
	v_add_co_u32 v6, vcc_lo, v8, v6
	v_add_co_ci_u32_e64 v7, null, v9, v7, vcc_lo
	v_lshlrev_b64 v[8:9], 2, v[6:7]
	v_add_co_u32 v8, vcc_lo, s2, v8
	v_add_co_ci_u32_e64 v9, null, s3, v9, vcc_lo
	global_load_dword v8, v[8:9], off
	v_add_co_u32 v9, vcc_lo, v6, 1
	v_add_co_ci_u32_e64 v10, null, 0, v7, vcc_lo
	s_waitcnt vmcnt(0) lgkmcnt(0)
	v_cmp_lt_i32_e32 vcc_lo, v5, v8
	v_cndmask_b32_e32 v4, v4, v7, vcc_lo
	v_cndmask_b32_e32 v3, v3, v6, vcc_lo
	;; [unrolled: 1-line block ×4, first 2 shown]
	v_cmp_ge_u64_e32 vcc_lo, v[1:2], v[3:4]
	s_or_b32 s0, vcc_lo, s0
	s_andn2_b32 exec_lo, exec_lo, s0
	s_cbranch_execnz .LBB230_3
; %bb.4:
	s_inst_prefetch 0x2
	s_or_b32 exec_lo, exec_lo, s0
	s_branch .LBB230_6
.LBB230_5:
	v_mov_b32_e32 v1, 0
	v_mov_b32_e32 v2, 0
.LBB230_6:
	v_lshlrev_b32_e32 v3, 3, v0
	s_lshl_b64 s[14:15], s[8:9], 3
	s_add_u32 s0, s7, s14
	s_addc_u32 s6, s1, s15
	v_add_co_u32 v3, s0, s0, v3
	v_add_co_ci_u32_e64 v4, null, s6, 0, s0
	s_mov_b32 s0, 0
	flat_store_dwordx2 v[3:4], v[1:2]
.LBB230_7:
	s_and_b32 vcc_lo, exec_lo, s0
	s_cbranch_vccz .LBB230_16
; %bb.8:
	s_load_dword s0, s[4:5], 0x10
                                        ; implicit-def: $vgpr5
	s_waitcnt lgkmcnt(0)
	s_sub_i32 s4, s0, s8
	v_cmp_le_u32_e64 s0, s4, v0
	v_cmp_gt_u32_e32 vcc_lo, s4, v0
	s_and_saveexec_b32 s4, vcc_lo
	s_cbranch_execz .LBB230_10
; %bb.9:
	v_lshlrev_b32_e32 v1, 2, v0
	s_lshl_b64 s[14:15], s[8:9], 2
	s_add_u32 s5, s12, s14
	s_addc_u32 s6, s13, s15
	v_add_co_u32 v1, s5, s5, v1
	v_add_co_ci_u32_e64 v2, null, s6, 0, s5
	flat_load_dword v5, v[1:2]
.LBB230_10:
	s_or_b32 exec_lo, exec_lo, s4
	s_cmp_lg_u64 s[10:11], 0
	v_mov_b32_e32 v1, 0
	v_mov_b32_e32 v2, 0
	s_cselect_b32 s4, -1, 0
	s_xor_b32 s0, s0, -1
	s_and_b32 s0, s0, s4
	s_and_saveexec_b32 s4, s0
	s_cbranch_execz .LBB230_14
; %bb.11:
	v_mov_b32_e32 v1, 0
	v_mov_b32_e32 v3, s10
	;; [unrolled: 1-line block ×4, first 2 shown]
	s_mov_b32 s5, 0
	s_inst_prefetch 0x1
	.p2align	6
.LBB230_12:                             ; =>This Inner Loop Header: Depth=1
	v_sub_co_u32 v6, s0, v3, v1
	v_sub_co_ci_u32_e64 v7, null, v4, v2, s0
	v_lshrrev_b64 v[8:9], 1, v[6:7]
	v_lshrrev_b64 v[6:7], 6, v[6:7]
	v_add_co_u32 v8, s0, v8, v1
	v_add_co_ci_u32_e64 v9, null, v9, v2, s0
	v_add_co_u32 v6, s0, v8, v6
	v_add_co_ci_u32_e64 v7, null, v9, v7, s0
	v_lshlrev_b64 v[8:9], 2, v[6:7]
	v_add_co_u32 v8, s0, s2, v8
	v_add_co_ci_u32_e64 v9, null, s3, v9, s0
	global_load_dword v8, v[8:9], off
	v_add_co_u32 v9, s0, v6, 1
	v_add_co_ci_u32_e64 v10, null, 0, v7, s0
	s_waitcnt vmcnt(0) lgkmcnt(0)
	v_cmp_lt_i32_e64 s0, v5, v8
	v_cndmask_b32_e64 v4, v4, v7, s0
	v_cndmask_b32_e64 v3, v3, v6, s0
	;; [unrolled: 1-line block ×4, first 2 shown]
	v_cmp_ge_u64_e64 s0, v[1:2], v[3:4]
	s_or_b32 s5, s0, s5
	s_andn2_b32 exec_lo, exec_lo, s5
	s_cbranch_execnz .LBB230_12
; %bb.13:
	s_inst_prefetch 0x2
	s_or_b32 exec_lo, exec_lo, s5
.LBB230_14:
	s_or_b32 exec_lo, exec_lo, s4
	s_and_saveexec_b32 s0, vcc_lo
	s_cbranch_execz .LBB230_16
; %bb.15:
	v_lshlrev_b32_e32 v0, 3, v0
	s_lshl_b64 s[2:3], s[8:9], 3
	s_add_u32 s0, s7, s2
	s_addc_u32 s1, s1, s3
	v_add_co_u32 v3, s0, s0, v0
	v_add_co_ci_u32_e64 v4, null, s1, 0, s0
	flat_store_dwordx2 v[3:4], v[1:2]
.LBB230_16:
	s_endpgm
	.section	.rodata,"a",@progbits
	.p2align	6, 0x0
	.amdhsa_kernel _ZN7rocprim17ROCPRIM_400000_NS6detail17trampoline_kernelINS0_14default_configENS1_27upper_bound_config_selectorIilEEZNS1_14transform_implILb0ES3_S5_N6thrust23THRUST_200600_302600_NS6detail15normal_iteratorINS8_7pointerIiNS8_11hip_rocprim5par_tENS8_11use_defaultESE_EEEENSA_INSB_IlSD_SE_SE_EEEEZNS1_13binary_searchIS3_S5_PiSG_SI_NS1_21upper_bound_search_opENS9_16wrapped_functionINS8_6system6detail7generic6detail18binary_search_lessEbEEEE10hipError_tPvRmT1_T2_T3_mmT4_T5_P12ihipStream_tbEUlRKiE_EEST_SX_SY_mSZ_S12_bEUlT_E_NS1_11comp_targetILNS1_3genE8ELNS1_11target_archE1030ELNS1_3gpuE2ELNS1_3repE0EEENS1_30default_config_static_selectorELNS0_4arch9wavefront6targetE0EEEvSW_
		.amdhsa_group_segment_fixed_size 0
		.amdhsa_private_segment_fixed_size 0
		.amdhsa_kernarg_size 312
		.amdhsa_user_sgpr_count 6
		.amdhsa_user_sgpr_private_segment_buffer 1
		.amdhsa_user_sgpr_dispatch_ptr 0
		.amdhsa_user_sgpr_queue_ptr 0
		.amdhsa_user_sgpr_kernarg_segment_ptr 1
		.amdhsa_user_sgpr_dispatch_id 0
		.amdhsa_user_sgpr_flat_scratch_init 0
		.amdhsa_user_sgpr_private_segment_size 0
		.amdhsa_wavefront_size32 1
		.amdhsa_uses_dynamic_stack 0
		.amdhsa_system_sgpr_private_segment_wavefront_offset 0
		.amdhsa_system_sgpr_workgroup_id_x 1
		.amdhsa_system_sgpr_workgroup_id_y 0
		.amdhsa_system_sgpr_workgroup_id_z 0
		.amdhsa_system_sgpr_workgroup_info 0
		.amdhsa_system_vgpr_workitem_id 0
		.amdhsa_next_free_vgpr 11
		.amdhsa_next_free_sgpr 17
		.amdhsa_reserve_vcc 1
		.amdhsa_reserve_flat_scratch 0
		.amdhsa_float_round_mode_32 0
		.amdhsa_float_round_mode_16_64 0
		.amdhsa_float_denorm_mode_32 3
		.amdhsa_float_denorm_mode_16_64 3
		.amdhsa_dx10_clamp 1
		.amdhsa_ieee_mode 1
		.amdhsa_fp16_overflow 0
		.amdhsa_workgroup_processor_mode 1
		.amdhsa_memory_ordered 1
		.amdhsa_forward_progress 1
		.amdhsa_shared_vgpr_count 0
		.amdhsa_exception_fp_ieee_invalid_op 0
		.amdhsa_exception_fp_denorm_src 0
		.amdhsa_exception_fp_ieee_div_zero 0
		.amdhsa_exception_fp_ieee_overflow 0
		.amdhsa_exception_fp_ieee_underflow 0
		.amdhsa_exception_fp_ieee_inexact 0
		.amdhsa_exception_int_div_zero 0
	.end_amdhsa_kernel
	.section	.text._ZN7rocprim17ROCPRIM_400000_NS6detail17trampoline_kernelINS0_14default_configENS1_27upper_bound_config_selectorIilEEZNS1_14transform_implILb0ES3_S5_N6thrust23THRUST_200600_302600_NS6detail15normal_iteratorINS8_7pointerIiNS8_11hip_rocprim5par_tENS8_11use_defaultESE_EEEENSA_INSB_IlSD_SE_SE_EEEEZNS1_13binary_searchIS3_S5_PiSG_SI_NS1_21upper_bound_search_opENS9_16wrapped_functionINS8_6system6detail7generic6detail18binary_search_lessEbEEEE10hipError_tPvRmT1_T2_T3_mmT4_T5_P12ihipStream_tbEUlRKiE_EEST_SX_SY_mSZ_S12_bEUlT_E_NS1_11comp_targetILNS1_3genE8ELNS1_11target_archE1030ELNS1_3gpuE2ELNS1_3repE0EEENS1_30default_config_static_selectorELNS0_4arch9wavefront6targetE0EEEvSW_,"axG",@progbits,_ZN7rocprim17ROCPRIM_400000_NS6detail17trampoline_kernelINS0_14default_configENS1_27upper_bound_config_selectorIilEEZNS1_14transform_implILb0ES3_S5_N6thrust23THRUST_200600_302600_NS6detail15normal_iteratorINS8_7pointerIiNS8_11hip_rocprim5par_tENS8_11use_defaultESE_EEEENSA_INSB_IlSD_SE_SE_EEEEZNS1_13binary_searchIS3_S5_PiSG_SI_NS1_21upper_bound_search_opENS9_16wrapped_functionINS8_6system6detail7generic6detail18binary_search_lessEbEEEE10hipError_tPvRmT1_T2_T3_mmT4_T5_P12ihipStream_tbEUlRKiE_EEST_SX_SY_mSZ_S12_bEUlT_E_NS1_11comp_targetILNS1_3genE8ELNS1_11target_archE1030ELNS1_3gpuE2ELNS1_3repE0EEENS1_30default_config_static_selectorELNS0_4arch9wavefront6targetE0EEEvSW_,comdat
.Lfunc_end230:
	.size	_ZN7rocprim17ROCPRIM_400000_NS6detail17trampoline_kernelINS0_14default_configENS1_27upper_bound_config_selectorIilEEZNS1_14transform_implILb0ES3_S5_N6thrust23THRUST_200600_302600_NS6detail15normal_iteratorINS8_7pointerIiNS8_11hip_rocprim5par_tENS8_11use_defaultESE_EEEENSA_INSB_IlSD_SE_SE_EEEEZNS1_13binary_searchIS3_S5_PiSG_SI_NS1_21upper_bound_search_opENS9_16wrapped_functionINS8_6system6detail7generic6detail18binary_search_lessEbEEEE10hipError_tPvRmT1_T2_T3_mmT4_T5_P12ihipStream_tbEUlRKiE_EEST_SX_SY_mSZ_S12_bEUlT_E_NS1_11comp_targetILNS1_3genE8ELNS1_11target_archE1030ELNS1_3gpuE2ELNS1_3repE0EEENS1_30default_config_static_selectorELNS0_4arch9wavefront6targetE0EEEvSW_, .Lfunc_end230-_ZN7rocprim17ROCPRIM_400000_NS6detail17trampoline_kernelINS0_14default_configENS1_27upper_bound_config_selectorIilEEZNS1_14transform_implILb0ES3_S5_N6thrust23THRUST_200600_302600_NS6detail15normal_iteratorINS8_7pointerIiNS8_11hip_rocprim5par_tENS8_11use_defaultESE_EEEENSA_INSB_IlSD_SE_SE_EEEEZNS1_13binary_searchIS3_S5_PiSG_SI_NS1_21upper_bound_search_opENS9_16wrapped_functionINS8_6system6detail7generic6detail18binary_search_lessEbEEEE10hipError_tPvRmT1_T2_T3_mmT4_T5_P12ihipStream_tbEUlRKiE_EEST_SX_SY_mSZ_S12_bEUlT_E_NS1_11comp_targetILNS1_3genE8ELNS1_11target_archE1030ELNS1_3gpuE2ELNS1_3repE0EEENS1_30default_config_static_selectorELNS0_4arch9wavefront6targetE0EEEvSW_
                                        ; -- End function
	.set _ZN7rocprim17ROCPRIM_400000_NS6detail17trampoline_kernelINS0_14default_configENS1_27upper_bound_config_selectorIilEEZNS1_14transform_implILb0ES3_S5_N6thrust23THRUST_200600_302600_NS6detail15normal_iteratorINS8_7pointerIiNS8_11hip_rocprim5par_tENS8_11use_defaultESE_EEEENSA_INSB_IlSD_SE_SE_EEEEZNS1_13binary_searchIS3_S5_PiSG_SI_NS1_21upper_bound_search_opENS9_16wrapped_functionINS8_6system6detail7generic6detail18binary_search_lessEbEEEE10hipError_tPvRmT1_T2_T3_mmT4_T5_P12ihipStream_tbEUlRKiE_EEST_SX_SY_mSZ_S12_bEUlT_E_NS1_11comp_targetILNS1_3genE8ELNS1_11target_archE1030ELNS1_3gpuE2ELNS1_3repE0EEENS1_30default_config_static_selectorELNS0_4arch9wavefront6targetE0EEEvSW_.num_vgpr, 11
	.set _ZN7rocprim17ROCPRIM_400000_NS6detail17trampoline_kernelINS0_14default_configENS1_27upper_bound_config_selectorIilEEZNS1_14transform_implILb0ES3_S5_N6thrust23THRUST_200600_302600_NS6detail15normal_iteratorINS8_7pointerIiNS8_11hip_rocprim5par_tENS8_11use_defaultESE_EEEENSA_INSB_IlSD_SE_SE_EEEEZNS1_13binary_searchIS3_S5_PiSG_SI_NS1_21upper_bound_search_opENS9_16wrapped_functionINS8_6system6detail7generic6detail18binary_search_lessEbEEEE10hipError_tPvRmT1_T2_T3_mmT4_T5_P12ihipStream_tbEUlRKiE_EEST_SX_SY_mSZ_S12_bEUlT_E_NS1_11comp_targetILNS1_3genE8ELNS1_11target_archE1030ELNS1_3gpuE2ELNS1_3repE0EEENS1_30default_config_static_selectorELNS0_4arch9wavefront6targetE0EEEvSW_.num_agpr, 0
	.set _ZN7rocprim17ROCPRIM_400000_NS6detail17trampoline_kernelINS0_14default_configENS1_27upper_bound_config_selectorIilEEZNS1_14transform_implILb0ES3_S5_N6thrust23THRUST_200600_302600_NS6detail15normal_iteratorINS8_7pointerIiNS8_11hip_rocprim5par_tENS8_11use_defaultESE_EEEENSA_INSB_IlSD_SE_SE_EEEEZNS1_13binary_searchIS3_S5_PiSG_SI_NS1_21upper_bound_search_opENS9_16wrapped_functionINS8_6system6detail7generic6detail18binary_search_lessEbEEEE10hipError_tPvRmT1_T2_T3_mmT4_T5_P12ihipStream_tbEUlRKiE_EEST_SX_SY_mSZ_S12_bEUlT_E_NS1_11comp_targetILNS1_3genE8ELNS1_11target_archE1030ELNS1_3gpuE2ELNS1_3repE0EEENS1_30default_config_static_selectorELNS0_4arch9wavefront6targetE0EEEvSW_.numbered_sgpr, 17
	.set _ZN7rocprim17ROCPRIM_400000_NS6detail17trampoline_kernelINS0_14default_configENS1_27upper_bound_config_selectorIilEEZNS1_14transform_implILb0ES3_S5_N6thrust23THRUST_200600_302600_NS6detail15normal_iteratorINS8_7pointerIiNS8_11hip_rocprim5par_tENS8_11use_defaultESE_EEEENSA_INSB_IlSD_SE_SE_EEEEZNS1_13binary_searchIS3_S5_PiSG_SI_NS1_21upper_bound_search_opENS9_16wrapped_functionINS8_6system6detail7generic6detail18binary_search_lessEbEEEE10hipError_tPvRmT1_T2_T3_mmT4_T5_P12ihipStream_tbEUlRKiE_EEST_SX_SY_mSZ_S12_bEUlT_E_NS1_11comp_targetILNS1_3genE8ELNS1_11target_archE1030ELNS1_3gpuE2ELNS1_3repE0EEENS1_30default_config_static_selectorELNS0_4arch9wavefront6targetE0EEEvSW_.num_named_barrier, 0
	.set _ZN7rocprim17ROCPRIM_400000_NS6detail17trampoline_kernelINS0_14default_configENS1_27upper_bound_config_selectorIilEEZNS1_14transform_implILb0ES3_S5_N6thrust23THRUST_200600_302600_NS6detail15normal_iteratorINS8_7pointerIiNS8_11hip_rocprim5par_tENS8_11use_defaultESE_EEEENSA_INSB_IlSD_SE_SE_EEEEZNS1_13binary_searchIS3_S5_PiSG_SI_NS1_21upper_bound_search_opENS9_16wrapped_functionINS8_6system6detail7generic6detail18binary_search_lessEbEEEE10hipError_tPvRmT1_T2_T3_mmT4_T5_P12ihipStream_tbEUlRKiE_EEST_SX_SY_mSZ_S12_bEUlT_E_NS1_11comp_targetILNS1_3genE8ELNS1_11target_archE1030ELNS1_3gpuE2ELNS1_3repE0EEENS1_30default_config_static_selectorELNS0_4arch9wavefront6targetE0EEEvSW_.private_seg_size, 0
	.set _ZN7rocprim17ROCPRIM_400000_NS6detail17trampoline_kernelINS0_14default_configENS1_27upper_bound_config_selectorIilEEZNS1_14transform_implILb0ES3_S5_N6thrust23THRUST_200600_302600_NS6detail15normal_iteratorINS8_7pointerIiNS8_11hip_rocprim5par_tENS8_11use_defaultESE_EEEENSA_INSB_IlSD_SE_SE_EEEEZNS1_13binary_searchIS3_S5_PiSG_SI_NS1_21upper_bound_search_opENS9_16wrapped_functionINS8_6system6detail7generic6detail18binary_search_lessEbEEEE10hipError_tPvRmT1_T2_T3_mmT4_T5_P12ihipStream_tbEUlRKiE_EEST_SX_SY_mSZ_S12_bEUlT_E_NS1_11comp_targetILNS1_3genE8ELNS1_11target_archE1030ELNS1_3gpuE2ELNS1_3repE0EEENS1_30default_config_static_selectorELNS0_4arch9wavefront6targetE0EEEvSW_.uses_vcc, 1
	.set _ZN7rocprim17ROCPRIM_400000_NS6detail17trampoline_kernelINS0_14default_configENS1_27upper_bound_config_selectorIilEEZNS1_14transform_implILb0ES3_S5_N6thrust23THRUST_200600_302600_NS6detail15normal_iteratorINS8_7pointerIiNS8_11hip_rocprim5par_tENS8_11use_defaultESE_EEEENSA_INSB_IlSD_SE_SE_EEEEZNS1_13binary_searchIS3_S5_PiSG_SI_NS1_21upper_bound_search_opENS9_16wrapped_functionINS8_6system6detail7generic6detail18binary_search_lessEbEEEE10hipError_tPvRmT1_T2_T3_mmT4_T5_P12ihipStream_tbEUlRKiE_EEST_SX_SY_mSZ_S12_bEUlT_E_NS1_11comp_targetILNS1_3genE8ELNS1_11target_archE1030ELNS1_3gpuE2ELNS1_3repE0EEENS1_30default_config_static_selectorELNS0_4arch9wavefront6targetE0EEEvSW_.uses_flat_scratch, 0
	.set _ZN7rocprim17ROCPRIM_400000_NS6detail17trampoline_kernelINS0_14default_configENS1_27upper_bound_config_selectorIilEEZNS1_14transform_implILb0ES3_S5_N6thrust23THRUST_200600_302600_NS6detail15normal_iteratorINS8_7pointerIiNS8_11hip_rocprim5par_tENS8_11use_defaultESE_EEEENSA_INSB_IlSD_SE_SE_EEEEZNS1_13binary_searchIS3_S5_PiSG_SI_NS1_21upper_bound_search_opENS9_16wrapped_functionINS8_6system6detail7generic6detail18binary_search_lessEbEEEE10hipError_tPvRmT1_T2_T3_mmT4_T5_P12ihipStream_tbEUlRKiE_EEST_SX_SY_mSZ_S12_bEUlT_E_NS1_11comp_targetILNS1_3genE8ELNS1_11target_archE1030ELNS1_3gpuE2ELNS1_3repE0EEENS1_30default_config_static_selectorELNS0_4arch9wavefront6targetE0EEEvSW_.has_dyn_sized_stack, 0
	.set _ZN7rocprim17ROCPRIM_400000_NS6detail17trampoline_kernelINS0_14default_configENS1_27upper_bound_config_selectorIilEEZNS1_14transform_implILb0ES3_S5_N6thrust23THRUST_200600_302600_NS6detail15normal_iteratorINS8_7pointerIiNS8_11hip_rocprim5par_tENS8_11use_defaultESE_EEEENSA_INSB_IlSD_SE_SE_EEEEZNS1_13binary_searchIS3_S5_PiSG_SI_NS1_21upper_bound_search_opENS9_16wrapped_functionINS8_6system6detail7generic6detail18binary_search_lessEbEEEE10hipError_tPvRmT1_T2_T3_mmT4_T5_P12ihipStream_tbEUlRKiE_EEST_SX_SY_mSZ_S12_bEUlT_E_NS1_11comp_targetILNS1_3genE8ELNS1_11target_archE1030ELNS1_3gpuE2ELNS1_3repE0EEENS1_30default_config_static_selectorELNS0_4arch9wavefront6targetE0EEEvSW_.has_recursion, 0
	.set _ZN7rocprim17ROCPRIM_400000_NS6detail17trampoline_kernelINS0_14default_configENS1_27upper_bound_config_selectorIilEEZNS1_14transform_implILb0ES3_S5_N6thrust23THRUST_200600_302600_NS6detail15normal_iteratorINS8_7pointerIiNS8_11hip_rocprim5par_tENS8_11use_defaultESE_EEEENSA_INSB_IlSD_SE_SE_EEEEZNS1_13binary_searchIS3_S5_PiSG_SI_NS1_21upper_bound_search_opENS9_16wrapped_functionINS8_6system6detail7generic6detail18binary_search_lessEbEEEE10hipError_tPvRmT1_T2_T3_mmT4_T5_P12ihipStream_tbEUlRKiE_EEST_SX_SY_mSZ_S12_bEUlT_E_NS1_11comp_targetILNS1_3genE8ELNS1_11target_archE1030ELNS1_3gpuE2ELNS1_3repE0EEENS1_30default_config_static_selectorELNS0_4arch9wavefront6targetE0EEEvSW_.has_indirect_call, 0
	.section	.AMDGPU.csdata,"",@progbits
; Kernel info:
; codeLenInByte = 816
; TotalNumSgprs: 19
; NumVgprs: 11
; ScratchSize: 0
; MemoryBound: 0
; FloatMode: 240
; IeeeMode: 1
; LDSByteSize: 0 bytes/workgroup (compile time only)
; SGPRBlocks: 0
; VGPRBlocks: 1
; NumSGPRsForWavesPerEU: 19
; NumVGPRsForWavesPerEU: 11
; Occupancy: 16
; WaveLimiterHint : 0
; COMPUTE_PGM_RSRC2:SCRATCH_EN: 0
; COMPUTE_PGM_RSRC2:USER_SGPR: 6
; COMPUTE_PGM_RSRC2:TRAP_HANDLER: 0
; COMPUTE_PGM_RSRC2:TGID_X_EN: 1
; COMPUTE_PGM_RSRC2:TGID_Y_EN: 0
; COMPUTE_PGM_RSRC2:TGID_Z_EN: 0
; COMPUTE_PGM_RSRC2:TIDIG_COMP_CNT: 0
	.section	.text._Z18upper_bound_kernelIsEvmPT_Pl,"axG",@progbits,_Z18upper_bound_kernelIsEvmPT_Pl,comdat
	.protected	_Z18upper_bound_kernelIsEvmPT_Pl ; -- Begin function _Z18upper_bound_kernelIsEvmPT_Pl
	.globl	_Z18upper_bound_kernelIsEvmPT_Pl
	.p2align	8
	.type	_Z18upper_bound_kernelIsEvmPT_Pl,@function
_Z18upper_bound_kernelIsEvmPT_Pl:       ; @_Z18upper_bound_kernelIsEvmPT_Pl
; %bb.0:
	s_clause 0x1
	s_load_dwordx4 s[0:3], s[4:5], 0x0
	s_load_dwordx2 s[4:5], s[4:5], 0x10
	s_waitcnt lgkmcnt(0)
	s_lshl_b64 s[0:1], s[0:1], 1
	s_add_u32 s0, s2, s0
	s_addc_u32 s1, s3, s1
	s_sub_u32 s0, s0, s2
	s_subb_u32 s1, s1, s3
	s_ashr_i64 s[6:7], s[0:1], 1
	s_mov_b32 s1, -1
	v_cmp_lt_i64_e64 s0, s[6:7], 1
	s_and_b32 s0, exec_lo, s0
	s_mov_b32 vcc_lo, s0
	s_cbranch_vccz .LBB231_2
; %bb.1:
	v_mov_b32_e32 v0, 0
	s_mov_b32 s1, 0
	v_mov_b32_e32 v1, v0
	global_store_dwordx2 v0, v[0:1], s[4:5]
.LBB231_2:
	s_andn2_b32 vcc_lo, exec_lo, s1
	s_mov_b64 s[8:9], 0
	s_cbranch_vccnz .LBB231_7
; %bb.3:
	v_mov_b32_e32 v0, 0
	s_mov_b64 s[10:11], s[6:7]
	.p2align	6
.LBB231_4:                              ; =>This Inner Loop Header: Depth=1
	s_sub_u32 s12, s10, s8
	s_subb_u32 s13, s11, s9
	s_lshr_b64 s[12:13], s[12:13], 1
	s_add_u32 s12, s12, s8
	s_addc_u32 s13, s13, s9
	s_lshl_b64 s[14:15], s[12:13], 1
	s_add_u32 s14, s2, s14
	s_addc_u32 s15, s3, s15
	s_add_u32 s1, s12, 1
	global_load_ushort v1, v0, s[14:15]
	s_addc_u32 s15, s13, 0
	s_waitcnt vmcnt(0)
	v_readfirstlane_b32 s14, v1
	s_sext_i32_i16 s14, s14
	s_cmp_gt_i32 s14, 0
	s_cselect_b32 s9, s9, s15
	s_cselect_b32 s8, s8, s1
	s_cselect_b32 s11, s13, s11
	s_cselect_b32 s10, s12, s10
	v_cmp_lt_i64_e64 s1, s[8:9], s[10:11]
	s_and_b32 vcc_lo, exec_lo, s1
	s_cbranch_vccnz .LBB231_4
; %bb.5:
	s_lshl_b64 s[8:9], s[8:9], 1
	v_mov_b32_e32 v0, 0
	s_add_u32 s1, s2, s8
	s_addc_u32 s9, s3, s9
	s_sub_u32 s8, s1, s2
	s_subb_u32 s9, s9, s3
	s_mov_b64 s[10:11], s[6:7]
	s_ashr_i64 s[8:9], s[8:9], 1
	v_mov_b32_e32 v1, s8
	v_mov_b32_e32 v2, s9
	s_mov_b64 s[8:9], 0
	global_store_dwordx2 v0, v[1:2], s[4:5]
	.p2align	6
.LBB231_6:                              ; =>This Inner Loop Header: Depth=1
	s_sub_u32 s12, s10, s8
	s_subb_u32 s13, s11, s9
	s_lshr_b64 s[12:13], s[12:13], 1
	s_add_u32 s12, s12, s8
	s_addc_u32 s13, s13, s9
	s_lshl_b64 s[14:15], s[12:13], 1
	s_add_u32 s14, s2, s14
	s_addc_u32 s15, s3, s15
	s_add_u32 s1, s12, 1
	global_load_ushort v1, v0, s[14:15]
	s_addc_u32 s15, s13, 0
	s_waitcnt vmcnt(0)
	v_readfirstlane_b32 s14, v1
	s_sext_i32_i16 s14, s14
	s_cmp_gt_i32 s14, 1
	s_cselect_b32 s9, s9, s15
	s_cselect_b32 s8, s8, s1
	;; [unrolled: 1-line block ×4, first 2 shown]
	v_cmp_ge_i64_e64 s1, s[8:9], s[10:11]
	s_and_b32 vcc_lo, exec_lo, s1
	s_cbranch_vccz .LBB231_6
.LBB231_7:
	s_lshl_b64 s[8:9], s[8:9], 1
	v_mov_b32_e32 v0, 0
	s_add_u32 s1, s2, s8
	s_addc_u32 s9, s3, s9
	s_sub_u32 s8, s1, s2
	s_subb_u32 s9, s9, s3
	s_mov_b32 s1, -1
	s_ashr_i64 s[8:9], s[8:9], 1
	s_mov_b32 vcc_lo, s0
	v_mov_b32_e32 v1, s8
	v_mov_b32_e32 v2, s9
	global_store_dwordx2 v0, v[1:2], s[4:5] offset:8
	s_cbranch_vccz .LBB231_9
; %bb.8:
	v_mov_b32_e32 v1, v0
	s_mov_b32 s1, 0
	global_store_dwordx2 v0, v[0:1], s[4:5] offset:16
.LBB231_9:
	s_andn2_b32 vcc_lo, exec_lo, s1
	s_mov_b64 s[8:9], 0
	s_cbranch_vccnz .LBB231_14
; %bb.10:
	v_mov_b32_e32 v0, 0
	s_mov_b64 s[10:11], s[6:7]
	.p2align	6
.LBB231_11:                             ; =>This Inner Loop Header: Depth=1
	s_sub_u32 s12, s10, s8
	s_subb_u32 s13, s11, s9
	s_lshr_b64 s[12:13], s[12:13], 1
	s_add_u32 s12, s12, s8
	s_addc_u32 s13, s13, s9
	s_lshl_b64 s[14:15], s[12:13], 1
	s_add_u32 s14, s2, s14
	s_addc_u32 s15, s3, s15
	s_add_u32 s1, s12, 1
	global_load_ushort v1, v0, s[14:15]
	s_addc_u32 s15, s13, 0
	s_waitcnt vmcnt(0)
	v_readfirstlane_b32 s14, v1
	s_sext_i32_i16 s14, s14
	s_cmp_gt_i32 s14, 2
	s_cselect_b32 s9, s9, s15
	s_cselect_b32 s8, s8, s1
	;; [unrolled: 1-line block ×4, first 2 shown]
	v_cmp_lt_i64_e64 s1, s[8:9], s[10:11]
	s_and_b32 vcc_lo, exec_lo, s1
	s_cbranch_vccnz .LBB231_11
; %bb.12:
	s_lshl_b64 s[8:9], s[8:9], 1
	v_mov_b32_e32 v0, 0
	s_add_u32 s1, s2, s8
	s_addc_u32 s9, s3, s9
	s_sub_u32 s8, s1, s2
	s_subb_u32 s9, s9, s3
	s_mov_b64 s[10:11], s[6:7]
	s_ashr_i64 s[8:9], s[8:9], 1
	v_mov_b32_e32 v1, s8
	v_mov_b32_e32 v2, s9
	s_mov_b64 s[8:9], 0
	global_store_dwordx2 v0, v[1:2], s[4:5] offset:16
	.p2align	6
.LBB231_13:                             ; =>This Inner Loop Header: Depth=1
	s_sub_u32 s12, s10, s8
	s_subb_u32 s13, s11, s9
	s_lshr_b64 s[12:13], s[12:13], 1
	s_add_u32 s12, s12, s8
	s_addc_u32 s13, s13, s9
	s_lshl_b64 s[14:15], s[12:13], 1
	s_add_u32 s14, s2, s14
	s_addc_u32 s15, s3, s15
	s_add_u32 s1, s12, 1
	global_load_ushort v1, v0, s[14:15]
	s_addc_u32 s15, s13, 0
	s_waitcnt vmcnt(0)
	v_readfirstlane_b32 s14, v1
	s_sext_i32_i16 s14, s14
	s_cmp_gt_i32 s14, 3
	s_cselect_b32 s9, s9, s15
	s_cselect_b32 s8, s8, s1
	;; [unrolled: 1-line block ×4, first 2 shown]
	v_cmp_ge_i64_e64 s1, s[8:9], s[10:11]
	s_and_b32 vcc_lo, exec_lo, s1
	s_cbranch_vccz .LBB231_13
.LBB231_14:
	s_lshl_b64 s[8:9], s[8:9], 1
	v_mov_b32_e32 v0, 0
	s_add_u32 s1, s2, s8
	s_addc_u32 s9, s3, s9
	s_sub_u32 s8, s1, s2
	s_subb_u32 s9, s9, s3
	s_mov_b32 s1, -1
	s_ashr_i64 s[8:9], s[8:9], 1
	s_mov_b32 vcc_lo, s0
	v_mov_b32_e32 v1, s8
	v_mov_b32_e32 v2, s9
	global_store_dwordx2 v0, v[1:2], s[4:5] offset:24
	s_cbranch_vccz .LBB231_16
; %bb.15:
	v_mov_b32_e32 v1, v0
	s_mov_b32 s1, 0
	global_store_dwordx2 v0, v[0:1], s[4:5] offset:32
.LBB231_16:
	s_andn2_b32 vcc_lo, exec_lo, s1
	s_mov_b64 s[8:9], 0
	s_cbranch_vccnz .LBB231_21
; %bb.17:
	v_mov_b32_e32 v0, 0
	s_mov_b64 s[10:11], s[6:7]
	.p2align	6
.LBB231_18:                             ; =>This Inner Loop Header: Depth=1
	s_sub_u32 s12, s10, s8
	s_subb_u32 s13, s11, s9
	s_lshr_b64 s[12:13], s[12:13], 1
	s_add_u32 s12, s12, s8
	s_addc_u32 s13, s13, s9
	s_lshl_b64 s[14:15], s[12:13], 1
	s_add_u32 s14, s2, s14
	s_addc_u32 s15, s3, s15
	s_add_u32 s1, s12, 1
	global_load_ushort v1, v0, s[14:15]
	s_addc_u32 s15, s13, 0
	s_waitcnt vmcnt(0)
	v_readfirstlane_b32 s14, v1
	s_sext_i32_i16 s14, s14
	s_cmp_gt_i32 s14, 4
	s_cselect_b32 s9, s9, s15
	s_cselect_b32 s8, s8, s1
	s_cselect_b32 s11, s13, s11
	s_cselect_b32 s10, s12, s10
	v_cmp_lt_i64_e64 s1, s[8:9], s[10:11]
	s_and_b32 vcc_lo, exec_lo, s1
	s_cbranch_vccnz .LBB231_18
; %bb.19:
	s_lshl_b64 s[8:9], s[8:9], 1
	v_mov_b32_e32 v0, 0
	s_add_u32 s1, s2, s8
	s_addc_u32 s9, s3, s9
	s_sub_u32 s8, s1, s2
	s_subb_u32 s9, s9, s3
	s_mov_b64 s[10:11], s[6:7]
	s_ashr_i64 s[8:9], s[8:9], 1
	v_mov_b32_e32 v1, s8
	v_mov_b32_e32 v2, s9
	s_mov_b64 s[8:9], 0
	global_store_dwordx2 v0, v[1:2], s[4:5] offset:32
	.p2align	6
.LBB231_20:                             ; =>This Inner Loop Header: Depth=1
	s_sub_u32 s12, s10, s8
	s_subb_u32 s13, s11, s9
	s_lshr_b64 s[12:13], s[12:13], 1
	s_add_u32 s12, s12, s8
	s_addc_u32 s13, s13, s9
	s_lshl_b64 s[14:15], s[12:13], 1
	s_add_u32 s14, s2, s14
	s_addc_u32 s15, s3, s15
	s_add_u32 s1, s12, 1
	global_load_ushort v1, v0, s[14:15]
	s_addc_u32 s15, s13, 0
	s_waitcnt vmcnt(0)
	v_readfirstlane_b32 s14, v1
	s_sext_i32_i16 s14, s14
	s_cmp_gt_i32 s14, 5
	s_cselect_b32 s9, s9, s15
	s_cselect_b32 s8, s8, s1
	;; [unrolled: 1-line block ×4, first 2 shown]
	v_cmp_ge_i64_e64 s1, s[8:9], s[10:11]
	s_and_b32 vcc_lo, exec_lo, s1
	s_cbranch_vccz .LBB231_20
.LBB231_21:
	s_lshl_b64 s[8:9], s[8:9], 1
	v_mov_b32_e32 v0, 0
	s_add_u32 s1, s2, s8
	s_addc_u32 s9, s3, s9
	s_sub_u32 s8, s1, s2
	s_subb_u32 s9, s9, s3
	s_mov_b32 s1, -1
	s_ashr_i64 s[8:9], s[8:9], 1
	s_mov_b32 vcc_lo, s0
	v_mov_b32_e32 v1, s8
	v_mov_b32_e32 v2, s9
	global_store_dwordx2 v0, v[1:2], s[4:5] offset:40
	s_cbranch_vccz .LBB231_23
; %bb.22:
	v_mov_b32_e32 v1, v0
	s_mov_b32 s1, 0
	global_store_dwordx2 v0, v[0:1], s[4:5] offset:48
.LBB231_23:
	s_andn2_b32 vcc_lo, exec_lo, s1
	s_mov_b64 s[8:9], 0
	s_cbranch_vccnz .LBB231_28
; %bb.24:
	v_mov_b32_e32 v0, 0
	s_mov_b64 s[10:11], s[6:7]
	.p2align	6
.LBB231_25:                             ; =>This Inner Loop Header: Depth=1
	s_sub_u32 s12, s10, s8
	s_subb_u32 s13, s11, s9
	s_lshr_b64 s[12:13], s[12:13], 1
	s_add_u32 s12, s12, s8
	s_addc_u32 s13, s13, s9
	s_lshl_b64 s[14:15], s[12:13], 1
	s_add_u32 s14, s2, s14
	s_addc_u32 s15, s3, s15
	s_add_u32 s1, s12, 1
	global_load_ushort v1, v0, s[14:15]
	s_addc_u32 s15, s13, 0
	s_waitcnt vmcnt(0)
	v_readfirstlane_b32 s14, v1
	s_sext_i32_i16 s14, s14
	s_cmp_gt_i32 s14, 6
	s_cselect_b32 s9, s9, s15
	s_cselect_b32 s8, s8, s1
	;; [unrolled: 1-line block ×4, first 2 shown]
	v_cmp_lt_i64_e64 s1, s[8:9], s[10:11]
	s_and_b32 vcc_lo, exec_lo, s1
	s_cbranch_vccnz .LBB231_25
; %bb.26:
	s_lshl_b64 s[8:9], s[8:9], 1
	v_mov_b32_e32 v0, 0
	s_add_u32 s1, s2, s8
	s_addc_u32 s9, s3, s9
	s_sub_u32 s8, s1, s2
	s_subb_u32 s9, s9, s3
	s_mov_b64 s[10:11], s[6:7]
	s_ashr_i64 s[8:9], s[8:9], 1
	v_mov_b32_e32 v1, s8
	v_mov_b32_e32 v2, s9
	s_mov_b64 s[8:9], 0
	global_store_dwordx2 v0, v[1:2], s[4:5] offset:48
	.p2align	6
.LBB231_27:                             ; =>This Inner Loop Header: Depth=1
	s_sub_u32 s12, s10, s8
	s_subb_u32 s13, s11, s9
	s_lshr_b64 s[12:13], s[12:13], 1
	s_add_u32 s12, s12, s8
	s_addc_u32 s13, s13, s9
	s_lshl_b64 s[14:15], s[12:13], 1
	s_add_u32 s14, s2, s14
	s_addc_u32 s15, s3, s15
	s_add_u32 s1, s12, 1
	global_load_ushort v1, v0, s[14:15]
	s_addc_u32 s15, s13, 0
	s_waitcnt vmcnt(0)
	v_readfirstlane_b32 s14, v1
	s_sext_i32_i16 s14, s14
	s_cmp_gt_i32 s14, 7
	s_cselect_b32 s9, s9, s15
	s_cselect_b32 s8, s8, s1
	;; [unrolled: 1-line block ×4, first 2 shown]
	v_cmp_ge_i64_e64 s1, s[8:9], s[10:11]
	s_and_b32 vcc_lo, exec_lo, s1
	s_cbranch_vccz .LBB231_27
.LBB231_28:
	s_lshl_b64 s[8:9], s[8:9], 1
	v_mov_b32_e32 v0, 0
	s_add_u32 s1, s2, s8
	s_addc_u32 s9, s3, s9
	s_sub_u32 s8, s1, s2
	s_subb_u32 s9, s9, s3
	s_mov_b32 s1, -1
	s_ashr_i64 s[8:9], s[8:9], 1
	s_mov_b32 vcc_lo, s0
	v_mov_b32_e32 v1, s8
	v_mov_b32_e32 v2, s9
	global_store_dwordx2 v0, v[1:2], s[4:5] offset:56
	s_cbranch_vccz .LBB231_30
; %bb.29:
	v_mov_b32_e32 v1, v0
	s_mov_b32 s1, 0
	global_store_dwordx2 v0, v[0:1], s[4:5] offset:64
.LBB231_30:
	s_andn2_b32 vcc_lo, exec_lo, s1
	s_mov_b64 s[0:1], 0
	s_cbranch_vccnz .LBB231_35
; %bb.31:
	v_mov_b32_e32 v0, 0
	s_mov_b64 s[8:9], s[6:7]
	.p2align	6
.LBB231_32:                             ; =>This Inner Loop Header: Depth=1
	s_sub_u32 s10, s8, s0
	s_subb_u32 s11, s9, s1
	s_lshr_b64 s[10:11], s[10:11], 1
	s_add_u32 s10, s10, s0
	s_addc_u32 s11, s11, s1
	s_lshl_b64 s[12:13], s[10:11], 1
	s_add_u32 s12, s2, s12
	s_addc_u32 s13, s3, s13
	global_load_ushort v1, v0, s[12:13]
	s_add_u32 s12, s10, 1
	s_addc_u32 s14, s11, 0
	s_waitcnt vmcnt(0)
	v_readfirstlane_b32 s13, v1
	s_sext_i32_i16 s13, s13
	s_cmp_gt_i32 s13, 8
	s_cselect_b32 s1, s1, s14
	s_cselect_b32 s0, s0, s12
	;; [unrolled: 1-line block ×4, first 2 shown]
	v_cmp_lt_i64_e64 s10, s[0:1], s[8:9]
	s_and_b32 vcc_lo, exec_lo, s10
	s_cbranch_vccnz .LBB231_32
; %bb.33:
	s_lshl_b64 s[0:1], s[0:1], 1
	v_mov_b32_e32 v0, 0
	s_add_u32 s0, s2, s0
	s_addc_u32 s1, s3, s1
	s_sub_u32 s0, s0, s2
	s_subb_u32 s1, s1, s3
	s_ashr_i64 s[0:1], s[0:1], 1
	v_mov_b32_e32 v2, s1
	v_mov_b32_e32 v1, s0
	s_mov_b64 s[0:1], 0
	global_store_dwordx2 v0, v[1:2], s[4:5] offset:64
	.p2align	6
.LBB231_34:                             ; =>This Inner Loop Header: Depth=1
	s_sub_u32 s8, s6, s0
	s_subb_u32 s9, s7, s1
	s_lshr_b64 s[8:9], s[8:9], 1
	s_add_u32 s8, s8, s0
	s_addc_u32 s9, s9, s1
	s_lshl_b64 s[10:11], s[8:9], 1
	s_add_u32 s10, s2, s10
	s_addc_u32 s11, s3, s11
	global_load_ushort v1, v0, s[10:11]
	s_add_u32 s10, s8, 1
	s_addc_u32 s12, s9, 0
	s_waitcnt vmcnt(0)
	v_readfirstlane_b32 s11, v1
	s_sext_i32_i16 s11, s11
	s_cmp_gt_i32 s11, 9
	s_cselect_b32 s1, s1, s12
	s_cselect_b32 s0, s0, s10
	;; [unrolled: 1-line block ×4, first 2 shown]
	v_cmp_ge_i64_e64 s8, s[0:1], s[6:7]
	s_and_b32 vcc_lo, exec_lo, s8
	s_cbranch_vccz .LBB231_34
.LBB231_35:
	s_lshl_b64 s[0:1], s[0:1], 1
	v_mov_b32_e32 v2, 0
	s_add_u32 s0, s2, s0
	s_addc_u32 s1, s3, s1
	s_sub_u32 s0, s0, s2
	s_subb_u32 s1, s1, s3
	s_ashr_i64 s[0:1], s[0:1], 1
	v_mov_b32_e32 v0, s0
	v_mov_b32_e32 v1, s1
	global_store_dwordx2 v2, v[0:1], s[4:5] offset:72
	s_endpgm
	.section	.rodata,"a",@progbits
	.p2align	6, 0x0
	.amdhsa_kernel _Z18upper_bound_kernelIsEvmPT_Pl
		.amdhsa_group_segment_fixed_size 0
		.amdhsa_private_segment_fixed_size 0
		.amdhsa_kernarg_size 24
		.amdhsa_user_sgpr_count 6
		.amdhsa_user_sgpr_private_segment_buffer 1
		.amdhsa_user_sgpr_dispatch_ptr 0
		.amdhsa_user_sgpr_queue_ptr 0
		.amdhsa_user_sgpr_kernarg_segment_ptr 1
		.amdhsa_user_sgpr_dispatch_id 0
		.amdhsa_user_sgpr_flat_scratch_init 0
		.amdhsa_user_sgpr_private_segment_size 0
		.amdhsa_wavefront_size32 1
		.amdhsa_uses_dynamic_stack 0
		.amdhsa_system_sgpr_private_segment_wavefront_offset 0
		.amdhsa_system_sgpr_workgroup_id_x 1
		.amdhsa_system_sgpr_workgroup_id_y 0
		.amdhsa_system_sgpr_workgroup_id_z 0
		.amdhsa_system_sgpr_workgroup_info 0
		.amdhsa_system_vgpr_workitem_id 0
		.amdhsa_next_free_vgpr 3
		.amdhsa_next_free_sgpr 16
		.amdhsa_reserve_vcc 1
		.amdhsa_reserve_flat_scratch 0
		.amdhsa_float_round_mode_32 0
		.amdhsa_float_round_mode_16_64 0
		.amdhsa_float_denorm_mode_32 3
		.amdhsa_float_denorm_mode_16_64 3
		.amdhsa_dx10_clamp 1
		.amdhsa_ieee_mode 1
		.amdhsa_fp16_overflow 0
		.amdhsa_workgroup_processor_mode 1
		.amdhsa_memory_ordered 1
		.amdhsa_forward_progress 1
		.amdhsa_shared_vgpr_count 0
		.amdhsa_exception_fp_ieee_invalid_op 0
		.amdhsa_exception_fp_denorm_src 0
		.amdhsa_exception_fp_ieee_div_zero 0
		.amdhsa_exception_fp_ieee_overflow 0
		.amdhsa_exception_fp_ieee_underflow 0
		.amdhsa_exception_fp_ieee_inexact 0
		.amdhsa_exception_int_div_zero 0
	.end_amdhsa_kernel
	.section	.text._Z18upper_bound_kernelIsEvmPT_Pl,"axG",@progbits,_Z18upper_bound_kernelIsEvmPT_Pl,comdat
.Lfunc_end231:
	.size	_Z18upper_bound_kernelIsEvmPT_Pl, .Lfunc_end231-_Z18upper_bound_kernelIsEvmPT_Pl
                                        ; -- End function
	.set _Z18upper_bound_kernelIsEvmPT_Pl.num_vgpr, 3
	.set _Z18upper_bound_kernelIsEvmPT_Pl.num_agpr, 0
	.set _Z18upper_bound_kernelIsEvmPT_Pl.numbered_sgpr, 16
	.set _Z18upper_bound_kernelIsEvmPT_Pl.num_named_barrier, 0
	.set _Z18upper_bound_kernelIsEvmPT_Pl.private_seg_size, 0
	.set _Z18upper_bound_kernelIsEvmPT_Pl.uses_vcc, 1
	.set _Z18upper_bound_kernelIsEvmPT_Pl.uses_flat_scratch, 0
	.set _Z18upper_bound_kernelIsEvmPT_Pl.has_dyn_sized_stack, 0
	.set _Z18upper_bound_kernelIsEvmPT_Pl.has_recursion, 0
	.set _Z18upper_bound_kernelIsEvmPT_Pl.has_indirect_call, 0
	.section	.AMDGPU.csdata,"",@progbits
; Kernel info:
; codeLenInByte = 2000
; TotalNumSgprs: 18
; NumVgprs: 3
; ScratchSize: 0
; MemoryBound: 0
; FloatMode: 240
; IeeeMode: 1
; LDSByteSize: 0 bytes/workgroup (compile time only)
; SGPRBlocks: 0
; VGPRBlocks: 0
; NumSGPRsForWavesPerEU: 18
; NumVGPRsForWavesPerEU: 3
; Occupancy: 16
; WaveLimiterHint : 0
; COMPUTE_PGM_RSRC2:SCRATCH_EN: 0
; COMPUTE_PGM_RSRC2:USER_SGPR: 6
; COMPUTE_PGM_RSRC2:TRAP_HANDLER: 0
; COMPUTE_PGM_RSRC2:TGID_X_EN: 1
; COMPUTE_PGM_RSRC2:TGID_Y_EN: 0
; COMPUTE_PGM_RSRC2:TGID_Z_EN: 0
; COMPUTE_PGM_RSRC2:TIDIG_COMP_CNT: 0
	.section	.text._ZN7rocprim17ROCPRIM_400000_NS6detail17trampoline_kernelINS0_14default_configENS1_27upper_bound_config_selectorIslEEZNS1_14transform_implILb0ES3_S5_N6thrust23THRUST_200600_302600_NS6detail15normal_iteratorINS8_7pointerIsNS8_11hip_rocprim5par_tENS8_11use_defaultESE_EEEENSA_INSB_IlSD_SE_SE_EEEEZNS1_13binary_searchIS3_S5_PsSG_SI_NS1_21upper_bound_search_opENS9_16wrapped_functionINS8_6system6detail7generic6detail18binary_search_lessEbEEEE10hipError_tPvRmT1_T2_T3_mmT4_T5_P12ihipStream_tbEUlRKsE_EEST_SX_SY_mSZ_S12_bEUlT_E_NS1_11comp_targetILNS1_3genE0ELNS1_11target_archE4294967295ELNS1_3gpuE0ELNS1_3repE0EEENS1_30default_config_static_selectorELNS0_4arch9wavefront6targetE0EEEvSW_,"axG",@progbits,_ZN7rocprim17ROCPRIM_400000_NS6detail17trampoline_kernelINS0_14default_configENS1_27upper_bound_config_selectorIslEEZNS1_14transform_implILb0ES3_S5_N6thrust23THRUST_200600_302600_NS6detail15normal_iteratorINS8_7pointerIsNS8_11hip_rocprim5par_tENS8_11use_defaultESE_EEEENSA_INSB_IlSD_SE_SE_EEEEZNS1_13binary_searchIS3_S5_PsSG_SI_NS1_21upper_bound_search_opENS9_16wrapped_functionINS8_6system6detail7generic6detail18binary_search_lessEbEEEE10hipError_tPvRmT1_T2_T3_mmT4_T5_P12ihipStream_tbEUlRKsE_EEST_SX_SY_mSZ_S12_bEUlT_E_NS1_11comp_targetILNS1_3genE0ELNS1_11target_archE4294967295ELNS1_3gpuE0ELNS1_3repE0EEENS1_30default_config_static_selectorELNS0_4arch9wavefront6targetE0EEEvSW_,comdat
	.protected	_ZN7rocprim17ROCPRIM_400000_NS6detail17trampoline_kernelINS0_14default_configENS1_27upper_bound_config_selectorIslEEZNS1_14transform_implILb0ES3_S5_N6thrust23THRUST_200600_302600_NS6detail15normal_iteratorINS8_7pointerIsNS8_11hip_rocprim5par_tENS8_11use_defaultESE_EEEENSA_INSB_IlSD_SE_SE_EEEEZNS1_13binary_searchIS3_S5_PsSG_SI_NS1_21upper_bound_search_opENS9_16wrapped_functionINS8_6system6detail7generic6detail18binary_search_lessEbEEEE10hipError_tPvRmT1_T2_T3_mmT4_T5_P12ihipStream_tbEUlRKsE_EEST_SX_SY_mSZ_S12_bEUlT_E_NS1_11comp_targetILNS1_3genE0ELNS1_11target_archE4294967295ELNS1_3gpuE0ELNS1_3repE0EEENS1_30default_config_static_selectorELNS0_4arch9wavefront6targetE0EEEvSW_ ; -- Begin function _ZN7rocprim17ROCPRIM_400000_NS6detail17trampoline_kernelINS0_14default_configENS1_27upper_bound_config_selectorIslEEZNS1_14transform_implILb0ES3_S5_N6thrust23THRUST_200600_302600_NS6detail15normal_iteratorINS8_7pointerIsNS8_11hip_rocprim5par_tENS8_11use_defaultESE_EEEENSA_INSB_IlSD_SE_SE_EEEEZNS1_13binary_searchIS3_S5_PsSG_SI_NS1_21upper_bound_search_opENS9_16wrapped_functionINS8_6system6detail7generic6detail18binary_search_lessEbEEEE10hipError_tPvRmT1_T2_T3_mmT4_T5_P12ihipStream_tbEUlRKsE_EEST_SX_SY_mSZ_S12_bEUlT_E_NS1_11comp_targetILNS1_3genE0ELNS1_11target_archE4294967295ELNS1_3gpuE0ELNS1_3repE0EEENS1_30default_config_static_selectorELNS0_4arch9wavefront6targetE0EEEvSW_
	.globl	_ZN7rocprim17ROCPRIM_400000_NS6detail17trampoline_kernelINS0_14default_configENS1_27upper_bound_config_selectorIslEEZNS1_14transform_implILb0ES3_S5_N6thrust23THRUST_200600_302600_NS6detail15normal_iteratorINS8_7pointerIsNS8_11hip_rocprim5par_tENS8_11use_defaultESE_EEEENSA_INSB_IlSD_SE_SE_EEEEZNS1_13binary_searchIS3_S5_PsSG_SI_NS1_21upper_bound_search_opENS9_16wrapped_functionINS8_6system6detail7generic6detail18binary_search_lessEbEEEE10hipError_tPvRmT1_T2_T3_mmT4_T5_P12ihipStream_tbEUlRKsE_EEST_SX_SY_mSZ_S12_bEUlT_E_NS1_11comp_targetILNS1_3genE0ELNS1_11target_archE4294967295ELNS1_3gpuE0ELNS1_3repE0EEENS1_30default_config_static_selectorELNS0_4arch9wavefront6targetE0EEEvSW_
	.p2align	8
	.type	_ZN7rocprim17ROCPRIM_400000_NS6detail17trampoline_kernelINS0_14default_configENS1_27upper_bound_config_selectorIslEEZNS1_14transform_implILb0ES3_S5_N6thrust23THRUST_200600_302600_NS6detail15normal_iteratorINS8_7pointerIsNS8_11hip_rocprim5par_tENS8_11use_defaultESE_EEEENSA_INSB_IlSD_SE_SE_EEEEZNS1_13binary_searchIS3_S5_PsSG_SI_NS1_21upper_bound_search_opENS9_16wrapped_functionINS8_6system6detail7generic6detail18binary_search_lessEbEEEE10hipError_tPvRmT1_T2_T3_mmT4_T5_P12ihipStream_tbEUlRKsE_EEST_SX_SY_mSZ_S12_bEUlT_E_NS1_11comp_targetILNS1_3genE0ELNS1_11target_archE4294967295ELNS1_3gpuE0ELNS1_3repE0EEENS1_30default_config_static_selectorELNS0_4arch9wavefront6targetE0EEEvSW_,@function
_ZN7rocprim17ROCPRIM_400000_NS6detail17trampoline_kernelINS0_14default_configENS1_27upper_bound_config_selectorIslEEZNS1_14transform_implILb0ES3_S5_N6thrust23THRUST_200600_302600_NS6detail15normal_iteratorINS8_7pointerIsNS8_11hip_rocprim5par_tENS8_11use_defaultESE_EEEENSA_INSB_IlSD_SE_SE_EEEEZNS1_13binary_searchIS3_S5_PsSG_SI_NS1_21upper_bound_search_opENS9_16wrapped_functionINS8_6system6detail7generic6detail18binary_search_lessEbEEEE10hipError_tPvRmT1_T2_T3_mmT4_T5_P12ihipStream_tbEUlRKsE_EEST_SX_SY_mSZ_S12_bEUlT_E_NS1_11comp_targetILNS1_3genE0ELNS1_11target_archE4294967295ELNS1_3gpuE0ELNS1_3repE0EEENS1_30default_config_static_selectorELNS0_4arch9wavefront6targetE0EEEvSW_: ; @_ZN7rocprim17ROCPRIM_400000_NS6detail17trampoline_kernelINS0_14default_configENS1_27upper_bound_config_selectorIslEEZNS1_14transform_implILb0ES3_S5_N6thrust23THRUST_200600_302600_NS6detail15normal_iteratorINS8_7pointerIsNS8_11hip_rocprim5par_tENS8_11use_defaultESE_EEEENSA_INSB_IlSD_SE_SE_EEEEZNS1_13binary_searchIS3_S5_PsSG_SI_NS1_21upper_bound_search_opENS9_16wrapped_functionINS8_6system6detail7generic6detail18binary_search_lessEbEEEE10hipError_tPvRmT1_T2_T3_mmT4_T5_P12ihipStream_tbEUlRKsE_EEST_SX_SY_mSZ_S12_bEUlT_E_NS1_11comp_targetILNS1_3genE0ELNS1_11target_archE4294967295ELNS1_3gpuE0ELNS1_3repE0EEENS1_30default_config_static_selectorELNS0_4arch9wavefront6targetE0EEEvSW_
; %bb.0:
	.section	.rodata,"a",@progbits
	.p2align	6, 0x0
	.amdhsa_kernel _ZN7rocprim17ROCPRIM_400000_NS6detail17trampoline_kernelINS0_14default_configENS1_27upper_bound_config_selectorIslEEZNS1_14transform_implILb0ES3_S5_N6thrust23THRUST_200600_302600_NS6detail15normal_iteratorINS8_7pointerIsNS8_11hip_rocprim5par_tENS8_11use_defaultESE_EEEENSA_INSB_IlSD_SE_SE_EEEEZNS1_13binary_searchIS3_S5_PsSG_SI_NS1_21upper_bound_search_opENS9_16wrapped_functionINS8_6system6detail7generic6detail18binary_search_lessEbEEEE10hipError_tPvRmT1_T2_T3_mmT4_T5_P12ihipStream_tbEUlRKsE_EEST_SX_SY_mSZ_S12_bEUlT_E_NS1_11comp_targetILNS1_3genE0ELNS1_11target_archE4294967295ELNS1_3gpuE0ELNS1_3repE0EEENS1_30default_config_static_selectorELNS0_4arch9wavefront6targetE0EEEvSW_
		.amdhsa_group_segment_fixed_size 0
		.amdhsa_private_segment_fixed_size 0
		.amdhsa_kernarg_size 56
		.amdhsa_user_sgpr_count 6
		.amdhsa_user_sgpr_private_segment_buffer 1
		.amdhsa_user_sgpr_dispatch_ptr 0
		.amdhsa_user_sgpr_queue_ptr 0
		.amdhsa_user_sgpr_kernarg_segment_ptr 1
		.amdhsa_user_sgpr_dispatch_id 0
		.amdhsa_user_sgpr_flat_scratch_init 0
		.amdhsa_user_sgpr_private_segment_size 0
		.amdhsa_wavefront_size32 1
		.amdhsa_uses_dynamic_stack 0
		.amdhsa_system_sgpr_private_segment_wavefront_offset 0
		.amdhsa_system_sgpr_workgroup_id_x 1
		.amdhsa_system_sgpr_workgroup_id_y 0
		.amdhsa_system_sgpr_workgroup_id_z 0
		.amdhsa_system_sgpr_workgroup_info 0
		.amdhsa_system_vgpr_workitem_id 0
		.amdhsa_next_free_vgpr 1
		.amdhsa_next_free_sgpr 1
		.amdhsa_reserve_vcc 0
		.amdhsa_reserve_flat_scratch 0
		.amdhsa_float_round_mode_32 0
		.amdhsa_float_round_mode_16_64 0
		.amdhsa_float_denorm_mode_32 3
		.amdhsa_float_denorm_mode_16_64 3
		.amdhsa_dx10_clamp 1
		.amdhsa_ieee_mode 1
		.amdhsa_fp16_overflow 0
		.amdhsa_workgroup_processor_mode 1
		.amdhsa_memory_ordered 1
		.amdhsa_forward_progress 1
		.amdhsa_shared_vgpr_count 0
		.amdhsa_exception_fp_ieee_invalid_op 0
		.amdhsa_exception_fp_denorm_src 0
		.amdhsa_exception_fp_ieee_div_zero 0
		.amdhsa_exception_fp_ieee_overflow 0
		.amdhsa_exception_fp_ieee_underflow 0
		.amdhsa_exception_fp_ieee_inexact 0
		.amdhsa_exception_int_div_zero 0
	.end_amdhsa_kernel
	.section	.text._ZN7rocprim17ROCPRIM_400000_NS6detail17trampoline_kernelINS0_14default_configENS1_27upper_bound_config_selectorIslEEZNS1_14transform_implILb0ES3_S5_N6thrust23THRUST_200600_302600_NS6detail15normal_iteratorINS8_7pointerIsNS8_11hip_rocprim5par_tENS8_11use_defaultESE_EEEENSA_INSB_IlSD_SE_SE_EEEEZNS1_13binary_searchIS3_S5_PsSG_SI_NS1_21upper_bound_search_opENS9_16wrapped_functionINS8_6system6detail7generic6detail18binary_search_lessEbEEEE10hipError_tPvRmT1_T2_T3_mmT4_T5_P12ihipStream_tbEUlRKsE_EEST_SX_SY_mSZ_S12_bEUlT_E_NS1_11comp_targetILNS1_3genE0ELNS1_11target_archE4294967295ELNS1_3gpuE0ELNS1_3repE0EEENS1_30default_config_static_selectorELNS0_4arch9wavefront6targetE0EEEvSW_,"axG",@progbits,_ZN7rocprim17ROCPRIM_400000_NS6detail17trampoline_kernelINS0_14default_configENS1_27upper_bound_config_selectorIslEEZNS1_14transform_implILb0ES3_S5_N6thrust23THRUST_200600_302600_NS6detail15normal_iteratorINS8_7pointerIsNS8_11hip_rocprim5par_tENS8_11use_defaultESE_EEEENSA_INSB_IlSD_SE_SE_EEEEZNS1_13binary_searchIS3_S5_PsSG_SI_NS1_21upper_bound_search_opENS9_16wrapped_functionINS8_6system6detail7generic6detail18binary_search_lessEbEEEE10hipError_tPvRmT1_T2_T3_mmT4_T5_P12ihipStream_tbEUlRKsE_EEST_SX_SY_mSZ_S12_bEUlT_E_NS1_11comp_targetILNS1_3genE0ELNS1_11target_archE4294967295ELNS1_3gpuE0ELNS1_3repE0EEENS1_30default_config_static_selectorELNS0_4arch9wavefront6targetE0EEEvSW_,comdat
.Lfunc_end232:
	.size	_ZN7rocprim17ROCPRIM_400000_NS6detail17trampoline_kernelINS0_14default_configENS1_27upper_bound_config_selectorIslEEZNS1_14transform_implILb0ES3_S5_N6thrust23THRUST_200600_302600_NS6detail15normal_iteratorINS8_7pointerIsNS8_11hip_rocprim5par_tENS8_11use_defaultESE_EEEENSA_INSB_IlSD_SE_SE_EEEEZNS1_13binary_searchIS3_S5_PsSG_SI_NS1_21upper_bound_search_opENS9_16wrapped_functionINS8_6system6detail7generic6detail18binary_search_lessEbEEEE10hipError_tPvRmT1_T2_T3_mmT4_T5_P12ihipStream_tbEUlRKsE_EEST_SX_SY_mSZ_S12_bEUlT_E_NS1_11comp_targetILNS1_3genE0ELNS1_11target_archE4294967295ELNS1_3gpuE0ELNS1_3repE0EEENS1_30default_config_static_selectorELNS0_4arch9wavefront6targetE0EEEvSW_, .Lfunc_end232-_ZN7rocprim17ROCPRIM_400000_NS6detail17trampoline_kernelINS0_14default_configENS1_27upper_bound_config_selectorIslEEZNS1_14transform_implILb0ES3_S5_N6thrust23THRUST_200600_302600_NS6detail15normal_iteratorINS8_7pointerIsNS8_11hip_rocprim5par_tENS8_11use_defaultESE_EEEENSA_INSB_IlSD_SE_SE_EEEEZNS1_13binary_searchIS3_S5_PsSG_SI_NS1_21upper_bound_search_opENS9_16wrapped_functionINS8_6system6detail7generic6detail18binary_search_lessEbEEEE10hipError_tPvRmT1_T2_T3_mmT4_T5_P12ihipStream_tbEUlRKsE_EEST_SX_SY_mSZ_S12_bEUlT_E_NS1_11comp_targetILNS1_3genE0ELNS1_11target_archE4294967295ELNS1_3gpuE0ELNS1_3repE0EEENS1_30default_config_static_selectorELNS0_4arch9wavefront6targetE0EEEvSW_
                                        ; -- End function
	.set _ZN7rocprim17ROCPRIM_400000_NS6detail17trampoline_kernelINS0_14default_configENS1_27upper_bound_config_selectorIslEEZNS1_14transform_implILb0ES3_S5_N6thrust23THRUST_200600_302600_NS6detail15normal_iteratorINS8_7pointerIsNS8_11hip_rocprim5par_tENS8_11use_defaultESE_EEEENSA_INSB_IlSD_SE_SE_EEEEZNS1_13binary_searchIS3_S5_PsSG_SI_NS1_21upper_bound_search_opENS9_16wrapped_functionINS8_6system6detail7generic6detail18binary_search_lessEbEEEE10hipError_tPvRmT1_T2_T3_mmT4_T5_P12ihipStream_tbEUlRKsE_EEST_SX_SY_mSZ_S12_bEUlT_E_NS1_11comp_targetILNS1_3genE0ELNS1_11target_archE4294967295ELNS1_3gpuE0ELNS1_3repE0EEENS1_30default_config_static_selectorELNS0_4arch9wavefront6targetE0EEEvSW_.num_vgpr, 0
	.set _ZN7rocprim17ROCPRIM_400000_NS6detail17trampoline_kernelINS0_14default_configENS1_27upper_bound_config_selectorIslEEZNS1_14transform_implILb0ES3_S5_N6thrust23THRUST_200600_302600_NS6detail15normal_iteratorINS8_7pointerIsNS8_11hip_rocprim5par_tENS8_11use_defaultESE_EEEENSA_INSB_IlSD_SE_SE_EEEEZNS1_13binary_searchIS3_S5_PsSG_SI_NS1_21upper_bound_search_opENS9_16wrapped_functionINS8_6system6detail7generic6detail18binary_search_lessEbEEEE10hipError_tPvRmT1_T2_T3_mmT4_T5_P12ihipStream_tbEUlRKsE_EEST_SX_SY_mSZ_S12_bEUlT_E_NS1_11comp_targetILNS1_3genE0ELNS1_11target_archE4294967295ELNS1_3gpuE0ELNS1_3repE0EEENS1_30default_config_static_selectorELNS0_4arch9wavefront6targetE0EEEvSW_.num_agpr, 0
	.set _ZN7rocprim17ROCPRIM_400000_NS6detail17trampoline_kernelINS0_14default_configENS1_27upper_bound_config_selectorIslEEZNS1_14transform_implILb0ES3_S5_N6thrust23THRUST_200600_302600_NS6detail15normal_iteratorINS8_7pointerIsNS8_11hip_rocprim5par_tENS8_11use_defaultESE_EEEENSA_INSB_IlSD_SE_SE_EEEEZNS1_13binary_searchIS3_S5_PsSG_SI_NS1_21upper_bound_search_opENS9_16wrapped_functionINS8_6system6detail7generic6detail18binary_search_lessEbEEEE10hipError_tPvRmT1_T2_T3_mmT4_T5_P12ihipStream_tbEUlRKsE_EEST_SX_SY_mSZ_S12_bEUlT_E_NS1_11comp_targetILNS1_3genE0ELNS1_11target_archE4294967295ELNS1_3gpuE0ELNS1_3repE0EEENS1_30default_config_static_selectorELNS0_4arch9wavefront6targetE0EEEvSW_.numbered_sgpr, 0
	.set _ZN7rocprim17ROCPRIM_400000_NS6detail17trampoline_kernelINS0_14default_configENS1_27upper_bound_config_selectorIslEEZNS1_14transform_implILb0ES3_S5_N6thrust23THRUST_200600_302600_NS6detail15normal_iteratorINS8_7pointerIsNS8_11hip_rocprim5par_tENS8_11use_defaultESE_EEEENSA_INSB_IlSD_SE_SE_EEEEZNS1_13binary_searchIS3_S5_PsSG_SI_NS1_21upper_bound_search_opENS9_16wrapped_functionINS8_6system6detail7generic6detail18binary_search_lessEbEEEE10hipError_tPvRmT1_T2_T3_mmT4_T5_P12ihipStream_tbEUlRKsE_EEST_SX_SY_mSZ_S12_bEUlT_E_NS1_11comp_targetILNS1_3genE0ELNS1_11target_archE4294967295ELNS1_3gpuE0ELNS1_3repE0EEENS1_30default_config_static_selectorELNS0_4arch9wavefront6targetE0EEEvSW_.num_named_barrier, 0
	.set _ZN7rocprim17ROCPRIM_400000_NS6detail17trampoline_kernelINS0_14default_configENS1_27upper_bound_config_selectorIslEEZNS1_14transform_implILb0ES3_S5_N6thrust23THRUST_200600_302600_NS6detail15normal_iteratorINS8_7pointerIsNS8_11hip_rocprim5par_tENS8_11use_defaultESE_EEEENSA_INSB_IlSD_SE_SE_EEEEZNS1_13binary_searchIS3_S5_PsSG_SI_NS1_21upper_bound_search_opENS9_16wrapped_functionINS8_6system6detail7generic6detail18binary_search_lessEbEEEE10hipError_tPvRmT1_T2_T3_mmT4_T5_P12ihipStream_tbEUlRKsE_EEST_SX_SY_mSZ_S12_bEUlT_E_NS1_11comp_targetILNS1_3genE0ELNS1_11target_archE4294967295ELNS1_3gpuE0ELNS1_3repE0EEENS1_30default_config_static_selectorELNS0_4arch9wavefront6targetE0EEEvSW_.private_seg_size, 0
	.set _ZN7rocprim17ROCPRIM_400000_NS6detail17trampoline_kernelINS0_14default_configENS1_27upper_bound_config_selectorIslEEZNS1_14transform_implILb0ES3_S5_N6thrust23THRUST_200600_302600_NS6detail15normal_iteratorINS8_7pointerIsNS8_11hip_rocprim5par_tENS8_11use_defaultESE_EEEENSA_INSB_IlSD_SE_SE_EEEEZNS1_13binary_searchIS3_S5_PsSG_SI_NS1_21upper_bound_search_opENS9_16wrapped_functionINS8_6system6detail7generic6detail18binary_search_lessEbEEEE10hipError_tPvRmT1_T2_T3_mmT4_T5_P12ihipStream_tbEUlRKsE_EEST_SX_SY_mSZ_S12_bEUlT_E_NS1_11comp_targetILNS1_3genE0ELNS1_11target_archE4294967295ELNS1_3gpuE0ELNS1_3repE0EEENS1_30default_config_static_selectorELNS0_4arch9wavefront6targetE0EEEvSW_.uses_vcc, 0
	.set _ZN7rocprim17ROCPRIM_400000_NS6detail17trampoline_kernelINS0_14default_configENS1_27upper_bound_config_selectorIslEEZNS1_14transform_implILb0ES3_S5_N6thrust23THRUST_200600_302600_NS6detail15normal_iteratorINS8_7pointerIsNS8_11hip_rocprim5par_tENS8_11use_defaultESE_EEEENSA_INSB_IlSD_SE_SE_EEEEZNS1_13binary_searchIS3_S5_PsSG_SI_NS1_21upper_bound_search_opENS9_16wrapped_functionINS8_6system6detail7generic6detail18binary_search_lessEbEEEE10hipError_tPvRmT1_T2_T3_mmT4_T5_P12ihipStream_tbEUlRKsE_EEST_SX_SY_mSZ_S12_bEUlT_E_NS1_11comp_targetILNS1_3genE0ELNS1_11target_archE4294967295ELNS1_3gpuE0ELNS1_3repE0EEENS1_30default_config_static_selectorELNS0_4arch9wavefront6targetE0EEEvSW_.uses_flat_scratch, 0
	.set _ZN7rocprim17ROCPRIM_400000_NS6detail17trampoline_kernelINS0_14default_configENS1_27upper_bound_config_selectorIslEEZNS1_14transform_implILb0ES3_S5_N6thrust23THRUST_200600_302600_NS6detail15normal_iteratorINS8_7pointerIsNS8_11hip_rocprim5par_tENS8_11use_defaultESE_EEEENSA_INSB_IlSD_SE_SE_EEEEZNS1_13binary_searchIS3_S5_PsSG_SI_NS1_21upper_bound_search_opENS9_16wrapped_functionINS8_6system6detail7generic6detail18binary_search_lessEbEEEE10hipError_tPvRmT1_T2_T3_mmT4_T5_P12ihipStream_tbEUlRKsE_EEST_SX_SY_mSZ_S12_bEUlT_E_NS1_11comp_targetILNS1_3genE0ELNS1_11target_archE4294967295ELNS1_3gpuE0ELNS1_3repE0EEENS1_30default_config_static_selectorELNS0_4arch9wavefront6targetE0EEEvSW_.has_dyn_sized_stack, 0
	.set _ZN7rocprim17ROCPRIM_400000_NS6detail17trampoline_kernelINS0_14default_configENS1_27upper_bound_config_selectorIslEEZNS1_14transform_implILb0ES3_S5_N6thrust23THRUST_200600_302600_NS6detail15normal_iteratorINS8_7pointerIsNS8_11hip_rocprim5par_tENS8_11use_defaultESE_EEEENSA_INSB_IlSD_SE_SE_EEEEZNS1_13binary_searchIS3_S5_PsSG_SI_NS1_21upper_bound_search_opENS9_16wrapped_functionINS8_6system6detail7generic6detail18binary_search_lessEbEEEE10hipError_tPvRmT1_T2_T3_mmT4_T5_P12ihipStream_tbEUlRKsE_EEST_SX_SY_mSZ_S12_bEUlT_E_NS1_11comp_targetILNS1_3genE0ELNS1_11target_archE4294967295ELNS1_3gpuE0ELNS1_3repE0EEENS1_30default_config_static_selectorELNS0_4arch9wavefront6targetE0EEEvSW_.has_recursion, 0
	.set _ZN7rocprim17ROCPRIM_400000_NS6detail17trampoline_kernelINS0_14default_configENS1_27upper_bound_config_selectorIslEEZNS1_14transform_implILb0ES3_S5_N6thrust23THRUST_200600_302600_NS6detail15normal_iteratorINS8_7pointerIsNS8_11hip_rocprim5par_tENS8_11use_defaultESE_EEEENSA_INSB_IlSD_SE_SE_EEEEZNS1_13binary_searchIS3_S5_PsSG_SI_NS1_21upper_bound_search_opENS9_16wrapped_functionINS8_6system6detail7generic6detail18binary_search_lessEbEEEE10hipError_tPvRmT1_T2_T3_mmT4_T5_P12ihipStream_tbEUlRKsE_EEST_SX_SY_mSZ_S12_bEUlT_E_NS1_11comp_targetILNS1_3genE0ELNS1_11target_archE4294967295ELNS1_3gpuE0ELNS1_3repE0EEENS1_30default_config_static_selectorELNS0_4arch9wavefront6targetE0EEEvSW_.has_indirect_call, 0
	.section	.AMDGPU.csdata,"",@progbits
; Kernel info:
; codeLenInByte = 0
; TotalNumSgprs: 0
; NumVgprs: 0
; ScratchSize: 0
; MemoryBound: 0
; FloatMode: 240
; IeeeMode: 1
; LDSByteSize: 0 bytes/workgroup (compile time only)
; SGPRBlocks: 0
; VGPRBlocks: 0
; NumSGPRsForWavesPerEU: 1
; NumVGPRsForWavesPerEU: 1
; Occupancy: 16
; WaveLimiterHint : 0
; COMPUTE_PGM_RSRC2:SCRATCH_EN: 0
; COMPUTE_PGM_RSRC2:USER_SGPR: 6
; COMPUTE_PGM_RSRC2:TRAP_HANDLER: 0
; COMPUTE_PGM_RSRC2:TGID_X_EN: 1
; COMPUTE_PGM_RSRC2:TGID_Y_EN: 0
; COMPUTE_PGM_RSRC2:TGID_Z_EN: 0
; COMPUTE_PGM_RSRC2:TIDIG_COMP_CNT: 0
	.section	.text._ZN7rocprim17ROCPRIM_400000_NS6detail17trampoline_kernelINS0_14default_configENS1_27upper_bound_config_selectorIslEEZNS1_14transform_implILb0ES3_S5_N6thrust23THRUST_200600_302600_NS6detail15normal_iteratorINS8_7pointerIsNS8_11hip_rocprim5par_tENS8_11use_defaultESE_EEEENSA_INSB_IlSD_SE_SE_EEEEZNS1_13binary_searchIS3_S5_PsSG_SI_NS1_21upper_bound_search_opENS9_16wrapped_functionINS8_6system6detail7generic6detail18binary_search_lessEbEEEE10hipError_tPvRmT1_T2_T3_mmT4_T5_P12ihipStream_tbEUlRKsE_EEST_SX_SY_mSZ_S12_bEUlT_E_NS1_11comp_targetILNS1_3genE5ELNS1_11target_archE942ELNS1_3gpuE9ELNS1_3repE0EEENS1_30default_config_static_selectorELNS0_4arch9wavefront6targetE0EEEvSW_,"axG",@progbits,_ZN7rocprim17ROCPRIM_400000_NS6detail17trampoline_kernelINS0_14default_configENS1_27upper_bound_config_selectorIslEEZNS1_14transform_implILb0ES3_S5_N6thrust23THRUST_200600_302600_NS6detail15normal_iteratorINS8_7pointerIsNS8_11hip_rocprim5par_tENS8_11use_defaultESE_EEEENSA_INSB_IlSD_SE_SE_EEEEZNS1_13binary_searchIS3_S5_PsSG_SI_NS1_21upper_bound_search_opENS9_16wrapped_functionINS8_6system6detail7generic6detail18binary_search_lessEbEEEE10hipError_tPvRmT1_T2_T3_mmT4_T5_P12ihipStream_tbEUlRKsE_EEST_SX_SY_mSZ_S12_bEUlT_E_NS1_11comp_targetILNS1_3genE5ELNS1_11target_archE942ELNS1_3gpuE9ELNS1_3repE0EEENS1_30default_config_static_selectorELNS0_4arch9wavefront6targetE0EEEvSW_,comdat
	.protected	_ZN7rocprim17ROCPRIM_400000_NS6detail17trampoline_kernelINS0_14default_configENS1_27upper_bound_config_selectorIslEEZNS1_14transform_implILb0ES3_S5_N6thrust23THRUST_200600_302600_NS6detail15normal_iteratorINS8_7pointerIsNS8_11hip_rocprim5par_tENS8_11use_defaultESE_EEEENSA_INSB_IlSD_SE_SE_EEEEZNS1_13binary_searchIS3_S5_PsSG_SI_NS1_21upper_bound_search_opENS9_16wrapped_functionINS8_6system6detail7generic6detail18binary_search_lessEbEEEE10hipError_tPvRmT1_T2_T3_mmT4_T5_P12ihipStream_tbEUlRKsE_EEST_SX_SY_mSZ_S12_bEUlT_E_NS1_11comp_targetILNS1_3genE5ELNS1_11target_archE942ELNS1_3gpuE9ELNS1_3repE0EEENS1_30default_config_static_selectorELNS0_4arch9wavefront6targetE0EEEvSW_ ; -- Begin function _ZN7rocprim17ROCPRIM_400000_NS6detail17trampoline_kernelINS0_14default_configENS1_27upper_bound_config_selectorIslEEZNS1_14transform_implILb0ES3_S5_N6thrust23THRUST_200600_302600_NS6detail15normal_iteratorINS8_7pointerIsNS8_11hip_rocprim5par_tENS8_11use_defaultESE_EEEENSA_INSB_IlSD_SE_SE_EEEEZNS1_13binary_searchIS3_S5_PsSG_SI_NS1_21upper_bound_search_opENS9_16wrapped_functionINS8_6system6detail7generic6detail18binary_search_lessEbEEEE10hipError_tPvRmT1_T2_T3_mmT4_T5_P12ihipStream_tbEUlRKsE_EEST_SX_SY_mSZ_S12_bEUlT_E_NS1_11comp_targetILNS1_3genE5ELNS1_11target_archE942ELNS1_3gpuE9ELNS1_3repE0EEENS1_30default_config_static_selectorELNS0_4arch9wavefront6targetE0EEEvSW_
	.globl	_ZN7rocprim17ROCPRIM_400000_NS6detail17trampoline_kernelINS0_14default_configENS1_27upper_bound_config_selectorIslEEZNS1_14transform_implILb0ES3_S5_N6thrust23THRUST_200600_302600_NS6detail15normal_iteratorINS8_7pointerIsNS8_11hip_rocprim5par_tENS8_11use_defaultESE_EEEENSA_INSB_IlSD_SE_SE_EEEEZNS1_13binary_searchIS3_S5_PsSG_SI_NS1_21upper_bound_search_opENS9_16wrapped_functionINS8_6system6detail7generic6detail18binary_search_lessEbEEEE10hipError_tPvRmT1_T2_T3_mmT4_T5_P12ihipStream_tbEUlRKsE_EEST_SX_SY_mSZ_S12_bEUlT_E_NS1_11comp_targetILNS1_3genE5ELNS1_11target_archE942ELNS1_3gpuE9ELNS1_3repE0EEENS1_30default_config_static_selectorELNS0_4arch9wavefront6targetE0EEEvSW_
	.p2align	8
	.type	_ZN7rocprim17ROCPRIM_400000_NS6detail17trampoline_kernelINS0_14default_configENS1_27upper_bound_config_selectorIslEEZNS1_14transform_implILb0ES3_S5_N6thrust23THRUST_200600_302600_NS6detail15normal_iteratorINS8_7pointerIsNS8_11hip_rocprim5par_tENS8_11use_defaultESE_EEEENSA_INSB_IlSD_SE_SE_EEEEZNS1_13binary_searchIS3_S5_PsSG_SI_NS1_21upper_bound_search_opENS9_16wrapped_functionINS8_6system6detail7generic6detail18binary_search_lessEbEEEE10hipError_tPvRmT1_T2_T3_mmT4_T5_P12ihipStream_tbEUlRKsE_EEST_SX_SY_mSZ_S12_bEUlT_E_NS1_11comp_targetILNS1_3genE5ELNS1_11target_archE942ELNS1_3gpuE9ELNS1_3repE0EEENS1_30default_config_static_selectorELNS0_4arch9wavefront6targetE0EEEvSW_,@function
_ZN7rocprim17ROCPRIM_400000_NS6detail17trampoline_kernelINS0_14default_configENS1_27upper_bound_config_selectorIslEEZNS1_14transform_implILb0ES3_S5_N6thrust23THRUST_200600_302600_NS6detail15normal_iteratorINS8_7pointerIsNS8_11hip_rocprim5par_tENS8_11use_defaultESE_EEEENSA_INSB_IlSD_SE_SE_EEEEZNS1_13binary_searchIS3_S5_PsSG_SI_NS1_21upper_bound_search_opENS9_16wrapped_functionINS8_6system6detail7generic6detail18binary_search_lessEbEEEE10hipError_tPvRmT1_T2_T3_mmT4_T5_P12ihipStream_tbEUlRKsE_EEST_SX_SY_mSZ_S12_bEUlT_E_NS1_11comp_targetILNS1_3genE5ELNS1_11target_archE942ELNS1_3gpuE9ELNS1_3repE0EEENS1_30default_config_static_selectorELNS0_4arch9wavefront6targetE0EEEvSW_: ; @_ZN7rocprim17ROCPRIM_400000_NS6detail17trampoline_kernelINS0_14default_configENS1_27upper_bound_config_selectorIslEEZNS1_14transform_implILb0ES3_S5_N6thrust23THRUST_200600_302600_NS6detail15normal_iteratorINS8_7pointerIsNS8_11hip_rocprim5par_tENS8_11use_defaultESE_EEEENSA_INSB_IlSD_SE_SE_EEEEZNS1_13binary_searchIS3_S5_PsSG_SI_NS1_21upper_bound_search_opENS9_16wrapped_functionINS8_6system6detail7generic6detail18binary_search_lessEbEEEE10hipError_tPvRmT1_T2_T3_mmT4_T5_P12ihipStream_tbEUlRKsE_EEST_SX_SY_mSZ_S12_bEUlT_E_NS1_11comp_targetILNS1_3genE5ELNS1_11target_archE942ELNS1_3gpuE9ELNS1_3repE0EEENS1_30default_config_static_selectorELNS0_4arch9wavefront6targetE0EEEvSW_
; %bb.0:
	.section	.rodata,"a",@progbits
	.p2align	6, 0x0
	.amdhsa_kernel _ZN7rocprim17ROCPRIM_400000_NS6detail17trampoline_kernelINS0_14default_configENS1_27upper_bound_config_selectorIslEEZNS1_14transform_implILb0ES3_S5_N6thrust23THRUST_200600_302600_NS6detail15normal_iteratorINS8_7pointerIsNS8_11hip_rocprim5par_tENS8_11use_defaultESE_EEEENSA_INSB_IlSD_SE_SE_EEEEZNS1_13binary_searchIS3_S5_PsSG_SI_NS1_21upper_bound_search_opENS9_16wrapped_functionINS8_6system6detail7generic6detail18binary_search_lessEbEEEE10hipError_tPvRmT1_T2_T3_mmT4_T5_P12ihipStream_tbEUlRKsE_EEST_SX_SY_mSZ_S12_bEUlT_E_NS1_11comp_targetILNS1_3genE5ELNS1_11target_archE942ELNS1_3gpuE9ELNS1_3repE0EEENS1_30default_config_static_selectorELNS0_4arch9wavefront6targetE0EEEvSW_
		.amdhsa_group_segment_fixed_size 0
		.amdhsa_private_segment_fixed_size 0
		.amdhsa_kernarg_size 56
		.amdhsa_user_sgpr_count 6
		.amdhsa_user_sgpr_private_segment_buffer 1
		.amdhsa_user_sgpr_dispatch_ptr 0
		.amdhsa_user_sgpr_queue_ptr 0
		.amdhsa_user_sgpr_kernarg_segment_ptr 1
		.amdhsa_user_sgpr_dispatch_id 0
		.amdhsa_user_sgpr_flat_scratch_init 0
		.amdhsa_user_sgpr_private_segment_size 0
		.amdhsa_wavefront_size32 1
		.amdhsa_uses_dynamic_stack 0
		.amdhsa_system_sgpr_private_segment_wavefront_offset 0
		.amdhsa_system_sgpr_workgroup_id_x 1
		.amdhsa_system_sgpr_workgroup_id_y 0
		.amdhsa_system_sgpr_workgroup_id_z 0
		.amdhsa_system_sgpr_workgroup_info 0
		.amdhsa_system_vgpr_workitem_id 0
		.amdhsa_next_free_vgpr 1
		.amdhsa_next_free_sgpr 1
		.amdhsa_reserve_vcc 0
		.amdhsa_reserve_flat_scratch 0
		.amdhsa_float_round_mode_32 0
		.amdhsa_float_round_mode_16_64 0
		.amdhsa_float_denorm_mode_32 3
		.amdhsa_float_denorm_mode_16_64 3
		.amdhsa_dx10_clamp 1
		.amdhsa_ieee_mode 1
		.amdhsa_fp16_overflow 0
		.amdhsa_workgroup_processor_mode 1
		.amdhsa_memory_ordered 1
		.amdhsa_forward_progress 1
		.amdhsa_shared_vgpr_count 0
		.amdhsa_exception_fp_ieee_invalid_op 0
		.amdhsa_exception_fp_denorm_src 0
		.amdhsa_exception_fp_ieee_div_zero 0
		.amdhsa_exception_fp_ieee_overflow 0
		.amdhsa_exception_fp_ieee_underflow 0
		.amdhsa_exception_fp_ieee_inexact 0
		.amdhsa_exception_int_div_zero 0
	.end_amdhsa_kernel
	.section	.text._ZN7rocprim17ROCPRIM_400000_NS6detail17trampoline_kernelINS0_14default_configENS1_27upper_bound_config_selectorIslEEZNS1_14transform_implILb0ES3_S5_N6thrust23THRUST_200600_302600_NS6detail15normal_iteratorINS8_7pointerIsNS8_11hip_rocprim5par_tENS8_11use_defaultESE_EEEENSA_INSB_IlSD_SE_SE_EEEEZNS1_13binary_searchIS3_S5_PsSG_SI_NS1_21upper_bound_search_opENS9_16wrapped_functionINS8_6system6detail7generic6detail18binary_search_lessEbEEEE10hipError_tPvRmT1_T2_T3_mmT4_T5_P12ihipStream_tbEUlRKsE_EEST_SX_SY_mSZ_S12_bEUlT_E_NS1_11comp_targetILNS1_3genE5ELNS1_11target_archE942ELNS1_3gpuE9ELNS1_3repE0EEENS1_30default_config_static_selectorELNS0_4arch9wavefront6targetE0EEEvSW_,"axG",@progbits,_ZN7rocprim17ROCPRIM_400000_NS6detail17trampoline_kernelINS0_14default_configENS1_27upper_bound_config_selectorIslEEZNS1_14transform_implILb0ES3_S5_N6thrust23THRUST_200600_302600_NS6detail15normal_iteratorINS8_7pointerIsNS8_11hip_rocprim5par_tENS8_11use_defaultESE_EEEENSA_INSB_IlSD_SE_SE_EEEEZNS1_13binary_searchIS3_S5_PsSG_SI_NS1_21upper_bound_search_opENS9_16wrapped_functionINS8_6system6detail7generic6detail18binary_search_lessEbEEEE10hipError_tPvRmT1_T2_T3_mmT4_T5_P12ihipStream_tbEUlRKsE_EEST_SX_SY_mSZ_S12_bEUlT_E_NS1_11comp_targetILNS1_3genE5ELNS1_11target_archE942ELNS1_3gpuE9ELNS1_3repE0EEENS1_30default_config_static_selectorELNS0_4arch9wavefront6targetE0EEEvSW_,comdat
.Lfunc_end233:
	.size	_ZN7rocprim17ROCPRIM_400000_NS6detail17trampoline_kernelINS0_14default_configENS1_27upper_bound_config_selectorIslEEZNS1_14transform_implILb0ES3_S5_N6thrust23THRUST_200600_302600_NS6detail15normal_iteratorINS8_7pointerIsNS8_11hip_rocprim5par_tENS8_11use_defaultESE_EEEENSA_INSB_IlSD_SE_SE_EEEEZNS1_13binary_searchIS3_S5_PsSG_SI_NS1_21upper_bound_search_opENS9_16wrapped_functionINS8_6system6detail7generic6detail18binary_search_lessEbEEEE10hipError_tPvRmT1_T2_T3_mmT4_T5_P12ihipStream_tbEUlRKsE_EEST_SX_SY_mSZ_S12_bEUlT_E_NS1_11comp_targetILNS1_3genE5ELNS1_11target_archE942ELNS1_3gpuE9ELNS1_3repE0EEENS1_30default_config_static_selectorELNS0_4arch9wavefront6targetE0EEEvSW_, .Lfunc_end233-_ZN7rocprim17ROCPRIM_400000_NS6detail17trampoline_kernelINS0_14default_configENS1_27upper_bound_config_selectorIslEEZNS1_14transform_implILb0ES3_S5_N6thrust23THRUST_200600_302600_NS6detail15normal_iteratorINS8_7pointerIsNS8_11hip_rocprim5par_tENS8_11use_defaultESE_EEEENSA_INSB_IlSD_SE_SE_EEEEZNS1_13binary_searchIS3_S5_PsSG_SI_NS1_21upper_bound_search_opENS9_16wrapped_functionINS8_6system6detail7generic6detail18binary_search_lessEbEEEE10hipError_tPvRmT1_T2_T3_mmT4_T5_P12ihipStream_tbEUlRKsE_EEST_SX_SY_mSZ_S12_bEUlT_E_NS1_11comp_targetILNS1_3genE5ELNS1_11target_archE942ELNS1_3gpuE9ELNS1_3repE0EEENS1_30default_config_static_selectorELNS0_4arch9wavefront6targetE0EEEvSW_
                                        ; -- End function
	.set _ZN7rocprim17ROCPRIM_400000_NS6detail17trampoline_kernelINS0_14default_configENS1_27upper_bound_config_selectorIslEEZNS1_14transform_implILb0ES3_S5_N6thrust23THRUST_200600_302600_NS6detail15normal_iteratorINS8_7pointerIsNS8_11hip_rocprim5par_tENS8_11use_defaultESE_EEEENSA_INSB_IlSD_SE_SE_EEEEZNS1_13binary_searchIS3_S5_PsSG_SI_NS1_21upper_bound_search_opENS9_16wrapped_functionINS8_6system6detail7generic6detail18binary_search_lessEbEEEE10hipError_tPvRmT1_T2_T3_mmT4_T5_P12ihipStream_tbEUlRKsE_EEST_SX_SY_mSZ_S12_bEUlT_E_NS1_11comp_targetILNS1_3genE5ELNS1_11target_archE942ELNS1_3gpuE9ELNS1_3repE0EEENS1_30default_config_static_selectorELNS0_4arch9wavefront6targetE0EEEvSW_.num_vgpr, 0
	.set _ZN7rocprim17ROCPRIM_400000_NS6detail17trampoline_kernelINS0_14default_configENS1_27upper_bound_config_selectorIslEEZNS1_14transform_implILb0ES3_S5_N6thrust23THRUST_200600_302600_NS6detail15normal_iteratorINS8_7pointerIsNS8_11hip_rocprim5par_tENS8_11use_defaultESE_EEEENSA_INSB_IlSD_SE_SE_EEEEZNS1_13binary_searchIS3_S5_PsSG_SI_NS1_21upper_bound_search_opENS9_16wrapped_functionINS8_6system6detail7generic6detail18binary_search_lessEbEEEE10hipError_tPvRmT1_T2_T3_mmT4_T5_P12ihipStream_tbEUlRKsE_EEST_SX_SY_mSZ_S12_bEUlT_E_NS1_11comp_targetILNS1_3genE5ELNS1_11target_archE942ELNS1_3gpuE9ELNS1_3repE0EEENS1_30default_config_static_selectorELNS0_4arch9wavefront6targetE0EEEvSW_.num_agpr, 0
	.set _ZN7rocprim17ROCPRIM_400000_NS6detail17trampoline_kernelINS0_14default_configENS1_27upper_bound_config_selectorIslEEZNS1_14transform_implILb0ES3_S5_N6thrust23THRUST_200600_302600_NS6detail15normal_iteratorINS8_7pointerIsNS8_11hip_rocprim5par_tENS8_11use_defaultESE_EEEENSA_INSB_IlSD_SE_SE_EEEEZNS1_13binary_searchIS3_S5_PsSG_SI_NS1_21upper_bound_search_opENS9_16wrapped_functionINS8_6system6detail7generic6detail18binary_search_lessEbEEEE10hipError_tPvRmT1_T2_T3_mmT4_T5_P12ihipStream_tbEUlRKsE_EEST_SX_SY_mSZ_S12_bEUlT_E_NS1_11comp_targetILNS1_3genE5ELNS1_11target_archE942ELNS1_3gpuE9ELNS1_3repE0EEENS1_30default_config_static_selectorELNS0_4arch9wavefront6targetE0EEEvSW_.numbered_sgpr, 0
	.set _ZN7rocprim17ROCPRIM_400000_NS6detail17trampoline_kernelINS0_14default_configENS1_27upper_bound_config_selectorIslEEZNS1_14transform_implILb0ES3_S5_N6thrust23THRUST_200600_302600_NS6detail15normal_iteratorINS8_7pointerIsNS8_11hip_rocprim5par_tENS8_11use_defaultESE_EEEENSA_INSB_IlSD_SE_SE_EEEEZNS1_13binary_searchIS3_S5_PsSG_SI_NS1_21upper_bound_search_opENS9_16wrapped_functionINS8_6system6detail7generic6detail18binary_search_lessEbEEEE10hipError_tPvRmT1_T2_T3_mmT4_T5_P12ihipStream_tbEUlRKsE_EEST_SX_SY_mSZ_S12_bEUlT_E_NS1_11comp_targetILNS1_3genE5ELNS1_11target_archE942ELNS1_3gpuE9ELNS1_3repE0EEENS1_30default_config_static_selectorELNS0_4arch9wavefront6targetE0EEEvSW_.num_named_barrier, 0
	.set _ZN7rocprim17ROCPRIM_400000_NS6detail17trampoline_kernelINS0_14default_configENS1_27upper_bound_config_selectorIslEEZNS1_14transform_implILb0ES3_S5_N6thrust23THRUST_200600_302600_NS6detail15normal_iteratorINS8_7pointerIsNS8_11hip_rocprim5par_tENS8_11use_defaultESE_EEEENSA_INSB_IlSD_SE_SE_EEEEZNS1_13binary_searchIS3_S5_PsSG_SI_NS1_21upper_bound_search_opENS9_16wrapped_functionINS8_6system6detail7generic6detail18binary_search_lessEbEEEE10hipError_tPvRmT1_T2_T3_mmT4_T5_P12ihipStream_tbEUlRKsE_EEST_SX_SY_mSZ_S12_bEUlT_E_NS1_11comp_targetILNS1_3genE5ELNS1_11target_archE942ELNS1_3gpuE9ELNS1_3repE0EEENS1_30default_config_static_selectorELNS0_4arch9wavefront6targetE0EEEvSW_.private_seg_size, 0
	.set _ZN7rocprim17ROCPRIM_400000_NS6detail17trampoline_kernelINS0_14default_configENS1_27upper_bound_config_selectorIslEEZNS1_14transform_implILb0ES3_S5_N6thrust23THRUST_200600_302600_NS6detail15normal_iteratorINS8_7pointerIsNS8_11hip_rocprim5par_tENS8_11use_defaultESE_EEEENSA_INSB_IlSD_SE_SE_EEEEZNS1_13binary_searchIS3_S5_PsSG_SI_NS1_21upper_bound_search_opENS9_16wrapped_functionINS8_6system6detail7generic6detail18binary_search_lessEbEEEE10hipError_tPvRmT1_T2_T3_mmT4_T5_P12ihipStream_tbEUlRKsE_EEST_SX_SY_mSZ_S12_bEUlT_E_NS1_11comp_targetILNS1_3genE5ELNS1_11target_archE942ELNS1_3gpuE9ELNS1_3repE0EEENS1_30default_config_static_selectorELNS0_4arch9wavefront6targetE0EEEvSW_.uses_vcc, 0
	.set _ZN7rocprim17ROCPRIM_400000_NS6detail17trampoline_kernelINS0_14default_configENS1_27upper_bound_config_selectorIslEEZNS1_14transform_implILb0ES3_S5_N6thrust23THRUST_200600_302600_NS6detail15normal_iteratorINS8_7pointerIsNS8_11hip_rocprim5par_tENS8_11use_defaultESE_EEEENSA_INSB_IlSD_SE_SE_EEEEZNS1_13binary_searchIS3_S5_PsSG_SI_NS1_21upper_bound_search_opENS9_16wrapped_functionINS8_6system6detail7generic6detail18binary_search_lessEbEEEE10hipError_tPvRmT1_T2_T3_mmT4_T5_P12ihipStream_tbEUlRKsE_EEST_SX_SY_mSZ_S12_bEUlT_E_NS1_11comp_targetILNS1_3genE5ELNS1_11target_archE942ELNS1_3gpuE9ELNS1_3repE0EEENS1_30default_config_static_selectorELNS0_4arch9wavefront6targetE0EEEvSW_.uses_flat_scratch, 0
	.set _ZN7rocprim17ROCPRIM_400000_NS6detail17trampoline_kernelINS0_14default_configENS1_27upper_bound_config_selectorIslEEZNS1_14transform_implILb0ES3_S5_N6thrust23THRUST_200600_302600_NS6detail15normal_iteratorINS8_7pointerIsNS8_11hip_rocprim5par_tENS8_11use_defaultESE_EEEENSA_INSB_IlSD_SE_SE_EEEEZNS1_13binary_searchIS3_S5_PsSG_SI_NS1_21upper_bound_search_opENS9_16wrapped_functionINS8_6system6detail7generic6detail18binary_search_lessEbEEEE10hipError_tPvRmT1_T2_T3_mmT4_T5_P12ihipStream_tbEUlRKsE_EEST_SX_SY_mSZ_S12_bEUlT_E_NS1_11comp_targetILNS1_3genE5ELNS1_11target_archE942ELNS1_3gpuE9ELNS1_3repE0EEENS1_30default_config_static_selectorELNS0_4arch9wavefront6targetE0EEEvSW_.has_dyn_sized_stack, 0
	.set _ZN7rocprim17ROCPRIM_400000_NS6detail17trampoline_kernelINS0_14default_configENS1_27upper_bound_config_selectorIslEEZNS1_14transform_implILb0ES3_S5_N6thrust23THRUST_200600_302600_NS6detail15normal_iteratorINS8_7pointerIsNS8_11hip_rocprim5par_tENS8_11use_defaultESE_EEEENSA_INSB_IlSD_SE_SE_EEEEZNS1_13binary_searchIS3_S5_PsSG_SI_NS1_21upper_bound_search_opENS9_16wrapped_functionINS8_6system6detail7generic6detail18binary_search_lessEbEEEE10hipError_tPvRmT1_T2_T3_mmT4_T5_P12ihipStream_tbEUlRKsE_EEST_SX_SY_mSZ_S12_bEUlT_E_NS1_11comp_targetILNS1_3genE5ELNS1_11target_archE942ELNS1_3gpuE9ELNS1_3repE0EEENS1_30default_config_static_selectorELNS0_4arch9wavefront6targetE0EEEvSW_.has_recursion, 0
	.set _ZN7rocprim17ROCPRIM_400000_NS6detail17trampoline_kernelINS0_14default_configENS1_27upper_bound_config_selectorIslEEZNS1_14transform_implILb0ES3_S5_N6thrust23THRUST_200600_302600_NS6detail15normal_iteratorINS8_7pointerIsNS8_11hip_rocprim5par_tENS8_11use_defaultESE_EEEENSA_INSB_IlSD_SE_SE_EEEEZNS1_13binary_searchIS3_S5_PsSG_SI_NS1_21upper_bound_search_opENS9_16wrapped_functionINS8_6system6detail7generic6detail18binary_search_lessEbEEEE10hipError_tPvRmT1_T2_T3_mmT4_T5_P12ihipStream_tbEUlRKsE_EEST_SX_SY_mSZ_S12_bEUlT_E_NS1_11comp_targetILNS1_3genE5ELNS1_11target_archE942ELNS1_3gpuE9ELNS1_3repE0EEENS1_30default_config_static_selectorELNS0_4arch9wavefront6targetE0EEEvSW_.has_indirect_call, 0
	.section	.AMDGPU.csdata,"",@progbits
; Kernel info:
; codeLenInByte = 0
; TotalNumSgprs: 0
; NumVgprs: 0
; ScratchSize: 0
; MemoryBound: 0
; FloatMode: 240
; IeeeMode: 1
; LDSByteSize: 0 bytes/workgroup (compile time only)
; SGPRBlocks: 0
; VGPRBlocks: 0
; NumSGPRsForWavesPerEU: 1
; NumVGPRsForWavesPerEU: 1
; Occupancy: 16
; WaveLimiterHint : 0
; COMPUTE_PGM_RSRC2:SCRATCH_EN: 0
; COMPUTE_PGM_RSRC2:USER_SGPR: 6
; COMPUTE_PGM_RSRC2:TRAP_HANDLER: 0
; COMPUTE_PGM_RSRC2:TGID_X_EN: 1
; COMPUTE_PGM_RSRC2:TGID_Y_EN: 0
; COMPUTE_PGM_RSRC2:TGID_Z_EN: 0
; COMPUTE_PGM_RSRC2:TIDIG_COMP_CNT: 0
	.section	.text._ZN7rocprim17ROCPRIM_400000_NS6detail17trampoline_kernelINS0_14default_configENS1_27upper_bound_config_selectorIslEEZNS1_14transform_implILb0ES3_S5_N6thrust23THRUST_200600_302600_NS6detail15normal_iteratorINS8_7pointerIsNS8_11hip_rocprim5par_tENS8_11use_defaultESE_EEEENSA_INSB_IlSD_SE_SE_EEEEZNS1_13binary_searchIS3_S5_PsSG_SI_NS1_21upper_bound_search_opENS9_16wrapped_functionINS8_6system6detail7generic6detail18binary_search_lessEbEEEE10hipError_tPvRmT1_T2_T3_mmT4_T5_P12ihipStream_tbEUlRKsE_EEST_SX_SY_mSZ_S12_bEUlT_E_NS1_11comp_targetILNS1_3genE4ELNS1_11target_archE910ELNS1_3gpuE8ELNS1_3repE0EEENS1_30default_config_static_selectorELNS0_4arch9wavefront6targetE0EEEvSW_,"axG",@progbits,_ZN7rocprim17ROCPRIM_400000_NS6detail17trampoline_kernelINS0_14default_configENS1_27upper_bound_config_selectorIslEEZNS1_14transform_implILb0ES3_S5_N6thrust23THRUST_200600_302600_NS6detail15normal_iteratorINS8_7pointerIsNS8_11hip_rocprim5par_tENS8_11use_defaultESE_EEEENSA_INSB_IlSD_SE_SE_EEEEZNS1_13binary_searchIS3_S5_PsSG_SI_NS1_21upper_bound_search_opENS9_16wrapped_functionINS8_6system6detail7generic6detail18binary_search_lessEbEEEE10hipError_tPvRmT1_T2_T3_mmT4_T5_P12ihipStream_tbEUlRKsE_EEST_SX_SY_mSZ_S12_bEUlT_E_NS1_11comp_targetILNS1_3genE4ELNS1_11target_archE910ELNS1_3gpuE8ELNS1_3repE0EEENS1_30default_config_static_selectorELNS0_4arch9wavefront6targetE0EEEvSW_,comdat
	.protected	_ZN7rocprim17ROCPRIM_400000_NS6detail17trampoline_kernelINS0_14default_configENS1_27upper_bound_config_selectorIslEEZNS1_14transform_implILb0ES3_S5_N6thrust23THRUST_200600_302600_NS6detail15normal_iteratorINS8_7pointerIsNS8_11hip_rocprim5par_tENS8_11use_defaultESE_EEEENSA_INSB_IlSD_SE_SE_EEEEZNS1_13binary_searchIS3_S5_PsSG_SI_NS1_21upper_bound_search_opENS9_16wrapped_functionINS8_6system6detail7generic6detail18binary_search_lessEbEEEE10hipError_tPvRmT1_T2_T3_mmT4_T5_P12ihipStream_tbEUlRKsE_EEST_SX_SY_mSZ_S12_bEUlT_E_NS1_11comp_targetILNS1_3genE4ELNS1_11target_archE910ELNS1_3gpuE8ELNS1_3repE0EEENS1_30default_config_static_selectorELNS0_4arch9wavefront6targetE0EEEvSW_ ; -- Begin function _ZN7rocprim17ROCPRIM_400000_NS6detail17trampoline_kernelINS0_14default_configENS1_27upper_bound_config_selectorIslEEZNS1_14transform_implILb0ES3_S5_N6thrust23THRUST_200600_302600_NS6detail15normal_iteratorINS8_7pointerIsNS8_11hip_rocprim5par_tENS8_11use_defaultESE_EEEENSA_INSB_IlSD_SE_SE_EEEEZNS1_13binary_searchIS3_S5_PsSG_SI_NS1_21upper_bound_search_opENS9_16wrapped_functionINS8_6system6detail7generic6detail18binary_search_lessEbEEEE10hipError_tPvRmT1_T2_T3_mmT4_T5_P12ihipStream_tbEUlRKsE_EEST_SX_SY_mSZ_S12_bEUlT_E_NS1_11comp_targetILNS1_3genE4ELNS1_11target_archE910ELNS1_3gpuE8ELNS1_3repE0EEENS1_30default_config_static_selectorELNS0_4arch9wavefront6targetE0EEEvSW_
	.globl	_ZN7rocprim17ROCPRIM_400000_NS6detail17trampoline_kernelINS0_14default_configENS1_27upper_bound_config_selectorIslEEZNS1_14transform_implILb0ES3_S5_N6thrust23THRUST_200600_302600_NS6detail15normal_iteratorINS8_7pointerIsNS8_11hip_rocprim5par_tENS8_11use_defaultESE_EEEENSA_INSB_IlSD_SE_SE_EEEEZNS1_13binary_searchIS3_S5_PsSG_SI_NS1_21upper_bound_search_opENS9_16wrapped_functionINS8_6system6detail7generic6detail18binary_search_lessEbEEEE10hipError_tPvRmT1_T2_T3_mmT4_T5_P12ihipStream_tbEUlRKsE_EEST_SX_SY_mSZ_S12_bEUlT_E_NS1_11comp_targetILNS1_3genE4ELNS1_11target_archE910ELNS1_3gpuE8ELNS1_3repE0EEENS1_30default_config_static_selectorELNS0_4arch9wavefront6targetE0EEEvSW_
	.p2align	8
	.type	_ZN7rocprim17ROCPRIM_400000_NS6detail17trampoline_kernelINS0_14default_configENS1_27upper_bound_config_selectorIslEEZNS1_14transform_implILb0ES3_S5_N6thrust23THRUST_200600_302600_NS6detail15normal_iteratorINS8_7pointerIsNS8_11hip_rocprim5par_tENS8_11use_defaultESE_EEEENSA_INSB_IlSD_SE_SE_EEEEZNS1_13binary_searchIS3_S5_PsSG_SI_NS1_21upper_bound_search_opENS9_16wrapped_functionINS8_6system6detail7generic6detail18binary_search_lessEbEEEE10hipError_tPvRmT1_T2_T3_mmT4_T5_P12ihipStream_tbEUlRKsE_EEST_SX_SY_mSZ_S12_bEUlT_E_NS1_11comp_targetILNS1_3genE4ELNS1_11target_archE910ELNS1_3gpuE8ELNS1_3repE0EEENS1_30default_config_static_selectorELNS0_4arch9wavefront6targetE0EEEvSW_,@function
_ZN7rocprim17ROCPRIM_400000_NS6detail17trampoline_kernelINS0_14default_configENS1_27upper_bound_config_selectorIslEEZNS1_14transform_implILb0ES3_S5_N6thrust23THRUST_200600_302600_NS6detail15normal_iteratorINS8_7pointerIsNS8_11hip_rocprim5par_tENS8_11use_defaultESE_EEEENSA_INSB_IlSD_SE_SE_EEEEZNS1_13binary_searchIS3_S5_PsSG_SI_NS1_21upper_bound_search_opENS9_16wrapped_functionINS8_6system6detail7generic6detail18binary_search_lessEbEEEE10hipError_tPvRmT1_T2_T3_mmT4_T5_P12ihipStream_tbEUlRKsE_EEST_SX_SY_mSZ_S12_bEUlT_E_NS1_11comp_targetILNS1_3genE4ELNS1_11target_archE910ELNS1_3gpuE8ELNS1_3repE0EEENS1_30default_config_static_selectorELNS0_4arch9wavefront6targetE0EEEvSW_: ; @_ZN7rocprim17ROCPRIM_400000_NS6detail17trampoline_kernelINS0_14default_configENS1_27upper_bound_config_selectorIslEEZNS1_14transform_implILb0ES3_S5_N6thrust23THRUST_200600_302600_NS6detail15normal_iteratorINS8_7pointerIsNS8_11hip_rocprim5par_tENS8_11use_defaultESE_EEEENSA_INSB_IlSD_SE_SE_EEEEZNS1_13binary_searchIS3_S5_PsSG_SI_NS1_21upper_bound_search_opENS9_16wrapped_functionINS8_6system6detail7generic6detail18binary_search_lessEbEEEE10hipError_tPvRmT1_T2_T3_mmT4_T5_P12ihipStream_tbEUlRKsE_EEST_SX_SY_mSZ_S12_bEUlT_E_NS1_11comp_targetILNS1_3genE4ELNS1_11target_archE910ELNS1_3gpuE8ELNS1_3repE0EEENS1_30default_config_static_selectorELNS0_4arch9wavefront6targetE0EEEvSW_
; %bb.0:
	.section	.rodata,"a",@progbits
	.p2align	6, 0x0
	.amdhsa_kernel _ZN7rocprim17ROCPRIM_400000_NS6detail17trampoline_kernelINS0_14default_configENS1_27upper_bound_config_selectorIslEEZNS1_14transform_implILb0ES3_S5_N6thrust23THRUST_200600_302600_NS6detail15normal_iteratorINS8_7pointerIsNS8_11hip_rocprim5par_tENS8_11use_defaultESE_EEEENSA_INSB_IlSD_SE_SE_EEEEZNS1_13binary_searchIS3_S5_PsSG_SI_NS1_21upper_bound_search_opENS9_16wrapped_functionINS8_6system6detail7generic6detail18binary_search_lessEbEEEE10hipError_tPvRmT1_T2_T3_mmT4_T5_P12ihipStream_tbEUlRKsE_EEST_SX_SY_mSZ_S12_bEUlT_E_NS1_11comp_targetILNS1_3genE4ELNS1_11target_archE910ELNS1_3gpuE8ELNS1_3repE0EEENS1_30default_config_static_selectorELNS0_4arch9wavefront6targetE0EEEvSW_
		.amdhsa_group_segment_fixed_size 0
		.amdhsa_private_segment_fixed_size 0
		.amdhsa_kernarg_size 56
		.amdhsa_user_sgpr_count 6
		.amdhsa_user_sgpr_private_segment_buffer 1
		.amdhsa_user_sgpr_dispatch_ptr 0
		.amdhsa_user_sgpr_queue_ptr 0
		.amdhsa_user_sgpr_kernarg_segment_ptr 1
		.amdhsa_user_sgpr_dispatch_id 0
		.amdhsa_user_sgpr_flat_scratch_init 0
		.amdhsa_user_sgpr_private_segment_size 0
		.amdhsa_wavefront_size32 1
		.amdhsa_uses_dynamic_stack 0
		.amdhsa_system_sgpr_private_segment_wavefront_offset 0
		.amdhsa_system_sgpr_workgroup_id_x 1
		.amdhsa_system_sgpr_workgroup_id_y 0
		.amdhsa_system_sgpr_workgroup_id_z 0
		.amdhsa_system_sgpr_workgroup_info 0
		.amdhsa_system_vgpr_workitem_id 0
		.amdhsa_next_free_vgpr 1
		.amdhsa_next_free_sgpr 1
		.amdhsa_reserve_vcc 0
		.amdhsa_reserve_flat_scratch 0
		.amdhsa_float_round_mode_32 0
		.amdhsa_float_round_mode_16_64 0
		.amdhsa_float_denorm_mode_32 3
		.amdhsa_float_denorm_mode_16_64 3
		.amdhsa_dx10_clamp 1
		.amdhsa_ieee_mode 1
		.amdhsa_fp16_overflow 0
		.amdhsa_workgroup_processor_mode 1
		.amdhsa_memory_ordered 1
		.amdhsa_forward_progress 1
		.amdhsa_shared_vgpr_count 0
		.amdhsa_exception_fp_ieee_invalid_op 0
		.amdhsa_exception_fp_denorm_src 0
		.amdhsa_exception_fp_ieee_div_zero 0
		.amdhsa_exception_fp_ieee_overflow 0
		.amdhsa_exception_fp_ieee_underflow 0
		.amdhsa_exception_fp_ieee_inexact 0
		.amdhsa_exception_int_div_zero 0
	.end_amdhsa_kernel
	.section	.text._ZN7rocprim17ROCPRIM_400000_NS6detail17trampoline_kernelINS0_14default_configENS1_27upper_bound_config_selectorIslEEZNS1_14transform_implILb0ES3_S5_N6thrust23THRUST_200600_302600_NS6detail15normal_iteratorINS8_7pointerIsNS8_11hip_rocprim5par_tENS8_11use_defaultESE_EEEENSA_INSB_IlSD_SE_SE_EEEEZNS1_13binary_searchIS3_S5_PsSG_SI_NS1_21upper_bound_search_opENS9_16wrapped_functionINS8_6system6detail7generic6detail18binary_search_lessEbEEEE10hipError_tPvRmT1_T2_T3_mmT4_T5_P12ihipStream_tbEUlRKsE_EEST_SX_SY_mSZ_S12_bEUlT_E_NS1_11comp_targetILNS1_3genE4ELNS1_11target_archE910ELNS1_3gpuE8ELNS1_3repE0EEENS1_30default_config_static_selectorELNS0_4arch9wavefront6targetE0EEEvSW_,"axG",@progbits,_ZN7rocprim17ROCPRIM_400000_NS6detail17trampoline_kernelINS0_14default_configENS1_27upper_bound_config_selectorIslEEZNS1_14transform_implILb0ES3_S5_N6thrust23THRUST_200600_302600_NS6detail15normal_iteratorINS8_7pointerIsNS8_11hip_rocprim5par_tENS8_11use_defaultESE_EEEENSA_INSB_IlSD_SE_SE_EEEEZNS1_13binary_searchIS3_S5_PsSG_SI_NS1_21upper_bound_search_opENS9_16wrapped_functionINS8_6system6detail7generic6detail18binary_search_lessEbEEEE10hipError_tPvRmT1_T2_T3_mmT4_T5_P12ihipStream_tbEUlRKsE_EEST_SX_SY_mSZ_S12_bEUlT_E_NS1_11comp_targetILNS1_3genE4ELNS1_11target_archE910ELNS1_3gpuE8ELNS1_3repE0EEENS1_30default_config_static_selectorELNS0_4arch9wavefront6targetE0EEEvSW_,comdat
.Lfunc_end234:
	.size	_ZN7rocprim17ROCPRIM_400000_NS6detail17trampoline_kernelINS0_14default_configENS1_27upper_bound_config_selectorIslEEZNS1_14transform_implILb0ES3_S5_N6thrust23THRUST_200600_302600_NS6detail15normal_iteratorINS8_7pointerIsNS8_11hip_rocprim5par_tENS8_11use_defaultESE_EEEENSA_INSB_IlSD_SE_SE_EEEEZNS1_13binary_searchIS3_S5_PsSG_SI_NS1_21upper_bound_search_opENS9_16wrapped_functionINS8_6system6detail7generic6detail18binary_search_lessEbEEEE10hipError_tPvRmT1_T2_T3_mmT4_T5_P12ihipStream_tbEUlRKsE_EEST_SX_SY_mSZ_S12_bEUlT_E_NS1_11comp_targetILNS1_3genE4ELNS1_11target_archE910ELNS1_3gpuE8ELNS1_3repE0EEENS1_30default_config_static_selectorELNS0_4arch9wavefront6targetE0EEEvSW_, .Lfunc_end234-_ZN7rocprim17ROCPRIM_400000_NS6detail17trampoline_kernelINS0_14default_configENS1_27upper_bound_config_selectorIslEEZNS1_14transform_implILb0ES3_S5_N6thrust23THRUST_200600_302600_NS6detail15normal_iteratorINS8_7pointerIsNS8_11hip_rocprim5par_tENS8_11use_defaultESE_EEEENSA_INSB_IlSD_SE_SE_EEEEZNS1_13binary_searchIS3_S5_PsSG_SI_NS1_21upper_bound_search_opENS9_16wrapped_functionINS8_6system6detail7generic6detail18binary_search_lessEbEEEE10hipError_tPvRmT1_T2_T3_mmT4_T5_P12ihipStream_tbEUlRKsE_EEST_SX_SY_mSZ_S12_bEUlT_E_NS1_11comp_targetILNS1_3genE4ELNS1_11target_archE910ELNS1_3gpuE8ELNS1_3repE0EEENS1_30default_config_static_selectorELNS0_4arch9wavefront6targetE0EEEvSW_
                                        ; -- End function
	.set _ZN7rocprim17ROCPRIM_400000_NS6detail17trampoline_kernelINS0_14default_configENS1_27upper_bound_config_selectorIslEEZNS1_14transform_implILb0ES3_S5_N6thrust23THRUST_200600_302600_NS6detail15normal_iteratorINS8_7pointerIsNS8_11hip_rocprim5par_tENS8_11use_defaultESE_EEEENSA_INSB_IlSD_SE_SE_EEEEZNS1_13binary_searchIS3_S5_PsSG_SI_NS1_21upper_bound_search_opENS9_16wrapped_functionINS8_6system6detail7generic6detail18binary_search_lessEbEEEE10hipError_tPvRmT1_T2_T3_mmT4_T5_P12ihipStream_tbEUlRKsE_EEST_SX_SY_mSZ_S12_bEUlT_E_NS1_11comp_targetILNS1_3genE4ELNS1_11target_archE910ELNS1_3gpuE8ELNS1_3repE0EEENS1_30default_config_static_selectorELNS0_4arch9wavefront6targetE0EEEvSW_.num_vgpr, 0
	.set _ZN7rocprim17ROCPRIM_400000_NS6detail17trampoline_kernelINS0_14default_configENS1_27upper_bound_config_selectorIslEEZNS1_14transform_implILb0ES3_S5_N6thrust23THRUST_200600_302600_NS6detail15normal_iteratorINS8_7pointerIsNS8_11hip_rocprim5par_tENS8_11use_defaultESE_EEEENSA_INSB_IlSD_SE_SE_EEEEZNS1_13binary_searchIS3_S5_PsSG_SI_NS1_21upper_bound_search_opENS9_16wrapped_functionINS8_6system6detail7generic6detail18binary_search_lessEbEEEE10hipError_tPvRmT1_T2_T3_mmT4_T5_P12ihipStream_tbEUlRKsE_EEST_SX_SY_mSZ_S12_bEUlT_E_NS1_11comp_targetILNS1_3genE4ELNS1_11target_archE910ELNS1_3gpuE8ELNS1_3repE0EEENS1_30default_config_static_selectorELNS0_4arch9wavefront6targetE0EEEvSW_.num_agpr, 0
	.set _ZN7rocprim17ROCPRIM_400000_NS6detail17trampoline_kernelINS0_14default_configENS1_27upper_bound_config_selectorIslEEZNS1_14transform_implILb0ES3_S5_N6thrust23THRUST_200600_302600_NS6detail15normal_iteratorINS8_7pointerIsNS8_11hip_rocprim5par_tENS8_11use_defaultESE_EEEENSA_INSB_IlSD_SE_SE_EEEEZNS1_13binary_searchIS3_S5_PsSG_SI_NS1_21upper_bound_search_opENS9_16wrapped_functionINS8_6system6detail7generic6detail18binary_search_lessEbEEEE10hipError_tPvRmT1_T2_T3_mmT4_T5_P12ihipStream_tbEUlRKsE_EEST_SX_SY_mSZ_S12_bEUlT_E_NS1_11comp_targetILNS1_3genE4ELNS1_11target_archE910ELNS1_3gpuE8ELNS1_3repE0EEENS1_30default_config_static_selectorELNS0_4arch9wavefront6targetE0EEEvSW_.numbered_sgpr, 0
	.set _ZN7rocprim17ROCPRIM_400000_NS6detail17trampoline_kernelINS0_14default_configENS1_27upper_bound_config_selectorIslEEZNS1_14transform_implILb0ES3_S5_N6thrust23THRUST_200600_302600_NS6detail15normal_iteratorINS8_7pointerIsNS8_11hip_rocprim5par_tENS8_11use_defaultESE_EEEENSA_INSB_IlSD_SE_SE_EEEEZNS1_13binary_searchIS3_S5_PsSG_SI_NS1_21upper_bound_search_opENS9_16wrapped_functionINS8_6system6detail7generic6detail18binary_search_lessEbEEEE10hipError_tPvRmT1_T2_T3_mmT4_T5_P12ihipStream_tbEUlRKsE_EEST_SX_SY_mSZ_S12_bEUlT_E_NS1_11comp_targetILNS1_3genE4ELNS1_11target_archE910ELNS1_3gpuE8ELNS1_3repE0EEENS1_30default_config_static_selectorELNS0_4arch9wavefront6targetE0EEEvSW_.num_named_barrier, 0
	.set _ZN7rocprim17ROCPRIM_400000_NS6detail17trampoline_kernelINS0_14default_configENS1_27upper_bound_config_selectorIslEEZNS1_14transform_implILb0ES3_S5_N6thrust23THRUST_200600_302600_NS6detail15normal_iteratorINS8_7pointerIsNS8_11hip_rocprim5par_tENS8_11use_defaultESE_EEEENSA_INSB_IlSD_SE_SE_EEEEZNS1_13binary_searchIS3_S5_PsSG_SI_NS1_21upper_bound_search_opENS9_16wrapped_functionINS8_6system6detail7generic6detail18binary_search_lessEbEEEE10hipError_tPvRmT1_T2_T3_mmT4_T5_P12ihipStream_tbEUlRKsE_EEST_SX_SY_mSZ_S12_bEUlT_E_NS1_11comp_targetILNS1_3genE4ELNS1_11target_archE910ELNS1_3gpuE8ELNS1_3repE0EEENS1_30default_config_static_selectorELNS0_4arch9wavefront6targetE0EEEvSW_.private_seg_size, 0
	.set _ZN7rocprim17ROCPRIM_400000_NS6detail17trampoline_kernelINS0_14default_configENS1_27upper_bound_config_selectorIslEEZNS1_14transform_implILb0ES3_S5_N6thrust23THRUST_200600_302600_NS6detail15normal_iteratorINS8_7pointerIsNS8_11hip_rocprim5par_tENS8_11use_defaultESE_EEEENSA_INSB_IlSD_SE_SE_EEEEZNS1_13binary_searchIS3_S5_PsSG_SI_NS1_21upper_bound_search_opENS9_16wrapped_functionINS8_6system6detail7generic6detail18binary_search_lessEbEEEE10hipError_tPvRmT1_T2_T3_mmT4_T5_P12ihipStream_tbEUlRKsE_EEST_SX_SY_mSZ_S12_bEUlT_E_NS1_11comp_targetILNS1_3genE4ELNS1_11target_archE910ELNS1_3gpuE8ELNS1_3repE0EEENS1_30default_config_static_selectorELNS0_4arch9wavefront6targetE0EEEvSW_.uses_vcc, 0
	.set _ZN7rocprim17ROCPRIM_400000_NS6detail17trampoline_kernelINS0_14default_configENS1_27upper_bound_config_selectorIslEEZNS1_14transform_implILb0ES3_S5_N6thrust23THRUST_200600_302600_NS6detail15normal_iteratorINS8_7pointerIsNS8_11hip_rocprim5par_tENS8_11use_defaultESE_EEEENSA_INSB_IlSD_SE_SE_EEEEZNS1_13binary_searchIS3_S5_PsSG_SI_NS1_21upper_bound_search_opENS9_16wrapped_functionINS8_6system6detail7generic6detail18binary_search_lessEbEEEE10hipError_tPvRmT1_T2_T3_mmT4_T5_P12ihipStream_tbEUlRKsE_EEST_SX_SY_mSZ_S12_bEUlT_E_NS1_11comp_targetILNS1_3genE4ELNS1_11target_archE910ELNS1_3gpuE8ELNS1_3repE0EEENS1_30default_config_static_selectorELNS0_4arch9wavefront6targetE0EEEvSW_.uses_flat_scratch, 0
	.set _ZN7rocprim17ROCPRIM_400000_NS6detail17trampoline_kernelINS0_14default_configENS1_27upper_bound_config_selectorIslEEZNS1_14transform_implILb0ES3_S5_N6thrust23THRUST_200600_302600_NS6detail15normal_iteratorINS8_7pointerIsNS8_11hip_rocprim5par_tENS8_11use_defaultESE_EEEENSA_INSB_IlSD_SE_SE_EEEEZNS1_13binary_searchIS3_S5_PsSG_SI_NS1_21upper_bound_search_opENS9_16wrapped_functionINS8_6system6detail7generic6detail18binary_search_lessEbEEEE10hipError_tPvRmT1_T2_T3_mmT4_T5_P12ihipStream_tbEUlRKsE_EEST_SX_SY_mSZ_S12_bEUlT_E_NS1_11comp_targetILNS1_3genE4ELNS1_11target_archE910ELNS1_3gpuE8ELNS1_3repE0EEENS1_30default_config_static_selectorELNS0_4arch9wavefront6targetE0EEEvSW_.has_dyn_sized_stack, 0
	.set _ZN7rocprim17ROCPRIM_400000_NS6detail17trampoline_kernelINS0_14default_configENS1_27upper_bound_config_selectorIslEEZNS1_14transform_implILb0ES3_S5_N6thrust23THRUST_200600_302600_NS6detail15normal_iteratorINS8_7pointerIsNS8_11hip_rocprim5par_tENS8_11use_defaultESE_EEEENSA_INSB_IlSD_SE_SE_EEEEZNS1_13binary_searchIS3_S5_PsSG_SI_NS1_21upper_bound_search_opENS9_16wrapped_functionINS8_6system6detail7generic6detail18binary_search_lessEbEEEE10hipError_tPvRmT1_T2_T3_mmT4_T5_P12ihipStream_tbEUlRKsE_EEST_SX_SY_mSZ_S12_bEUlT_E_NS1_11comp_targetILNS1_3genE4ELNS1_11target_archE910ELNS1_3gpuE8ELNS1_3repE0EEENS1_30default_config_static_selectorELNS0_4arch9wavefront6targetE0EEEvSW_.has_recursion, 0
	.set _ZN7rocprim17ROCPRIM_400000_NS6detail17trampoline_kernelINS0_14default_configENS1_27upper_bound_config_selectorIslEEZNS1_14transform_implILb0ES3_S5_N6thrust23THRUST_200600_302600_NS6detail15normal_iteratorINS8_7pointerIsNS8_11hip_rocprim5par_tENS8_11use_defaultESE_EEEENSA_INSB_IlSD_SE_SE_EEEEZNS1_13binary_searchIS3_S5_PsSG_SI_NS1_21upper_bound_search_opENS9_16wrapped_functionINS8_6system6detail7generic6detail18binary_search_lessEbEEEE10hipError_tPvRmT1_T2_T3_mmT4_T5_P12ihipStream_tbEUlRKsE_EEST_SX_SY_mSZ_S12_bEUlT_E_NS1_11comp_targetILNS1_3genE4ELNS1_11target_archE910ELNS1_3gpuE8ELNS1_3repE0EEENS1_30default_config_static_selectorELNS0_4arch9wavefront6targetE0EEEvSW_.has_indirect_call, 0
	.section	.AMDGPU.csdata,"",@progbits
; Kernel info:
; codeLenInByte = 0
; TotalNumSgprs: 0
; NumVgprs: 0
; ScratchSize: 0
; MemoryBound: 0
; FloatMode: 240
; IeeeMode: 1
; LDSByteSize: 0 bytes/workgroup (compile time only)
; SGPRBlocks: 0
; VGPRBlocks: 0
; NumSGPRsForWavesPerEU: 1
; NumVGPRsForWavesPerEU: 1
; Occupancy: 16
; WaveLimiterHint : 0
; COMPUTE_PGM_RSRC2:SCRATCH_EN: 0
; COMPUTE_PGM_RSRC2:USER_SGPR: 6
; COMPUTE_PGM_RSRC2:TRAP_HANDLER: 0
; COMPUTE_PGM_RSRC2:TGID_X_EN: 1
; COMPUTE_PGM_RSRC2:TGID_Y_EN: 0
; COMPUTE_PGM_RSRC2:TGID_Z_EN: 0
; COMPUTE_PGM_RSRC2:TIDIG_COMP_CNT: 0
	.section	.text._ZN7rocprim17ROCPRIM_400000_NS6detail17trampoline_kernelINS0_14default_configENS1_27upper_bound_config_selectorIslEEZNS1_14transform_implILb0ES3_S5_N6thrust23THRUST_200600_302600_NS6detail15normal_iteratorINS8_7pointerIsNS8_11hip_rocprim5par_tENS8_11use_defaultESE_EEEENSA_INSB_IlSD_SE_SE_EEEEZNS1_13binary_searchIS3_S5_PsSG_SI_NS1_21upper_bound_search_opENS9_16wrapped_functionINS8_6system6detail7generic6detail18binary_search_lessEbEEEE10hipError_tPvRmT1_T2_T3_mmT4_T5_P12ihipStream_tbEUlRKsE_EEST_SX_SY_mSZ_S12_bEUlT_E_NS1_11comp_targetILNS1_3genE3ELNS1_11target_archE908ELNS1_3gpuE7ELNS1_3repE0EEENS1_30default_config_static_selectorELNS0_4arch9wavefront6targetE0EEEvSW_,"axG",@progbits,_ZN7rocprim17ROCPRIM_400000_NS6detail17trampoline_kernelINS0_14default_configENS1_27upper_bound_config_selectorIslEEZNS1_14transform_implILb0ES3_S5_N6thrust23THRUST_200600_302600_NS6detail15normal_iteratorINS8_7pointerIsNS8_11hip_rocprim5par_tENS8_11use_defaultESE_EEEENSA_INSB_IlSD_SE_SE_EEEEZNS1_13binary_searchIS3_S5_PsSG_SI_NS1_21upper_bound_search_opENS9_16wrapped_functionINS8_6system6detail7generic6detail18binary_search_lessEbEEEE10hipError_tPvRmT1_T2_T3_mmT4_T5_P12ihipStream_tbEUlRKsE_EEST_SX_SY_mSZ_S12_bEUlT_E_NS1_11comp_targetILNS1_3genE3ELNS1_11target_archE908ELNS1_3gpuE7ELNS1_3repE0EEENS1_30default_config_static_selectorELNS0_4arch9wavefront6targetE0EEEvSW_,comdat
	.protected	_ZN7rocprim17ROCPRIM_400000_NS6detail17trampoline_kernelINS0_14default_configENS1_27upper_bound_config_selectorIslEEZNS1_14transform_implILb0ES3_S5_N6thrust23THRUST_200600_302600_NS6detail15normal_iteratorINS8_7pointerIsNS8_11hip_rocprim5par_tENS8_11use_defaultESE_EEEENSA_INSB_IlSD_SE_SE_EEEEZNS1_13binary_searchIS3_S5_PsSG_SI_NS1_21upper_bound_search_opENS9_16wrapped_functionINS8_6system6detail7generic6detail18binary_search_lessEbEEEE10hipError_tPvRmT1_T2_T3_mmT4_T5_P12ihipStream_tbEUlRKsE_EEST_SX_SY_mSZ_S12_bEUlT_E_NS1_11comp_targetILNS1_3genE3ELNS1_11target_archE908ELNS1_3gpuE7ELNS1_3repE0EEENS1_30default_config_static_selectorELNS0_4arch9wavefront6targetE0EEEvSW_ ; -- Begin function _ZN7rocprim17ROCPRIM_400000_NS6detail17trampoline_kernelINS0_14default_configENS1_27upper_bound_config_selectorIslEEZNS1_14transform_implILb0ES3_S5_N6thrust23THRUST_200600_302600_NS6detail15normal_iteratorINS8_7pointerIsNS8_11hip_rocprim5par_tENS8_11use_defaultESE_EEEENSA_INSB_IlSD_SE_SE_EEEEZNS1_13binary_searchIS3_S5_PsSG_SI_NS1_21upper_bound_search_opENS9_16wrapped_functionINS8_6system6detail7generic6detail18binary_search_lessEbEEEE10hipError_tPvRmT1_T2_T3_mmT4_T5_P12ihipStream_tbEUlRKsE_EEST_SX_SY_mSZ_S12_bEUlT_E_NS1_11comp_targetILNS1_3genE3ELNS1_11target_archE908ELNS1_3gpuE7ELNS1_3repE0EEENS1_30default_config_static_selectorELNS0_4arch9wavefront6targetE0EEEvSW_
	.globl	_ZN7rocprim17ROCPRIM_400000_NS6detail17trampoline_kernelINS0_14default_configENS1_27upper_bound_config_selectorIslEEZNS1_14transform_implILb0ES3_S5_N6thrust23THRUST_200600_302600_NS6detail15normal_iteratorINS8_7pointerIsNS8_11hip_rocprim5par_tENS8_11use_defaultESE_EEEENSA_INSB_IlSD_SE_SE_EEEEZNS1_13binary_searchIS3_S5_PsSG_SI_NS1_21upper_bound_search_opENS9_16wrapped_functionINS8_6system6detail7generic6detail18binary_search_lessEbEEEE10hipError_tPvRmT1_T2_T3_mmT4_T5_P12ihipStream_tbEUlRKsE_EEST_SX_SY_mSZ_S12_bEUlT_E_NS1_11comp_targetILNS1_3genE3ELNS1_11target_archE908ELNS1_3gpuE7ELNS1_3repE0EEENS1_30default_config_static_selectorELNS0_4arch9wavefront6targetE0EEEvSW_
	.p2align	8
	.type	_ZN7rocprim17ROCPRIM_400000_NS6detail17trampoline_kernelINS0_14default_configENS1_27upper_bound_config_selectorIslEEZNS1_14transform_implILb0ES3_S5_N6thrust23THRUST_200600_302600_NS6detail15normal_iteratorINS8_7pointerIsNS8_11hip_rocprim5par_tENS8_11use_defaultESE_EEEENSA_INSB_IlSD_SE_SE_EEEEZNS1_13binary_searchIS3_S5_PsSG_SI_NS1_21upper_bound_search_opENS9_16wrapped_functionINS8_6system6detail7generic6detail18binary_search_lessEbEEEE10hipError_tPvRmT1_T2_T3_mmT4_T5_P12ihipStream_tbEUlRKsE_EEST_SX_SY_mSZ_S12_bEUlT_E_NS1_11comp_targetILNS1_3genE3ELNS1_11target_archE908ELNS1_3gpuE7ELNS1_3repE0EEENS1_30default_config_static_selectorELNS0_4arch9wavefront6targetE0EEEvSW_,@function
_ZN7rocprim17ROCPRIM_400000_NS6detail17trampoline_kernelINS0_14default_configENS1_27upper_bound_config_selectorIslEEZNS1_14transform_implILb0ES3_S5_N6thrust23THRUST_200600_302600_NS6detail15normal_iteratorINS8_7pointerIsNS8_11hip_rocprim5par_tENS8_11use_defaultESE_EEEENSA_INSB_IlSD_SE_SE_EEEEZNS1_13binary_searchIS3_S5_PsSG_SI_NS1_21upper_bound_search_opENS9_16wrapped_functionINS8_6system6detail7generic6detail18binary_search_lessEbEEEE10hipError_tPvRmT1_T2_T3_mmT4_T5_P12ihipStream_tbEUlRKsE_EEST_SX_SY_mSZ_S12_bEUlT_E_NS1_11comp_targetILNS1_3genE3ELNS1_11target_archE908ELNS1_3gpuE7ELNS1_3repE0EEENS1_30default_config_static_selectorELNS0_4arch9wavefront6targetE0EEEvSW_: ; @_ZN7rocprim17ROCPRIM_400000_NS6detail17trampoline_kernelINS0_14default_configENS1_27upper_bound_config_selectorIslEEZNS1_14transform_implILb0ES3_S5_N6thrust23THRUST_200600_302600_NS6detail15normal_iteratorINS8_7pointerIsNS8_11hip_rocprim5par_tENS8_11use_defaultESE_EEEENSA_INSB_IlSD_SE_SE_EEEEZNS1_13binary_searchIS3_S5_PsSG_SI_NS1_21upper_bound_search_opENS9_16wrapped_functionINS8_6system6detail7generic6detail18binary_search_lessEbEEEE10hipError_tPvRmT1_T2_T3_mmT4_T5_P12ihipStream_tbEUlRKsE_EEST_SX_SY_mSZ_S12_bEUlT_E_NS1_11comp_targetILNS1_3genE3ELNS1_11target_archE908ELNS1_3gpuE7ELNS1_3repE0EEENS1_30default_config_static_selectorELNS0_4arch9wavefront6targetE0EEEvSW_
; %bb.0:
	.section	.rodata,"a",@progbits
	.p2align	6, 0x0
	.amdhsa_kernel _ZN7rocprim17ROCPRIM_400000_NS6detail17trampoline_kernelINS0_14default_configENS1_27upper_bound_config_selectorIslEEZNS1_14transform_implILb0ES3_S5_N6thrust23THRUST_200600_302600_NS6detail15normal_iteratorINS8_7pointerIsNS8_11hip_rocprim5par_tENS8_11use_defaultESE_EEEENSA_INSB_IlSD_SE_SE_EEEEZNS1_13binary_searchIS3_S5_PsSG_SI_NS1_21upper_bound_search_opENS9_16wrapped_functionINS8_6system6detail7generic6detail18binary_search_lessEbEEEE10hipError_tPvRmT1_T2_T3_mmT4_T5_P12ihipStream_tbEUlRKsE_EEST_SX_SY_mSZ_S12_bEUlT_E_NS1_11comp_targetILNS1_3genE3ELNS1_11target_archE908ELNS1_3gpuE7ELNS1_3repE0EEENS1_30default_config_static_selectorELNS0_4arch9wavefront6targetE0EEEvSW_
		.amdhsa_group_segment_fixed_size 0
		.amdhsa_private_segment_fixed_size 0
		.amdhsa_kernarg_size 56
		.amdhsa_user_sgpr_count 6
		.amdhsa_user_sgpr_private_segment_buffer 1
		.amdhsa_user_sgpr_dispatch_ptr 0
		.amdhsa_user_sgpr_queue_ptr 0
		.amdhsa_user_sgpr_kernarg_segment_ptr 1
		.amdhsa_user_sgpr_dispatch_id 0
		.amdhsa_user_sgpr_flat_scratch_init 0
		.amdhsa_user_sgpr_private_segment_size 0
		.amdhsa_wavefront_size32 1
		.amdhsa_uses_dynamic_stack 0
		.amdhsa_system_sgpr_private_segment_wavefront_offset 0
		.amdhsa_system_sgpr_workgroup_id_x 1
		.amdhsa_system_sgpr_workgroup_id_y 0
		.amdhsa_system_sgpr_workgroup_id_z 0
		.amdhsa_system_sgpr_workgroup_info 0
		.amdhsa_system_vgpr_workitem_id 0
		.amdhsa_next_free_vgpr 1
		.amdhsa_next_free_sgpr 1
		.amdhsa_reserve_vcc 0
		.amdhsa_reserve_flat_scratch 0
		.amdhsa_float_round_mode_32 0
		.amdhsa_float_round_mode_16_64 0
		.amdhsa_float_denorm_mode_32 3
		.amdhsa_float_denorm_mode_16_64 3
		.amdhsa_dx10_clamp 1
		.amdhsa_ieee_mode 1
		.amdhsa_fp16_overflow 0
		.amdhsa_workgroup_processor_mode 1
		.amdhsa_memory_ordered 1
		.amdhsa_forward_progress 1
		.amdhsa_shared_vgpr_count 0
		.amdhsa_exception_fp_ieee_invalid_op 0
		.amdhsa_exception_fp_denorm_src 0
		.amdhsa_exception_fp_ieee_div_zero 0
		.amdhsa_exception_fp_ieee_overflow 0
		.amdhsa_exception_fp_ieee_underflow 0
		.amdhsa_exception_fp_ieee_inexact 0
		.amdhsa_exception_int_div_zero 0
	.end_amdhsa_kernel
	.section	.text._ZN7rocprim17ROCPRIM_400000_NS6detail17trampoline_kernelINS0_14default_configENS1_27upper_bound_config_selectorIslEEZNS1_14transform_implILb0ES3_S5_N6thrust23THRUST_200600_302600_NS6detail15normal_iteratorINS8_7pointerIsNS8_11hip_rocprim5par_tENS8_11use_defaultESE_EEEENSA_INSB_IlSD_SE_SE_EEEEZNS1_13binary_searchIS3_S5_PsSG_SI_NS1_21upper_bound_search_opENS9_16wrapped_functionINS8_6system6detail7generic6detail18binary_search_lessEbEEEE10hipError_tPvRmT1_T2_T3_mmT4_T5_P12ihipStream_tbEUlRKsE_EEST_SX_SY_mSZ_S12_bEUlT_E_NS1_11comp_targetILNS1_3genE3ELNS1_11target_archE908ELNS1_3gpuE7ELNS1_3repE0EEENS1_30default_config_static_selectorELNS0_4arch9wavefront6targetE0EEEvSW_,"axG",@progbits,_ZN7rocprim17ROCPRIM_400000_NS6detail17trampoline_kernelINS0_14default_configENS1_27upper_bound_config_selectorIslEEZNS1_14transform_implILb0ES3_S5_N6thrust23THRUST_200600_302600_NS6detail15normal_iteratorINS8_7pointerIsNS8_11hip_rocprim5par_tENS8_11use_defaultESE_EEEENSA_INSB_IlSD_SE_SE_EEEEZNS1_13binary_searchIS3_S5_PsSG_SI_NS1_21upper_bound_search_opENS9_16wrapped_functionINS8_6system6detail7generic6detail18binary_search_lessEbEEEE10hipError_tPvRmT1_T2_T3_mmT4_T5_P12ihipStream_tbEUlRKsE_EEST_SX_SY_mSZ_S12_bEUlT_E_NS1_11comp_targetILNS1_3genE3ELNS1_11target_archE908ELNS1_3gpuE7ELNS1_3repE0EEENS1_30default_config_static_selectorELNS0_4arch9wavefront6targetE0EEEvSW_,comdat
.Lfunc_end235:
	.size	_ZN7rocprim17ROCPRIM_400000_NS6detail17trampoline_kernelINS0_14default_configENS1_27upper_bound_config_selectorIslEEZNS1_14transform_implILb0ES3_S5_N6thrust23THRUST_200600_302600_NS6detail15normal_iteratorINS8_7pointerIsNS8_11hip_rocprim5par_tENS8_11use_defaultESE_EEEENSA_INSB_IlSD_SE_SE_EEEEZNS1_13binary_searchIS3_S5_PsSG_SI_NS1_21upper_bound_search_opENS9_16wrapped_functionINS8_6system6detail7generic6detail18binary_search_lessEbEEEE10hipError_tPvRmT1_T2_T3_mmT4_T5_P12ihipStream_tbEUlRKsE_EEST_SX_SY_mSZ_S12_bEUlT_E_NS1_11comp_targetILNS1_3genE3ELNS1_11target_archE908ELNS1_3gpuE7ELNS1_3repE0EEENS1_30default_config_static_selectorELNS0_4arch9wavefront6targetE0EEEvSW_, .Lfunc_end235-_ZN7rocprim17ROCPRIM_400000_NS6detail17trampoline_kernelINS0_14default_configENS1_27upper_bound_config_selectorIslEEZNS1_14transform_implILb0ES3_S5_N6thrust23THRUST_200600_302600_NS6detail15normal_iteratorINS8_7pointerIsNS8_11hip_rocprim5par_tENS8_11use_defaultESE_EEEENSA_INSB_IlSD_SE_SE_EEEEZNS1_13binary_searchIS3_S5_PsSG_SI_NS1_21upper_bound_search_opENS9_16wrapped_functionINS8_6system6detail7generic6detail18binary_search_lessEbEEEE10hipError_tPvRmT1_T2_T3_mmT4_T5_P12ihipStream_tbEUlRKsE_EEST_SX_SY_mSZ_S12_bEUlT_E_NS1_11comp_targetILNS1_3genE3ELNS1_11target_archE908ELNS1_3gpuE7ELNS1_3repE0EEENS1_30default_config_static_selectorELNS0_4arch9wavefront6targetE0EEEvSW_
                                        ; -- End function
	.set _ZN7rocprim17ROCPRIM_400000_NS6detail17trampoline_kernelINS0_14default_configENS1_27upper_bound_config_selectorIslEEZNS1_14transform_implILb0ES3_S5_N6thrust23THRUST_200600_302600_NS6detail15normal_iteratorINS8_7pointerIsNS8_11hip_rocprim5par_tENS8_11use_defaultESE_EEEENSA_INSB_IlSD_SE_SE_EEEEZNS1_13binary_searchIS3_S5_PsSG_SI_NS1_21upper_bound_search_opENS9_16wrapped_functionINS8_6system6detail7generic6detail18binary_search_lessEbEEEE10hipError_tPvRmT1_T2_T3_mmT4_T5_P12ihipStream_tbEUlRKsE_EEST_SX_SY_mSZ_S12_bEUlT_E_NS1_11comp_targetILNS1_3genE3ELNS1_11target_archE908ELNS1_3gpuE7ELNS1_3repE0EEENS1_30default_config_static_selectorELNS0_4arch9wavefront6targetE0EEEvSW_.num_vgpr, 0
	.set _ZN7rocprim17ROCPRIM_400000_NS6detail17trampoline_kernelINS0_14default_configENS1_27upper_bound_config_selectorIslEEZNS1_14transform_implILb0ES3_S5_N6thrust23THRUST_200600_302600_NS6detail15normal_iteratorINS8_7pointerIsNS8_11hip_rocprim5par_tENS8_11use_defaultESE_EEEENSA_INSB_IlSD_SE_SE_EEEEZNS1_13binary_searchIS3_S5_PsSG_SI_NS1_21upper_bound_search_opENS9_16wrapped_functionINS8_6system6detail7generic6detail18binary_search_lessEbEEEE10hipError_tPvRmT1_T2_T3_mmT4_T5_P12ihipStream_tbEUlRKsE_EEST_SX_SY_mSZ_S12_bEUlT_E_NS1_11comp_targetILNS1_3genE3ELNS1_11target_archE908ELNS1_3gpuE7ELNS1_3repE0EEENS1_30default_config_static_selectorELNS0_4arch9wavefront6targetE0EEEvSW_.num_agpr, 0
	.set _ZN7rocprim17ROCPRIM_400000_NS6detail17trampoline_kernelINS0_14default_configENS1_27upper_bound_config_selectorIslEEZNS1_14transform_implILb0ES3_S5_N6thrust23THRUST_200600_302600_NS6detail15normal_iteratorINS8_7pointerIsNS8_11hip_rocprim5par_tENS8_11use_defaultESE_EEEENSA_INSB_IlSD_SE_SE_EEEEZNS1_13binary_searchIS3_S5_PsSG_SI_NS1_21upper_bound_search_opENS9_16wrapped_functionINS8_6system6detail7generic6detail18binary_search_lessEbEEEE10hipError_tPvRmT1_T2_T3_mmT4_T5_P12ihipStream_tbEUlRKsE_EEST_SX_SY_mSZ_S12_bEUlT_E_NS1_11comp_targetILNS1_3genE3ELNS1_11target_archE908ELNS1_3gpuE7ELNS1_3repE0EEENS1_30default_config_static_selectorELNS0_4arch9wavefront6targetE0EEEvSW_.numbered_sgpr, 0
	.set _ZN7rocprim17ROCPRIM_400000_NS6detail17trampoline_kernelINS0_14default_configENS1_27upper_bound_config_selectorIslEEZNS1_14transform_implILb0ES3_S5_N6thrust23THRUST_200600_302600_NS6detail15normal_iteratorINS8_7pointerIsNS8_11hip_rocprim5par_tENS8_11use_defaultESE_EEEENSA_INSB_IlSD_SE_SE_EEEEZNS1_13binary_searchIS3_S5_PsSG_SI_NS1_21upper_bound_search_opENS9_16wrapped_functionINS8_6system6detail7generic6detail18binary_search_lessEbEEEE10hipError_tPvRmT1_T2_T3_mmT4_T5_P12ihipStream_tbEUlRKsE_EEST_SX_SY_mSZ_S12_bEUlT_E_NS1_11comp_targetILNS1_3genE3ELNS1_11target_archE908ELNS1_3gpuE7ELNS1_3repE0EEENS1_30default_config_static_selectorELNS0_4arch9wavefront6targetE0EEEvSW_.num_named_barrier, 0
	.set _ZN7rocprim17ROCPRIM_400000_NS6detail17trampoline_kernelINS0_14default_configENS1_27upper_bound_config_selectorIslEEZNS1_14transform_implILb0ES3_S5_N6thrust23THRUST_200600_302600_NS6detail15normal_iteratorINS8_7pointerIsNS8_11hip_rocprim5par_tENS8_11use_defaultESE_EEEENSA_INSB_IlSD_SE_SE_EEEEZNS1_13binary_searchIS3_S5_PsSG_SI_NS1_21upper_bound_search_opENS9_16wrapped_functionINS8_6system6detail7generic6detail18binary_search_lessEbEEEE10hipError_tPvRmT1_T2_T3_mmT4_T5_P12ihipStream_tbEUlRKsE_EEST_SX_SY_mSZ_S12_bEUlT_E_NS1_11comp_targetILNS1_3genE3ELNS1_11target_archE908ELNS1_3gpuE7ELNS1_3repE0EEENS1_30default_config_static_selectorELNS0_4arch9wavefront6targetE0EEEvSW_.private_seg_size, 0
	.set _ZN7rocprim17ROCPRIM_400000_NS6detail17trampoline_kernelINS0_14default_configENS1_27upper_bound_config_selectorIslEEZNS1_14transform_implILb0ES3_S5_N6thrust23THRUST_200600_302600_NS6detail15normal_iteratorINS8_7pointerIsNS8_11hip_rocprim5par_tENS8_11use_defaultESE_EEEENSA_INSB_IlSD_SE_SE_EEEEZNS1_13binary_searchIS3_S5_PsSG_SI_NS1_21upper_bound_search_opENS9_16wrapped_functionINS8_6system6detail7generic6detail18binary_search_lessEbEEEE10hipError_tPvRmT1_T2_T3_mmT4_T5_P12ihipStream_tbEUlRKsE_EEST_SX_SY_mSZ_S12_bEUlT_E_NS1_11comp_targetILNS1_3genE3ELNS1_11target_archE908ELNS1_3gpuE7ELNS1_3repE0EEENS1_30default_config_static_selectorELNS0_4arch9wavefront6targetE0EEEvSW_.uses_vcc, 0
	.set _ZN7rocprim17ROCPRIM_400000_NS6detail17trampoline_kernelINS0_14default_configENS1_27upper_bound_config_selectorIslEEZNS1_14transform_implILb0ES3_S5_N6thrust23THRUST_200600_302600_NS6detail15normal_iteratorINS8_7pointerIsNS8_11hip_rocprim5par_tENS8_11use_defaultESE_EEEENSA_INSB_IlSD_SE_SE_EEEEZNS1_13binary_searchIS3_S5_PsSG_SI_NS1_21upper_bound_search_opENS9_16wrapped_functionINS8_6system6detail7generic6detail18binary_search_lessEbEEEE10hipError_tPvRmT1_T2_T3_mmT4_T5_P12ihipStream_tbEUlRKsE_EEST_SX_SY_mSZ_S12_bEUlT_E_NS1_11comp_targetILNS1_3genE3ELNS1_11target_archE908ELNS1_3gpuE7ELNS1_3repE0EEENS1_30default_config_static_selectorELNS0_4arch9wavefront6targetE0EEEvSW_.uses_flat_scratch, 0
	.set _ZN7rocprim17ROCPRIM_400000_NS6detail17trampoline_kernelINS0_14default_configENS1_27upper_bound_config_selectorIslEEZNS1_14transform_implILb0ES3_S5_N6thrust23THRUST_200600_302600_NS6detail15normal_iteratorINS8_7pointerIsNS8_11hip_rocprim5par_tENS8_11use_defaultESE_EEEENSA_INSB_IlSD_SE_SE_EEEEZNS1_13binary_searchIS3_S5_PsSG_SI_NS1_21upper_bound_search_opENS9_16wrapped_functionINS8_6system6detail7generic6detail18binary_search_lessEbEEEE10hipError_tPvRmT1_T2_T3_mmT4_T5_P12ihipStream_tbEUlRKsE_EEST_SX_SY_mSZ_S12_bEUlT_E_NS1_11comp_targetILNS1_3genE3ELNS1_11target_archE908ELNS1_3gpuE7ELNS1_3repE0EEENS1_30default_config_static_selectorELNS0_4arch9wavefront6targetE0EEEvSW_.has_dyn_sized_stack, 0
	.set _ZN7rocprim17ROCPRIM_400000_NS6detail17trampoline_kernelINS0_14default_configENS1_27upper_bound_config_selectorIslEEZNS1_14transform_implILb0ES3_S5_N6thrust23THRUST_200600_302600_NS6detail15normal_iteratorINS8_7pointerIsNS8_11hip_rocprim5par_tENS8_11use_defaultESE_EEEENSA_INSB_IlSD_SE_SE_EEEEZNS1_13binary_searchIS3_S5_PsSG_SI_NS1_21upper_bound_search_opENS9_16wrapped_functionINS8_6system6detail7generic6detail18binary_search_lessEbEEEE10hipError_tPvRmT1_T2_T3_mmT4_T5_P12ihipStream_tbEUlRKsE_EEST_SX_SY_mSZ_S12_bEUlT_E_NS1_11comp_targetILNS1_3genE3ELNS1_11target_archE908ELNS1_3gpuE7ELNS1_3repE0EEENS1_30default_config_static_selectorELNS0_4arch9wavefront6targetE0EEEvSW_.has_recursion, 0
	.set _ZN7rocprim17ROCPRIM_400000_NS6detail17trampoline_kernelINS0_14default_configENS1_27upper_bound_config_selectorIslEEZNS1_14transform_implILb0ES3_S5_N6thrust23THRUST_200600_302600_NS6detail15normal_iteratorINS8_7pointerIsNS8_11hip_rocprim5par_tENS8_11use_defaultESE_EEEENSA_INSB_IlSD_SE_SE_EEEEZNS1_13binary_searchIS3_S5_PsSG_SI_NS1_21upper_bound_search_opENS9_16wrapped_functionINS8_6system6detail7generic6detail18binary_search_lessEbEEEE10hipError_tPvRmT1_T2_T3_mmT4_T5_P12ihipStream_tbEUlRKsE_EEST_SX_SY_mSZ_S12_bEUlT_E_NS1_11comp_targetILNS1_3genE3ELNS1_11target_archE908ELNS1_3gpuE7ELNS1_3repE0EEENS1_30default_config_static_selectorELNS0_4arch9wavefront6targetE0EEEvSW_.has_indirect_call, 0
	.section	.AMDGPU.csdata,"",@progbits
; Kernel info:
; codeLenInByte = 0
; TotalNumSgprs: 0
; NumVgprs: 0
; ScratchSize: 0
; MemoryBound: 0
; FloatMode: 240
; IeeeMode: 1
; LDSByteSize: 0 bytes/workgroup (compile time only)
; SGPRBlocks: 0
; VGPRBlocks: 0
; NumSGPRsForWavesPerEU: 1
; NumVGPRsForWavesPerEU: 1
; Occupancy: 16
; WaveLimiterHint : 0
; COMPUTE_PGM_RSRC2:SCRATCH_EN: 0
; COMPUTE_PGM_RSRC2:USER_SGPR: 6
; COMPUTE_PGM_RSRC2:TRAP_HANDLER: 0
; COMPUTE_PGM_RSRC2:TGID_X_EN: 1
; COMPUTE_PGM_RSRC2:TGID_Y_EN: 0
; COMPUTE_PGM_RSRC2:TGID_Z_EN: 0
; COMPUTE_PGM_RSRC2:TIDIG_COMP_CNT: 0
	.section	.text._ZN7rocprim17ROCPRIM_400000_NS6detail17trampoline_kernelINS0_14default_configENS1_27upper_bound_config_selectorIslEEZNS1_14transform_implILb0ES3_S5_N6thrust23THRUST_200600_302600_NS6detail15normal_iteratorINS8_7pointerIsNS8_11hip_rocprim5par_tENS8_11use_defaultESE_EEEENSA_INSB_IlSD_SE_SE_EEEEZNS1_13binary_searchIS3_S5_PsSG_SI_NS1_21upper_bound_search_opENS9_16wrapped_functionINS8_6system6detail7generic6detail18binary_search_lessEbEEEE10hipError_tPvRmT1_T2_T3_mmT4_T5_P12ihipStream_tbEUlRKsE_EEST_SX_SY_mSZ_S12_bEUlT_E_NS1_11comp_targetILNS1_3genE2ELNS1_11target_archE906ELNS1_3gpuE6ELNS1_3repE0EEENS1_30default_config_static_selectorELNS0_4arch9wavefront6targetE0EEEvSW_,"axG",@progbits,_ZN7rocprim17ROCPRIM_400000_NS6detail17trampoline_kernelINS0_14default_configENS1_27upper_bound_config_selectorIslEEZNS1_14transform_implILb0ES3_S5_N6thrust23THRUST_200600_302600_NS6detail15normal_iteratorINS8_7pointerIsNS8_11hip_rocprim5par_tENS8_11use_defaultESE_EEEENSA_INSB_IlSD_SE_SE_EEEEZNS1_13binary_searchIS3_S5_PsSG_SI_NS1_21upper_bound_search_opENS9_16wrapped_functionINS8_6system6detail7generic6detail18binary_search_lessEbEEEE10hipError_tPvRmT1_T2_T3_mmT4_T5_P12ihipStream_tbEUlRKsE_EEST_SX_SY_mSZ_S12_bEUlT_E_NS1_11comp_targetILNS1_3genE2ELNS1_11target_archE906ELNS1_3gpuE6ELNS1_3repE0EEENS1_30default_config_static_selectorELNS0_4arch9wavefront6targetE0EEEvSW_,comdat
	.protected	_ZN7rocprim17ROCPRIM_400000_NS6detail17trampoline_kernelINS0_14default_configENS1_27upper_bound_config_selectorIslEEZNS1_14transform_implILb0ES3_S5_N6thrust23THRUST_200600_302600_NS6detail15normal_iteratorINS8_7pointerIsNS8_11hip_rocprim5par_tENS8_11use_defaultESE_EEEENSA_INSB_IlSD_SE_SE_EEEEZNS1_13binary_searchIS3_S5_PsSG_SI_NS1_21upper_bound_search_opENS9_16wrapped_functionINS8_6system6detail7generic6detail18binary_search_lessEbEEEE10hipError_tPvRmT1_T2_T3_mmT4_T5_P12ihipStream_tbEUlRKsE_EEST_SX_SY_mSZ_S12_bEUlT_E_NS1_11comp_targetILNS1_3genE2ELNS1_11target_archE906ELNS1_3gpuE6ELNS1_3repE0EEENS1_30default_config_static_selectorELNS0_4arch9wavefront6targetE0EEEvSW_ ; -- Begin function _ZN7rocprim17ROCPRIM_400000_NS6detail17trampoline_kernelINS0_14default_configENS1_27upper_bound_config_selectorIslEEZNS1_14transform_implILb0ES3_S5_N6thrust23THRUST_200600_302600_NS6detail15normal_iteratorINS8_7pointerIsNS8_11hip_rocprim5par_tENS8_11use_defaultESE_EEEENSA_INSB_IlSD_SE_SE_EEEEZNS1_13binary_searchIS3_S5_PsSG_SI_NS1_21upper_bound_search_opENS9_16wrapped_functionINS8_6system6detail7generic6detail18binary_search_lessEbEEEE10hipError_tPvRmT1_T2_T3_mmT4_T5_P12ihipStream_tbEUlRKsE_EEST_SX_SY_mSZ_S12_bEUlT_E_NS1_11comp_targetILNS1_3genE2ELNS1_11target_archE906ELNS1_3gpuE6ELNS1_3repE0EEENS1_30default_config_static_selectorELNS0_4arch9wavefront6targetE0EEEvSW_
	.globl	_ZN7rocprim17ROCPRIM_400000_NS6detail17trampoline_kernelINS0_14default_configENS1_27upper_bound_config_selectorIslEEZNS1_14transform_implILb0ES3_S5_N6thrust23THRUST_200600_302600_NS6detail15normal_iteratorINS8_7pointerIsNS8_11hip_rocprim5par_tENS8_11use_defaultESE_EEEENSA_INSB_IlSD_SE_SE_EEEEZNS1_13binary_searchIS3_S5_PsSG_SI_NS1_21upper_bound_search_opENS9_16wrapped_functionINS8_6system6detail7generic6detail18binary_search_lessEbEEEE10hipError_tPvRmT1_T2_T3_mmT4_T5_P12ihipStream_tbEUlRKsE_EEST_SX_SY_mSZ_S12_bEUlT_E_NS1_11comp_targetILNS1_3genE2ELNS1_11target_archE906ELNS1_3gpuE6ELNS1_3repE0EEENS1_30default_config_static_selectorELNS0_4arch9wavefront6targetE0EEEvSW_
	.p2align	8
	.type	_ZN7rocprim17ROCPRIM_400000_NS6detail17trampoline_kernelINS0_14default_configENS1_27upper_bound_config_selectorIslEEZNS1_14transform_implILb0ES3_S5_N6thrust23THRUST_200600_302600_NS6detail15normal_iteratorINS8_7pointerIsNS8_11hip_rocprim5par_tENS8_11use_defaultESE_EEEENSA_INSB_IlSD_SE_SE_EEEEZNS1_13binary_searchIS3_S5_PsSG_SI_NS1_21upper_bound_search_opENS9_16wrapped_functionINS8_6system6detail7generic6detail18binary_search_lessEbEEEE10hipError_tPvRmT1_T2_T3_mmT4_T5_P12ihipStream_tbEUlRKsE_EEST_SX_SY_mSZ_S12_bEUlT_E_NS1_11comp_targetILNS1_3genE2ELNS1_11target_archE906ELNS1_3gpuE6ELNS1_3repE0EEENS1_30default_config_static_selectorELNS0_4arch9wavefront6targetE0EEEvSW_,@function
_ZN7rocprim17ROCPRIM_400000_NS6detail17trampoline_kernelINS0_14default_configENS1_27upper_bound_config_selectorIslEEZNS1_14transform_implILb0ES3_S5_N6thrust23THRUST_200600_302600_NS6detail15normal_iteratorINS8_7pointerIsNS8_11hip_rocprim5par_tENS8_11use_defaultESE_EEEENSA_INSB_IlSD_SE_SE_EEEEZNS1_13binary_searchIS3_S5_PsSG_SI_NS1_21upper_bound_search_opENS9_16wrapped_functionINS8_6system6detail7generic6detail18binary_search_lessEbEEEE10hipError_tPvRmT1_T2_T3_mmT4_T5_P12ihipStream_tbEUlRKsE_EEST_SX_SY_mSZ_S12_bEUlT_E_NS1_11comp_targetILNS1_3genE2ELNS1_11target_archE906ELNS1_3gpuE6ELNS1_3repE0EEENS1_30default_config_static_selectorELNS0_4arch9wavefront6targetE0EEEvSW_: ; @_ZN7rocprim17ROCPRIM_400000_NS6detail17trampoline_kernelINS0_14default_configENS1_27upper_bound_config_selectorIslEEZNS1_14transform_implILb0ES3_S5_N6thrust23THRUST_200600_302600_NS6detail15normal_iteratorINS8_7pointerIsNS8_11hip_rocprim5par_tENS8_11use_defaultESE_EEEENSA_INSB_IlSD_SE_SE_EEEEZNS1_13binary_searchIS3_S5_PsSG_SI_NS1_21upper_bound_search_opENS9_16wrapped_functionINS8_6system6detail7generic6detail18binary_search_lessEbEEEE10hipError_tPvRmT1_T2_T3_mmT4_T5_P12ihipStream_tbEUlRKsE_EEST_SX_SY_mSZ_S12_bEUlT_E_NS1_11comp_targetILNS1_3genE2ELNS1_11target_archE906ELNS1_3gpuE6ELNS1_3repE0EEENS1_30default_config_static_selectorELNS0_4arch9wavefront6targetE0EEEvSW_
; %bb.0:
	.section	.rodata,"a",@progbits
	.p2align	6, 0x0
	.amdhsa_kernel _ZN7rocprim17ROCPRIM_400000_NS6detail17trampoline_kernelINS0_14default_configENS1_27upper_bound_config_selectorIslEEZNS1_14transform_implILb0ES3_S5_N6thrust23THRUST_200600_302600_NS6detail15normal_iteratorINS8_7pointerIsNS8_11hip_rocprim5par_tENS8_11use_defaultESE_EEEENSA_INSB_IlSD_SE_SE_EEEEZNS1_13binary_searchIS3_S5_PsSG_SI_NS1_21upper_bound_search_opENS9_16wrapped_functionINS8_6system6detail7generic6detail18binary_search_lessEbEEEE10hipError_tPvRmT1_T2_T3_mmT4_T5_P12ihipStream_tbEUlRKsE_EEST_SX_SY_mSZ_S12_bEUlT_E_NS1_11comp_targetILNS1_3genE2ELNS1_11target_archE906ELNS1_3gpuE6ELNS1_3repE0EEENS1_30default_config_static_selectorELNS0_4arch9wavefront6targetE0EEEvSW_
		.amdhsa_group_segment_fixed_size 0
		.amdhsa_private_segment_fixed_size 0
		.amdhsa_kernarg_size 56
		.amdhsa_user_sgpr_count 6
		.amdhsa_user_sgpr_private_segment_buffer 1
		.amdhsa_user_sgpr_dispatch_ptr 0
		.amdhsa_user_sgpr_queue_ptr 0
		.amdhsa_user_sgpr_kernarg_segment_ptr 1
		.amdhsa_user_sgpr_dispatch_id 0
		.amdhsa_user_sgpr_flat_scratch_init 0
		.amdhsa_user_sgpr_private_segment_size 0
		.amdhsa_wavefront_size32 1
		.amdhsa_uses_dynamic_stack 0
		.amdhsa_system_sgpr_private_segment_wavefront_offset 0
		.amdhsa_system_sgpr_workgroup_id_x 1
		.amdhsa_system_sgpr_workgroup_id_y 0
		.amdhsa_system_sgpr_workgroup_id_z 0
		.amdhsa_system_sgpr_workgroup_info 0
		.amdhsa_system_vgpr_workitem_id 0
		.amdhsa_next_free_vgpr 1
		.amdhsa_next_free_sgpr 1
		.amdhsa_reserve_vcc 0
		.amdhsa_reserve_flat_scratch 0
		.amdhsa_float_round_mode_32 0
		.amdhsa_float_round_mode_16_64 0
		.amdhsa_float_denorm_mode_32 3
		.amdhsa_float_denorm_mode_16_64 3
		.amdhsa_dx10_clamp 1
		.amdhsa_ieee_mode 1
		.amdhsa_fp16_overflow 0
		.amdhsa_workgroup_processor_mode 1
		.amdhsa_memory_ordered 1
		.amdhsa_forward_progress 1
		.amdhsa_shared_vgpr_count 0
		.amdhsa_exception_fp_ieee_invalid_op 0
		.amdhsa_exception_fp_denorm_src 0
		.amdhsa_exception_fp_ieee_div_zero 0
		.amdhsa_exception_fp_ieee_overflow 0
		.amdhsa_exception_fp_ieee_underflow 0
		.amdhsa_exception_fp_ieee_inexact 0
		.amdhsa_exception_int_div_zero 0
	.end_amdhsa_kernel
	.section	.text._ZN7rocprim17ROCPRIM_400000_NS6detail17trampoline_kernelINS0_14default_configENS1_27upper_bound_config_selectorIslEEZNS1_14transform_implILb0ES3_S5_N6thrust23THRUST_200600_302600_NS6detail15normal_iteratorINS8_7pointerIsNS8_11hip_rocprim5par_tENS8_11use_defaultESE_EEEENSA_INSB_IlSD_SE_SE_EEEEZNS1_13binary_searchIS3_S5_PsSG_SI_NS1_21upper_bound_search_opENS9_16wrapped_functionINS8_6system6detail7generic6detail18binary_search_lessEbEEEE10hipError_tPvRmT1_T2_T3_mmT4_T5_P12ihipStream_tbEUlRKsE_EEST_SX_SY_mSZ_S12_bEUlT_E_NS1_11comp_targetILNS1_3genE2ELNS1_11target_archE906ELNS1_3gpuE6ELNS1_3repE0EEENS1_30default_config_static_selectorELNS0_4arch9wavefront6targetE0EEEvSW_,"axG",@progbits,_ZN7rocprim17ROCPRIM_400000_NS6detail17trampoline_kernelINS0_14default_configENS1_27upper_bound_config_selectorIslEEZNS1_14transform_implILb0ES3_S5_N6thrust23THRUST_200600_302600_NS6detail15normal_iteratorINS8_7pointerIsNS8_11hip_rocprim5par_tENS8_11use_defaultESE_EEEENSA_INSB_IlSD_SE_SE_EEEEZNS1_13binary_searchIS3_S5_PsSG_SI_NS1_21upper_bound_search_opENS9_16wrapped_functionINS8_6system6detail7generic6detail18binary_search_lessEbEEEE10hipError_tPvRmT1_T2_T3_mmT4_T5_P12ihipStream_tbEUlRKsE_EEST_SX_SY_mSZ_S12_bEUlT_E_NS1_11comp_targetILNS1_3genE2ELNS1_11target_archE906ELNS1_3gpuE6ELNS1_3repE0EEENS1_30default_config_static_selectorELNS0_4arch9wavefront6targetE0EEEvSW_,comdat
.Lfunc_end236:
	.size	_ZN7rocprim17ROCPRIM_400000_NS6detail17trampoline_kernelINS0_14default_configENS1_27upper_bound_config_selectorIslEEZNS1_14transform_implILb0ES3_S5_N6thrust23THRUST_200600_302600_NS6detail15normal_iteratorINS8_7pointerIsNS8_11hip_rocprim5par_tENS8_11use_defaultESE_EEEENSA_INSB_IlSD_SE_SE_EEEEZNS1_13binary_searchIS3_S5_PsSG_SI_NS1_21upper_bound_search_opENS9_16wrapped_functionINS8_6system6detail7generic6detail18binary_search_lessEbEEEE10hipError_tPvRmT1_T2_T3_mmT4_T5_P12ihipStream_tbEUlRKsE_EEST_SX_SY_mSZ_S12_bEUlT_E_NS1_11comp_targetILNS1_3genE2ELNS1_11target_archE906ELNS1_3gpuE6ELNS1_3repE0EEENS1_30default_config_static_selectorELNS0_4arch9wavefront6targetE0EEEvSW_, .Lfunc_end236-_ZN7rocprim17ROCPRIM_400000_NS6detail17trampoline_kernelINS0_14default_configENS1_27upper_bound_config_selectorIslEEZNS1_14transform_implILb0ES3_S5_N6thrust23THRUST_200600_302600_NS6detail15normal_iteratorINS8_7pointerIsNS8_11hip_rocprim5par_tENS8_11use_defaultESE_EEEENSA_INSB_IlSD_SE_SE_EEEEZNS1_13binary_searchIS3_S5_PsSG_SI_NS1_21upper_bound_search_opENS9_16wrapped_functionINS8_6system6detail7generic6detail18binary_search_lessEbEEEE10hipError_tPvRmT1_T2_T3_mmT4_T5_P12ihipStream_tbEUlRKsE_EEST_SX_SY_mSZ_S12_bEUlT_E_NS1_11comp_targetILNS1_3genE2ELNS1_11target_archE906ELNS1_3gpuE6ELNS1_3repE0EEENS1_30default_config_static_selectorELNS0_4arch9wavefront6targetE0EEEvSW_
                                        ; -- End function
	.set _ZN7rocprim17ROCPRIM_400000_NS6detail17trampoline_kernelINS0_14default_configENS1_27upper_bound_config_selectorIslEEZNS1_14transform_implILb0ES3_S5_N6thrust23THRUST_200600_302600_NS6detail15normal_iteratorINS8_7pointerIsNS8_11hip_rocprim5par_tENS8_11use_defaultESE_EEEENSA_INSB_IlSD_SE_SE_EEEEZNS1_13binary_searchIS3_S5_PsSG_SI_NS1_21upper_bound_search_opENS9_16wrapped_functionINS8_6system6detail7generic6detail18binary_search_lessEbEEEE10hipError_tPvRmT1_T2_T3_mmT4_T5_P12ihipStream_tbEUlRKsE_EEST_SX_SY_mSZ_S12_bEUlT_E_NS1_11comp_targetILNS1_3genE2ELNS1_11target_archE906ELNS1_3gpuE6ELNS1_3repE0EEENS1_30default_config_static_selectorELNS0_4arch9wavefront6targetE0EEEvSW_.num_vgpr, 0
	.set _ZN7rocprim17ROCPRIM_400000_NS6detail17trampoline_kernelINS0_14default_configENS1_27upper_bound_config_selectorIslEEZNS1_14transform_implILb0ES3_S5_N6thrust23THRUST_200600_302600_NS6detail15normal_iteratorINS8_7pointerIsNS8_11hip_rocprim5par_tENS8_11use_defaultESE_EEEENSA_INSB_IlSD_SE_SE_EEEEZNS1_13binary_searchIS3_S5_PsSG_SI_NS1_21upper_bound_search_opENS9_16wrapped_functionINS8_6system6detail7generic6detail18binary_search_lessEbEEEE10hipError_tPvRmT1_T2_T3_mmT4_T5_P12ihipStream_tbEUlRKsE_EEST_SX_SY_mSZ_S12_bEUlT_E_NS1_11comp_targetILNS1_3genE2ELNS1_11target_archE906ELNS1_3gpuE6ELNS1_3repE0EEENS1_30default_config_static_selectorELNS0_4arch9wavefront6targetE0EEEvSW_.num_agpr, 0
	.set _ZN7rocprim17ROCPRIM_400000_NS6detail17trampoline_kernelINS0_14default_configENS1_27upper_bound_config_selectorIslEEZNS1_14transform_implILb0ES3_S5_N6thrust23THRUST_200600_302600_NS6detail15normal_iteratorINS8_7pointerIsNS8_11hip_rocprim5par_tENS8_11use_defaultESE_EEEENSA_INSB_IlSD_SE_SE_EEEEZNS1_13binary_searchIS3_S5_PsSG_SI_NS1_21upper_bound_search_opENS9_16wrapped_functionINS8_6system6detail7generic6detail18binary_search_lessEbEEEE10hipError_tPvRmT1_T2_T3_mmT4_T5_P12ihipStream_tbEUlRKsE_EEST_SX_SY_mSZ_S12_bEUlT_E_NS1_11comp_targetILNS1_3genE2ELNS1_11target_archE906ELNS1_3gpuE6ELNS1_3repE0EEENS1_30default_config_static_selectorELNS0_4arch9wavefront6targetE0EEEvSW_.numbered_sgpr, 0
	.set _ZN7rocprim17ROCPRIM_400000_NS6detail17trampoline_kernelINS0_14default_configENS1_27upper_bound_config_selectorIslEEZNS1_14transform_implILb0ES3_S5_N6thrust23THRUST_200600_302600_NS6detail15normal_iteratorINS8_7pointerIsNS8_11hip_rocprim5par_tENS8_11use_defaultESE_EEEENSA_INSB_IlSD_SE_SE_EEEEZNS1_13binary_searchIS3_S5_PsSG_SI_NS1_21upper_bound_search_opENS9_16wrapped_functionINS8_6system6detail7generic6detail18binary_search_lessEbEEEE10hipError_tPvRmT1_T2_T3_mmT4_T5_P12ihipStream_tbEUlRKsE_EEST_SX_SY_mSZ_S12_bEUlT_E_NS1_11comp_targetILNS1_3genE2ELNS1_11target_archE906ELNS1_3gpuE6ELNS1_3repE0EEENS1_30default_config_static_selectorELNS0_4arch9wavefront6targetE0EEEvSW_.num_named_barrier, 0
	.set _ZN7rocprim17ROCPRIM_400000_NS6detail17trampoline_kernelINS0_14default_configENS1_27upper_bound_config_selectorIslEEZNS1_14transform_implILb0ES3_S5_N6thrust23THRUST_200600_302600_NS6detail15normal_iteratorINS8_7pointerIsNS8_11hip_rocprim5par_tENS8_11use_defaultESE_EEEENSA_INSB_IlSD_SE_SE_EEEEZNS1_13binary_searchIS3_S5_PsSG_SI_NS1_21upper_bound_search_opENS9_16wrapped_functionINS8_6system6detail7generic6detail18binary_search_lessEbEEEE10hipError_tPvRmT1_T2_T3_mmT4_T5_P12ihipStream_tbEUlRKsE_EEST_SX_SY_mSZ_S12_bEUlT_E_NS1_11comp_targetILNS1_3genE2ELNS1_11target_archE906ELNS1_3gpuE6ELNS1_3repE0EEENS1_30default_config_static_selectorELNS0_4arch9wavefront6targetE0EEEvSW_.private_seg_size, 0
	.set _ZN7rocprim17ROCPRIM_400000_NS6detail17trampoline_kernelINS0_14default_configENS1_27upper_bound_config_selectorIslEEZNS1_14transform_implILb0ES3_S5_N6thrust23THRUST_200600_302600_NS6detail15normal_iteratorINS8_7pointerIsNS8_11hip_rocprim5par_tENS8_11use_defaultESE_EEEENSA_INSB_IlSD_SE_SE_EEEEZNS1_13binary_searchIS3_S5_PsSG_SI_NS1_21upper_bound_search_opENS9_16wrapped_functionINS8_6system6detail7generic6detail18binary_search_lessEbEEEE10hipError_tPvRmT1_T2_T3_mmT4_T5_P12ihipStream_tbEUlRKsE_EEST_SX_SY_mSZ_S12_bEUlT_E_NS1_11comp_targetILNS1_3genE2ELNS1_11target_archE906ELNS1_3gpuE6ELNS1_3repE0EEENS1_30default_config_static_selectorELNS0_4arch9wavefront6targetE0EEEvSW_.uses_vcc, 0
	.set _ZN7rocprim17ROCPRIM_400000_NS6detail17trampoline_kernelINS0_14default_configENS1_27upper_bound_config_selectorIslEEZNS1_14transform_implILb0ES3_S5_N6thrust23THRUST_200600_302600_NS6detail15normal_iteratorINS8_7pointerIsNS8_11hip_rocprim5par_tENS8_11use_defaultESE_EEEENSA_INSB_IlSD_SE_SE_EEEEZNS1_13binary_searchIS3_S5_PsSG_SI_NS1_21upper_bound_search_opENS9_16wrapped_functionINS8_6system6detail7generic6detail18binary_search_lessEbEEEE10hipError_tPvRmT1_T2_T3_mmT4_T5_P12ihipStream_tbEUlRKsE_EEST_SX_SY_mSZ_S12_bEUlT_E_NS1_11comp_targetILNS1_3genE2ELNS1_11target_archE906ELNS1_3gpuE6ELNS1_3repE0EEENS1_30default_config_static_selectorELNS0_4arch9wavefront6targetE0EEEvSW_.uses_flat_scratch, 0
	.set _ZN7rocprim17ROCPRIM_400000_NS6detail17trampoline_kernelINS0_14default_configENS1_27upper_bound_config_selectorIslEEZNS1_14transform_implILb0ES3_S5_N6thrust23THRUST_200600_302600_NS6detail15normal_iteratorINS8_7pointerIsNS8_11hip_rocprim5par_tENS8_11use_defaultESE_EEEENSA_INSB_IlSD_SE_SE_EEEEZNS1_13binary_searchIS3_S5_PsSG_SI_NS1_21upper_bound_search_opENS9_16wrapped_functionINS8_6system6detail7generic6detail18binary_search_lessEbEEEE10hipError_tPvRmT1_T2_T3_mmT4_T5_P12ihipStream_tbEUlRKsE_EEST_SX_SY_mSZ_S12_bEUlT_E_NS1_11comp_targetILNS1_3genE2ELNS1_11target_archE906ELNS1_3gpuE6ELNS1_3repE0EEENS1_30default_config_static_selectorELNS0_4arch9wavefront6targetE0EEEvSW_.has_dyn_sized_stack, 0
	.set _ZN7rocprim17ROCPRIM_400000_NS6detail17trampoline_kernelINS0_14default_configENS1_27upper_bound_config_selectorIslEEZNS1_14transform_implILb0ES3_S5_N6thrust23THRUST_200600_302600_NS6detail15normal_iteratorINS8_7pointerIsNS8_11hip_rocprim5par_tENS8_11use_defaultESE_EEEENSA_INSB_IlSD_SE_SE_EEEEZNS1_13binary_searchIS3_S5_PsSG_SI_NS1_21upper_bound_search_opENS9_16wrapped_functionINS8_6system6detail7generic6detail18binary_search_lessEbEEEE10hipError_tPvRmT1_T2_T3_mmT4_T5_P12ihipStream_tbEUlRKsE_EEST_SX_SY_mSZ_S12_bEUlT_E_NS1_11comp_targetILNS1_3genE2ELNS1_11target_archE906ELNS1_3gpuE6ELNS1_3repE0EEENS1_30default_config_static_selectorELNS0_4arch9wavefront6targetE0EEEvSW_.has_recursion, 0
	.set _ZN7rocprim17ROCPRIM_400000_NS6detail17trampoline_kernelINS0_14default_configENS1_27upper_bound_config_selectorIslEEZNS1_14transform_implILb0ES3_S5_N6thrust23THRUST_200600_302600_NS6detail15normal_iteratorINS8_7pointerIsNS8_11hip_rocprim5par_tENS8_11use_defaultESE_EEEENSA_INSB_IlSD_SE_SE_EEEEZNS1_13binary_searchIS3_S5_PsSG_SI_NS1_21upper_bound_search_opENS9_16wrapped_functionINS8_6system6detail7generic6detail18binary_search_lessEbEEEE10hipError_tPvRmT1_T2_T3_mmT4_T5_P12ihipStream_tbEUlRKsE_EEST_SX_SY_mSZ_S12_bEUlT_E_NS1_11comp_targetILNS1_3genE2ELNS1_11target_archE906ELNS1_3gpuE6ELNS1_3repE0EEENS1_30default_config_static_selectorELNS0_4arch9wavefront6targetE0EEEvSW_.has_indirect_call, 0
	.section	.AMDGPU.csdata,"",@progbits
; Kernel info:
; codeLenInByte = 0
; TotalNumSgprs: 0
; NumVgprs: 0
; ScratchSize: 0
; MemoryBound: 0
; FloatMode: 240
; IeeeMode: 1
; LDSByteSize: 0 bytes/workgroup (compile time only)
; SGPRBlocks: 0
; VGPRBlocks: 0
; NumSGPRsForWavesPerEU: 1
; NumVGPRsForWavesPerEU: 1
; Occupancy: 16
; WaveLimiterHint : 0
; COMPUTE_PGM_RSRC2:SCRATCH_EN: 0
; COMPUTE_PGM_RSRC2:USER_SGPR: 6
; COMPUTE_PGM_RSRC2:TRAP_HANDLER: 0
; COMPUTE_PGM_RSRC2:TGID_X_EN: 1
; COMPUTE_PGM_RSRC2:TGID_Y_EN: 0
; COMPUTE_PGM_RSRC2:TGID_Z_EN: 0
; COMPUTE_PGM_RSRC2:TIDIG_COMP_CNT: 0
	.section	.text._ZN7rocprim17ROCPRIM_400000_NS6detail17trampoline_kernelINS0_14default_configENS1_27upper_bound_config_selectorIslEEZNS1_14transform_implILb0ES3_S5_N6thrust23THRUST_200600_302600_NS6detail15normal_iteratorINS8_7pointerIsNS8_11hip_rocprim5par_tENS8_11use_defaultESE_EEEENSA_INSB_IlSD_SE_SE_EEEEZNS1_13binary_searchIS3_S5_PsSG_SI_NS1_21upper_bound_search_opENS9_16wrapped_functionINS8_6system6detail7generic6detail18binary_search_lessEbEEEE10hipError_tPvRmT1_T2_T3_mmT4_T5_P12ihipStream_tbEUlRKsE_EEST_SX_SY_mSZ_S12_bEUlT_E_NS1_11comp_targetILNS1_3genE10ELNS1_11target_archE1201ELNS1_3gpuE5ELNS1_3repE0EEENS1_30default_config_static_selectorELNS0_4arch9wavefront6targetE0EEEvSW_,"axG",@progbits,_ZN7rocprim17ROCPRIM_400000_NS6detail17trampoline_kernelINS0_14default_configENS1_27upper_bound_config_selectorIslEEZNS1_14transform_implILb0ES3_S5_N6thrust23THRUST_200600_302600_NS6detail15normal_iteratorINS8_7pointerIsNS8_11hip_rocprim5par_tENS8_11use_defaultESE_EEEENSA_INSB_IlSD_SE_SE_EEEEZNS1_13binary_searchIS3_S5_PsSG_SI_NS1_21upper_bound_search_opENS9_16wrapped_functionINS8_6system6detail7generic6detail18binary_search_lessEbEEEE10hipError_tPvRmT1_T2_T3_mmT4_T5_P12ihipStream_tbEUlRKsE_EEST_SX_SY_mSZ_S12_bEUlT_E_NS1_11comp_targetILNS1_3genE10ELNS1_11target_archE1201ELNS1_3gpuE5ELNS1_3repE0EEENS1_30default_config_static_selectorELNS0_4arch9wavefront6targetE0EEEvSW_,comdat
	.protected	_ZN7rocprim17ROCPRIM_400000_NS6detail17trampoline_kernelINS0_14default_configENS1_27upper_bound_config_selectorIslEEZNS1_14transform_implILb0ES3_S5_N6thrust23THRUST_200600_302600_NS6detail15normal_iteratorINS8_7pointerIsNS8_11hip_rocprim5par_tENS8_11use_defaultESE_EEEENSA_INSB_IlSD_SE_SE_EEEEZNS1_13binary_searchIS3_S5_PsSG_SI_NS1_21upper_bound_search_opENS9_16wrapped_functionINS8_6system6detail7generic6detail18binary_search_lessEbEEEE10hipError_tPvRmT1_T2_T3_mmT4_T5_P12ihipStream_tbEUlRKsE_EEST_SX_SY_mSZ_S12_bEUlT_E_NS1_11comp_targetILNS1_3genE10ELNS1_11target_archE1201ELNS1_3gpuE5ELNS1_3repE0EEENS1_30default_config_static_selectorELNS0_4arch9wavefront6targetE0EEEvSW_ ; -- Begin function _ZN7rocprim17ROCPRIM_400000_NS6detail17trampoline_kernelINS0_14default_configENS1_27upper_bound_config_selectorIslEEZNS1_14transform_implILb0ES3_S5_N6thrust23THRUST_200600_302600_NS6detail15normal_iteratorINS8_7pointerIsNS8_11hip_rocprim5par_tENS8_11use_defaultESE_EEEENSA_INSB_IlSD_SE_SE_EEEEZNS1_13binary_searchIS3_S5_PsSG_SI_NS1_21upper_bound_search_opENS9_16wrapped_functionINS8_6system6detail7generic6detail18binary_search_lessEbEEEE10hipError_tPvRmT1_T2_T3_mmT4_T5_P12ihipStream_tbEUlRKsE_EEST_SX_SY_mSZ_S12_bEUlT_E_NS1_11comp_targetILNS1_3genE10ELNS1_11target_archE1201ELNS1_3gpuE5ELNS1_3repE0EEENS1_30default_config_static_selectorELNS0_4arch9wavefront6targetE0EEEvSW_
	.globl	_ZN7rocprim17ROCPRIM_400000_NS6detail17trampoline_kernelINS0_14default_configENS1_27upper_bound_config_selectorIslEEZNS1_14transform_implILb0ES3_S5_N6thrust23THRUST_200600_302600_NS6detail15normal_iteratorINS8_7pointerIsNS8_11hip_rocprim5par_tENS8_11use_defaultESE_EEEENSA_INSB_IlSD_SE_SE_EEEEZNS1_13binary_searchIS3_S5_PsSG_SI_NS1_21upper_bound_search_opENS9_16wrapped_functionINS8_6system6detail7generic6detail18binary_search_lessEbEEEE10hipError_tPvRmT1_T2_T3_mmT4_T5_P12ihipStream_tbEUlRKsE_EEST_SX_SY_mSZ_S12_bEUlT_E_NS1_11comp_targetILNS1_3genE10ELNS1_11target_archE1201ELNS1_3gpuE5ELNS1_3repE0EEENS1_30default_config_static_selectorELNS0_4arch9wavefront6targetE0EEEvSW_
	.p2align	8
	.type	_ZN7rocprim17ROCPRIM_400000_NS6detail17trampoline_kernelINS0_14default_configENS1_27upper_bound_config_selectorIslEEZNS1_14transform_implILb0ES3_S5_N6thrust23THRUST_200600_302600_NS6detail15normal_iteratorINS8_7pointerIsNS8_11hip_rocprim5par_tENS8_11use_defaultESE_EEEENSA_INSB_IlSD_SE_SE_EEEEZNS1_13binary_searchIS3_S5_PsSG_SI_NS1_21upper_bound_search_opENS9_16wrapped_functionINS8_6system6detail7generic6detail18binary_search_lessEbEEEE10hipError_tPvRmT1_T2_T3_mmT4_T5_P12ihipStream_tbEUlRKsE_EEST_SX_SY_mSZ_S12_bEUlT_E_NS1_11comp_targetILNS1_3genE10ELNS1_11target_archE1201ELNS1_3gpuE5ELNS1_3repE0EEENS1_30default_config_static_selectorELNS0_4arch9wavefront6targetE0EEEvSW_,@function
_ZN7rocprim17ROCPRIM_400000_NS6detail17trampoline_kernelINS0_14default_configENS1_27upper_bound_config_selectorIslEEZNS1_14transform_implILb0ES3_S5_N6thrust23THRUST_200600_302600_NS6detail15normal_iteratorINS8_7pointerIsNS8_11hip_rocprim5par_tENS8_11use_defaultESE_EEEENSA_INSB_IlSD_SE_SE_EEEEZNS1_13binary_searchIS3_S5_PsSG_SI_NS1_21upper_bound_search_opENS9_16wrapped_functionINS8_6system6detail7generic6detail18binary_search_lessEbEEEE10hipError_tPvRmT1_T2_T3_mmT4_T5_P12ihipStream_tbEUlRKsE_EEST_SX_SY_mSZ_S12_bEUlT_E_NS1_11comp_targetILNS1_3genE10ELNS1_11target_archE1201ELNS1_3gpuE5ELNS1_3repE0EEENS1_30default_config_static_selectorELNS0_4arch9wavefront6targetE0EEEvSW_: ; @_ZN7rocprim17ROCPRIM_400000_NS6detail17trampoline_kernelINS0_14default_configENS1_27upper_bound_config_selectorIslEEZNS1_14transform_implILb0ES3_S5_N6thrust23THRUST_200600_302600_NS6detail15normal_iteratorINS8_7pointerIsNS8_11hip_rocprim5par_tENS8_11use_defaultESE_EEEENSA_INSB_IlSD_SE_SE_EEEEZNS1_13binary_searchIS3_S5_PsSG_SI_NS1_21upper_bound_search_opENS9_16wrapped_functionINS8_6system6detail7generic6detail18binary_search_lessEbEEEE10hipError_tPvRmT1_T2_T3_mmT4_T5_P12ihipStream_tbEUlRKsE_EEST_SX_SY_mSZ_S12_bEUlT_E_NS1_11comp_targetILNS1_3genE10ELNS1_11target_archE1201ELNS1_3gpuE5ELNS1_3repE0EEENS1_30default_config_static_selectorELNS0_4arch9wavefront6targetE0EEEvSW_
; %bb.0:
	.section	.rodata,"a",@progbits
	.p2align	6, 0x0
	.amdhsa_kernel _ZN7rocprim17ROCPRIM_400000_NS6detail17trampoline_kernelINS0_14default_configENS1_27upper_bound_config_selectorIslEEZNS1_14transform_implILb0ES3_S5_N6thrust23THRUST_200600_302600_NS6detail15normal_iteratorINS8_7pointerIsNS8_11hip_rocprim5par_tENS8_11use_defaultESE_EEEENSA_INSB_IlSD_SE_SE_EEEEZNS1_13binary_searchIS3_S5_PsSG_SI_NS1_21upper_bound_search_opENS9_16wrapped_functionINS8_6system6detail7generic6detail18binary_search_lessEbEEEE10hipError_tPvRmT1_T2_T3_mmT4_T5_P12ihipStream_tbEUlRKsE_EEST_SX_SY_mSZ_S12_bEUlT_E_NS1_11comp_targetILNS1_3genE10ELNS1_11target_archE1201ELNS1_3gpuE5ELNS1_3repE0EEENS1_30default_config_static_selectorELNS0_4arch9wavefront6targetE0EEEvSW_
		.amdhsa_group_segment_fixed_size 0
		.amdhsa_private_segment_fixed_size 0
		.amdhsa_kernarg_size 56
		.amdhsa_user_sgpr_count 6
		.amdhsa_user_sgpr_private_segment_buffer 1
		.amdhsa_user_sgpr_dispatch_ptr 0
		.amdhsa_user_sgpr_queue_ptr 0
		.amdhsa_user_sgpr_kernarg_segment_ptr 1
		.amdhsa_user_sgpr_dispatch_id 0
		.amdhsa_user_sgpr_flat_scratch_init 0
		.amdhsa_user_sgpr_private_segment_size 0
		.amdhsa_wavefront_size32 1
		.amdhsa_uses_dynamic_stack 0
		.amdhsa_system_sgpr_private_segment_wavefront_offset 0
		.amdhsa_system_sgpr_workgroup_id_x 1
		.amdhsa_system_sgpr_workgroup_id_y 0
		.amdhsa_system_sgpr_workgroup_id_z 0
		.amdhsa_system_sgpr_workgroup_info 0
		.amdhsa_system_vgpr_workitem_id 0
		.amdhsa_next_free_vgpr 1
		.amdhsa_next_free_sgpr 1
		.amdhsa_reserve_vcc 0
		.amdhsa_reserve_flat_scratch 0
		.amdhsa_float_round_mode_32 0
		.amdhsa_float_round_mode_16_64 0
		.amdhsa_float_denorm_mode_32 3
		.amdhsa_float_denorm_mode_16_64 3
		.amdhsa_dx10_clamp 1
		.amdhsa_ieee_mode 1
		.amdhsa_fp16_overflow 0
		.amdhsa_workgroup_processor_mode 1
		.amdhsa_memory_ordered 1
		.amdhsa_forward_progress 1
		.amdhsa_shared_vgpr_count 0
		.amdhsa_exception_fp_ieee_invalid_op 0
		.amdhsa_exception_fp_denorm_src 0
		.amdhsa_exception_fp_ieee_div_zero 0
		.amdhsa_exception_fp_ieee_overflow 0
		.amdhsa_exception_fp_ieee_underflow 0
		.amdhsa_exception_fp_ieee_inexact 0
		.amdhsa_exception_int_div_zero 0
	.end_amdhsa_kernel
	.section	.text._ZN7rocprim17ROCPRIM_400000_NS6detail17trampoline_kernelINS0_14default_configENS1_27upper_bound_config_selectorIslEEZNS1_14transform_implILb0ES3_S5_N6thrust23THRUST_200600_302600_NS6detail15normal_iteratorINS8_7pointerIsNS8_11hip_rocprim5par_tENS8_11use_defaultESE_EEEENSA_INSB_IlSD_SE_SE_EEEEZNS1_13binary_searchIS3_S5_PsSG_SI_NS1_21upper_bound_search_opENS9_16wrapped_functionINS8_6system6detail7generic6detail18binary_search_lessEbEEEE10hipError_tPvRmT1_T2_T3_mmT4_T5_P12ihipStream_tbEUlRKsE_EEST_SX_SY_mSZ_S12_bEUlT_E_NS1_11comp_targetILNS1_3genE10ELNS1_11target_archE1201ELNS1_3gpuE5ELNS1_3repE0EEENS1_30default_config_static_selectorELNS0_4arch9wavefront6targetE0EEEvSW_,"axG",@progbits,_ZN7rocprim17ROCPRIM_400000_NS6detail17trampoline_kernelINS0_14default_configENS1_27upper_bound_config_selectorIslEEZNS1_14transform_implILb0ES3_S5_N6thrust23THRUST_200600_302600_NS6detail15normal_iteratorINS8_7pointerIsNS8_11hip_rocprim5par_tENS8_11use_defaultESE_EEEENSA_INSB_IlSD_SE_SE_EEEEZNS1_13binary_searchIS3_S5_PsSG_SI_NS1_21upper_bound_search_opENS9_16wrapped_functionINS8_6system6detail7generic6detail18binary_search_lessEbEEEE10hipError_tPvRmT1_T2_T3_mmT4_T5_P12ihipStream_tbEUlRKsE_EEST_SX_SY_mSZ_S12_bEUlT_E_NS1_11comp_targetILNS1_3genE10ELNS1_11target_archE1201ELNS1_3gpuE5ELNS1_3repE0EEENS1_30default_config_static_selectorELNS0_4arch9wavefront6targetE0EEEvSW_,comdat
.Lfunc_end237:
	.size	_ZN7rocprim17ROCPRIM_400000_NS6detail17trampoline_kernelINS0_14default_configENS1_27upper_bound_config_selectorIslEEZNS1_14transform_implILb0ES3_S5_N6thrust23THRUST_200600_302600_NS6detail15normal_iteratorINS8_7pointerIsNS8_11hip_rocprim5par_tENS8_11use_defaultESE_EEEENSA_INSB_IlSD_SE_SE_EEEEZNS1_13binary_searchIS3_S5_PsSG_SI_NS1_21upper_bound_search_opENS9_16wrapped_functionINS8_6system6detail7generic6detail18binary_search_lessEbEEEE10hipError_tPvRmT1_T2_T3_mmT4_T5_P12ihipStream_tbEUlRKsE_EEST_SX_SY_mSZ_S12_bEUlT_E_NS1_11comp_targetILNS1_3genE10ELNS1_11target_archE1201ELNS1_3gpuE5ELNS1_3repE0EEENS1_30default_config_static_selectorELNS0_4arch9wavefront6targetE0EEEvSW_, .Lfunc_end237-_ZN7rocprim17ROCPRIM_400000_NS6detail17trampoline_kernelINS0_14default_configENS1_27upper_bound_config_selectorIslEEZNS1_14transform_implILb0ES3_S5_N6thrust23THRUST_200600_302600_NS6detail15normal_iteratorINS8_7pointerIsNS8_11hip_rocprim5par_tENS8_11use_defaultESE_EEEENSA_INSB_IlSD_SE_SE_EEEEZNS1_13binary_searchIS3_S5_PsSG_SI_NS1_21upper_bound_search_opENS9_16wrapped_functionINS8_6system6detail7generic6detail18binary_search_lessEbEEEE10hipError_tPvRmT1_T2_T3_mmT4_T5_P12ihipStream_tbEUlRKsE_EEST_SX_SY_mSZ_S12_bEUlT_E_NS1_11comp_targetILNS1_3genE10ELNS1_11target_archE1201ELNS1_3gpuE5ELNS1_3repE0EEENS1_30default_config_static_selectorELNS0_4arch9wavefront6targetE0EEEvSW_
                                        ; -- End function
	.set _ZN7rocprim17ROCPRIM_400000_NS6detail17trampoline_kernelINS0_14default_configENS1_27upper_bound_config_selectorIslEEZNS1_14transform_implILb0ES3_S5_N6thrust23THRUST_200600_302600_NS6detail15normal_iteratorINS8_7pointerIsNS8_11hip_rocprim5par_tENS8_11use_defaultESE_EEEENSA_INSB_IlSD_SE_SE_EEEEZNS1_13binary_searchIS3_S5_PsSG_SI_NS1_21upper_bound_search_opENS9_16wrapped_functionINS8_6system6detail7generic6detail18binary_search_lessEbEEEE10hipError_tPvRmT1_T2_T3_mmT4_T5_P12ihipStream_tbEUlRKsE_EEST_SX_SY_mSZ_S12_bEUlT_E_NS1_11comp_targetILNS1_3genE10ELNS1_11target_archE1201ELNS1_3gpuE5ELNS1_3repE0EEENS1_30default_config_static_selectorELNS0_4arch9wavefront6targetE0EEEvSW_.num_vgpr, 0
	.set _ZN7rocprim17ROCPRIM_400000_NS6detail17trampoline_kernelINS0_14default_configENS1_27upper_bound_config_selectorIslEEZNS1_14transform_implILb0ES3_S5_N6thrust23THRUST_200600_302600_NS6detail15normal_iteratorINS8_7pointerIsNS8_11hip_rocprim5par_tENS8_11use_defaultESE_EEEENSA_INSB_IlSD_SE_SE_EEEEZNS1_13binary_searchIS3_S5_PsSG_SI_NS1_21upper_bound_search_opENS9_16wrapped_functionINS8_6system6detail7generic6detail18binary_search_lessEbEEEE10hipError_tPvRmT1_T2_T3_mmT4_T5_P12ihipStream_tbEUlRKsE_EEST_SX_SY_mSZ_S12_bEUlT_E_NS1_11comp_targetILNS1_3genE10ELNS1_11target_archE1201ELNS1_3gpuE5ELNS1_3repE0EEENS1_30default_config_static_selectorELNS0_4arch9wavefront6targetE0EEEvSW_.num_agpr, 0
	.set _ZN7rocprim17ROCPRIM_400000_NS6detail17trampoline_kernelINS0_14default_configENS1_27upper_bound_config_selectorIslEEZNS1_14transform_implILb0ES3_S5_N6thrust23THRUST_200600_302600_NS6detail15normal_iteratorINS8_7pointerIsNS8_11hip_rocprim5par_tENS8_11use_defaultESE_EEEENSA_INSB_IlSD_SE_SE_EEEEZNS1_13binary_searchIS3_S5_PsSG_SI_NS1_21upper_bound_search_opENS9_16wrapped_functionINS8_6system6detail7generic6detail18binary_search_lessEbEEEE10hipError_tPvRmT1_T2_T3_mmT4_T5_P12ihipStream_tbEUlRKsE_EEST_SX_SY_mSZ_S12_bEUlT_E_NS1_11comp_targetILNS1_3genE10ELNS1_11target_archE1201ELNS1_3gpuE5ELNS1_3repE0EEENS1_30default_config_static_selectorELNS0_4arch9wavefront6targetE0EEEvSW_.numbered_sgpr, 0
	.set _ZN7rocprim17ROCPRIM_400000_NS6detail17trampoline_kernelINS0_14default_configENS1_27upper_bound_config_selectorIslEEZNS1_14transform_implILb0ES3_S5_N6thrust23THRUST_200600_302600_NS6detail15normal_iteratorINS8_7pointerIsNS8_11hip_rocprim5par_tENS8_11use_defaultESE_EEEENSA_INSB_IlSD_SE_SE_EEEEZNS1_13binary_searchIS3_S5_PsSG_SI_NS1_21upper_bound_search_opENS9_16wrapped_functionINS8_6system6detail7generic6detail18binary_search_lessEbEEEE10hipError_tPvRmT1_T2_T3_mmT4_T5_P12ihipStream_tbEUlRKsE_EEST_SX_SY_mSZ_S12_bEUlT_E_NS1_11comp_targetILNS1_3genE10ELNS1_11target_archE1201ELNS1_3gpuE5ELNS1_3repE0EEENS1_30default_config_static_selectorELNS0_4arch9wavefront6targetE0EEEvSW_.num_named_barrier, 0
	.set _ZN7rocprim17ROCPRIM_400000_NS6detail17trampoline_kernelINS0_14default_configENS1_27upper_bound_config_selectorIslEEZNS1_14transform_implILb0ES3_S5_N6thrust23THRUST_200600_302600_NS6detail15normal_iteratorINS8_7pointerIsNS8_11hip_rocprim5par_tENS8_11use_defaultESE_EEEENSA_INSB_IlSD_SE_SE_EEEEZNS1_13binary_searchIS3_S5_PsSG_SI_NS1_21upper_bound_search_opENS9_16wrapped_functionINS8_6system6detail7generic6detail18binary_search_lessEbEEEE10hipError_tPvRmT1_T2_T3_mmT4_T5_P12ihipStream_tbEUlRKsE_EEST_SX_SY_mSZ_S12_bEUlT_E_NS1_11comp_targetILNS1_3genE10ELNS1_11target_archE1201ELNS1_3gpuE5ELNS1_3repE0EEENS1_30default_config_static_selectorELNS0_4arch9wavefront6targetE0EEEvSW_.private_seg_size, 0
	.set _ZN7rocprim17ROCPRIM_400000_NS6detail17trampoline_kernelINS0_14default_configENS1_27upper_bound_config_selectorIslEEZNS1_14transform_implILb0ES3_S5_N6thrust23THRUST_200600_302600_NS6detail15normal_iteratorINS8_7pointerIsNS8_11hip_rocprim5par_tENS8_11use_defaultESE_EEEENSA_INSB_IlSD_SE_SE_EEEEZNS1_13binary_searchIS3_S5_PsSG_SI_NS1_21upper_bound_search_opENS9_16wrapped_functionINS8_6system6detail7generic6detail18binary_search_lessEbEEEE10hipError_tPvRmT1_T2_T3_mmT4_T5_P12ihipStream_tbEUlRKsE_EEST_SX_SY_mSZ_S12_bEUlT_E_NS1_11comp_targetILNS1_3genE10ELNS1_11target_archE1201ELNS1_3gpuE5ELNS1_3repE0EEENS1_30default_config_static_selectorELNS0_4arch9wavefront6targetE0EEEvSW_.uses_vcc, 0
	.set _ZN7rocprim17ROCPRIM_400000_NS6detail17trampoline_kernelINS0_14default_configENS1_27upper_bound_config_selectorIslEEZNS1_14transform_implILb0ES3_S5_N6thrust23THRUST_200600_302600_NS6detail15normal_iteratorINS8_7pointerIsNS8_11hip_rocprim5par_tENS8_11use_defaultESE_EEEENSA_INSB_IlSD_SE_SE_EEEEZNS1_13binary_searchIS3_S5_PsSG_SI_NS1_21upper_bound_search_opENS9_16wrapped_functionINS8_6system6detail7generic6detail18binary_search_lessEbEEEE10hipError_tPvRmT1_T2_T3_mmT4_T5_P12ihipStream_tbEUlRKsE_EEST_SX_SY_mSZ_S12_bEUlT_E_NS1_11comp_targetILNS1_3genE10ELNS1_11target_archE1201ELNS1_3gpuE5ELNS1_3repE0EEENS1_30default_config_static_selectorELNS0_4arch9wavefront6targetE0EEEvSW_.uses_flat_scratch, 0
	.set _ZN7rocprim17ROCPRIM_400000_NS6detail17trampoline_kernelINS0_14default_configENS1_27upper_bound_config_selectorIslEEZNS1_14transform_implILb0ES3_S5_N6thrust23THRUST_200600_302600_NS6detail15normal_iteratorINS8_7pointerIsNS8_11hip_rocprim5par_tENS8_11use_defaultESE_EEEENSA_INSB_IlSD_SE_SE_EEEEZNS1_13binary_searchIS3_S5_PsSG_SI_NS1_21upper_bound_search_opENS9_16wrapped_functionINS8_6system6detail7generic6detail18binary_search_lessEbEEEE10hipError_tPvRmT1_T2_T3_mmT4_T5_P12ihipStream_tbEUlRKsE_EEST_SX_SY_mSZ_S12_bEUlT_E_NS1_11comp_targetILNS1_3genE10ELNS1_11target_archE1201ELNS1_3gpuE5ELNS1_3repE0EEENS1_30default_config_static_selectorELNS0_4arch9wavefront6targetE0EEEvSW_.has_dyn_sized_stack, 0
	.set _ZN7rocprim17ROCPRIM_400000_NS6detail17trampoline_kernelINS0_14default_configENS1_27upper_bound_config_selectorIslEEZNS1_14transform_implILb0ES3_S5_N6thrust23THRUST_200600_302600_NS6detail15normal_iteratorINS8_7pointerIsNS8_11hip_rocprim5par_tENS8_11use_defaultESE_EEEENSA_INSB_IlSD_SE_SE_EEEEZNS1_13binary_searchIS3_S5_PsSG_SI_NS1_21upper_bound_search_opENS9_16wrapped_functionINS8_6system6detail7generic6detail18binary_search_lessEbEEEE10hipError_tPvRmT1_T2_T3_mmT4_T5_P12ihipStream_tbEUlRKsE_EEST_SX_SY_mSZ_S12_bEUlT_E_NS1_11comp_targetILNS1_3genE10ELNS1_11target_archE1201ELNS1_3gpuE5ELNS1_3repE0EEENS1_30default_config_static_selectorELNS0_4arch9wavefront6targetE0EEEvSW_.has_recursion, 0
	.set _ZN7rocprim17ROCPRIM_400000_NS6detail17trampoline_kernelINS0_14default_configENS1_27upper_bound_config_selectorIslEEZNS1_14transform_implILb0ES3_S5_N6thrust23THRUST_200600_302600_NS6detail15normal_iteratorINS8_7pointerIsNS8_11hip_rocprim5par_tENS8_11use_defaultESE_EEEENSA_INSB_IlSD_SE_SE_EEEEZNS1_13binary_searchIS3_S5_PsSG_SI_NS1_21upper_bound_search_opENS9_16wrapped_functionINS8_6system6detail7generic6detail18binary_search_lessEbEEEE10hipError_tPvRmT1_T2_T3_mmT4_T5_P12ihipStream_tbEUlRKsE_EEST_SX_SY_mSZ_S12_bEUlT_E_NS1_11comp_targetILNS1_3genE10ELNS1_11target_archE1201ELNS1_3gpuE5ELNS1_3repE0EEENS1_30default_config_static_selectorELNS0_4arch9wavefront6targetE0EEEvSW_.has_indirect_call, 0
	.section	.AMDGPU.csdata,"",@progbits
; Kernel info:
; codeLenInByte = 0
; TotalNumSgprs: 0
; NumVgprs: 0
; ScratchSize: 0
; MemoryBound: 0
; FloatMode: 240
; IeeeMode: 1
; LDSByteSize: 0 bytes/workgroup (compile time only)
; SGPRBlocks: 0
; VGPRBlocks: 0
; NumSGPRsForWavesPerEU: 1
; NumVGPRsForWavesPerEU: 1
; Occupancy: 16
; WaveLimiterHint : 0
; COMPUTE_PGM_RSRC2:SCRATCH_EN: 0
; COMPUTE_PGM_RSRC2:USER_SGPR: 6
; COMPUTE_PGM_RSRC2:TRAP_HANDLER: 0
; COMPUTE_PGM_RSRC2:TGID_X_EN: 1
; COMPUTE_PGM_RSRC2:TGID_Y_EN: 0
; COMPUTE_PGM_RSRC2:TGID_Z_EN: 0
; COMPUTE_PGM_RSRC2:TIDIG_COMP_CNT: 0
	.section	.text._ZN7rocprim17ROCPRIM_400000_NS6detail17trampoline_kernelINS0_14default_configENS1_27upper_bound_config_selectorIslEEZNS1_14transform_implILb0ES3_S5_N6thrust23THRUST_200600_302600_NS6detail15normal_iteratorINS8_7pointerIsNS8_11hip_rocprim5par_tENS8_11use_defaultESE_EEEENSA_INSB_IlSD_SE_SE_EEEEZNS1_13binary_searchIS3_S5_PsSG_SI_NS1_21upper_bound_search_opENS9_16wrapped_functionINS8_6system6detail7generic6detail18binary_search_lessEbEEEE10hipError_tPvRmT1_T2_T3_mmT4_T5_P12ihipStream_tbEUlRKsE_EEST_SX_SY_mSZ_S12_bEUlT_E_NS1_11comp_targetILNS1_3genE10ELNS1_11target_archE1200ELNS1_3gpuE4ELNS1_3repE0EEENS1_30default_config_static_selectorELNS0_4arch9wavefront6targetE0EEEvSW_,"axG",@progbits,_ZN7rocprim17ROCPRIM_400000_NS6detail17trampoline_kernelINS0_14default_configENS1_27upper_bound_config_selectorIslEEZNS1_14transform_implILb0ES3_S5_N6thrust23THRUST_200600_302600_NS6detail15normal_iteratorINS8_7pointerIsNS8_11hip_rocprim5par_tENS8_11use_defaultESE_EEEENSA_INSB_IlSD_SE_SE_EEEEZNS1_13binary_searchIS3_S5_PsSG_SI_NS1_21upper_bound_search_opENS9_16wrapped_functionINS8_6system6detail7generic6detail18binary_search_lessEbEEEE10hipError_tPvRmT1_T2_T3_mmT4_T5_P12ihipStream_tbEUlRKsE_EEST_SX_SY_mSZ_S12_bEUlT_E_NS1_11comp_targetILNS1_3genE10ELNS1_11target_archE1200ELNS1_3gpuE4ELNS1_3repE0EEENS1_30default_config_static_selectorELNS0_4arch9wavefront6targetE0EEEvSW_,comdat
	.protected	_ZN7rocprim17ROCPRIM_400000_NS6detail17trampoline_kernelINS0_14default_configENS1_27upper_bound_config_selectorIslEEZNS1_14transform_implILb0ES3_S5_N6thrust23THRUST_200600_302600_NS6detail15normal_iteratorINS8_7pointerIsNS8_11hip_rocprim5par_tENS8_11use_defaultESE_EEEENSA_INSB_IlSD_SE_SE_EEEEZNS1_13binary_searchIS3_S5_PsSG_SI_NS1_21upper_bound_search_opENS9_16wrapped_functionINS8_6system6detail7generic6detail18binary_search_lessEbEEEE10hipError_tPvRmT1_T2_T3_mmT4_T5_P12ihipStream_tbEUlRKsE_EEST_SX_SY_mSZ_S12_bEUlT_E_NS1_11comp_targetILNS1_3genE10ELNS1_11target_archE1200ELNS1_3gpuE4ELNS1_3repE0EEENS1_30default_config_static_selectorELNS0_4arch9wavefront6targetE0EEEvSW_ ; -- Begin function _ZN7rocprim17ROCPRIM_400000_NS6detail17trampoline_kernelINS0_14default_configENS1_27upper_bound_config_selectorIslEEZNS1_14transform_implILb0ES3_S5_N6thrust23THRUST_200600_302600_NS6detail15normal_iteratorINS8_7pointerIsNS8_11hip_rocprim5par_tENS8_11use_defaultESE_EEEENSA_INSB_IlSD_SE_SE_EEEEZNS1_13binary_searchIS3_S5_PsSG_SI_NS1_21upper_bound_search_opENS9_16wrapped_functionINS8_6system6detail7generic6detail18binary_search_lessEbEEEE10hipError_tPvRmT1_T2_T3_mmT4_T5_P12ihipStream_tbEUlRKsE_EEST_SX_SY_mSZ_S12_bEUlT_E_NS1_11comp_targetILNS1_3genE10ELNS1_11target_archE1200ELNS1_3gpuE4ELNS1_3repE0EEENS1_30default_config_static_selectorELNS0_4arch9wavefront6targetE0EEEvSW_
	.globl	_ZN7rocprim17ROCPRIM_400000_NS6detail17trampoline_kernelINS0_14default_configENS1_27upper_bound_config_selectorIslEEZNS1_14transform_implILb0ES3_S5_N6thrust23THRUST_200600_302600_NS6detail15normal_iteratorINS8_7pointerIsNS8_11hip_rocprim5par_tENS8_11use_defaultESE_EEEENSA_INSB_IlSD_SE_SE_EEEEZNS1_13binary_searchIS3_S5_PsSG_SI_NS1_21upper_bound_search_opENS9_16wrapped_functionINS8_6system6detail7generic6detail18binary_search_lessEbEEEE10hipError_tPvRmT1_T2_T3_mmT4_T5_P12ihipStream_tbEUlRKsE_EEST_SX_SY_mSZ_S12_bEUlT_E_NS1_11comp_targetILNS1_3genE10ELNS1_11target_archE1200ELNS1_3gpuE4ELNS1_3repE0EEENS1_30default_config_static_selectorELNS0_4arch9wavefront6targetE0EEEvSW_
	.p2align	8
	.type	_ZN7rocprim17ROCPRIM_400000_NS6detail17trampoline_kernelINS0_14default_configENS1_27upper_bound_config_selectorIslEEZNS1_14transform_implILb0ES3_S5_N6thrust23THRUST_200600_302600_NS6detail15normal_iteratorINS8_7pointerIsNS8_11hip_rocprim5par_tENS8_11use_defaultESE_EEEENSA_INSB_IlSD_SE_SE_EEEEZNS1_13binary_searchIS3_S5_PsSG_SI_NS1_21upper_bound_search_opENS9_16wrapped_functionINS8_6system6detail7generic6detail18binary_search_lessEbEEEE10hipError_tPvRmT1_T2_T3_mmT4_T5_P12ihipStream_tbEUlRKsE_EEST_SX_SY_mSZ_S12_bEUlT_E_NS1_11comp_targetILNS1_3genE10ELNS1_11target_archE1200ELNS1_3gpuE4ELNS1_3repE0EEENS1_30default_config_static_selectorELNS0_4arch9wavefront6targetE0EEEvSW_,@function
_ZN7rocprim17ROCPRIM_400000_NS6detail17trampoline_kernelINS0_14default_configENS1_27upper_bound_config_selectorIslEEZNS1_14transform_implILb0ES3_S5_N6thrust23THRUST_200600_302600_NS6detail15normal_iteratorINS8_7pointerIsNS8_11hip_rocprim5par_tENS8_11use_defaultESE_EEEENSA_INSB_IlSD_SE_SE_EEEEZNS1_13binary_searchIS3_S5_PsSG_SI_NS1_21upper_bound_search_opENS9_16wrapped_functionINS8_6system6detail7generic6detail18binary_search_lessEbEEEE10hipError_tPvRmT1_T2_T3_mmT4_T5_P12ihipStream_tbEUlRKsE_EEST_SX_SY_mSZ_S12_bEUlT_E_NS1_11comp_targetILNS1_3genE10ELNS1_11target_archE1200ELNS1_3gpuE4ELNS1_3repE0EEENS1_30default_config_static_selectorELNS0_4arch9wavefront6targetE0EEEvSW_: ; @_ZN7rocprim17ROCPRIM_400000_NS6detail17trampoline_kernelINS0_14default_configENS1_27upper_bound_config_selectorIslEEZNS1_14transform_implILb0ES3_S5_N6thrust23THRUST_200600_302600_NS6detail15normal_iteratorINS8_7pointerIsNS8_11hip_rocprim5par_tENS8_11use_defaultESE_EEEENSA_INSB_IlSD_SE_SE_EEEEZNS1_13binary_searchIS3_S5_PsSG_SI_NS1_21upper_bound_search_opENS9_16wrapped_functionINS8_6system6detail7generic6detail18binary_search_lessEbEEEE10hipError_tPvRmT1_T2_T3_mmT4_T5_P12ihipStream_tbEUlRKsE_EEST_SX_SY_mSZ_S12_bEUlT_E_NS1_11comp_targetILNS1_3genE10ELNS1_11target_archE1200ELNS1_3gpuE4ELNS1_3repE0EEENS1_30default_config_static_selectorELNS0_4arch9wavefront6targetE0EEEvSW_
; %bb.0:
	.section	.rodata,"a",@progbits
	.p2align	6, 0x0
	.amdhsa_kernel _ZN7rocprim17ROCPRIM_400000_NS6detail17trampoline_kernelINS0_14default_configENS1_27upper_bound_config_selectorIslEEZNS1_14transform_implILb0ES3_S5_N6thrust23THRUST_200600_302600_NS6detail15normal_iteratorINS8_7pointerIsNS8_11hip_rocprim5par_tENS8_11use_defaultESE_EEEENSA_INSB_IlSD_SE_SE_EEEEZNS1_13binary_searchIS3_S5_PsSG_SI_NS1_21upper_bound_search_opENS9_16wrapped_functionINS8_6system6detail7generic6detail18binary_search_lessEbEEEE10hipError_tPvRmT1_T2_T3_mmT4_T5_P12ihipStream_tbEUlRKsE_EEST_SX_SY_mSZ_S12_bEUlT_E_NS1_11comp_targetILNS1_3genE10ELNS1_11target_archE1200ELNS1_3gpuE4ELNS1_3repE0EEENS1_30default_config_static_selectorELNS0_4arch9wavefront6targetE0EEEvSW_
		.amdhsa_group_segment_fixed_size 0
		.amdhsa_private_segment_fixed_size 0
		.amdhsa_kernarg_size 56
		.amdhsa_user_sgpr_count 6
		.amdhsa_user_sgpr_private_segment_buffer 1
		.amdhsa_user_sgpr_dispatch_ptr 0
		.amdhsa_user_sgpr_queue_ptr 0
		.amdhsa_user_sgpr_kernarg_segment_ptr 1
		.amdhsa_user_sgpr_dispatch_id 0
		.amdhsa_user_sgpr_flat_scratch_init 0
		.amdhsa_user_sgpr_private_segment_size 0
		.amdhsa_wavefront_size32 1
		.amdhsa_uses_dynamic_stack 0
		.amdhsa_system_sgpr_private_segment_wavefront_offset 0
		.amdhsa_system_sgpr_workgroup_id_x 1
		.amdhsa_system_sgpr_workgroup_id_y 0
		.amdhsa_system_sgpr_workgroup_id_z 0
		.amdhsa_system_sgpr_workgroup_info 0
		.amdhsa_system_vgpr_workitem_id 0
		.amdhsa_next_free_vgpr 1
		.amdhsa_next_free_sgpr 1
		.amdhsa_reserve_vcc 0
		.amdhsa_reserve_flat_scratch 0
		.amdhsa_float_round_mode_32 0
		.amdhsa_float_round_mode_16_64 0
		.amdhsa_float_denorm_mode_32 3
		.amdhsa_float_denorm_mode_16_64 3
		.amdhsa_dx10_clamp 1
		.amdhsa_ieee_mode 1
		.amdhsa_fp16_overflow 0
		.amdhsa_workgroup_processor_mode 1
		.amdhsa_memory_ordered 1
		.amdhsa_forward_progress 1
		.amdhsa_shared_vgpr_count 0
		.amdhsa_exception_fp_ieee_invalid_op 0
		.amdhsa_exception_fp_denorm_src 0
		.amdhsa_exception_fp_ieee_div_zero 0
		.amdhsa_exception_fp_ieee_overflow 0
		.amdhsa_exception_fp_ieee_underflow 0
		.amdhsa_exception_fp_ieee_inexact 0
		.amdhsa_exception_int_div_zero 0
	.end_amdhsa_kernel
	.section	.text._ZN7rocprim17ROCPRIM_400000_NS6detail17trampoline_kernelINS0_14default_configENS1_27upper_bound_config_selectorIslEEZNS1_14transform_implILb0ES3_S5_N6thrust23THRUST_200600_302600_NS6detail15normal_iteratorINS8_7pointerIsNS8_11hip_rocprim5par_tENS8_11use_defaultESE_EEEENSA_INSB_IlSD_SE_SE_EEEEZNS1_13binary_searchIS3_S5_PsSG_SI_NS1_21upper_bound_search_opENS9_16wrapped_functionINS8_6system6detail7generic6detail18binary_search_lessEbEEEE10hipError_tPvRmT1_T2_T3_mmT4_T5_P12ihipStream_tbEUlRKsE_EEST_SX_SY_mSZ_S12_bEUlT_E_NS1_11comp_targetILNS1_3genE10ELNS1_11target_archE1200ELNS1_3gpuE4ELNS1_3repE0EEENS1_30default_config_static_selectorELNS0_4arch9wavefront6targetE0EEEvSW_,"axG",@progbits,_ZN7rocprim17ROCPRIM_400000_NS6detail17trampoline_kernelINS0_14default_configENS1_27upper_bound_config_selectorIslEEZNS1_14transform_implILb0ES3_S5_N6thrust23THRUST_200600_302600_NS6detail15normal_iteratorINS8_7pointerIsNS8_11hip_rocprim5par_tENS8_11use_defaultESE_EEEENSA_INSB_IlSD_SE_SE_EEEEZNS1_13binary_searchIS3_S5_PsSG_SI_NS1_21upper_bound_search_opENS9_16wrapped_functionINS8_6system6detail7generic6detail18binary_search_lessEbEEEE10hipError_tPvRmT1_T2_T3_mmT4_T5_P12ihipStream_tbEUlRKsE_EEST_SX_SY_mSZ_S12_bEUlT_E_NS1_11comp_targetILNS1_3genE10ELNS1_11target_archE1200ELNS1_3gpuE4ELNS1_3repE0EEENS1_30default_config_static_selectorELNS0_4arch9wavefront6targetE0EEEvSW_,comdat
.Lfunc_end238:
	.size	_ZN7rocprim17ROCPRIM_400000_NS6detail17trampoline_kernelINS0_14default_configENS1_27upper_bound_config_selectorIslEEZNS1_14transform_implILb0ES3_S5_N6thrust23THRUST_200600_302600_NS6detail15normal_iteratorINS8_7pointerIsNS8_11hip_rocprim5par_tENS8_11use_defaultESE_EEEENSA_INSB_IlSD_SE_SE_EEEEZNS1_13binary_searchIS3_S5_PsSG_SI_NS1_21upper_bound_search_opENS9_16wrapped_functionINS8_6system6detail7generic6detail18binary_search_lessEbEEEE10hipError_tPvRmT1_T2_T3_mmT4_T5_P12ihipStream_tbEUlRKsE_EEST_SX_SY_mSZ_S12_bEUlT_E_NS1_11comp_targetILNS1_3genE10ELNS1_11target_archE1200ELNS1_3gpuE4ELNS1_3repE0EEENS1_30default_config_static_selectorELNS0_4arch9wavefront6targetE0EEEvSW_, .Lfunc_end238-_ZN7rocprim17ROCPRIM_400000_NS6detail17trampoline_kernelINS0_14default_configENS1_27upper_bound_config_selectorIslEEZNS1_14transform_implILb0ES3_S5_N6thrust23THRUST_200600_302600_NS6detail15normal_iteratorINS8_7pointerIsNS8_11hip_rocprim5par_tENS8_11use_defaultESE_EEEENSA_INSB_IlSD_SE_SE_EEEEZNS1_13binary_searchIS3_S5_PsSG_SI_NS1_21upper_bound_search_opENS9_16wrapped_functionINS8_6system6detail7generic6detail18binary_search_lessEbEEEE10hipError_tPvRmT1_T2_T3_mmT4_T5_P12ihipStream_tbEUlRKsE_EEST_SX_SY_mSZ_S12_bEUlT_E_NS1_11comp_targetILNS1_3genE10ELNS1_11target_archE1200ELNS1_3gpuE4ELNS1_3repE0EEENS1_30default_config_static_selectorELNS0_4arch9wavefront6targetE0EEEvSW_
                                        ; -- End function
	.set _ZN7rocprim17ROCPRIM_400000_NS6detail17trampoline_kernelINS0_14default_configENS1_27upper_bound_config_selectorIslEEZNS1_14transform_implILb0ES3_S5_N6thrust23THRUST_200600_302600_NS6detail15normal_iteratorINS8_7pointerIsNS8_11hip_rocprim5par_tENS8_11use_defaultESE_EEEENSA_INSB_IlSD_SE_SE_EEEEZNS1_13binary_searchIS3_S5_PsSG_SI_NS1_21upper_bound_search_opENS9_16wrapped_functionINS8_6system6detail7generic6detail18binary_search_lessEbEEEE10hipError_tPvRmT1_T2_T3_mmT4_T5_P12ihipStream_tbEUlRKsE_EEST_SX_SY_mSZ_S12_bEUlT_E_NS1_11comp_targetILNS1_3genE10ELNS1_11target_archE1200ELNS1_3gpuE4ELNS1_3repE0EEENS1_30default_config_static_selectorELNS0_4arch9wavefront6targetE0EEEvSW_.num_vgpr, 0
	.set _ZN7rocprim17ROCPRIM_400000_NS6detail17trampoline_kernelINS0_14default_configENS1_27upper_bound_config_selectorIslEEZNS1_14transform_implILb0ES3_S5_N6thrust23THRUST_200600_302600_NS6detail15normal_iteratorINS8_7pointerIsNS8_11hip_rocprim5par_tENS8_11use_defaultESE_EEEENSA_INSB_IlSD_SE_SE_EEEEZNS1_13binary_searchIS3_S5_PsSG_SI_NS1_21upper_bound_search_opENS9_16wrapped_functionINS8_6system6detail7generic6detail18binary_search_lessEbEEEE10hipError_tPvRmT1_T2_T3_mmT4_T5_P12ihipStream_tbEUlRKsE_EEST_SX_SY_mSZ_S12_bEUlT_E_NS1_11comp_targetILNS1_3genE10ELNS1_11target_archE1200ELNS1_3gpuE4ELNS1_3repE0EEENS1_30default_config_static_selectorELNS0_4arch9wavefront6targetE0EEEvSW_.num_agpr, 0
	.set _ZN7rocprim17ROCPRIM_400000_NS6detail17trampoline_kernelINS0_14default_configENS1_27upper_bound_config_selectorIslEEZNS1_14transform_implILb0ES3_S5_N6thrust23THRUST_200600_302600_NS6detail15normal_iteratorINS8_7pointerIsNS8_11hip_rocprim5par_tENS8_11use_defaultESE_EEEENSA_INSB_IlSD_SE_SE_EEEEZNS1_13binary_searchIS3_S5_PsSG_SI_NS1_21upper_bound_search_opENS9_16wrapped_functionINS8_6system6detail7generic6detail18binary_search_lessEbEEEE10hipError_tPvRmT1_T2_T3_mmT4_T5_P12ihipStream_tbEUlRKsE_EEST_SX_SY_mSZ_S12_bEUlT_E_NS1_11comp_targetILNS1_3genE10ELNS1_11target_archE1200ELNS1_3gpuE4ELNS1_3repE0EEENS1_30default_config_static_selectorELNS0_4arch9wavefront6targetE0EEEvSW_.numbered_sgpr, 0
	.set _ZN7rocprim17ROCPRIM_400000_NS6detail17trampoline_kernelINS0_14default_configENS1_27upper_bound_config_selectorIslEEZNS1_14transform_implILb0ES3_S5_N6thrust23THRUST_200600_302600_NS6detail15normal_iteratorINS8_7pointerIsNS8_11hip_rocprim5par_tENS8_11use_defaultESE_EEEENSA_INSB_IlSD_SE_SE_EEEEZNS1_13binary_searchIS3_S5_PsSG_SI_NS1_21upper_bound_search_opENS9_16wrapped_functionINS8_6system6detail7generic6detail18binary_search_lessEbEEEE10hipError_tPvRmT1_T2_T3_mmT4_T5_P12ihipStream_tbEUlRKsE_EEST_SX_SY_mSZ_S12_bEUlT_E_NS1_11comp_targetILNS1_3genE10ELNS1_11target_archE1200ELNS1_3gpuE4ELNS1_3repE0EEENS1_30default_config_static_selectorELNS0_4arch9wavefront6targetE0EEEvSW_.num_named_barrier, 0
	.set _ZN7rocprim17ROCPRIM_400000_NS6detail17trampoline_kernelINS0_14default_configENS1_27upper_bound_config_selectorIslEEZNS1_14transform_implILb0ES3_S5_N6thrust23THRUST_200600_302600_NS6detail15normal_iteratorINS8_7pointerIsNS8_11hip_rocprim5par_tENS8_11use_defaultESE_EEEENSA_INSB_IlSD_SE_SE_EEEEZNS1_13binary_searchIS3_S5_PsSG_SI_NS1_21upper_bound_search_opENS9_16wrapped_functionINS8_6system6detail7generic6detail18binary_search_lessEbEEEE10hipError_tPvRmT1_T2_T3_mmT4_T5_P12ihipStream_tbEUlRKsE_EEST_SX_SY_mSZ_S12_bEUlT_E_NS1_11comp_targetILNS1_3genE10ELNS1_11target_archE1200ELNS1_3gpuE4ELNS1_3repE0EEENS1_30default_config_static_selectorELNS0_4arch9wavefront6targetE0EEEvSW_.private_seg_size, 0
	.set _ZN7rocprim17ROCPRIM_400000_NS6detail17trampoline_kernelINS0_14default_configENS1_27upper_bound_config_selectorIslEEZNS1_14transform_implILb0ES3_S5_N6thrust23THRUST_200600_302600_NS6detail15normal_iteratorINS8_7pointerIsNS8_11hip_rocprim5par_tENS8_11use_defaultESE_EEEENSA_INSB_IlSD_SE_SE_EEEEZNS1_13binary_searchIS3_S5_PsSG_SI_NS1_21upper_bound_search_opENS9_16wrapped_functionINS8_6system6detail7generic6detail18binary_search_lessEbEEEE10hipError_tPvRmT1_T2_T3_mmT4_T5_P12ihipStream_tbEUlRKsE_EEST_SX_SY_mSZ_S12_bEUlT_E_NS1_11comp_targetILNS1_3genE10ELNS1_11target_archE1200ELNS1_3gpuE4ELNS1_3repE0EEENS1_30default_config_static_selectorELNS0_4arch9wavefront6targetE0EEEvSW_.uses_vcc, 0
	.set _ZN7rocprim17ROCPRIM_400000_NS6detail17trampoline_kernelINS0_14default_configENS1_27upper_bound_config_selectorIslEEZNS1_14transform_implILb0ES3_S5_N6thrust23THRUST_200600_302600_NS6detail15normal_iteratorINS8_7pointerIsNS8_11hip_rocprim5par_tENS8_11use_defaultESE_EEEENSA_INSB_IlSD_SE_SE_EEEEZNS1_13binary_searchIS3_S5_PsSG_SI_NS1_21upper_bound_search_opENS9_16wrapped_functionINS8_6system6detail7generic6detail18binary_search_lessEbEEEE10hipError_tPvRmT1_T2_T3_mmT4_T5_P12ihipStream_tbEUlRKsE_EEST_SX_SY_mSZ_S12_bEUlT_E_NS1_11comp_targetILNS1_3genE10ELNS1_11target_archE1200ELNS1_3gpuE4ELNS1_3repE0EEENS1_30default_config_static_selectorELNS0_4arch9wavefront6targetE0EEEvSW_.uses_flat_scratch, 0
	.set _ZN7rocprim17ROCPRIM_400000_NS6detail17trampoline_kernelINS0_14default_configENS1_27upper_bound_config_selectorIslEEZNS1_14transform_implILb0ES3_S5_N6thrust23THRUST_200600_302600_NS6detail15normal_iteratorINS8_7pointerIsNS8_11hip_rocprim5par_tENS8_11use_defaultESE_EEEENSA_INSB_IlSD_SE_SE_EEEEZNS1_13binary_searchIS3_S5_PsSG_SI_NS1_21upper_bound_search_opENS9_16wrapped_functionINS8_6system6detail7generic6detail18binary_search_lessEbEEEE10hipError_tPvRmT1_T2_T3_mmT4_T5_P12ihipStream_tbEUlRKsE_EEST_SX_SY_mSZ_S12_bEUlT_E_NS1_11comp_targetILNS1_3genE10ELNS1_11target_archE1200ELNS1_3gpuE4ELNS1_3repE0EEENS1_30default_config_static_selectorELNS0_4arch9wavefront6targetE0EEEvSW_.has_dyn_sized_stack, 0
	.set _ZN7rocprim17ROCPRIM_400000_NS6detail17trampoline_kernelINS0_14default_configENS1_27upper_bound_config_selectorIslEEZNS1_14transform_implILb0ES3_S5_N6thrust23THRUST_200600_302600_NS6detail15normal_iteratorINS8_7pointerIsNS8_11hip_rocprim5par_tENS8_11use_defaultESE_EEEENSA_INSB_IlSD_SE_SE_EEEEZNS1_13binary_searchIS3_S5_PsSG_SI_NS1_21upper_bound_search_opENS9_16wrapped_functionINS8_6system6detail7generic6detail18binary_search_lessEbEEEE10hipError_tPvRmT1_T2_T3_mmT4_T5_P12ihipStream_tbEUlRKsE_EEST_SX_SY_mSZ_S12_bEUlT_E_NS1_11comp_targetILNS1_3genE10ELNS1_11target_archE1200ELNS1_3gpuE4ELNS1_3repE0EEENS1_30default_config_static_selectorELNS0_4arch9wavefront6targetE0EEEvSW_.has_recursion, 0
	.set _ZN7rocprim17ROCPRIM_400000_NS6detail17trampoline_kernelINS0_14default_configENS1_27upper_bound_config_selectorIslEEZNS1_14transform_implILb0ES3_S5_N6thrust23THRUST_200600_302600_NS6detail15normal_iteratorINS8_7pointerIsNS8_11hip_rocprim5par_tENS8_11use_defaultESE_EEEENSA_INSB_IlSD_SE_SE_EEEEZNS1_13binary_searchIS3_S5_PsSG_SI_NS1_21upper_bound_search_opENS9_16wrapped_functionINS8_6system6detail7generic6detail18binary_search_lessEbEEEE10hipError_tPvRmT1_T2_T3_mmT4_T5_P12ihipStream_tbEUlRKsE_EEST_SX_SY_mSZ_S12_bEUlT_E_NS1_11comp_targetILNS1_3genE10ELNS1_11target_archE1200ELNS1_3gpuE4ELNS1_3repE0EEENS1_30default_config_static_selectorELNS0_4arch9wavefront6targetE0EEEvSW_.has_indirect_call, 0
	.section	.AMDGPU.csdata,"",@progbits
; Kernel info:
; codeLenInByte = 0
; TotalNumSgprs: 0
; NumVgprs: 0
; ScratchSize: 0
; MemoryBound: 0
; FloatMode: 240
; IeeeMode: 1
; LDSByteSize: 0 bytes/workgroup (compile time only)
; SGPRBlocks: 0
; VGPRBlocks: 0
; NumSGPRsForWavesPerEU: 1
; NumVGPRsForWavesPerEU: 1
; Occupancy: 16
; WaveLimiterHint : 0
; COMPUTE_PGM_RSRC2:SCRATCH_EN: 0
; COMPUTE_PGM_RSRC2:USER_SGPR: 6
; COMPUTE_PGM_RSRC2:TRAP_HANDLER: 0
; COMPUTE_PGM_RSRC2:TGID_X_EN: 1
; COMPUTE_PGM_RSRC2:TGID_Y_EN: 0
; COMPUTE_PGM_RSRC2:TGID_Z_EN: 0
; COMPUTE_PGM_RSRC2:TIDIG_COMP_CNT: 0
	.section	.text._ZN7rocprim17ROCPRIM_400000_NS6detail17trampoline_kernelINS0_14default_configENS1_27upper_bound_config_selectorIslEEZNS1_14transform_implILb0ES3_S5_N6thrust23THRUST_200600_302600_NS6detail15normal_iteratorINS8_7pointerIsNS8_11hip_rocprim5par_tENS8_11use_defaultESE_EEEENSA_INSB_IlSD_SE_SE_EEEEZNS1_13binary_searchIS3_S5_PsSG_SI_NS1_21upper_bound_search_opENS9_16wrapped_functionINS8_6system6detail7generic6detail18binary_search_lessEbEEEE10hipError_tPvRmT1_T2_T3_mmT4_T5_P12ihipStream_tbEUlRKsE_EEST_SX_SY_mSZ_S12_bEUlT_E_NS1_11comp_targetILNS1_3genE9ELNS1_11target_archE1100ELNS1_3gpuE3ELNS1_3repE0EEENS1_30default_config_static_selectorELNS0_4arch9wavefront6targetE0EEEvSW_,"axG",@progbits,_ZN7rocprim17ROCPRIM_400000_NS6detail17trampoline_kernelINS0_14default_configENS1_27upper_bound_config_selectorIslEEZNS1_14transform_implILb0ES3_S5_N6thrust23THRUST_200600_302600_NS6detail15normal_iteratorINS8_7pointerIsNS8_11hip_rocprim5par_tENS8_11use_defaultESE_EEEENSA_INSB_IlSD_SE_SE_EEEEZNS1_13binary_searchIS3_S5_PsSG_SI_NS1_21upper_bound_search_opENS9_16wrapped_functionINS8_6system6detail7generic6detail18binary_search_lessEbEEEE10hipError_tPvRmT1_T2_T3_mmT4_T5_P12ihipStream_tbEUlRKsE_EEST_SX_SY_mSZ_S12_bEUlT_E_NS1_11comp_targetILNS1_3genE9ELNS1_11target_archE1100ELNS1_3gpuE3ELNS1_3repE0EEENS1_30default_config_static_selectorELNS0_4arch9wavefront6targetE0EEEvSW_,comdat
	.protected	_ZN7rocprim17ROCPRIM_400000_NS6detail17trampoline_kernelINS0_14default_configENS1_27upper_bound_config_selectorIslEEZNS1_14transform_implILb0ES3_S5_N6thrust23THRUST_200600_302600_NS6detail15normal_iteratorINS8_7pointerIsNS8_11hip_rocprim5par_tENS8_11use_defaultESE_EEEENSA_INSB_IlSD_SE_SE_EEEEZNS1_13binary_searchIS3_S5_PsSG_SI_NS1_21upper_bound_search_opENS9_16wrapped_functionINS8_6system6detail7generic6detail18binary_search_lessEbEEEE10hipError_tPvRmT1_T2_T3_mmT4_T5_P12ihipStream_tbEUlRKsE_EEST_SX_SY_mSZ_S12_bEUlT_E_NS1_11comp_targetILNS1_3genE9ELNS1_11target_archE1100ELNS1_3gpuE3ELNS1_3repE0EEENS1_30default_config_static_selectorELNS0_4arch9wavefront6targetE0EEEvSW_ ; -- Begin function _ZN7rocprim17ROCPRIM_400000_NS6detail17trampoline_kernelINS0_14default_configENS1_27upper_bound_config_selectorIslEEZNS1_14transform_implILb0ES3_S5_N6thrust23THRUST_200600_302600_NS6detail15normal_iteratorINS8_7pointerIsNS8_11hip_rocprim5par_tENS8_11use_defaultESE_EEEENSA_INSB_IlSD_SE_SE_EEEEZNS1_13binary_searchIS3_S5_PsSG_SI_NS1_21upper_bound_search_opENS9_16wrapped_functionINS8_6system6detail7generic6detail18binary_search_lessEbEEEE10hipError_tPvRmT1_T2_T3_mmT4_T5_P12ihipStream_tbEUlRKsE_EEST_SX_SY_mSZ_S12_bEUlT_E_NS1_11comp_targetILNS1_3genE9ELNS1_11target_archE1100ELNS1_3gpuE3ELNS1_3repE0EEENS1_30default_config_static_selectorELNS0_4arch9wavefront6targetE0EEEvSW_
	.globl	_ZN7rocprim17ROCPRIM_400000_NS6detail17trampoline_kernelINS0_14default_configENS1_27upper_bound_config_selectorIslEEZNS1_14transform_implILb0ES3_S5_N6thrust23THRUST_200600_302600_NS6detail15normal_iteratorINS8_7pointerIsNS8_11hip_rocprim5par_tENS8_11use_defaultESE_EEEENSA_INSB_IlSD_SE_SE_EEEEZNS1_13binary_searchIS3_S5_PsSG_SI_NS1_21upper_bound_search_opENS9_16wrapped_functionINS8_6system6detail7generic6detail18binary_search_lessEbEEEE10hipError_tPvRmT1_T2_T3_mmT4_T5_P12ihipStream_tbEUlRKsE_EEST_SX_SY_mSZ_S12_bEUlT_E_NS1_11comp_targetILNS1_3genE9ELNS1_11target_archE1100ELNS1_3gpuE3ELNS1_3repE0EEENS1_30default_config_static_selectorELNS0_4arch9wavefront6targetE0EEEvSW_
	.p2align	8
	.type	_ZN7rocprim17ROCPRIM_400000_NS6detail17trampoline_kernelINS0_14default_configENS1_27upper_bound_config_selectorIslEEZNS1_14transform_implILb0ES3_S5_N6thrust23THRUST_200600_302600_NS6detail15normal_iteratorINS8_7pointerIsNS8_11hip_rocprim5par_tENS8_11use_defaultESE_EEEENSA_INSB_IlSD_SE_SE_EEEEZNS1_13binary_searchIS3_S5_PsSG_SI_NS1_21upper_bound_search_opENS9_16wrapped_functionINS8_6system6detail7generic6detail18binary_search_lessEbEEEE10hipError_tPvRmT1_T2_T3_mmT4_T5_P12ihipStream_tbEUlRKsE_EEST_SX_SY_mSZ_S12_bEUlT_E_NS1_11comp_targetILNS1_3genE9ELNS1_11target_archE1100ELNS1_3gpuE3ELNS1_3repE0EEENS1_30default_config_static_selectorELNS0_4arch9wavefront6targetE0EEEvSW_,@function
_ZN7rocprim17ROCPRIM_400000_NS6detail17trampoline_kernelINS0_14default_configENS1_27upper_bound_config_selectorIslEEZNS1_14transform_implILb0ES3_S5_N6thrust23THRUST_200600_302600_NS6detail15normal_iteratorINS8_7pointerIsNS8_11hip_rocprim5par_tENS8_11use_defaultESE_EEEENSA_INSB_IlSD_SE_SE_EEEEZNS1_13binary_searchIS3_S5_PsSG_SI_NS1_21upper_bound_search_opENS9_16wrapped_functionINS8_6system6detail7generic6detail18binary_search_lessEbEEEE10hipError_tPvRmT1_T2_T3_mmT4_T5_P12ihipStream_tbEUlRKsE_EEST_SX_SY_mSZ_S12_bEUlT_E_NS1_11comp_targetILNS1_3genE9ELNS1_11target_archE1100ELNS1_3gpuE3ELNS1_3repE0EEENS1_30default_config_static_selectorELNS0_4arch9wavefront6targetE0EEEvSW_: ; @_ZN7rocprim17ROCPRIM_400000_NS6detail17trampoline_kernelINS0_14default_configENS1_27upper_bound_config_selectorIslEEZNS1_14transform_implILb0ES3_S5_N6thrust23THRUST_200600_302600_NS6detail15normal_iteratorINS8_7pointerIsNS8_11hip_rocprim5par_tENS8_11use_defaultESE_EEEENSA_INSB_IlSD_SE_SE_EEEEZNS1_13binary_searchIS3_S5_PsSG_SI_NS1_21upper_bound_search_opENS9_16wrapped_functionINS8_6system6detail7generic6detail18binary_search_lessEbEEEE10hipError_tPvRmT1_T2_T3_mmT4_T5_P12ihipStream_tbEUlRKsE_EEST_SX_SY_mSZ_S12_bEUlT_E_NS1_11comp_targetILNS1_3genE9ELNS1_11target_archE1100ELNS1_3gpuE3ELNS1_3repE0EEENS1_30default_config_static_selectorELNS0_4arch9wavefront6targetE0EEEvSW_
; %bb.0:
	.section	.rodata,"a",@progbits
	.p2align	6, 0x0
	.amdhsa_kernel _ZN7rocprim17ROCPRIM_400000_NS6detail17trampoline_kernelINS0_14default_configENS1_27upper_bound_config_selectorIslEEZNS1_14transform_implILb0ES3_S5_N6thrust23THRUST_200600_302600_NS6detail15normal_iteratorINS8_7pointerIsNS8_11hip_rocprim5par_tENS8_11use_defaultESE_EEEENSA_INSB_IlSD_SE_SE_EEEEZNS1_13binary_searchIS3_S5_PsSG_SI_NS1_21upper_bound_search_opENS9_16wrapped_functionINS8_6system6detail7generic6detail18binary_search_lessEbEEEE10hipError_tPvRmT1_T2_T3_mmT4_T5_P12ihipStream_tbEUlRKsE_EEST_SX_SY_mSZ_S12_bEUlT_E_NS1_11comp_targetILNS1_3genE9ELNS1_11target_archE1100ELNS1_3gpuE3ELNS1_3repE0EEENS1_30default_config_static_selectorELNS0_4arch9wavefront6targetE0EEEvSW_
		.amdhsa_group_segment_fixed_size 0
		.amdhsa_private_segment_fixed_size 0
		.amdhsa_kernarg_size 56
		.amdhsa_user_sgpr_count 6
		.amdhsa_user_sgpr_private_segment_buffer 1
		.amdhsa_user_sgpr_dispatch_ptr 0
		.amdhsa_user_sgpr_queue_ptr 0
		.amdhsa_user_sgpr_kernarg_segment_ptr 1
		.amdhsa_user_sgpr_dispatch_id 0
		.amdhsa_user_sgpr_flat_scratch_init 0
		.amdhsa_user_sgpr_private_segment_size 0
		.amdhsa_wavefront_size32 1
		.amdhsa_uses_dynamic_stack 0
		.amdhsa_system_sgpr_private_segment_wavefront_offset 0
		.amdhsa_system_sgpr_workgroup_id_x 1
		.amdhsa_system_sgpr_workgroup_id_y 0
		.amdhsa_system_sgpr_workgroup_id_z 0
		.amdhsa_system_sgpr_workgroup_info 0
		.amdhsa_system_vgpr_workitem_id 0
		.amdhsa_next_free_vgpr 1
		.amdhsa_next_free_sgpr 1
		.amdhsa_reserve_vcc 0
		.amdhsa_reserve_flat_scratch 0
		.amdhsa_float_round_mode_32 0
		.amdhsa_float_round_mode_16_64 0
		.amdhsa_float_denorm_mode_32 3
		.amdhsa_float_denorm_mode_16_64 3
		.amdhsa_dx10_clamp 1
		.amdhsa_ieee_mode 1
		.amdhsa_fp16_overflow 0
		.amdhsa_workgroup_processor_mode 1
		.amdhsa_memory_ordered 1
		.amdhsa_forward_progress 1
		.amdhsa_shared_vgpr_count 0
		.amdhsa_exception_fp_ieee_invalid_op 0
		.amdhsa_exception_fp_denorm_src 0
		.amdhsa_exception_fp_ieee_div_zero 0
		.amdhsa_exception_fp_ieee_overflow 0
		.amdhsa_exception_fp_ieee_underflow 0
		.amdhsa_exception_fp_ieee_inexact 0
		.amdhsa_exception_int_div_zero 0
	.end_amdhsa_kernel
	.section	.text._ZN7rocprim17ROCPRIM_400000_NS6detail17trampoline_kernelINS0_14default_configENS1_27upper_bound_config_selectorIslEEZNS1_14transform_implILb0ES3_S5_N6thrust23THRUST_200600_302600_NS6detail15normal_iteratorINS8_7pointerIsNS8_11hip_rocprim5par_tENS8_11use_defaultESE_EEEENSA_INSB_IlSD_SE_SE_EEEEZNS1_13binary_searchIS3_S5_PsSG_SI_NS1_21upper_bound_search_opENS9_16wrapped_functionINS8_6system6detail7generic6detail18binary_search_lessEbEEEE10hipError_tPvRmT1_T2_T3_mmT4_T5_P12ihipStream_tbEUlRKsE_EEST_SX_SY_mSZ_S12_bEUlT_E_NS1_11comp_targetILNS1_3genE9ELNS1_11target_archE1100ELNS1_3gpuE3ELNS1_3repE0EEENS1_30default_config_static_selectorELNS0_4arch9wavefront6targetE0EEEvSW_,"axG",@progbits,_ZN7rocprim17ROCPRIM_400000_NS6detail17trampoline_kernelINS0_14default_configENS1_27upper_bound_config_selectorIslEEZNS1_14transform_implILb0ES3_S5_N6thrust23THRUST_200600_302600_NS6detail15normal_iteratorINS8_7pointerIsNS8_11hip_rocprim5par_tENS8_11use_defaultESE_EEEENSA_INSB_IlSD_SE_SE_EEEEZNS1_13binary_searchIS3_S5_PsSG_SI_NS1_21upper_bound_search_opENS9_16wrapped_functionINS8_6system6detail7generic6detail18binary_search_lessEbEEEE10hipError_tPvRmT1_T2_T3_mmT4_T5_P12ihipStream_tbEUlRKsE_EEST_SX_SY_mSZ_S12_bEUlT_E_NS1_11comp_targetILNS1_3genE9ELNS1_11target_archE1100ELNS1_3gpuE3ELNS1_3repE0EEENS1_30default_config_static_selectorELNS0_4arch9wavefront6targetE0EEEvSW_,comdat
.Lfunc_end239:
	.size	_ZN7rocprim17ROCPRIM_400000_NS6detail17trampoline_kernelINS0_14default_configENS1_27upper_bound_config_selectorIslEEZNS1_14transform_implILb0ES3_S5_N6thrust23THRUST_200600_302600_NS6detail15normal_iteratorINS8_7pointerIsNS8_11hip_rocprim5par_tENS8_11use_defaultESE_EEEENSA_INSB_IlSD_SE_SE_EEEEZNS1_13binary_searchIS3_S5_PsSG_SI_NS1_21upper_bound_search_opENS9_16wrapped_functionINS8_6system6detail7generic6detail18binary_search_lessEbEEEE10hipError_tPvRmT1_T2_T3_mmT4_T5_P12ihipStream_tbEUlRKsE_EEST_SX_SY_mSZ_S12_bEUlT_E_NS1_11comp_targetILNS1_3genE9ELNS1_11target_archE1100ELNS1_3gpuE3ELNS1_3repE0EEENS1_30default_config_static_selectorELNS0_4arch9wavefront6targetE0EEEvSW_, .Lfunc_end239-_ZN7rocprim17ROCPRIM_400000_NS6detail17trampoline_kernelINS0_14default_configENS1_27upper_bound_config_selectorIslEEZNS1_14transform_implILb0ES3_S5_N6thrust23THRUST_200600_302600_NS6detail15normal_iteratorINS8_7pointerIsNS8_11hip_rocprim5par_tENS8_11use_defaultESE_EEEENSA_INSB_IlSD_SE_SE_EEEEZNS1_13binary_searchIS3_S5_PsSG_SI_NS1_21upper_bound_search_opENS9_16wrapped_functionINS8_6system6detail7generic6detail18binary_search_lessEbEEEE10hipError_tPvRmT1_T2_T3_mmT4_T5_P12ihipStream_tbEUlRKsE_EEST_SX_SY_mSZ_S12_bEUlT_E_NS1_11comp_targetILNS1_3genE9ELNS1_11target_archE1100ELNS1_3gpuE3ELNS1_3repE0EEENS1_30default_config_static_selectorELNS0_4arch9wavefront6targetE0EEEvSW_
                                        ; -- End function
	.set _ZN7rocprim17ROCPRIM_400000_NS6detail17trampoline_kernelINS0_14default_configENS1_27upper_bound_config_selectorIslEEZNS1_14transform_implILb0ES3_S5_N6thrust23THRUST_200600_302600_NS6detail15normal_iteratorINS8_7pointerIsNS8_11hip_rocprim5par_tENS8_11use_defaultESE_EEEENSA_INSB_IlSD_SE_SE_EEEEZNS1_13binary_searchIS3_S5_PsSG_SI_NS1_21upper_bound_search_opENS9_16wrapped_functionINS8_6system6detail7generic6detail18binary_search_lessEbEEEE10hipError_tPvRmT1_T2_T3_mmT4_T5_P12ihipStream_tbEUlRKsE_EEST_SX_SY_mSZ_S12_bEUlT_E_NS1_11comp_targetILNS1_3genE9ELNS1_11target_archE1100ELNS1_3gpuE3ELNS1_3repE0EEENS1_30default_config_static_selectorELNS0_4arch9wavefront6targetE0EEEvSW_.num_vgpr, 0
	.set _ZN7rocprim17ROCPRIM_400000_NS6detail17trampoline_kernelINS0_14default_configENS1_27upper_bound_config_selectorIslEEZNS1_14transform_implILb0ES3_S5_N6thrust23THRUST_200600_302600_NS6detail15normal_iteratorINS8_7pointerIsNS8_11hip_rocprim5par_tENS8_11use_defaultESE_EEEENSA_INSB_IlSD_SE_SE_EEEEZNS1_13binary_searchIS3_S5_PsSG_SI_NS1_21upper_bound_search_opENS9_16wrapped_functionINS8_6system6detail7generic6detail18binary_search_lessEbEEEE10hipError_tPvRmT1_T2_T3_mmT4_T5_P12ihipStream_tbEUlRKsE_EEST_SX_SY_mSZ_S12_bEUlT_E_NS1_11comp_targetILNS1_3genE9ELNS1_11target_archE1100ELNS1_3gpuE3ELNS1_3repE0EEENS1_30default_config_static_selectorELNS0_4arch9wavefront6targetE0EEEvSW_.num_agpr, 0
	.set _ZN7rocprim17ROCPRIM_400000_NS6detail17trampoline_kernelINS0_14default_configENS1_27upper_bound_config_selectorIslEEZNS1_14transform_implILb0ES3_S5_N6thrust23THRUST_200600_302600_NS6detail15normal_iteratorINS8_7pointerIsNS8_11hip_rocprim5par_tENS8_11use_defaultESE_EEEENSA_INSB_IlSD_SE_SE_EEEEZNS1_13binary_searchIS3_S5_PsSG_SI_NS1_21upper_bound_search_opENS9_16wrapped_functionINS8_6system6detail7generic6detail18binary_search_lessEbEEEE10hipError_tPvRmT1_T2_T3_mmT4_T5_P12ihipStream_tbEUlRKsE_EEST_SX_SY_mSZ_S12_bEUlT_E_NS1_11comp_targetILNS1_3genE9ELNS1_11target_archE1100ELNS1_3gpuE3ELNS1_3repE0EEENS1_30default_config_static_selectorELNS0_4arch9wavefront6targetE0EEEvSW_.numbered_sgpr, 0
	.set _ZN7rocprim17ROCPRIM_400000_NS6detail17trampoline_kernelINS0_14default_configENS1_27upper_bound_config_selectorIslEEZNS1_14transform_implILb0ES3_S5_N6thrust23THRUST_200600_302600_NS6detail15normal_iteratorINS8_7pointerIsNS8_11hip_rocprim5par_tENS8_11use_defaultESE_EEEENSA_INSB_IlSD_SE_SE_EEEEZNS1_13binary_searchIS3_S5_PsSG_SI_NS1_21upper_bound_search_opENS9_16wrapped_functionINS8_6system6detail7generic6detail18binary_search_lessEbEEEE10hipError_tPvRmT1_T2_T3_mmT4_T5_P12ihipStream_tbEUlRKsE_EEST_SX_SY_mSZ_S12_bEUlT_E_NS1_11comp_targetILNS1_3genE9ELNS1_11target_archE1100ELNS1_3gpuE3ELNS1_3repE0EEENS1_30default_config_static_selectorELNS0_4arch9wavefront6targetE0EEEvSW_.num_named_barrier, 0
	.set _ZN7rocprim17ROCPRIM_400000_NS6detail17trampoline_kernelINS0_14default_configENS1_27upper_bound_config_selectorIslEEZNS1_14transform_implILb0ES3_S5_N6thrust23THRUST_200600_302600_NS6detail15normal_iteratorINS8_7pointerIsNS8_11hip_rocprim5par_tENS8_11use_defaultESE_EEEENSA_INSB_IlSD_SE_SE_EEEEZNS1_13binary_searchIS3_S5_PsSG_SI_NS1_21upper_bound_search_opENS9_16wrapped_functionINS8_6system6detail7generic6detail18binary_search_lessEbEEEE10hipError_tPvRmT1_T2_T3_mmT4_T5_P12ihipStream_tbEUlRKsE_EEST_SX_SY_mSZ_S12_bEUlT_E_NS1_11comp_targetILNS1_3genE9ELNS1_11target_archE1100ELNS1_3gpuE3ELNS1_3repE0EEENS1_30default_config_static_selectorELNS0_4arch9wavefront6targetE0EEEvSW_.private_seg_size, 0
	.set _ZN7rocprim17ROCPRIM_400000_NS6detail17trampoline_kernelINS0_14default_configENS1_27upper_bound_config_selectorIslEEZNS1_14transform_implILb0ES3_S5_N6thrust23THRUST_200600_302600_NS6detail15normal_iteratorINS8_7pointerIsNS8_11hip_rocprim5par_tENS8_11use_defaultESE_EEEENSA_INSB_IlSD_SE_SE_EEEEZNS1_13binary_searchIS3_S5_PsSG_SI_NS1_21upper_bound_search_opENS9_16wrapped_functionINS8_6system6detail7generic6detail18binary_search_lessEbEEEE10hipError_tPvRmT1_T2_T3_mmT4_T5_P12ihipStream_tbEUlRKsE_EEST_SX_SY_mSZ_S12_bEUlT_E_NS1_11comp_targetILNS1_3genE9ELNS1_11target_archE1100ELNS1_3gpuE3ELNS1_3repE0EEENS1_30default_config_static_selectorELNS0_4arch9wavefront6targetE0EEEvSW_.uses_vcc, 0
	.set _ZN7rocprim17ROCPRIM_400000_NS6detail17trampoline_kernelINS0_14default_configENS1_27upper_bound_config_selectorIslEEZNS1_14transform_implILb0ES3_S5_N6thrust23THRUST_200600_302600_NS6detail15normal_iteratorINS8_7pointerIsNS8_11hip_rocprim5par_tENS8_11use_defaultESE_EEEENSA_INSB_IlSD_SE_SE_EEEEZNS1_13binary_searchIS3_S5_PsSG_SI_NS1_21upper_bound_search_opENS9_16wrapped_functionINS8_6system6detail7generic6detail18binary_search_lessEbEEEE10hipError_tPvRmT1_T2_T3_mmT4_T5_P12ihipStream_tbEUlRKsE_EEST_SX_SY_mSZ_S12_bEUlT_E_NS1_11comp_targetILNS1_3genE9ELNS1_11target_archE1100ELNS1_3gpuE3ELNS1_3repE0EEENS1_30default_config_static_selectorELNS0_4arch9wavefront6targetE0EEEvSW_.uses_flat_scratch, 0
	.set _ZN7rocprim17ROCPRIM_400000_NS6detail17trampoline_kernelINS0_14default_configENS1_27upper_bound_config_selectorIslEEZNS1_14transform_implILb0ES3_S5_N6thrust23THRUST_200600_302600_NS6detail15normal_iteratorINS8_7pointerIsNS8_11hip_rocprim5par_tENS8_11use_defaultESE_EEEENSA_INSB_IlSD_SE_SE_EEEEZNS1_13binary_searchIS3_S5_PsSG_SI_NS1_21upper_bound_search_opENS9_16wrapped_functionINS8_6system6detail7generic6detail18binary_search_lessEbEEEE10hipError_tPvRmT1_T2_T3_mmT4_T5_P12ihipStream_tbEUlRKsE_EEST_SX_SY_mSZ_S12_bEUlT_E_NS1_11comp_targetILNS1_3genE9ELNS1_11target_archE1100ELNS1_3gpuE3ELNS1_3repE0EEENS1_30default_config_static_selectorELNS0_4arch9wavefront6targetE0EEEvSW_.has_dyn_sized_stack, 0
	.set _ZN7rocprim17ROCPRIM_400000_NS6detail17trampoline_kernelINS0_14default_configENS1_27upper_bound_config_selectorIslEEZNS1_14transform_implILb0ES3_S5_N6thrust23THRUST_200600_302600_NS6detail15normal_iteratorINS8_7pointerIsNS8_11hip_rocprim5par_tENS8_11use_defaultESE_EEEENSA_INSB_IlSD_SE_SE_EEEEZNS1_13binary_searchIS3_S5_PsSG_SI_NS1_21upper_bound_search_opENS9_16wrapped_functionINS8_6system6detail7generic6detail18binary_search_lessEbEEEE10hipError_tPvRmT1_T2_T3_mmT4_T5_P12ihipStream_tbEUlRKsE_EEST_SX_SY_mSZ_S12_bEUlT_E_NS1_11comp_targetILNS1_3genE9ELNS1_11target_archE1100ELNS1_3gpuE3ELNS1_3repE0EEENS1_30default_config_static_selectorELNS0_4arch9wavefront6targetE0EEEvSW_.has_recursion, 0
	.set _ZN7rocprim17ROCPRIM_400000_NS6detail17trampoline_kernelINS0_14default_configENS1_27upper_bound_config_selectorIslEEZNS1_14transform_implILb0ES3_S5_N6thrust23THRUST_200600_302600_NS6detail15normal_iteratorINS8_7pointerIsNS8_11hip_rocprim5par_tENS8_11use_defaultESE_EEEENSA_INSB_IlSD_SE_SE_EEEEZNS1_13binary_searchIS3_S5_PsSG_SI_NS1_21upper_bound_search_opENS9_16wrapped_functionINS8_6system6detail7generic6detail18binary_search_lessEbEEEE10hipError_tPvRmT1_T2_T3_mmT4_T5_P12ihipStream_tbEUlRKsE_EEST_SX_SY_mSZ_S12_bEUlT_E_NS1_11comp_targetILNS1_3genE9ELNS1_11target_archE1100ELNS1_3gpuE3ELNS1_3repE0EEENS1_30default_config_static_selectorELNS0_4arch9wavefront6targetE0EEEvSW_.has_indirect_call, 0
	.section	.AMDGPU.csdata,"",@progbits
; Kernel info:
; codeLenInByte = 0
; TotalNumSgprs: 0
; NumVgprs: 0
; ScratchSize: 0
; MemoryBound: 0
; FloatMode: 240
; IeeeMode: 1
; LDSByteSize: 0 bytes/workgroup (compile time only)
; SGPRBlocks: 0
; VGPRBlocks: 0
; NumSGPRsForWavesPerEU: 1
; NumVGPRsForWavesPerEU: 1
; Occupancy: 16
; WaveLimiterHint : 0
; COMPUTE_PGM_RSRC2:SCRATCH_EN: 0
; COMPUTE_PGM_RSRC2:USER_SGPR: 6
; COMPUTE_PGM_RSRC2:TRAP_HANDLER: 0
; COMPUTE_PGM_RSRC2:TGID_X_EN: 1
; COMPUTE_PGM_RSRC2:TGID_Y_EN: 0
; COMPUTE_PGM_RSRC2:TGID_Z_EN: 0
; COMPUTE_PGM_RSRC2:TIDIG_COMP_CNT: 0
	.section	.text._ZN7rocprim17ROCPRIM_400000_NS6detail17trampoline_kernelINS0_14default_configENS1_27upper_bound_config_selectorIslEEZNS1_14transform_implILb0ES3_S5_N6thrust23THRUST_200600_302600_NS6detail15normal_iteratorINS8_7pointerIsNS8_11hip_rocprim5par_tENS8_11use_defaultESE_EEEENSA_INSB_IlSD_SE_SE_EEEEZNS1_13binary_searchIS3_S5_PsSG_SI_NS1_21upper_bound_search_opENS9_16wrapped_functionINS8_6system6detail7generic6detail18binary_search_lessEbEEEE10hipError_tPvRmT1_T2_T3_mmT4_T5_P12ihipStream_tbEUlRKsE_EEST_SX_SY_mSZ_S12_bEUlT_E_NS1_11comp_targetILNS1_3genE8ELNS1_11target_archE1030ELNS1_3gpuE2ELNS1_3repE0EEENS1_30default_config_static_selectorELNS0_4arch9wavefront6targetE0EEEvSW_,"axG",@progbits,_ZN7rocprim17ROCPRIM_400000_NS6detail17trampoline_kernelINS0_14default_configENS1_27upper_bound_config_selectorIslEEZNS1_14transform_implILb0ES3_S5_N6thrust23THRUST_200600_302600_NS6detail15normal_iteratorINS8_7pointerIsNS8_11hip_rocprim5par_tENS8_11use_defaultESE_EEEENSA_INSB_IlSD_SE_SE_EEEEZNS1_13binary_searchIS3_S5_PsSG_SI_NS1_21upper_bound_search_opENS9_16wrapped_functionINS8_6system6detail7generic6detail18binary_search_lessEbEEEE10hipError_tPvRmT1_T2_T3_mmT4_T5_P12ihipStream_tbEUlRKsE_EEST_SX_SY_mSZ_S12_bEUlT_E_NS1_11comp_targetILNS1_3genE8ELNS1_11target_archE1030ELNS1_3gpuE2ELNS1_3repE0EEENS1_30default_config_static_selectorELNS0_4arch9wavefront6targetE0EEEvSW_,comdat
	.protected	_ZN7rocprim17ROCPRIM_400000_NS6detail17trampoline_kernelINS0_14default_configENS1_27upper_bound_config_selectorIslEEZNS1_14transform_implILb0ES3_S5_N6thrust23THRUST_200600_302600_NS6detail15normal_iteratorINS8_7pointerIsNS8_11hip_rocprim5par_tENS8_11use_defaultESE_EEEENSA_INSB_IlSD_SE_SE_EEEEZNS1_13binary_searchIS3_S5_PsSG_SI_NS1_21upper_bound_search_opENS9_16wrapped_functionINS8_6system6detail7generic6detail18binary_search_lessEbEEEE10hipError_tPvRmT1_T2_T3_mmT4_T5_P12ihipStream_tbEUlRKsE_EEST_SX_SY_mSZ_S12_bEUlT_E_NS1_11comp_targetILNS1_3genE8ELNS1_11target_archE1030ELNS1_3gpuE2ELNS1_3repE0EEENS1_30default_config_static_selectorELNS0_4arch9wavefront6targetE0EEEvSW_ ; -- Begin function _ZN7rocprim17ROCPRIM_400000_NS6detail17trampoline_kernelINS0_14default_configENS1_27upper_bound_config_selectorIslEEZNS1_14transform_implILb0ES3_S5_N6thrust23THRUST_200600_302600_NS6detail15normal_iteratorINS8_7pointerIsNS8_11hip_rocprim5par_tENS8_11use_defaultESE_EEEENSA_INSB_IlSD_SE_SE_EEEEZNS1_13binary_searchIS3_S5_PsSG_SI_NS1_21upper_bound_search_opENS9_16wrapped_functionINS8_6system6detail7generic6detail18binary_search_lessEbEEEE10hipError_tPvRmT1_T2_T3_mmT4_T5_P12ihipStream_tbEUlRKsE_EEST_SX_SY_mSZ_S12_bEUlT_E_NS1_11comp_targetILNS1_3genE8ELNS1_11target_archE1030ELNS1_3gpuE2ELNS1_3repE0EEENS1_30default_config_static_selectorELNS0_4arch9wavefront6targetE0EEEvSW_
	.globl	_ZN7rocprim17ROCPRIM_400000_NS6detail17trampoline_kernelINS0_14default_configENS1_27upper_bound_config_selectorIslEEZNS1_14transform_implILb0ES3_S5_N6thrust23THRUST_200600_302600_NS6detail15normal_iteratorINS8_7pointerIsNS8_11hip_rocprim5par_tENS8_11use_defaultESE_EEEENSA_INSB_IlSD_SE_SE_EEEEZNS1_13binary_searchIS3_S5_PsSG_SI_NS1_21upper_bound_search_opENS9_16wrapped_functionINS8_6system6detail7generic6detail18binary_search_lessEbEEEE10hipError_tPvRmT1_T2_T3_mmT4_T5_P12ihipStream_tbEUlRKsE_EEST_SX_SY_mSZ_S12_bEUlT_E_NS1_11comp_targetILNS1_3genE8ELNS1_11target_archE1030ELNS1_3gpuE2ELNS1_3repE0EEENS1_30default_config_static_selectorELNS0_4arch9wavefront6targetE0EEEvSW_
	.p2align	8
	.type	_ZN7rocprim17ROCPRIM_400000_NS6detail17trampoline_kernelINS0_14default_configENS1_27upper_bound_config_selectorIslEEZNS1_14transform_implILb0ES3_S5_N6thrust23THRUST_200600_302600_NS6detail15normal_iteratorINS8_7pointerIsNS8_11hip_rocprim5par_tENS8_11use_defaultESE_EEEENSA_INSB_IlSD_SE_SE_EEEEZNS1_13binary_searchIS3_S5_PsSG_SI_NS1_21upper_bound_search_opENS9_16wrapped_functionINS8_6system6detail7generic6detail18binary_search_lessEbEEEE10hipError_tPvRmT1_T2_T3_mmT4_T5_P12ihipStream_tbEUlRKsE_EEST_SX_SY_mSZ_S12_bEUlT_E_NS1_11comp_targetILNS1_3genE8ELNS1_11target_archE1030ELNS1_3gpuE2ELNS1_3repE0EEENS1_30default_config_static_selectorELNS0_4arch9wavefront6targetE0EEEvSW_,@function
_ZN7rocprim17ROCPRIM_400000_NS6detail17trampoline_kernelINS0_14default_configENS1_27upper_bound_config_selectorIslEEZNS1_14transform_implILb0ES3_S5_N6thrust23THRUST_200600_302600_NS6detail15normal_iteratorINS8_7pointerIsNS8_11hip_rocprim5par_tENS8_11use_defaultESE_EEEENSA_INSB_IlSD_SE_SE_EEEEZNS1_13binary_searchIS3_S5_PsSG_SI_NS1_21upper_bound_search_opENS9_16wrapped_functionINS8_6system6detail7generic6detail18binary_search_lessEbEEEE10hipError_tPvRmT1_T2_T3_mmT4_T5_P12ihipStream_tbEUlRKsE_EEST_SX_SY_mSZ_S12_bEUlT_E_NS1_11comp_targetILNS1_3genE8ELNS1_11target_archE1030ELNS1_3gpuE2ELNS1_3repE0EEENS1_30default_config_static_selectorELNS0_4arch9wavefront6targetE0EEEvSW_: ; @_ZN7rocprim17ROCPRIM_400000_NS6detail17trampoline_kernelINS0_14default_configENS1_27upper_bound_config_selectorIslEEZNS1_14transform_implILb0ES3_S5_N6thrust23THRUST_200600_302600_NS6detail15normal_iteratorINS8_7pointerIsNS8_11hip_rocprim5par_tENS8_11use_defaultESE_EEEENSA_INSB_IlSD_SE_SE_EEEEZNS1_13binary_searchIS3_S5_PsSG_SI_NS1_21upper_bound_search_opENS9_16wrapped_functionINS8_6system6detail7generic6detail18binary_search_lessEbEEEE10hipError_tPvRmT1_T2_T3_mmT4_T5_P12ihipStream_tbEUlRKsE_EEST_SX_SY_mSZ_S12_bEUlT_E_NS1_11comp_targetILNS1_3genE8ELNS1_11target_archE1030ELNS1_3gpuE2ELNS1_3repE0EEENS1_30default_config_static_selectorELNS0_4arch9wavefront6targetE0EEEvSW_
; %bb.0:
	s_clause 0x2
	s_load_dwordx8 s[8:15], s[4:5], 0x0
	s_load_dword s2, s[4:5], 0x38
	s_load_dwordx4 s[16:19], s[4:5], 0x20
	s_mov_b32 s5, 0
	s_waitcnt lgkmcnt(0)
	s_lshl_b64 s[0:1], s[10:11], 1
	s_add_u32 s8, s8, s0
	s_addc_u32 s9, s9, s1
	s_lshl_b64 s[0:1], s[10:11], 3
	s_add_u32 s3, s14, s0
	s_addc_u32 s7, s15, s1
	s_lshl_b32 s4, s6, 9
	s_add_i32 s2, s2, -1
	s_lshl_b64 s[0:1], s[4:5], 1
	s_add_u32 s8, s8, s0
	s_addc_u32 s9, s9, s1
	s_cmp_lg_u32 s6, s2
	s_mov_b32 s0, -1
	s_cbranch_scc0 .LBB240_5
; %bb.1:
	v_lshlrev_b32_e32 v1, 1, v0
	s_cmp_lg_u64 s[18:19], 0
	v_add_co_u32 v1, s0, s8, v1
	v_add_co_ci_u32_e64 v2, null, s9, 0, s0
	s_cselect_b32 s0, -1, 0
	s_cmp_eq_u64 s[18:19], 0
	s_clause 0x2
	flat_load_ushort v7, v[1:2] offset:256
	flat_load_ushort v9, v[1:2] offset:512
	;; [unrolled: 1-line block ×3, first 2 shown]
	s_cbranch_scc1 .LBB240_6
; %bb.2:
	flat_load_ushort v5, v[1:2]
	v_mov_b32_e32 v1, 0
	v_mov_b32_e32 v3, s18
	;; [unrolled: 1-line block ×4, first 2 shown]
	s_mov_b32 s1, 0
	s_inst_prefetch 0x1
	.p2align	6
.LBB240_3:                              ; =>This Inner Loop Header: Depth=1
	v_sub_co_u32 v12, vcc_lo, v3, v1
	v_sub_co_ci_u32_e64 v13, null, v4, v2, vcc_lo
	v_lshrrev_b64 v[14:15], 1, v[12:13]
	v_lshrrev_b64 v[12:13], 6, v[12:13]
	v_add_co_u32 v6, vcc_lo, v14, v1
	v_add_co_ci_u32_e64 v8, null, v15, v2, vcc_lo
	v_add_co_u32 v12, vcc_lo, v6, v12
	v_add_co_ci_u32_e64 v13, null, v8, v13, vcc_lo
	v_lshlrev_b64 v[14:15], 1, v[12:13]
	v_add_co_u32 v14, vcc_lo, s16, v14
	v_add_co_ci_u32_e64 v15, null, s17, v15, vcc_lo
	v_add_co_u32 v8, vcc_lo, v12, 1
	v_add_co_ci_u32_e64 v10, null, 0, v13, vcc_lo
	global_load_ushort v6, v[14:15], off
	s_waitcnt vmcnt(0) lgkmcnt(0)
	v_cmp_lt_i16_e32 vcc_lo, v5, v6
	v_cndmask_b32_e32 v4, v4, v13, vcc_lo
	v_cndmask_b32_e32 v3, v3, v12, vcc_lo
	;; [unrolled: 1-line block ×4, first 2 shown]
	v_cmp_ge_u64_e32 vcc_lo, v[1:2], v[3:4]
	s_or_b32 s1, vcc_lo, s1
	s_andn2_b32 exec_lo, exec_lo, s1
	s_cbranch_execnz .LBB240_3
; %bb.4:
	s_inst_prefetch 0x2
	s_or_b32 exec_lo, exec_lo, s1
	s_branch .LBB240_7
.LBB240_5:
	s_mov_b32 s6, s5
                                        ; implicit-def: $vgpr7_vgpr8
                                        ; implicit-def: $vgpr11_vgpr12
	s_and_b32 vcc_lo, exec_lo, s0
	s_cbranch_vccnz .LBB240_20
	s_branch .LBB240_53
.LBB240_6:
	v_mov_b32_e32 v1, 0
	v_mov_b32_e32 v2, 0
.LBB240_7:
	v_mov_b32_e32 v3, 0
	v_cndmask_b32_e64 v10, 0, 1, s0
	v_mov_b32_e32 v4, 0
	s_andn2_b32 vcc_lo, exec_lo, s0
	s_cbranch_vccnz .LBB240_11
; %bb.8:
	v_mov_b32_e32 v5, s18
	v_mov_b32_e32 v6, s19
	s_mov_b32 s0, 0
	s_inst_prefetch 0x1
	.p2align	6
.LBB240_9:                              ; =>This Inner Loop Header: Depth=1
	v_sub_co_u32 v12, vcc_lo, v5, v3
	v_sub_co_ci_u32_e64 v13, null, v6, v4, vcc_lo
	v_lshrrev_b64 v[14:15], 1, v[12:13]
	v_lshrrev_b64 v[12:13], 6, v[12:13]
	v_add_co_u32 v8, vcc_lo, v14, v3
	v_add_co_ci_u32_e64 v14, null, v15, v4, vcc_lo
	v_add_co_u32 v12, vcc_lo, v8, v12
	v_add_co_ci_u32_e64 v13, null, v14, v13, vcc_lo
	v_lshlrev_b64 v[14:15], 1, v[12:13]
	v_add_co_u32 v14, vcc_lo, s16, v14
	v_add_co_ci_u32_e64 v15, null, s17, v15, vcc_lo
	global_load_ushort v8, v[14:15], off
	v_add_co_u32 v14, vcc_lo, v12, 1
	v_add_co_ci_u32_e64 v15, null, 0, v13, vcc_lo
	s_waitcnt vmcnt(0) lgkmcnt(2)
	v_cmp_lt_i16_e32 vcc_lo, v7, v8
	v_cndmask_b32_e32 v6, v6, v13, vcc_lo
	v_cndmask_b32_e32 v5, v5, v12, vcc_lo
	;; [unrolled: 1-line block ×4, first 2 shown]
	v_cmp_ge_u64_e32 vcc_lo, v[3:4], v[5:6]
	s_or_b32 s0, vcc_lo, s0
	s_andn2_b32 exec_lo, exec_lo, s0
	s_cbranch_execnz .LBB240_9
; %bb.10:
	s_inst_prefetch 0x2
	s_or_b32 exec_lo, exec_lo, s0
.LBB240_11:
	v_cmp_ne_u32_e32 vcc_lo, 1, v10
	v_mov_b32_e32 v5, 0
	v_mov_b32_e32 v6, 0
	s_cbranch_vccnz .LBB240_15
; %bb.12:
	s_waitcnt vmcnt(2) lgkmcnt(2)
	v_mov_b32_e32 v7, s18
	v_mov_b32_e32 v8, s19
	s_mov_b32 s0, 0
	s_inst_prefetch 0x1
	.p2align	6
.LBB240_13:                             ; =>This Inner Loop Header: Depth=1
	v_sub_co_u32 v12, vcc_lo, v7, v5
	v_sub_co_ci_u32_e64 v13, null, v8, v6, vcc_lo
	v_lshrrev_b64 v[14:15], 1, v[12:13]
	v_lshrrev_b64 v[12:13], 6, v[12:13]
	v_add_co_u32 v14, vcc_lo, v14, v5
	v_add_co_ci_u32_e64 v15, null, v15, v6, vcc_lo
	v_add_co_u32 v12, vcc_lo, v14, v12
	v_add_co_ci_u32_e64 v13, null, v15, v13, vcc_lo
	v_lshlrev_b64 v[14:15], 1, v[12:13]
	v_add_co_u32 v14, vcc_lo, s16, v14
	v_add_co_ci_u32_e64 v15, null, s17, v15, vcc_lo
	global_load_ushort v14, v[14:15], off
	v_add_co_u32 v15, vcc_lo, v12, 1
	v_add_co_ci_u32_e64 v16, null, 0, v13, vcc_lo
	s_waitcnt vmcnt(0) lgkmcnt(1)
	v_cmp_lt_i16_e32 vcc_lo, v9, v14
	v_cndmask_b32_e32 v8, v8, v13, vcc_lo
	v_cndmask_b32_e32 v7, v7, v12, vcc_lo
	;; [unrolled: 1-line block ×4, first 2 shown]
	v_cmp_ge_u64_e32 vcc_lo, v[5:6], v[7:8]
	s_or_b32 s0, vcc_lo, s0
	s_andn2_b32 exec_lo, exec_lo, s0
	s_cbranch_execnz .LBB240_13
; %bb.14:
	s_inst_prefetch 0x2
	s_or_b32 exec_lo, exec_lo, s0
.LBB240_15:
	v_cmp_ne_u32_e32 vcc_lo, 1, v10
	s_waitcnt vmcnt(2) lgkmcnt(2)
	v_mov_b32_e32 v7, 0
	v_mov_b32_e32 v8, 0
	s_cbranch_vccnz .LBB240_19
; %bb.16:
	s_waitcnt vmcnt(1) lgkmcnt(1)
	v_mov_b32_e32 v9, s18
	v_mov_b32_e32 v10, s19
	s_mov_b32 s0, 0
	s_inst_prefetch 0x1
	.p2align	6
.LBB240_17:                             ; =>This Inner Loop Header: Depth=1
	v_sub_co_u32 v12, vcc_lo, v9, v7
	v_sub_co_ci_u32_e64 v13, null, v10, v8, vcc_lo
	v_lshrrev_b64 v[14:15], 1, v[12:13]
	v_lshrrev_b64 v[12:13], 6, v[12:13]
	v_add_co_u32 v14, vcc_lo, v14, v7
	v_add_co_ci_u32_e64 v15, null, v15, v8, vcc_lo
	v_add_co_u32 v12, vcc_lo, v14, v12
	v_add_co_ci_u32_e64 v13, null, v15, v13, vcc_lo
	v_lshlrev_b64 v[14:15], 1, v[12:13]
	v_add_co_u32 v14, vcc_lo, s16, v14
	v_add_co_ci_u32_e64 v15, null, s17, v15, vcc_lo
	global_load_ushort v14, v[14:15], off
	v_add_co_u32 v15, vcc_lo, v12, 1
	v_add_co_ci_u32_e64 v16, null, 0, v13, vcc_lo
	s_waitcnt vmcnt(0) lgkmcnt(0)
	v_cmp_lt_i16_e32 vcc_lo, v11, v14
	v_cndmask_b32_e32 v10, v10, v13, vcc_lo
	v_cndmask_b32_e32 v9, v9, v12, vcc_lo
	;; [unrolled: 1-line block ×4, first 2 shown]
	v_cmp_ge_u64_e32 vcc_lo, v[7:8], v[9:10]
	s_or_b32 s0, vcc_lo, s0
	s_andn2_b32 exec_lo, exec_lo, s0
	s_cbranch_execnz .LBB240_17
; %bb.18:
	s_inst_prefetch 0x2
	s_or_b32 exec_lo, exec_lo, s0
.LBB240_19:
	s_waitcnt vmcnt(1) lgkmcnt(1)
	v_lshlrev_b32_e32 v9, 3, v0
	s_lshl_b64 s[0:1], s[4:5], 3
	s_mov_b32 s6, -1
	s_add_u32 s0, s3, s0
	s_addc_u32 s1, s7, s1
	s_waitcnt vmcnt(0) lgkmcnt(0)
	v_add_co_u32 v11, s0, s0, v9
	v_add_co_ci_u32_e64 v12, null, s1, 0, s0
	v_add_co_u32 v9, vcc_lo, 0x800, v11
	v_add_co_ci_u32_e64 v10, null, 0, v12, vcc_lo
	flat_store_dwordx2 v[11:12], v[1:2]
	flat_store_dwordx2 v[11:12], v[3:4] offset:1024
	flat_store_dwordx2 v[9:10], v[5:6]
	s_branch .LBB240_53
.LBB240_20:
	v_mov_b32_e32 v1, 0
	s_sub_i32 s6, s12, s4
	v_cmp_gt_u32_e64 s0, s6, v0
	v_mov_b32_e32 v2, v1
	s_and_saveexec_b32 s1, s0
	s_cbranch_execz .LBB240_22
; %bb.21:
	v_lshlrev_b32_e32 v2, 1, v0
	v_mov_b32_e32 v4, v1
	v_mov_b32_e32 v5, v1
	v_add_co_u32 v2, s2, s8, v2
	v_add_co_ci_u32_e64 v3, null, s9, 0, s2
	flat_load_short_d16 v4, v[2:3]
	s_waitcnt vmcnt(0) lgkmcnt(0)
	v_mov_b32_e32 v1, v4
	v_mov_b32_e32 v2, v5
.LBB240_22:
	s_or_b32 exec_lo, exec_lo, s1
	v_or_b32_e32 v3, 0x80, v0
	v_cmp_gt_u32_e64 s1, s6, v3
	s_and_saveexec_b32 s2, s1
	s_cbranch_execz .LBB240_24
; %bb.23:
	v_lshlrev_b32_e32 v3, 1, v0
	v_add_co_u32 v3, s10, s8, v3
	v_add_co_ci_u32_e64 v4, null, s9, 0, s10
	flat_load_short_d16_hi v1, v[3:4] offset:256
.LBB240_24:
	s_or_b32 exec_lo, exec_lo, s2
	v_or_b32_e32 v3, 0x100, v0
	v_cmp_gt_u32_e64 s2, s6, v3
	s_and_saveexec_b32 s10, s2
	s_cbranch_execz .LBB240_26
; %bb.25:
	v_lshlrev_b32_e32 v3, 1, v0
	v_add_co_u32 v3, s11, s8, v3
	v_add_co_ci_u32_e64 v4, null, s9, 0, s11
	flat_load_short_d16 v2, v[3:4] offset:512
.LBB240_26:
	s_or_b32 exec_lo, exec_lo, s10
	v_or_b32_e32 v3, 0x180, v0
	v_cmp_gt_u32_e64 s6, s6, v3
	s_and_saveexec_b32 s10, s6
	s_cbranch_execz .LBB240_28
; %bb.27:
	v_lshlrev_b32_e32 v3, 1, v0
	v_add_co_u32 v3, s8, s8, v3
	v_add_co_ci_u32_e64 v4, null, s9, 0, s8
	s_waitcnt vmcnt(0) lgkmcnt(0)
	flat_load_short_d16_hi v2, v[3:4] offset:768
.LBB240_28:
	s_or_b32 exec_lo, exec_lo, s10
	s_cmp_lg_u64 s[18:19], 0
                                        ; implicit-def: $vgpr3_vgpr4
	s_cselect_b32 s8, -1, 0
	s_and_saveexec_b32 s9, s0
	s_cbranch_execz .LBB240_33
; %bb.29:
	v_mov_b32_e32 v3, 0
	v_mov_b32_e32 v4, 0
	s_andn2_b32 vcc_lo, exec_lo, s8
	s_cbranch_vccnz .LBB240_33
; %bb.30:
	v_mov_b32_e32 v5, s18
	v_mov_b32_e32 v6, s19
	s_mov_b32 s10, 0
	s_inst_prefetch 0x1
	.p2align	6
.LBB240_31:                             ; =>This Inner Loop Header: Depth=1
	v_sub_co_u32 v7, vcc_lo, v5, v3
	v_sub_co_ci_u32_e64 v8, null, v6, v4, vcc_lo
	v_lshrrev_b64 v[9:10], 1, v[7:8]
	v_lshrrev_b64 v[7:8], 6, v[7:8]
	v_add_co_u32 v9, vcc_lo, v9, v3
	v_add_co_ci_u32_e64 v10, null, v10, v4, vcc_lo
	v_add_co_u32 v7, vcc_lo, v9, v7
	v_add_co_ci_u32_e64 v8, null, v10, v8, vcc_lo
	v_lshlrev_b64 v[9:10], 1, v[7:8]
	v_add_co_u32 v9, vcc_lo, s16, v9
	v_add_co_ci_u32_e64 v10, null, s17, v10, vcc_lo
	global_load_ushort v9, v[9:10], off
	v_add_co_u32 v10, vcc_lo, v7, 1
	v_add_co_ci_u32_e64 v11, null, 0, v8, vcc_lo
	s_waitcnt vmcnt(0) lgkmcnt(0)
	v_cmp_lt_i16_e32 vcc_lo, v1, v9
	v_cndmask_b32_e32 v6, v6, v8, vcc_lo
	v_cndmask_b32_e32 v5, v5, v7, vcc_lo
	v_cndmask_b32_e32 v4, v11, v4, vcc_lo
	v_cndmask_b32_e32 v3, v10, v3, vcc_lo
	v_cmp_ge_u64_e32 vcc_lo, v[3:4], v[5:6]
	s_or_b32 s10, vcc_lo, s10
	s_andn2_b32 exec_lo, exec_lo, s10
	s_cbranch_execnz .LBB240_31
; %bb.32:
	s_inst_prefetch 0x2
	s_or_b32 exec_lo, exec_lo, s10
.LBB240_33:
	s_or_b32 exec_lo, exec_lo, s9
                                        ; implicit-def: $vgpr5_vgpr6
	s_and_saveexec_b32 s9, s1
	s_cbranch_execz .LBB240_38
; %bb.34:
	v_mov_b32_e32 v5, 0
	v_mov_b32_e32 v6, 0
	s_andn2_b32 vcc_lo, exec_lo, s8
	s_cbranch_vccnz .LBB240_38
; %bb.35:
	v_mov_b32_e32 v7, s18
	v_mov_b32_e32 v8, s19
	s_mov_b32 s10, 0
	s_inst_prefetch 0x1
	.p2align	6
.LBB240_36:                             ; =>This Inner Loop Header: Depth=1
	v_sub_co_u32 v9, vcc_lo, v7, v5
	v_sub_co_ci_u32_e64 v10, null, v8, v6, vcc_lo
	v_lshrrev_b64 v[11:12], 1, v[9:10]
	v_lshrrev_b64 v[9:10], 6, v[9:10]
	v_add_co_u32 v11, vcc_lo, v11, v5
	v_add_co_ci_u32_e64 v12, null, v12, v6, vcc_lo
	v_add_co_u32 v9, vcc_lo, v11, v9
	v_add_co_ci_u32_e64 v10, null, v12, v10, vcc_lo
	v_lshlrev_b64 v[11:12], 1, v[9:10]
	v_add_co_u32 v11, vcc_lo, s16, v11
	v_add_co_ci_u32_e64 v12, null, s17, v12, vcc_lo
	global_load_ushort v11, v[11:12], off
	v_add_co_u32 v12, vcc_lo, v9, 1
	v_add_co_ci_u32_e64 v13, null, 0, v10, vcc_lo
	s_waitcnt vmcnt(0) lgkmcnt(0)
	v_cmp_lt_i16_sdwa vcc_lo, v1, v11 src0_sel:WORD_1 src1_sel:DWORD
	v_cndmask_b32_e32 v8, v8, v10, vcc_lo
	v_cndmask_b32_e32 v7, v7, v9, vcc_lo
	;; [unrolled: 1-line block ×4, first 2 shown]
	v_cmp_ge_u64_e32 vcc_lo, v[5:6], v[7:8]
	s_or_b32 s10, vcc_lo, s10
	s_andn2_b32 exec_lo, exec_lo, s10
	s_cbranch_execnz .LBB240_36
; %bb.37:
	s_inst_prefetch 0x2
	s_or_b32 exec_lo, exec_lo, s10
.LBB240_38:
	s_or_b32 exec_lo, exec_lo, s9
                                        ; implicit-def: $vgpr9_vgpr10
	s_and_saveexec_b32 s9, s2
	s_cbranch_execz .LBB240_43
; %bb.39:
	v_mov_b32_e32 v9, 0
	v_mov_b32_e32 v10, 0
	s_andn2_b32 vcc_lo, exec_lo, s8
	s_cbranch_vccnz .LBB240_43
; %bb.40:
	v_mov_b32_e32 v7, s18
	v_mov_b32_e32 v8, s19
	s_mov_b32 s10, 0
	s_inst_prefetch 0x1
	.p2align	6
.LBB240_41:                             ; =>This Inner Loop Header: Depth=1
	v_sub_co_u32 v11, vcc_lo, v7, v9
	v_sub_co_ci_u32_e64 v12, null, v8, v10, vcc_lo
	v_lshrrev_b64 v[13:14], 1, v[11:12]
	v_lshrrev_b64 v[11:12], 6, v[11:12]
	s_waitcnt vmcnt(0) lgkmcnt(0)
	v_add_co_u32 v1, vcc_lo, v13, v9
	v_add_co_ci_u32_e64 v13, null, v14, v10, vcc_lo
	v_add_co_u32 v11, vcc_lo, v1, v11
	v_add_co_ci_u32_e64 v12, null, v13, v12, vcc_lo
	v_lshlrev_b64 v[13:14], 1, v[11:12]
	v_add_co_u32 v13, vcc_lo, s16, v13
	v_add_co_ci_u32_e64 v14, null, s17, v14, vcc_lo
	global_load_ushort v1, v[13:14], off
	v_add_co_u32 v13, vcc_lo, v11, 1
	v_add_co_ci_u32_e64 v14, null, 0, v12, vcc_lo
	s_waitcnt vmcnt(0)
	v_cmp_lt_i16_e32 vcc_lo, v2, v1
	v_cndmask_b32_e32 v8, v8, v12, vcc_lo
	v_cndmask_b32_e32 v7, v7, v11, vcc_lo
	;; [unrolled: 1-line block ×4, first 2 shown]
	v_cmp_ge_u64_e32 vcc_lo, v[9:10], v[7:8]
	s_or_b32 s10, vcc_lo, s10
	s_andn2_b32 exec_lo, exec_lo, s10
	s_cbranch_execnz .LBB240_41
; %bb.42:
	s_inst_prefetch 0x2
	s_or_b32 exec_lo, exec_lo, s10
.LBB240_43:
	s_or_b32 exec_lo, exec_lo, s9
                                        ; implicit-def: $vgpr7_vgpr8
	s_and_saveexec_b32 s9, s6
	s_cbranch_execz .LBB240_48
; %bb.44:
	v_mov_b32_e32 v7, 0
	v_mov_b32_e32 v8, 0
	s_andn2_b32 vcc_lo, exec_lo, s8
	s_cbranch_vccnz .LBB240_48
; %bb.45:
	v_mov_b32_e32 v11, s18
	v_mov_b32_e32 v12, s19
	s_mov_b32 s8, 0
	s_inst_prefetch 0x1
	.p2align	6
.LBB240_46:                             ; =>This Inner Loop Header: Depth=1
	v_sub_co_u32 v13, vcc_lo, v11, v7
	v_sub_co_ci_u32_e64 v14, null, v12, v8, vcc_lo
	v_lshrrev_b64 v[15:16], 1, v[13:14]
	v_lshrrev_b64 v[13:14], 6, v[13:14]
	s_waitcnt vmcnt(0) lgkmcnt(0)
	v_add_co_u32 v1, vcc_lo, v15, v7
	v_add_co_ci_u32_e64 v15, null, v16, v8, vcc_lo
	v_add_co_u32 v13, vcc_lo, v1, v13
	v_add_co_ci_u32_e64 v14, null, v15, v14, vcc_lo
	v_lshlrev_b64 v[15:16], 1, v[13:14]
	v_add_co_u32 v15, vcc_lo, s16, v15
	v_add_co_ci_u32_e64 v16, null, s17, v16, vcc_lo
	global_load_ushort v1, v[15:16], off
	v_add_co_u32 v15, vcc_lo, v13, 1
	v_add_co_ci_u32_e64 v16, null, 0, v14, vcc_lo
	s_waitcnt vmcnt(0)
	v_cmp_lt_i16_sdwa vcc_lo, v2, v1 src0_sel:WORD_1 src1_sel:DWORD
	v_cndmask_b32_e32 v12, v12, v14, vcc_lo
	v_cndmask_b32_e32 v11, v11, v13, vcc_lo
	;; [unrolled: 1-line block ×4, first 2 shown]
	v_cmp_ge_u64_e32 vcc_lo, v[7:8], v[11:12]
	s_or_b32 s8, vcc_lo, s8
	s_andn2_b32 exec_lo, exec_lo, s8
	s_cbranch_execnz .LBB240_46
; %bb.47:
	s_inst_prefetch 0x2
	s_or_b32 exec_lo, exec_lo, s8
.LBB240_48:
	s_or_b32 exec_lo, exec_lo, s9
	v_lshlrev_b32_e32 v0, 3, v0
	s_lshl_b64 s[4:5], s[4:5], 3
	s_add_u32 s3, s3, s4
	s_addc_u32 s4, s7, s5
	v_add_co_u32 v11, s3, s3, v0
	v_add_co_ci_u32_e64 v12, null, s4, 0, s3
	s_and_saveexec_b32 s3, s0
	s_xor_b32 s0, exec_lo, s3
	s_cbranch_execnz .LBB240_56
; %bb.49:
	s_or_b32 exec_lo, exec_lo, s0
	s_and_saveexec_b32 s0, s1
	s_cbranch_execnz .LBB240_57
.LBB240_50:
	s_or_b32 exec_lo, exec_lo, s0
	s_and_saveexec_b32 s0, s2
	s_cbranch_execz .LBB240_52
.LBB240_51:
	v_add_co_u32 v0, vcc_lo, 0x800, v11
	s_waitcnt vmcnt(0) lgkmcnt(0)
	v_add_co_ci_u32_e64 v1, null, 0, v12, vcc_lo
	flat_store_dwordx2 v[0:1], v[9:10]
.LBB240_52:
	s_or_b32 exec_lo, exec_lo, s0
.LBB240_53:
	s_and_saveexec_b32 s0, s6
	s_cbranch_execnz .LBB240_55
; %bb.54:
	s_endpgm
.LBB240_55:
	v_add_co_u32 v0, vcc_lo, 0x800, v11
	s_waitcnt vmcnt(0) lgkmcnt(0)
	v_add_co_ci_u32_e64 v1, null, 0, v12, vcc_lo
	flat_store_dwordx2 v[0:1], v[7:8] offset:1024
	s_endpgm
.LBB240_56:
	flat_store_dwordx2 v[11:12], v[3:4]
	s_or_b32 exec_lo, exec_lo, s0
	s_and_saveexec_b32 s0, s1
	s_cbranch_execz .LBB240_50
.LBB240_57:
	flat_store_dwordx2 v[11:12], v[5:6] offset:1024
	s_or_b32 exec_lo, exec_lo, s0
	s_and_saveexec_b32 s0, s2
	s_cbranch_execnz .LBB240_51
	s_branch .LBB240_52
	.section	.rodata,"a",@progbits
	.p2align	6, 0x0
	.amdhsa_kernel _ZN7rocprim17ROCPRIM_400000_NS6detail17trampoline_kernelINS0_14default_configENS1_27upper_bound_config_selectorIslEEZNS1_14transform_implILb0ES3_S5_N6thrust23THRUST_200600_302600_NS6detail15normal_iteratorINS8_7pointerIsNS8_11hip_rocprim5par_tENS8_11use_defaultESE_EEEENSA_INSB_IlSD_SE_SE_EEEEZNS1_13binary_searchIS3_S5_PsSG_SI_NS1_21upper_bound_search_opENS9_16wrapped_functionINS8_6system6detail7generic6detail18binary_search_lessEbEEEE10hipError_tPvRmT1_T2_T3_mmT4_T5_P12ihipStream_tbEUlRKsE_EEST_SX_SY_mSZ_S12_bEUlT_E_NS1_11comp_targetILNS1_3genE8ELNS1_11target_archE1030ELNS1_3gpuE2ELNS1_3repE0EEENS1_30default_config_static_selectorELNS0_4arch9wavefront6targetE0EEEvSW_
		.amdhsa_group_segment_fixed_size 0
		.amdhsa_private_segment_fixed_size 0
		.amdhsa_kernarg_size 312
		.amdhsa_user_sgpr_count 6
		.amdhsa_user_sgpr_private_segment_buffer 1
		.amdhsa_user_sgpr_dispatch_ptr 0
		.amdhsa_user_sgpr_queue_ptr 0
		.amdhsa_user_sgpr_kernarg_segment_ptr 1
		.amdhsa_user_sgpr_dispatch_id 0
		.amdhsa_user_sgpr_flat_scratch_init 0
		.amdhsa_user_sgpr_private_segment_size 0
		.amdhsa_wavefront_size32 1
		.amdhsa_uses_dynamic_stack 0
		.amdhsa_system_sgpr_private_segment_wavefront_offset 0
		.amdhsa_system_sgpr_workgroup_id_x 1
		.amdhsa_system_sgpr_workgroup_id_y 0
		.amdhsa_system_sgpr_workgroup_id_z 0
		.amdhsa_system_sgpr_workgroup_info 0
		.amdhsa_system_vgpr_workitem_id 0
		.amdhsa_next_free_vgpr 17
		.amdhsa_next_free_sgpr 20
		.amdhsa_reserve_vcc 1
		.amdhsa_reserve_flat_scratch 1
		.amdhsa_float_round_mode_32 0
		.amdhsa_float_round_mode_16_64 0
		.amdhsa_float_denorm_mode_32 3
		.amdhsa_float_denorm_mode_16_64 3
		.amdhsa_dx10_clamp 1
		.amdhsa_ieee_mode 1
		.amdhsa_fp16_overflow 0
		.amdhsa_workgroup_processor_mode 1
		.amdhsa_memory_ordered 1
		.amdhsa_forward_progress 1
		.amdhsa_shared_vgpr_count 0
		.amdhsa_exception_fp_ieee_invalid_op 0
		.amdhsa_exception_fp_denorm_src 0
		.amdhsa_exception_fp_ieee_div_zero 0
		.amdhsa_exception_fp_ieee_overflow 0
		.amdhsa_exception_fp_ieee_underflow 0
		.amdhsa_exception_fp_ieee_inexact 0
		.amdhsa_exception_int_div_zero 0
	.end_amdhsa_kernel
	.section	.text._ZN7rocprim17ROCPRIM_400000_NS6detail17trampoline_kernelINS0_14default_configENS1_27upper_bound_config_selectorIslEEZNS1_14transform_implILb0ES3_S5_N6thrust23THRUST_200600_302600_NS6detail15normal_iteratorINS8_7pointerIsNS8_11hip_rocprim5par_tENS8_11use_defaultESE_EEEENSA_INSB_IlSD_SE_SE_EEEEZNS1_13binary_searchIS3_S5_PsSG_SI_NS1_21upper_bound_search_opENS9_16wrapped_functionINS8_6system6detail7generic6detail18binary_search_lessEbEEEE10hipError_tPvRmT1_T2_T3_mmT4_T5_P12ihipStream_tbEUlRKsE_EEST_SX_SY_mSZ_S12_bEUlT_E_NS1_11comp_targetILNS1_3genE8ELNS1_11target_archE1030ELNS1_3gpuE2ELNS1_3repE0EEENS1_30default_config_static_selectorELNS0_4arch9wavefront6targetE0EEEvSW_,"axG",@progbits,_ZN7rocprim17ROCPRIM_400000_NS6detail17trampoline_kernelINS0_14default_configENS1_27upper_bound_config_selectorIslEEZNS1_14transform_implILb0ES3_S5_N6thrust23THRUST_200600_302600_NS6detail15normal_iteratorINS8_7pointerIsNS8_11hip_rocprim5par_tENS8_11use_defaultESE_EEEENSA_INSB_IlSD_SE_SE_EEEEZNS1_13binary_searchIS3_S5_PsSG_SI_NS1_21upper_bound_search_opENS9_16wrapped_functionINS8_6system6detail7generic6detail18binary_search_lessEbEEEE10hipError_tPvRmT1_T2_T3_mmT4_T5_P12ihipStream_tbEUlRKsE_EEST_SX_SY_mSZ_S12_bEUlT_E_NS1_11comp_targetILNS1_3genE8ELNS1_11target_archE1030ELNS1_3gpuE2ELNS1_3repE0EEENS1_30default_config_static_selectorELNS0_4arch9wavefront6targetE0EEEvSW_,comdat
.Lfunc_end240:
	.size	_ZN7rocprim17ROCPRIM_400000_NS6detail17trampoline_kernelINS0_14default_configENS1_27upper_bound_config_selectorIslEEZNS1_14transform_implILb0ES3_S5_N6thrust23THRUST_200600_302600_NS6detail15normal_iteratorINS8_7pointerIsNS8_11hip_rocprim5par_tENS8_11use_defaultESE_EEEENSA_INSB_IlSD_SE_SE_EEEEZNS1_13binary_searchIS3_S5_PsSG_SI_NS1_21upper_bound_search_opENS9_16wrapped_functionINS8_6system6detail7generic6detail18binary_search_lessEbEEEE10hipError_tPvRmT1_T2_T3_mmT4_T5_P12ihipStream_tbEUlRKsE_EEST_SX_SY_mSZ_S12_bEUlT_E_NS1_11comp_targetILNS1_3genE8ELNS1_11target_archE1030ELNS1_3gpuE2ELNS1_3repE0EEENS1_30default_config_static_selectorELNS0_4arch9wavefront6targetE0EEEvSW_, .Lfunc_end240-_ZN7rocprim17ROCPRIM_400000_NS6detail17trampoline_kernelINS0_14default_configENS1_27upper_bound_config_selectorIslEEZNS1_14transform_implILb0ES3_S5_N6thrust23THRUST_200600_302600_NS6detail15normal_iteratorINS8_7pointerIsNS8_11hip_rocprim5par_tENS8_11use_defaultESE_EEEENSA_INSB_IlSD_SE_SE_EEEEZNS1_13binary_searchIS3_S5_PsSG_SI_NS1_21upper_bound_search_opENS9_16wrapped_functionINS8_6system6detail7generic6detail18binary_search_lessEbEEEE10hipError_tPvRmT1_T2_T3_mmT4_T5_P12ihipStream_tbEUlRKsE_EEST_SX_SY_mSZ_S12_bEUlT_E_NS1_11comp_targetILNS1_3genE8ELNS1_11target_archE1030ELNS1_3gpuE2ELNS1_3repE0EEENS1_30default_config_static_selectorELNS0_4arch9wavefront6targetE0EEEvSW_
                                        ; -- End function
	.set _ZN7rocprim17ROCPRIM_400000_NS6detail17trampoline_kernelINS0_14default_configENS1_27upper_bound_config_selectorIslEEZNS1_14transform_implILb0ES3_S5_N6thrust23THRUST_200600_302600_NS6detail15normal_iteratorINS8_7pointerIsNS8_11hip_rocprim5par_tENS8_11use_defaultESE_EEEENSA_INSB_IlSD_SE_SE_EEEEZNS1_13binary_searchIS3_S5_PsSG_SI_NS1_21upper_bound_search_opENS9_16wrapped_functionINS8_6system6detail7generic6detail18binary_search_lessEbEEEE10hipError_tPvRmT1_T2_T3_mmT4_T5_P12ihipStream_tbEUlRKsE_EEST_SX_SY_mSZ_S12_bEUlT_E_NS1_11comp_targetILNS1_3genE8ELNS1_11target_archE1030ELNS1_3gpuE2ELNS1_3repE0EEENS1_30default_config_static_selectorELNS0_4arch9wavefront6targetE0EEEvSW_.num_vgpr, 17
	.set _ZN7rocprim17ROCPRIM_400000_NS6detail17trampoline_kernelINS0_14default_configENS1_27upper_bound_config_selectorIslEEZNS1_14transform_implILb0ES3_S5_N6thrust23THRUST_200600_302600_NS6detail15normal_iteratorINS8_7pointerIsNS8_11hip_rocprim5par_tENS8_11use_defaultESE_EEEENSA_INSB_IlSD_SE_SE_EEEEZNS1_13binary_searchIS3_S5_PsSG_SI_NS1_21upper_bound_search_opENS9_16wrapped_functionINS8_6system6detail7generic6detail18binary_search_lessEbEEEE10hipError_tPvRmT1_T2_T3_mmT4_T5_P12ihipStream_tbEUlRKsE_EEST_SX_SY_mSZ_S12_bEUlT_E_NS1_11comp_targetILNS1_3genE8ELNS1_11target_archE1030ELNS1_3gpuE2ELNS1_3repE0EEENS1_30default_config_static_selectorELNS0_4arch9wavefront6targetE0EEEvSW_.num_agpr, 0
	.set _ZN7rocprim17ROCPRIM_400000_NS6detail17trampoline_kernelINS0_14default_configENS1_27upper_bound_config_selectorIslEEZNS1_14transform_implILb0ES3_S5_N6thrust23THRUST_200600_302600_NS6detail15normal_iteratorINS8_7pointerIsNS8_11hip_rocprim5par_tENS8_11use_defaultESE_EEEENSA_INSB_IlSD_SE_SE_EEEEZNS1_13binary_searchIS3_S5_PsSG_SI_NS1_21upper_bound_search_opENS9_16wrapped_functionINS8_6system6detail7generic6detail18binary_search_lessEbEEEE10hipError_tPvRmT1_T2_T3_mmT4_T5_P12ihipStream_tbEUlRKsE_EEST_SX_SY_mSZ_S12_bEUlT_E_NS1_11comp_targetILNS1_3genE8ELNS1_11target_archE1030ELNS1_3gpuE2ELNS1_3repE0EEENS1_30default_config_static_selectorELNS0_4arch9wavefront6targetE0EEEvSW_.numbered_sgpr, 20
	.set _ZN7rocprim17ROCPRIM_400000_NS6detail17trampoline_kernelINS0_14default_configENS1_27upper_bound_config_selectorIslEEZNS1_14transform_implILb0ES3_S5_N6thrust23THRUST_200600_302600_NS6detail15normal_iteratorINS8_7pointerIsNS8_11hip_rocprim5par_tENS8_11use_defaultESE_EEEENSA_INSB_IlSD_SE_SE_EEEEZNS1_13binary_searchIS3_S5_PsSG_SI_NS1_21upper_bound_search_opENS9_16wrapped_functionINS8_6system6detail7generic6detail18binary_search_lessEbEEEE10hipError_tPvRmT1_T2_T3_mmT4_T5_P12ihipStream_tbEUlRKsE_EEST_SX_SY_mSZ_S12_bEUlT_E_NS1_11comp_targetILNS1_3genE8ELNS1_11target_archE1030ELNS1_3gpuE2ELNS1_3repE0EEENS1_30default_config_static_selectorELNS0_4arch9wavefront6targetE0EEEvSW_.num_named_barrier, 0
	.set _ZN7rocprim17ROCPRIM_400000_NS6detail17trampoline_kernelINS0_14default_configENS1_27upper_bound_config_selectorIslEEZNS1_14transform_implILb0ES3_S5_N6thrust23THRUST_200600_302600_NS6detail15normal_iteratorINS8_7pointerIsNS8_11hip_rocprim5par_tENS8_11use_defaultESE_EEEENSA_INSB_IlSD_SE_SE_EEEEZNS1_13binary_searchIS3_S5_PsSG_SI_NS1_21upper_bound_search_opENS9_16wrapped_functionINS8_6system6detail7generic6detail18binary_search_lessEbEEEE10hipError_tPvRmT1_T2_T3_mmT4_T5_P12ihipStream_tbEUlRKsE_EEST_SX_SY_mSZ_S12_bEUlT_E_NS1_11comp_targetILNS1_3genE8ELNS1_11target_archE1030ELNS1_3gpuE2ELNS1_3repE0EEENS1_30default_config_static_selectorELNS0_4arch9wavefront6targetE0EEEvSW_.private_seg_size, 0
	.set _ZN7rocprim17ROCPRIM_400000_NS6detail17trampoline_kernelINS0_14default_configENS1_27upper_bound_config_selectorIslEEZNS1_14transform_implILb0ES3_S5_N6thrust23THRUST_200600_302600_NS6detail15normal_iteratorINS8_7pointerIsNS8_11hip_rocprim5par_tENS8_11use_defaultESE_EEEENSA_INSB_IlSD_SE_SE_EEEEZNS1_13binary_searchIS3_S5_PsSG_SI_NS1_21upper_bound_search_opENS9_16wrapped_functionINS8_6system6detail7generic6detail18binary_search_lessEbEEEE10hipError_tPvRmT1_T2_T3_mmT4_T5_P12ihipStream_tbEUlRKsE_EEST_SX_SY_mSZ_S12_bEUlT_E_NS1_11comp_targetILNS1_3genE8ELNS1_11target_archE1030ELNS1_3gpuE2ELNS1_3repE0EEENS1_30default_config_static_selectorELNS0_4arch9wavefront6targetE0EEEvSW_.uses_vcc, 1
	.set _ZN7rocprim17ROCPRIM_400000_NS6detail17trampoline_kernelINS0_14default_configENS1_27upper_bound_config_selectorIslEEZNS1_14transform_implILb0ES3_S5_N6thrust23THRUST_200600_302600_NS6detail15normal_iteratorINS8_7pointerIsNS8_11hip_rocprim5par_tENS8_11use_defaultESE_EEEENSA_INSB_IlSD_SE_SE_EEEEZNS1_13binary_searchIS3_S5_PsSG_SI_NS1_21upper_bound_search_opENS9_16wrapped_functionINS8_6system6detail7generic6detail18binary_search_lessEbEEEE10hipError_tPvRmT1_T2_T3_mmT4_T5_P12ihipStream_tbEUlRKsE_EEST_SX_SY_mSZ_S12_bEUlT_E_NS1_11comp_targetILNS1_3genE8ELNS1_11target_archE1030ELNS1_3gpuE2ELNS1_3repE0EEENS1_30default_config_static_selectorELNS0_4arch9wavefront6targetE0EEEvSW_.uses_flat_scratch, 1
	.set _ZN7rocprim17ROCPRIM_400000_NS6detail17trampoline_kernelINS0_14default_configENS1_27upper_bound_config_selectorIslEEZNS1_14transform_implILb0ES3_S5_N6thrust23THRUST_200600_302600_NS6detail15normal_iteratorINS8_7pointerIsNS8_11hip_rocprim5par_tENS8_11use_defaultESE_EEEENSA_INSB_IlSD_SE_SE_EEEEZNS1_13binary_searchIS3_S5_PsSG_SI_NS1_21upper_bound_search_opENS9_16wrapped_functionINS8_6system6detail7generic6detail18binary_search_lessEbEEEE10hipError_tPvRmT1_T2_T3_mmT4_T5_P12ihipStream_tbEUlRKsE_EEST_SX_SY_mSZ_S12_bEUlT_E_NS1_11comp_targetILNS1_3genE8ELNS1_11target_archE1030ELNS1_3gpuE2ELNS1_3repE0EEENS1_30default_config_static_selectorELNS0_4arch9wavefront6targetE0EEEvSW_.has_dyn_sized_stack, 0
	.set _ZN7rocprim17ROCPRIM_400000_NS6detail17trampoline_kernelINS0_14default_configENS1_27upper_bound_config_selectorIslEEZNS1_14transform_implILb0ES3_S5_N6thrust23THRUST_200600_302600_NS6detail15normal_iteratorINS8_7pointerIsNS8_11hip_rocprim5par_tENS8_11use_defaultESE_EEEENSA_INSB_IlSD_SE_SE_EEEEZNS1_13binary_searchIS3_S5_PsSG_SI_NS1_21upper_bound_search_opENS9_16wrapped_functionINS8_6system6detail7generic6detail18binary_search_lessEbEEEE10hipError_tPvRmT1_T2_T3_mmT4_T5_P12ihipStream_tbEUlRKsE_EEST_SX_SY_mSZ_S12_bEUlT_E_NS1_11comp_targetILNS1_3genE8ELNS1_11target_archE1030ELNS1_3gpuE2ELNS1_3repE0EEENS1_30default_config_static_selectorELNS0_4arch9wavefront6targetE0EEEvSW_.has_recursion, 0
	.set _ZN7rocprim17ROCPRIM_400000_NS6detail17trampoline_kernelINS0_14default_configENS1_27upper_bound_config_selectorIslEEZNS1_14transform_implILb0ES3_S5_N6thrust23THRUST_200600_302600_NS6detail15normal_iteratorINS8_7pointerIsNS8_11hip_rocprim5par_tENS8_11use_defaultESE_EEEENSA_INSB_IlSD_SE_SE_EEEEZNS1_13binary_searchIS3_S5_PsSG_SI_NS1_21upper_bound_search_opENS9_16wrapped_functionINS8_6system6detail7generic6detail18binary_search_lessEbEEEE10hipError_tPvRmT1_T2_T3_mmT4_T5_P12ihipStream_tbEUlRKsE_EEST_SX_SY_mSZ_S12_bEUlT_E_NS1_11comp_targetILNS1_3genE8ELNS1_11target_archE1030ELNS1_3gpuE2ELNS1_3repE0EEENS1_30default_config_static_selectorELNS0_4arch9wavefront6targetE0EEEvSW_.has_indirect_call, 0
	.section	.AMDGPU.csdata,"",@progbits
; Kernel info:
; codeLenInByte = 2672
; TotalNumSgprs: 22
; NumVgprs: 17
; ScratchSize: 0
; MemoryBound: 0
; FloatMode: 240
; IeeeMode: 1
; LDSByteSize: 0 bytes/workgroup (compile time only)
; SGPRBlocks: 0
; VGPRBlocks: 2
; NumSGPRsForWavesPerEU: 22
; NumVGPRsForWavesPerEU: 17
; Occupancy: 16
; WaveLimiterHint : 1
; COMPUTE_PGM_RSRC2:SCRATCH_EN: 0
; COMPUTE_PGM_RSRC2:USER_SGPR: 6
; COMPUTE_PGM_RSRC2:TRAP_HANDLER: 0
; COMPUTE_PGM_RSRC2:TGID_X_EN: 1
; COMPUTE_PGM_RSRC2:TGID_Y_EN: 0
; COMPUTE_PGM_RSRC2:TGID_Z_EN: 0
; COMPUTE_PGM_RSRC2:TIDIG_COMP_CNT: 0
	.section	.text._ZN6thrust23THRUST_200600_302600_NS11hip_rocprim14__parallel_for6kernelILj256ENS1_20__uninitialized_fill7functorINS0_10device_ptrIbEEbEEmLj1EEEvT0_T1_SA_,"axG",@progbits,_ZN6thrust23THRUST_200600_302600_NS11hip_rocprim14__parallel_for6kernelILj256ENS1_20__uninitialized_fill7functorINS0_10device_ptrIbEEbEEmLj1EEEvT0_T1_SA_,comdat
	.protected	_ZN6thrust23THRUST_200600_302600_NS11hip_rocprim14__parallel_for6kernelILj256ENS1_20__uninitialized_fill7functorINS0_10device_ptrIbEEbEEmLj1EEEvT0_T1_SA_ ; -- Begin function _ZN6thrust23THRUST_200600_302600_NS11hip_rocprim14__parallel_for6kernelILj256ENS1_20__uninitialized_fill7functorINS0_10device_ptrIbEEbEEmLj1EEEvT0_T1_SA_
	.globl	_ZN6thrust23THRUST_200600_302600_NS11hip_rocprim14__parallel_for6kernelILj256ENS1_20__uninitialized_fill7functorINS0_10device_ptrIbEEbEEmLj1EEEvT0_T1_SA_
	.p2align	8
	.type	_ZN6thrust23THRUST_200600_302600_NS11hip_rocprim14__parallel_for6kernelILj256ENS1_20__uninitialized_fill7functorINS0_10device_ptrIbEEbEEmLj1EEEvT0_T1_SA_,@function
_ZN6thrust23THRUST_200600_302600_NS11hip_rocprim14__parallel_for6kernelILj256ENS1_20__uninitialized_fill7functorINS0_10device_ptrIbEEbEEmLj1EEEvT0_T1_SA_: ; @_ZN6thrust23THRUST_200600_302600_NS11hip_rocprim14__parallel_for6kernelILj256ENS1_20__uninitialized_fill7functorINS0_10device_ptrIbEEbEEmLj1EEEvT0_T1_SA_
; %bb.0:
	s_clause 0x2
	s_load_dwordx4 s[8:11], s[4:5], 0x10
	s_load_dwordx2 s[0:1], s[4:5], 0x0
	s_load_dword s4, s[4:5], 0x8
	s_lshl_b32 s2, s6, 8
	s_waitcnt lgkmcnt(0)
	s_add_u32 s5, s10, s2
	s_addc_u32 s6, s11, 0
	s_sub_u32 s2, s8, s5
	s_subb_u32 s3, s9, s6
	v_cmp_lt_u64_e64 s3, 0xff, s[2:3]
	s_and_b32 vcc_lo, exec_lo, s3
	s_mov_b32 s3, -1
	s_cbranch_vccz .LBB241_3
; %bb.1:
	s_andn2_b32 vcc_lo, exec_lo, s3
	s_cbranch_vccz .LBB241_6
.LBB241_2:
	s_endpgm
.LBB241_3:
	v_cmp_gt_u32_e32 vcc_lo, s2, v0
	s_and_saveexec_b32 s2, vcc_lo
	s_cbranch_execz .LBB241_5
; %bb.4:
	s_add_u32 s3, s0, s5
	s_addc_u32 s7, s1, s6
	v_add_co_u32 v1, s3, s3, v0
	v_add_co_ci_u32_e64 v2, null, s7, 0, s3
	v_mov_b32_e32 v3, s4
	flat_store_byte v[1:2], v3
.LBB241_5:
	s_or_b32 exec_lo, exec_lo, s2
	s_cbranch_execnz .LBB241_2
.LBB241_6:
	s_add_u32 s0, s0, s5
	s_addc_u32 s1, s1, s6
	v_add_co_u32 v0, s0, s0, v0
	v_add_co_ci_u32_e64 v1, null, s1, 0, s0
	v_mov_b32_e32 v2, s4
	flat_store_byte v[0:1], v2
	s_endpgm
	.section	.rodata,"a",@progbits
	.p2align	6, 0x0
	.amdhsa_kernel _ZN6thrust23THRUST_200600_302600_NS11hip_rocprim14__parallel_for6kernelILj256ENS1_20__uninitialized_fill7functorINS0_10device_ptrIbEEbEEmLj1EEEvT0_T1_SA_
		.amdhsa_group_segment_fixed_size 0
		.amdhsa_private_segment_fixed_size 0
		.amdhsa_kernarg_size 32
		.amdhsa_user_sgpr_count 6
		.amdhsa_user_sgpr_private_segment_buffer 1
		.amdhsa_user_sgpr_dispatch_ptr 0
		.amdhsa_user_sgpr_queue_ptr 0
		.amdhsa_user_sgpr_kernarg_segment_ptr 1
		.amdhsa_user_sgpr_dispatch_id 0
		.amdhsa_user_sgpr_flat_scratch_init 0
		.amdhsa_user_sgpr_private_segment_size 0
		.amdhsa_wavefront_size32 1
		.amdhsa_uses_dynamic_stack 0
		.amdhsa_system_sgpr_private_segment_wavefront_offset 0
		.amdhsa_system_sgpr_workgroup_id_x 1
		.amdhsa_system_sgpr_workgroup_id_y 0
		.amdhsa_system_sgpr_workgroup_id_z 0
		.amdhsa_system_sgpr_workgroup_info 0
		.amdhsa_system_vgpr_workitem_id 0
		.amdhsa_next_free_vgpr 4
		.amdhsa_next_free_sgpr 12
		.amdhsa_reserve_vcc 1
		.amdhsa_reserve_flat_scratch 0
		.amdhsa_float_round_mode_32 0
		.amdhsa_float_round_mode_16_64 0
		.amdhsa_float_denorm_mode_32 3
		.amdhsa_float_denorm_mode_16_64 3
		.amdhsa_dx10_clamp 1
		.amdhsa_ieee_mode 1
		.amdhsa_fp16_overflow 0
		.amdhsa_workgroup_processor_mode 1
		.amdhsa_memory_ordered 1
		.amdhsa_forward_progress 1
		.amdhsa_shared_vgpr_count 0
		.amdhsa_exception_fp_ieee_invalid_op 0
		.amdhsa_exception_fp_denorm_src 0
		.amdhsa_exception_fp_ieee_div_zero 0
		.amdhsa_exception_fp_ieee_overflow 0
		.amdhsa_exception_fp_ieee_underflow 0
		.amdhsa_exception_fp_ieee_inexact 0
		.amdhsa_exception_int_div_zero 0
	.end_amdhsa_kernel
	.section	.text._ZN6thrust23THRUST_200600_302600_NS11hip_rocprim14__parallel_for6kernelILj256ENS1_20__uninitialized_fill7functorINS0_10device_ptrIbEEbEEmLj1EEEvT0_T1_SA_,"axG",@progbits,_ZN6thrust23THRUST_200600_302600_NS11hip_rocprim14__parallel_for6kernelILj256ENS1_20__uninitialized_fill7functorINS0_10device_ptrIbEEbEEmLj1EEEvT0_T1_SA_,comdat
.Lfunc_end241:
	.size	_ZN6thrust23THRUST_200600_302600_NS11hip_rocprim14__parallel_for6kernelILj256ENS1_20__uninitialized_fill7functorINS0_10device_ptrIbEEbEEmLj1EEEvT0_T1_SA_, .Lfunc_end241-_ZN6thrust23THRUST_200600_302600_NS11hip_rocprim14__parallel_for6kernelILj256ENS1_20__uninitialized_fill7functorINS0_10device_ptrIbEEbEEmLj1EEEvT0_T1_SA_
                                        ; -- End function
	.set _ZN6thrust23THRUST_200600_302600_NS11hip_rocprim14__parallel_for6kernelILj256ENS1_20__uninitialized_fill7functorINS0_10device_ptrIbEEbEEmLj1EEEvT0_T1_SA_.num_vgpr, 4
	.set _ZN6thrust23THRUST_200600_302600_NS11hip_rocprim14__parallel_for6kernelILj256ENS1_20__uninitialized_fill7functorINS0_10device_ptrIbEEbEEmLj1EEEvT0_T1_SA_.num_agpr, 0
	.set _ZN6thrust23THRUST_200600_302600_NS11hip_rocprim14__parallel_for6kernelILj256ENS1_20__uninitialized_fill7functorINS0_10device_ptrIbEEbEEmLj1EEEvT0_T1_SA_.numbered_sgpr, 12
	.set _ZN6thrust23THRUST_200600_302600_NS11hip_rocprim14__parallel_for6kernelILj256ENS1_20__uninitialized_fill7functorINS0_10device_ptrIbEEbEEmLj1EEEvT0_T1_SA_.num_named_barrier, 0
	.set _ZN6thrust23THRUST_200600_302600_NS11hip_rocprim14__parallel_for6kernelILj256ENS1_20__uninitialized_fill7functorINS0_10device_ptrIbEEbEEmLj1EEEvT0_T1_SA_.private_seg_size, 0
	.set _ZN6thrust23THRUST_200600_302600_NS11hip_rocprim14__parallel_for6kernelILj256ENS1_20__uninitialized_fill7functorINS0_10device_ptrIbEEbEEmLj1EEEvT0_T1_SA_.uses_vcc, 1
	.set _ZN6thrust23THRUST_200600_302600_NS11hip_rocprim14__parallel_for6kernelILj256ENS1_20__uninitialized_fill7functorINS0_10device_ptrIbEEbEEmLj1EEEvT0_T1_SA_.uses_flat_scratch, 0
	.set _ZN6thrust23THRUST_200600_302600_NS11hip_rocprim14__parallel_for6kernelILj256ENS1_20__uninitialized_fill7functorINS0_10device_ptrIbEEbEEmLj1EEEvT0_T1_SA_.has_dyn_sized_stack, 0
	.set _ZN6thrust23THRUST_200600_302600_NS11hip_rocprim14__parallel_for6kernelILj256ENS1_20__uninitialized_fill7functorINS0_10device_ptrIbEEbEEmLj1EEEvT0_T1_SA_.has_recursion, 0
	.set _ZN6thrust23THRUST_200600_302600_NS11hip_rocprim14__parallel_for6kernelILj256ENS1_20__uninitialized_fill7functorINS0_10device_ptrIbEEbEEmLj1EEEvT0_T1_SA_.has_indirect_call, 0
	.section	.AMDGPU.csdata,"",@progbits
; Kernel info:
; codeLenInByte = 184
; TotalNumSgprs: 14
; NumVgprs: 4
; ScratchSize: 0
; MemoryBound: 0
; FloatMode: 240
; IeeeMode: 1
; LDSByteSize: 0 bytes/workgroup (compile time only)
; SGPRBlocks: 0
; VGPRBlocks: 0
; NumSGPRsForWavesPerEU: 14
; NumVGPRsForWavesPerEU: 4
; Occupancy: 16
; WaveLimiterHint : 0
; COMPUTE_PGM_RSRC2:SCRATCH_EN: 0
; COMPUTE_PGM_RSRC2:USER_SGPR: 6
; COMPUTE_PGM_RSRC2:TRAP_HANDLER: 0
; COMPUTE_PGM_RSRC2:TGID_X_EN: 1
; COMPUTE_PGM_RSRC2:TGID_Y_EN: 0
; COMPUTE_PGM_RSRC2:TGID_Z_EN: 0
; COMPUTE_PGM_RSRC2:TIDIG_COMP_CNT: 0
	.section	.text._Z20binary_search_kernelIdEvmPT_Pb,"axG",@progbits,_Z20binary_search_kernelIdEvmPT_Pb,comdat
	.protected	_Z20binary_search_kernelIdEvmPT_Pb ; -- Begin function _Z20binary_search_kernelIdEvmPT_Pb
	.globl	_Z20binary_search_kernelIdEvmPT_Pb
	.p2align	8
	.type	_Z20binary_search_kernelIdEvmPT_Pb,@function
_Z20binary_search_kernelIdEvmPT_Pb:     ; @_Z20binary_search_kernelIdEvmPT_Pb
; %bb.0:
	s_clause 0x1
	s_load_dwordx4 s[8:11], s[4:5], 0x0
	s_load_dwordx2 s[2:3], s[4:5], 0x10
	s_waitcnt lgkmcnt(0)
	s_lshl_b64 s[0:1], s[8:9], 3
	s_add_u32 s0, s10, s0
	s_addc_u32 s1, s11, s1
	s_sub_u32 s0, s0, s10
	s_subb_u32 s1, s1, s11
	s_ashr_i64 s[4:5], s[0:1], 3
	v_cmp_lt_i64_e64 s0, s[4:5], 1
	s_and_b32 vcc_lo, exec_lo, s0
	s_mov_b64 s[0:1], 0
	s_cbranch_vccnz .LBB242_3
; %bb.1:
	s_mov_b64 s[6:7], s[4:5]
	.p2align	6
.LBB242_2:                              ; =>This Inner Loop Header: Depth=1
	s_sub_u32 s12, s6, s0
	s_subb_u32 s13, s7, s1
	s_lshr_b64 s[12:13], s[12:13], 1
	s_add_u32 s12, s12, s0
	s_addc_u32 s13, s13, s1
	s_lshl_b64 s[14:15], s[12:13], 3
	s_add_u32 s14, s10, s14
	s_addc_u32 s15, s11, s15
	s_load_dwordx2 s[14:15], s[14:15], 0x0
	s_waitcnt lgkmcnt(0)
	v_cmp_lt_f64_e64 s14, s[14:15], 0
	s_add_u32 s15, s12, 1
	s_addc_u32 s16, s13, 0
	s_and_b32 s14, s14, exec_lo
	s_cselect_b32 s1, s16, s1
	s_cselect_b32 s0, s15, s0
	;; [unrolled: 1-line block ×4, first 2 shown]
	v_cmp_lt_i64_e64 s12, s[0:1], s[6:7]
	s_and_b32 vcc_lo, exec_lo, s12
	s_cbranch_vccnz .LBB242_2
.LBB242_3:
	v_cmp_gt_i64_e64 s6, s[4:5], 0
	s_cmp_eq_u64 s[0:1], s[8:9]
	s_mov_b32 s7, 0
	s_cbranch_scc1 .LBB242_5
; %bb.4:
	s_lshl_b64 s[0:1], s[0:1], 3
	s_add_u32 s0, s10, s0
	s_addc_u32 s1, s11, s1
	s_load_dwordx2 s[0:1], s[0:1], 0x0
	s_waitcnt lgkmcnt(0)
	v_cmp_ngt_f64_e64 s7, s[0:1], 0
.LBB242_5:
	v_cndmask_b32_e64 v0, 0, 1, s6
	v_cndmask_b32_e64 v1, 0, 1, s7
	s_andn2_b32 vcc_lo, exec_lo, s6
	s_mov_b64 s[6:7], 0
	v_cmp_ne_u32_e64 s0, 1, v0
	v_mov_b32_e32 v0, 0
	global_store_byte v0, v1, s[2:3]
	s_cbranch_vccnz .LBB242_8
; %bb.6:
	s_mov_b64 s[12:13], s[4:5]
	.p2align	6
.LBB242_7:                              ; =>This Inner Loop Header: Depth=1
	s_sub_u32 s14, s12, s6
	s_subb_u32 s15, s13, s7
	s_lshr_b64 s[14:15], s[14:15], 1
	s_add_u32 s14, s14, s6
	s_addc_u32 s15, s15, s7
	s_lshl_b64 s[16:17], s[14:15], 3
	s_add_u32 s16, s10, s16
	s_addc_u32 s17, s11, s17
	s_load_dwordx2 s[16:17], s[16:17], 0x0
	s_waitcnt lgkmcnt(0)
	v_cmp_lt_f64_e64 s1, s[16:17], 1.0
	s_add_u32 s16, s14, 1
	s_addc_u32 s17, s15, 0
	s_and_b32 s1, s1, exec_lo
	s_cselect_b32 s7, s17, s7
	s_cselect_b32 s6, s16, s6
	;; [unrolled: 1-line block ×4, first 2 shown]
	v_cmp_lt_i64_e64 s1, s[6:7], s[12:13]
	s_and_b32 vcc_lo, exec_lo, s1
	s_cbranch_vccnz .LBB242_7
.LBB242_8:
	s_cmp_eq_u64 s[6:7], s[8:9]
	s_mov_b32 s1, 0
	s_cbranch_scc1 .LBB242_10
; %bb.9:
	s_lshl_b64 s[6:7], s[6:7], 3
	s_add_u32 s6, s10, s6
	s_addc_u32 s7, s11, s7
	s_load_dwordx2 s[6:7], s[6:7], 0x0
	s_waitcnt lgkmcnt(0)
	v_cmp_ngt_f64_e64 s1, s[6:7], 1.0
.LBB242_10:
	v_mov_b32_e32 v0, 0
	v_cndmask_b32_e64 v1, 0, 1, s1
	s_and_b32 vcc_lo, exec_lo, s0
	s_mov_b64 s[6:7], 0
	global_store_byte v0, v1, s[2:3] offset:1
	s_cbranch_vccnz .LBB242_13
; %bb.11:
	s_mov_b64 s[12:13], s[4:5]
	.p2align	6
.LBB242_12:                             ; =>This Inner Loop Header: Depth=1
	s_sub_u32 s14, s12, s6
	s_subb_u32 s15, s13, s7
	s_lshr_b64 s[14:15], s[14:15], 1
	s_add_u32 s14, s14, s6
	s_addc_u32 s15, s15, s7
	s_lshl_b64 s[16:17], s[14:15], 3
	s_add_u32 s16, s10, s16
	s_addc_u32 s17, s11, s17
	s_load_dwordx2 s[16:17], s[16:17], 0x0
	s_waitcnt lgkmcnt(0)
	v_cmp_lt_f64_e64 s1, s[16:17], 2.0
	s_add_u32 s16, s14, 1
	s_addc_u32 s17, s15, 0
	s_and_b32 s1, s1, exec_lo
	s_cselect_b32 s7, s17, s7
	s_cselect_b32 s6, s16, s6
	;; [unrolled: 1-line block ×4, first 2 shown]
	v_cmp_lt_i64_e64 s1, s[6:7], s[12:13]
	s_and_b32 vcc_lo, exec_lo, s1
	s_cbranch_vccnz .LBB242_12
.LBB242_13:
	s_cmp_eq_u64 s[6:7], s[8:9]
	s_mov_b32 s1, 0
	s_cbranch_scc1 .LBB242_15
; %bb.14:
	s_lshl_b64 s[6:7], s[6:7], 3
	s_add_u32 s6, s10, s6
	s_addc_u32 s7, s11, s7
	s_load_dwordx2 s[6:7], s[6:7], 0x0
	s_waitcnt lgkmcnt(0)
	v_cmp_ngt_f64_e64 s1, s[6:7], 2.0
.LBB242_15:
	v_mov_b32_e32 v0, 0
	v_cndmask_b32_e64 v1, 0, 1, s1
	s_and_b32 vcc_lo, exec_lo, s0
	s_mov_b64 s[6:7], 0
	global_store_byte v0, v1, s[2:3] offset:2
	s_cbranch_vccnz .LBB242_18
; %bb.16:
	s_mov_b64 s[12:13], s[4:5]
	.p2align	6
.LBB242_17:                             ; =>This Inner Loop Header: Depth=1
	s_sub_u32 s14, s12, s6
	s_subb_u32 s15, s13, s7
	s_lshr_b64 s[14:15], s[14:15], 1
	s_add_u32 s14, s14, s6
	s_addc_u32 s15, s15, s7
	s_lshl_b64 s[16:17], s[14:15], 3
	s_add_u32 s16, s10, s16
	s_addc_u32 s17, s11, s17
	s_load_dwordx2 s[16:17], s[16:17], 0x0
	s_waitcnt lgkmcnt(0)
	v_cmp_gt_f64_e64 s1, 0x40080000, s[16:17]
	s_add_u32 s16, s14, 1
	s_addc_u32 s17, s15, 0
	s_and_b32 s1, s1, exec_lo
	s_cselect_b32 s7, s17, s7
	s_cselect_b32 s6, s16, s6
	;; [unrolled: 1-line block ×4, first 2 shown]
	v_cmp_lt_i64_e64 s1, s[6:7], s[12:13]
	s_and_b32 vcc_lo, exec_lo, s1
	s_cbranch_vccnz .LBB242_17
.LBB242_18:
	s_cmp_eq_u64 s[6:7], s[8:9]
	s_mov_b32 s1, 0
	s_cbranch_scc1 .LBB242_20
; %bb.19:
	s_lshl_b64 s[6:7], s[6:7], 3
	s_add_u32 s6, s10, s6
	s_addc_u32 s7, s11, s7
	s_load_dwordx2 s[6:7], s[6:7], 0x0
	s_waitcnt lgkmcnt(0)
	v_cmp_nlt_f64_e64 s1, 0x40080000, s[6:7]
.LBB242_20:
	v_mov_b32_e32 v0, 0
	v_cndmask_b32_e64 v1, 0, 1, s1
	s_and_b32 vcc_lo, exec_lo, s0
	s_mov_b64 s[6:7], 0
	global_store_byte v0, v1, s[2:3] offset:3
	s_cbranch_vccnz .LBB242_23
; %bb.21:
	s_mov_b64 s[12:13], s[4:5]
	.p2align	6
.LBB242_22:                             ; =>This Inner Loop Header: Depth=1
	s_sub_u32 s14, s12, s6
	s_subb_u32 s15, s13, s7
	s_lshr_b64 s[14:15], s[14:15], 1
	s_add_u32 s14, s14, s6
	s_addc_u32 s15, s15, s7
	s_lshl_b64 s[16:17], s[14:15], 3
	s_add_u32 s16, s10, s16
	s_addc_u32 s17, s11, s17
	s_load_dwordx2 s[16:17], s[16:17], 0x0
	s_waitcnt lgkmcnt(0)
	v_cmp_lt_f64_e64 s1, s[16:17], 4.0
	s_add_u32 s16, s14, 1
	s_addc_u32 s17, s15, 0
	s_and_b32 s1, s1, exec_lo
	s_cselect_b32 s7, s17, s7
	s_cselect_b32 s6, s16, s6
	;; [unrolled: 1-line block ×4, first 2 shown]
	v_cmp_lt_i64_e64 s1, s[6:7], s[12:13]
	s_and_b32 vcc_lo, exec_lo, s1
	s_cbranch_vccnz .LBB242_22
.LBB242_23:
	s_cmp_eq_u64 s[6:7], s[8:9]
	s_mov_b32 s1, 0
	s_cbranch_scc1 .LBB242_25
; %bb.24:
	s_lshl_b64 s[6:7], s[6:7], 3
	s_add_u32 s6, s10, s6
	s_addc_u32 s7, s11, s7
	s_load_dwordx2 s[6:7], s[6:7], 0x0
	s_waitcnt lgkmcnt(0)
	v_cmp_ngt_f64_e64 s1, s[6:7], 4.0
.LBB242_25:
	v_mov_b32_e32 v0, 0
	v_cndmask_b32_e64 v1, 0, 1, s1
	s_and_b32 vcc_lo, exec_lo, s0
	s_mov_b64 s[6:7], 0
	global_store_byte v0, v1, s[2:3] offset:4
	s_cbranch_vccnz .LBB242_28
; %bb.26:
	s_mov_b64 s[12:13], s[4:5]
	.p2align	6
.LBB242_27:                             ; =>This Inner Loop Header: Depth=1
	s_sub_u32 s14, s12, s6
	s_subb_u32 s15, s13, s7
	s_lshr_b64 s[14:15], s[14:15], 1
	s_add_u32 s14, s14, s6
	s_addc_u32 s15, s15, s7
	s_lshl_b64 s[16:17], s[14:15], 3
	s_add_u32 s16, s10, s16
	s_addc_u32 s17, s11, s17
	s_load_dwordx2 s[16:17], s[16:17], 0x0
	s_waitcnt lgkmcnt(0)
	v_cmp_gt_f64_e64 s1, 0x40140000, s[16:17]
	s_add_u32 s16, s14, 1
	s_addc_u32 s17, s15, 0
	s_and_b32 s1, s1, exec_lo
	s_cselect_b32 s7, s17, s7
	s_cselect_b32 s6, s16, s6
	;; [unrolled: 1-line block ×4, first 2 shown]
	v_cmp_lt_i64_e64 s1, s[6:7], s[12:13]
	s_and_b32 vcc_lo, exec_lo, s1
	s_cbranch_vccnz .LBB242_27
.LBB242_28:
	s_cmp_eq_u64 s[6:7], s[8:9]
	s_mov_b32 s1, 0
	s_cbranch_scc1 .LBB242_30
; %bb.29:
	s_lshl_b64 s[6:7], s[6:7], 3
	s_add_u32 s6, s10, s6
	s_addc_u32 s7, s11, s7
	s_load_dwordx2 s[6:7], s[6:7], 0x0
	s_waitcnt lgkmcnt(0)
	v_cmp_nlt_f64_e64 s1, 0x40140000, s[6:7]
.LBB242_30:
	v_mov_b32_e32 v0, 0
	v_cndmask_b32_e64 v1, 0, 1, s1
	s_and_b32 vcc_lo, exec_lo, s0
	s_mov_b64 s[6:7], 0
	global_store_byte v0, v1, s[2:3] offset:5
	s_cbranch_vccnz .LBB242_33
; %bb.31:
	s_mov_b64 s[12:13], s[4:5]
	.p2align	6
.LBB242_32:                             ; =>This Inner Loop Header: Depth=1
	s_sub_u32 s14, s12, s6
	s_subb_u32 s15, s13, s7
	s_lshr_b64 s[14:15], s[14:15], 1
	s_add_u32 s14, s14, s6
	s_addc_u32 s15, s15, s7
	s_lshl_b64 s[16:17], s[14:15], 3
	s_add_u32 s16, s10, s16
	s_addc_u32 s17, s11, s17
	s_load_dwordx2 s[16:17], s[16:17], 0x0
	s_waitcnt lgkmcnt(0)
	v_cmp_gt_f64_e64 s1, 0x40180000, s[16:17]
	s_add_u32 s16, s14, 1
	s_addc_u32 s17, s15, 0
	s_and_b32 s1, s1, exec_lo
	s_cselect_b32 s7, s17, s7
	s_cselect_b32 s6, s16, s6
	;; [unrolled: 1-line block ×4, first 2 shown]
	v_cmp_lt_i64_e64 s1, s[6:7], s[12:13]
	s_and_b32 vcc_lo, exec_lo, s1
	s_cbranch_vccnz .LBB242_32
.LBB242_33:
	s_cmp_eq_u64 s[6:7], s[8:9]
	s_mov_b32 s1, 0
	s_cbranch_scc1 .LBB242_35
; %bb.34:
	s_lshl_b64 s[6:7], s[6:7], 3
	s_add_u32 s6, s10, s6
	s_addc_u32 s7, s11, s7
	s_load_dwordx2 s[6:7], s[6:7], 0x0
	s_waitcnt lgkmcnt(0)
	v_cmp_nlt_f64_e64 s1, 0x40180000, s[6:7]
.LBB242_35:
	v_mov_b32_e32 v0, 0
	v_cndmask_b32_e64 v1, 0, 1, s1
	s_and_b32 vcc_lo, exec_lo, s0
	s_mov_b64 s[6:7], 0
	global_store_byte v0, v1, s[2:3] offset:6
	s_cbranch_vccnz .LBB242_38
; %bb.36:
	s_mov_b64 s[12:13], s[4:5]
	.p2align	6
.LBB242_37:                             ; =>This Inner Loop Header: Depth=1
	s_sub_u32 s14, s12, s6
	s_subb_u32 s15, s13, s7
	s_lshr_b64 s[14:15], s[14:15], 1
	s_add_u32 s14, s14, s6
	s_addc_u32 s15, s15, s7
	s_lshl_b64 s[16:17], s[14:15], 3
	s_add_u32 s16, s10, s16
	s_addc_u32 s17, s11, s17
	s_load_dwordx2 s[16:17], s[16:17], 0x0
	s_waitcnt lgkmcnt(0)
	v_cmp_gt_f64_e64 s1, 0x401c0000, s[16:17]
	s_add_u32 s16, s14, 1
	s_addc_u32 s17, s15, 0
	s_and_b32 s1, s1, exec_lo
	s_cselect_b32 s7, s17, s7
	s_cselect_b32 s6, s16, s6
	;; [unrolled: 1-line block ×4, first 2 shown]
	v_cmp_lt_i64_e64 s1, s[6:7], s[12:13]
	s_and_b32 vcc_lo, exec_lo, s1
	s_cbranch_vccnz .LBB242_37
.LBB242_38:
	s_cmp_eq_u64 s[6:7], s[8:9]
	s_mov_b32 s1, 0
	s_cbranch_scc1 .LBB242_40
; %bb.39:
	s_lshl_b64 s[6:7], s[6:7], 3
	s_add_u32 s6, s10, s6
	s_addc_u32 s7, s11, s7
	s_load_dwordx2 s[6:7], s[6:7], 0x0
	s_waitcnt lgkmcnt(0)
	v_cmp_nlt_f64_e64 s1, 0x401c0000, s[6:7]
.LBB242_40:
	v_mov_b32_e32 v0, 0
	v_cndmask_b32_e64 v1, 0, 1, s1
	s_and_b32 vcc_lo, exec_lo, s0
	s_mov_b64 s[6:7], 0
	global_store_byte v0, v1, s[2:3] offset:7
	s_cbranch_vccnz .LBB242_43
; %bb.41:
	s_mov_b64 s[12:13], s[4:5]
	.p2align	6
.LBB242_42:                             ; =>This Inner Loop Header: Depth=1
	s_sub_u32 s14, s12, s6
	s_subb_u32 s15, s13, s7
	s_lshr_b64 s[14:15], s[14:15], 1
	s_add_u32 s14, s14, s6
	s_addc_u32 s15, s15, s7
	s_lshl_b64 s[16:17], s[14:15], 3
	s_add_u32 s16, s10, s16
	s_addc_u32 s17, s11, s17
	s_load_dwordx2 s[16:17], s[16:17], 0x0
	s_waitcnt lgkmcnt(0)
	v_cmp_gt_f64_e64 s1, 0x40200000, s[16:17]
	s_add_u32 s16, s14, 1
	s_addc_u32 s17, s15, 0
	s_and_b32 s1, s1, exec_lo
	s_cselect_b32 s7, s17, s7
	s_cselect_b32 s6, s16, s6
	;; [unrolled: 1-line block ×4, first 2 shown]
	v_cmp_lt_i64_e64 s1, s[6:7], s[12:13]
	s_and_b32 vcc_lo, exec_lo, s1
	s_cbranch_vccnz .LBB242_42
.LBB242_43:
	s_cmp_eq_u64 s[6:7], s[8:9]
	s_mov_b32 s1, 0
	s_cbranch_scc1 .LBB242_45
; %bb.44:
	s_lshl_b64 s[6:7], s[6:7], 3
	s_add_u32 s6, s10, s6
	s_addc_u32 s7, s11, s7
	s_load_dwordx2 s[6:7], s[6:7], 0x0
	s_waitcnt lgkmcnt(0)
	v_cmp_nlt_f64_e64 s1, 0x40200000, s[6:7]
.LBB242_45:
	v_mov_b32_e32 v0, 0
	v_cndmask_b32_e64 v1, 0, 1, s1
	s_and_b32 vcc_lo, exec_lo, s0
	s_mov_b64 s[0:1], 0
	global_store_byte v0, v1, s[2:3] offset:8
	s_cbranch_vccnz .LBB242_47
	.p2align	6
.LBB242_46:                             ; =>This Inner Loop Header: Depth=1
	s_sub_u32 s6, s4, s0
	s_subb_u32 s7, s5, s1
	s_lshr_b64 s[6:7], s[6:7], 1
	s_add_u32 s6, s6, s0
	s_addc_u32 s7, s7, s1
	s_lshl_b64 s[12:13], s[6:7], 3
	s_add_u32 s12, s10, s12
	s_addc_u32 s13, s11, s13
	s_load_dwordx2 s[12:13], s[12:13], 0x0
	s_waitcnt lgkmcnt(0)
	v_cmp_gt_f64_e64 s12, 0x40220000, s[12:13]
	s_add_u32 s13, s6, 1
	s_addc_u32 s14, s7, 0
	s_and_b32 s12, s12, exec_lo
	s_cselect_b32 s1, s14, s1
	s_cselect_b32 s0, s13, s0
	;; [unrolled: 1-line block ×4, first 2 shown]
	v_cmp_lt_i64_e64 s6, s[0:1], s[4:5]
	s_and_b32 vcc_lo, exec_lo, s6
	s_cbranch_vccnz .LBB242_46
.LBB242_47:
	s_cmp_eq_u64 s[0:1], s[8:9]
	s_mov_b32 s4, 0
	s_cbranch_scc1 .LBB242_49
; %bb.48:
	s_lshl_b64 s[0:1], s[0:1], 3
	s_add_u32 s0, s10, s0
	s_addc_u32 s1, s11, s1
	s_load_dwordx2 s[0:1], s[0:1], 0x0
	s_waitcnt lgkmcnt(0)
	v_cmp_nlt_f64_e64 s4, 0x40220000, s[0:1]
.LBB242_49:
	v_mov_b32_e32 v0, 0
	v_cndmask_b32_e64 v1, 0, 1, s4
	global_store_byte v0, v1, s[2:3] offset:9
	s_endpgm
	.section	.rodata,"a",@progbits
	.p2align	6, 0x0
	.amdhsa_kernel _Z20binary_search_kernelIdEvmPT_Pb
		.amdhsa_group_segment_fixed_size 0
		.amdhsa_private_segment_fixed_size 0
		.amdhsa_kernarg_size 24
		.amdhsa_user_sgpr_count 6
		.amdhsa_user_sgpr_private_segment_buffer 1
		.amdhsa_user_sgpr_dispatch_ptr 0
		.amdhsa_user_sgpr_queue_ptr 0
		.amdhsa_user_sgpr_kernarg_segment_ptr 1
		.amdhsa_user_sgpr_dispatch_id 0
		.amdhsa_user_sgpr_flat_scratch_init 0
		.amdhsa_user_sgpr_private_segment_size 0
		.amdhsa_wavefront_size32 1
		.amdhsa_uses_dynamic_stack 0
		.amdhsa_system_sgpr_private_segment_wavefront_offset 0
		.amdhsa_system_sgpr_workgroup_id_x 1
		.amdhsa_system_sgpr_workgroup_id_y 0
		.amdhsa_system_sgpr_workgroup_id_z 0
		.amdhsa_system_sgpr_workgroup_info 0
		.amdhsa_system_vgpr_workitem_id 0
		.amdhsa_next_free_vgpr 2
		.amdhsa_next_free_sgpr 18
		.amdhsa_reserve_vcc 1
		.amdhsa_reserve_flat_scratch 0
		.amdhsa_float_round_mode_32 0
		.amdhsa_float_round_mode_16_64 0
		.amdhsa_float_denorm_mode_32 3
		.amdhsa_float_denorm_mode_16_64 3
		.amdhsa_dx10_clamp 1
		.amdhsa_ieee_mode 1
		.amdhsa_fp16_overflow 0
		.amdhsa_workgroup_processor_mode 1
		.amdhsa_memory_ordered 1
		.amdhsa_forward_progress 1
		.amdhsa_shared_vgpr_count 0
		.amdhsa_exception_fp_ieee_invalid_op 0
		.amdhsa_exception_fp_denorm_src 0
		.amdhsa_exception_fp_ieee_div_zero 0
		.amdhsa_exception_fp_ieee_overflow 0
		.amdhsa_exception_fp_ieee_underflow 0
		.amdhsa_exception_fp_ieee_inexact 0
		.amdhsa_exception_int_div_zero 0
	.end_amdhsa_kernel
	.section	.text._Z20binary_search_kernelIdEvmPT_Pb,"axG",@progbits,_Z20binary_search_kernelIdEvmPT_Pb,comdat
.Lfunc_end242:
	.size	_Z20binary_search_kernelIdEvmPT_Pb, .Lfunc_end242-_Z20binary_search_kernelIdEvmPT_Pb
                                        ; -- End function
	.set _Z20binary_search_kernelIdEvmPT_Pb.num_vgpr, 2
	.set _Z20binary_search_kernelIdEvmPT_Pb.num_agpr, 0
	.set _Z20binary_search_kernelIdEvmPT_Pb.numbered_sgpr, 18
	.set _Z20binary_search_kernelIdEvmPT_Pb.num_named_barrier, 0
	.set _Z20binary_search_kernelIdEvmPT_Pb.private_seg_size, 0
	.set _Z20binary_search_kernelIdEvmPT_Pb.uses_vcc, 1
	.set _Z20binary_search_kernelIdEvmPT_Pb.uses_flat_scratch, 0
	.set _Z20binary_search_kernelIdEvmPT_Pb.has_dyn_sized_stack, 0
	.set _Z20binary_search_kernelIdEvmPT_Pb.has_recursion, 0
	.set _Z20binary_search_kernelIdEvmPT_Pb.has_indirect_call, 0
	.section	.AMDGPU.csdata,"",@progbits
; Kernel info:
; codeLenInByte = 2092
; TotalNumSgprs: 20
; NumVgprs: 2
; ScratchSize: 0
; MemoryBound: 0
; FloatMode: 240
; IeeeMode: 1
; LDSByteSize: 0 bytes/workgroup (compile time only)
; SGPRBlocks: 0
; VGPRBlocks: 0
; NumSGPRsForWavesPerEU: 20
; NumVGPRsForWavesPerEU: 2
; Occupancy: 16
; WaveLimiterHint : 0
; COMPUTE_PGM_RSRC2:SCRATCH_EN: 0
; COMPUTE_PGM_RSRC2:USER_SGPR: 6
; COMPUTE_PGM_RSRC2:TRAP_HANDLER: 0
; COMPUTE_PGM_RSRC2:TGID_X_EN: 1
; COMPUTE_PGM_RSRC2:TGID_Y_EN: 0
; COMPUTE_PGM_RSRC2:TGID_Z_EN: 0
; COMPUTE_PGM_RSRC2:TIDIG_COMP_CNT: 0
	.section	.text._ZN7rocprim17ROCPRIM_400000_NS6detail17trampoline_kernelINS0_14default_configENS1_29binary_search_config_selectorIdiEEZNS1_14transform_implILb0ES3_S5_N6thrust23THRUST_200600_302600_NS6detail15normal_iteratorINS8_7pointerIdNS8_11hip_rocprim5par_tENS8_11use_defaultESE_EEEENSA_INSB_IiSD_SE_SE_EEEEZNS1_13binary_searchIS3_S5_PdSG_SI_NS1_16binary_search_opENS9_16wrapped_functionINS8_6system6detail7generic6detail18binary_search_lessEbEEEE10hipError_tPvRmT1_T2_T3_mmT4_T5_P12ihipStream_tbEUlRKdE_EEST_SX_SY_mSZ_S12_bEUlT_E_NS1_11comp_targetILNS1_3genE0ELNS1_11target_archE4294967295ELNS1_3gpuE0ELNS1_3repE0EEENS1_30default_config_static_selectorELNS0_4arch9wavefront6targetE0EEEvSW_,"axG",@progbits,_ZN7rocprim17ROCPRIM_400000_NS6detail17trampoline_kernelINS0_14default_configENS1_29binary_search_config_selectorIdiEEZNS1_14transform_implILb0ES3_S5_N6thrust23THRUST_200600_302600_NS6detail15normal_iteratorINS8_7pointerIdNS8_11hip_rocprim5par_tENS8_11use_defaultESE_EEEENSA_INSB_IiSD_SE_SE_EEEEZNS1_13binary_searchIS3_S5_PdSG_SI_NS1_16binary_search_opENS9_16wrapped_functionINS8_6system6detail7generic6detail18binary_search_lessEbEEEE10hipError_tPvRmT1_T2_T3_mmT4_T5_P12ihipStream_tbEUlRKdE_EEST_SX_SY_mSZ_S12_bEUlT_E_NS1_11comp_targetILNS1_3genE0ELNS1_11target_archE4294967295ELNS1_3gpuE0ELNS1_3repE0EEENS1_30default_config_static_selectorELNS0_4arch9wavefront6targetE0EEEvSW_,comdat
	.protected	_ZN7rocprim17ROCPRIM_400000_NS6detail17trampoline_kernelINS0_14default_configENS1_29binary_search_config_selectorIdiEEZNS1_14transform_implILb0ES3_S5_N6thrust23THRUST_200600_302600_NS6detail15normal_iteratorINS8_7pointerIdNS8_11hip_rocprim5par_tENS8_11use_defaultESE_EEEENSA_INSB_IiSD_SE_SE_EEEEZNS1_13binary_searchIS3_S5_PdSG_SI_NS1_16binary_search_opENS9_16wrapped_functionINS8_6system6detail7generic6detail18binary_search_lessEbEEEE10hipError_tPvRmT1_T2_T3_mmT4_T5_P12ihipStream_tbEUlRKdE_EEST_SX_SY_mSZ_S12_bEUlT_E_NS1_11comp_targetILNS1_3genE0ELNS1_11target_archE4294967295ELNS1_3gpuE0ELNS1_3repE0EEENS1_30default_config_static_selectorELNS0_4arch9wavefront6targetE0EEEvSW_ ; -- Begin function _ZN7rocprim17ROCPRIM_400000_NS6detail17trampoline_kernelINS0_14default_configENS1_29binary_search_config_selectorIdiEEZNS1_14transform_implILb0ES3_S5_N6thrust23THRUST_200600_302600_NS6detail15normal_iteratorINS8_7pointerIdNS8_11hip_rocprim5par_tENS8_11use_defaultESE_EEEENSA_INSB_IiSD_SE_SE_EEEEZNS1_13binary_searchIS3_S5_PdSG_SI_NS1_16binary_search_opENS9_16wrapped_functionINS8_6system6detail7generic6detail18binary_search_lessEbEEEE10hipError_tPvRmT1_T2_T3_mmT4_T5_P12ihipStream_tbEUlRKdE_EEST_SX_SY_mSZ_S12_bEUlT_E_NS1_11comp_targetILNS1_3genE0ELNS1_11target_archE4294967295ELNS1_3gpuE0ELNS1_3repE0EEENS1_30default_config_static_selectorELNS0_4arch9wavefront6targetE0EEEvSW_
	.globl	_ZN7rocprim17ROCPRIM_400000_NS6detail17trampoline_kernelINS0_14default_configENS1_29binary_search_config_selectorIdiEEZNS1_14transform_implILb0ES3_S5_N6thrust23THRUST_200600_302600_NS6detail15normal_iteratorINS8_7pointerIdNS8_11hip_rocprim5par_tENS8_11use_defaultESE_EEEENSA_INSB_IiSD_SE_SE_EEEEZNS1_13binary_searchIS3_S5_PdSG_SI_NS1_16binary_search_opENS9_16wrapped_functionINS8_6system6detail7generic6detail18binary_search_lessEbEEEE10hipError_tPvRmT1_T2_T3_mmT4_T5_P12ihipStream_tbEUlRKdE_EEST_SX_SY_mSZ_S12_bEUlT_E_NS1_11comp_targetILNS1_3genE0ELNS1_11target_archE4294967295ELNS1_3gpuE0ELNS1_3repE0EEENS1_30default_config_static_selectorELNS0_4arch9wavefront6targetE0EEEvSW_
	.p2align	8
	.type	_ZN7rocprim17ROCPRIM_400000_NS6detail17trampoline_kernelINS0_14default_configENS1_29binary_search_config_selectorIdiEEZNS1_14transform_implILb0ES3_S5_N6thrust23THRUST_200600_302600_NS6detail15normal_iteratorINS8_7pointerIdNS8_11hip_rocprim5par_tENS8_11use_defaultESE_EEEENSA_INSB_IiSD_SE_SE_EEEEZNS1_13binary_searchIS3_S5_PdSG_SI_NS1_16binary_search_opENS9_16wrapped_functionINS8_6system6detail7generic6detail18binary_search_lessEbEEEE10hipError_tPvRmT1_T2_T3_mmT4_T5_P12ihipStream_tbEUlRKdE_EEST_SX_SY_mSZ_S12_bEUlT_E_NS1_11comp_targetILNS1_3genE0ELNS1_11target_archE4294967295ELNS1_3gpuE0ELNS1_3repE0EEENS1_30default_config_static_selectorELNS0_4arch9wavefront6targetE0EEEvSW_,@function
_ZN7rocprim17ROCPRIM_400000_NS6detail17trampoline_kernelINS0_14default_configENS1_29binary_search_config_selectorIdiEEZNS1_14transform_implILb0ES3_S5_N6thrust23THRUST_200600_302600_NS6detail15normal_iteratorINS8_7pointerIdNS8_11hip_rocprim5par_tENS8_11use_defaultESE_EEEENSA_INSB_IiSD_SE_SE_EEEEZNS1_13binary_searchIS3_S5_PdSG_SI_NS1_16binary_search_opENS9_16wrapped_functionINS8_6system6detail7generic6detail18binary_search_lessEbEEEE10hipError_tPvRmT1_T2_T3_mmT4_T5_P12ihipStream_tbEUlRKdE_EEST_SX_SY_mSZ_S12_bEUlT_E_NS1_11comp_targetILNS1_3genE0ELNS1_11target_archE4294967295ELNS1_3gpuE0ELNS1_3repE0EEENS1_30default_config_static_selectorELNS0_4arch9wavefront6targetE0EEEvSW_: ; @_ZN7rocprim17ROCPRIM_400000_NS6detail17trampoline_kernelINS0_14default_configENS1_29binary_search_config_selectorIdiEEZNS1_14transform_implILb0ES3_S5_N6thrust23THRUST_200600_302600_NS6detail15normal_iteratorINS8_7pointerIdNS8_11hip_rocprim5par_tENS8_11use_defaultESE_EEEENSA_INSB_IiSD_SE_SE_EEEEZNS1_13binary_searchIS3_S5_PdSG_SI_NS1_16binary_search_opENS9_16wrapped_functionINS8_6system6detail7generic6detail18binary_search_lessEbEEEE10hipError_tPvRmT1_T2_T3_mmT4_T5_P12ihipStream_tbEUlRKdE_EEST_SX_SY_mSZ_S12_bEUlT_E_NS1_11comp_targetILNS1_3genE0ELNS1_11target_archE4294967295ELNS1_3gpuE0ELNS1_3repE0EEENS1_30default_config_static_selectorELNS0_4arch9wavefront6targetE0EEEvSW_
; %bb.0:
	.section	.rodata,"a",@progbits
	.p2align	6, 0x0
	.amdhsa_kernel _ZN7rocprim17ROCPRIM_400000_NS6detail17trampoline_kernelINS0_14default_configENS1_29binary_search_config_selectorIdiEEZNS1_14transform_implILb0ES3_S5_N6thrust23THRUST_200600_302600_NS6detail15normal_iteratorINS8_7pointerIdNS8_11hip_rocprim5par_tENS8_11use_defaultESE_EEEENSA_INSB_IiSD_SE_SE_EEEEZNS1_13binary_searchIS3_S5_PdSG_SI_NS1_16binary_search_opENS9_16wrapped_functionINS8_6system6detail7generic6detail18binary_search_lessEbEEEE10hipError_tPvRmT1_T2_T3_mmT4_T5_P12ihipStream_tbEUlRKdE_EEST_SX_SY_mSZ_S12_bEUlT_E_NS1_11comp_targetILNS1_3genE0ELNS1_11target_archE4294967295ELNS1_3gpuE0ELNS1_3repE0EEENS1_30default_config_static_selectorELNS0_4arch9wavefront6targetE0EEEvSW_
		.amdhsa_group_segment_fixed_size 0
		.amdhsa_private_segment_fixed_size 0
		.amdhsa_kernarg_size 56
		.amdhsa_user_sgpr_count 6
		.amdhsa_user_sgpr_private_segment_buffer 1
		.amdhsa_user_sgpr_dispatch_ptr 0
		.amdhsa_user_sgpr_queue_ptr 0
		.amdhsa_user_sgpr_kernarg_segment_ptr 1
		.amdhsa_user_sgpr_dispatch_id 0
		.amdhsa_user_sgpr_flat_scratch_init 0
		.amdhsa_user_sgpr_private_segment_size 0
		.amdhsa_wavefront_size32 1
		.amdhsa_uses_dynamic_stack 0
		.amdhsa_system_sgpr_private_segment_wavefront_offset 0
		.amdhsa_system_sgpr_workgroup_id_x 1
		.amdhsa_system_sgpr_workgroup_id_y 0
		.amdhsa_system_sgpr_workgroup_id_z 0
		.amdhsa_system_sgpr_workgroup_info 0
		.amdhsa_system_vgpr_workitem_id 0
		.amdhsa_next_free_vgpr 1
		.amdhsa_next_free_sgpr 1
		.amdhsa_reserve_vcc 0
		.amdhsa_reserve_flat_scratch 0
		.amdhsa_float_round_mode_32 0
		.amdhsa_float_round_mode_16_64 0
		.amdhsa_float_denorm_mode_32 3
		.amdhsa_float_denorm_mode_16_64 3
		.amdhsa_dx10_clamp 1
		.amdhsa_ieee_mode 1
		.amdhsa_fp16_overflow 0
		.amdhsa_workgroup_processor_mode 1
		.amdhsa_memory_ordered 1
		.amdhsa_forward_progress 1
		.amdhsa_shared_vgpr_count 0
		.amdhsa_exception_fp_ieee_invalid_op 0
		.amdhsa_exception_fp_denorm_src 0
		.amdhsa_exception_fp_ieee_div_zero 0
		.amdhsa_exception_fp_ieee_overflow 0
		.amdhsa_exception_fp_ieee_underflow 0
		.amdhsa_exception_fp_ieee_inexact 0
		.amdhsa_exception_int_div_zero 0
	.end_amdhsa_kernel
	.section	.text._ZN7rocprim17ROCPRIM_400000_NS6detail17trampoline_kernelINS0_14default_configENS1_29binary_search_config_selectorIdiEEZNS1_14transform_implILb0ES3_S5_N6thrust23THRUST_200600_302600_NS6detail15normal_iteratorINS8_7pointerIdNS8_11hip_rocprim5par_tENS8_11use_defaultESE_EEEENSA_INSB_IiSD_SE_SE_EEEEZNS1_13binary_searchIS3_S5_PdSG_SI_NS1_16binary_search_opENS9_16wrapped_functionINS8_6system6detail7generic6detail18binary_search_lessEbEEEE10hipError_tPvRmT1_T2_T3_mmT4_T5_P12ihipStream_tbEUlRKdE_EEST_SX_SY_mSZ_S12_bEUlT_E_NS1_11comp_targetILNS1_3genE0ELNS1_11target_archE4294967295ELNS1_3gpuE0ELNS1_3repE0EEENS1_30default_config_static_selectorELNS0_4arch9wavefront6targetE0EEEvSW_,"axG",@progbits,_ZN7rocprim17ROCPRIM_400000_NS6detail17trampoline_kernelINS0_14default_configENS1_29binary_search_config_selectorIdiEEZNS1_14transform_implILb0ES3_S5_N6thrust23THRUST_200600_302600_NS6detail15normal_iteratorINS8_7pointerIdNS8_11hip_rocprim5par_tENS8_11use_defaultESE_EEEENSA_INSB_IiSD_SE_SE_EEEEZNS1_13binary_searchIS3_S5_PdSG_SI_NS1_16binary_search_opENS9_16wrapped_functionINS8_6system6detail7generic6detail18binary_search_lessEbEEEE10hipError_tPvRmT1_T2_T3_mmT4_T5_P12ihipStream_tbEUlRKdE_EEST_SX_SY_mSZ_S12_bEUlT_E_NS1_11comp_targetILNS1_3genE0ELNS1_11target_archE4294967295ELNS1_3gpuE0ELNS1_3repE0EEENS1_30default_config_static_selectorELNS0_4arch9wavefront6targetE0EEEvSW_,comdat
.Lfunc_end243:
	.size	_ZN7rocprim17ROCPRIM_400000_NS6detail17trampoline_kernelINS0_14default_configENS1_29binary_search_config_selectorIdiEEZNS1_14transform_implILb0ES3_S5_N6thrust23THRUST_200600_302600_NS6detail15normal_iteratorINS8_7pointerIdNS8_11hip_rocprim5par_tENS8_11use_defaultESE_EEEENSA_INSB_IiSD_SE_SE_EEEEZNS1_13binary_searchIS3_S5_PdSG_SI_NS1_16binary_search_opENS9_16wrapped_functionINS8_6system6detail7generic6detail18binary_search_lessEbEEEE10hipError_tPvRmT1_T2_T3_mmT4_T5_P12ihipStream_tbEUlRKdE_EEST_SX_SY_mSZ_S12_bEUlT_E_NS1_11comp_targetILNS1_3genE0ELNS1_11target_archE4294967295ELNS1_3gpuE0ELNS1_3repE0EEENS1_30default_config_static_selectorELNS0_4arch9wavefront6targetE0EEEvSW_, .Lfunc_end243-_ZN7rocprim17ROCPRIM_400000_NS6detail17trampoline_kernelINS0_14default_configENS1_29binary_search_config_selectorIdiEEZNS1_14transform_implILb0ES3_S5_N6thrust23THRUST_200600_302600_NS6detail15normal_iteratorINS8_7pointerIdNS8_11hip_rocprim5par_tENS8_11use_defaultESE_EEEENSA_INSB_IiSD_SE_SE_EEEEZNS1_13binary_searchIS3_S5_PdSG_SI_NS1_16binary_search_opENS9_16wrapped_functionINS8_6system6detail7generic6detail18binary_search_lessEbEEEE10hipError_tPvRmT1_T2_T3_mmT4_T5_P12ihipStream_tbEUlRKdE_EEST_SX_SY_mSZ_S12_bEUlT_E_NS1_11comp_targetILNS1_3genE0ELNS1_11target_archE4294967295ELNS1_3gpuE0ELNS1_3repE0EEENS1_30default_config_static_selectorELNS0_4arch9wavefront6targetE0EEEvSW_
                                        ; -- End function
	.set _ZN7rocprim17ROCPRIM_400000_NS6detail17trampoline_kernelINS0_14default_configENS1_29binary_search_config_selectorIdiEEZNS1_14transform_implILb0ES3_S5_N6thrust23THRUST_200600_302600_NS6detail15normal_iteratorINS8_7pointerIdNS8_11hip_rocprim5par_tENS8_11use_defaultESE_EEEENSA_INSB_IiSD_SE_SE_EEEEZNS1_13binary_searchIS3_S5_PdSG_SI_NS1_16binary_search_opENS9_16wrapped_functionINS8_6system6detail7generic6detail18binary_search_lessEbEEEE10hipError_tPvRmT1_T2_T3_mmT4_T5_P12ihipStream_tbEUlRKdE_EEST_SX_SY_mSZ_S12_bEUlT_E_NS1_11comp_targetILNS1_3genE0ELNS1_11target_archE4294967295ELNS1_3gpuE0ELNS1_3repE0EEENS1_30default_config_static_selectorELNS0_4arch9wavefront6targetE0EEEvSW_.num_vgpr, 0
	.set _ZN7rocprim17ROCPRIM_400000_NS6detail17trampoline_kernelINS0_14default_configENS1_29binary_search_config_selectorIdiEEZNS1_14transform_implILb0ES3_S5_N6thrust23THRUST_200600_302600_NS6detail15normal_iteratorINS8_7pointerIdNS8_11hip_rocprim5par_tENS8_11use_defaultESE_EEEENSA_INSB_IiSD_SE_SE_EEEEZNS1_13binary_searchIS3_S5_PdSG_SI_NS1_16binary_search_opENS9_16wrapped_functionINS8_6system6detail7generic6detail18binary_search_lessEbEEEE10hipError_tPvRmT1_T2_T3_mmT4_T5_P12ihipStream_tbEUlRKdE_EEST_SX_SY_mSZ_S12_bEUlT_E_NS1_11comp_targetILNS1_3genE0ELNS1_11target_archE4294967295ELNS1_3gpuE0ELNS1_3repE0EEENS1_30default_config_static_selectorELNS0_4arch9wavefront6targetE0EEEvSW_.num_agpr, 0
	.set _ZN7rocprim17ROCPRIM_400000_NS6detail17trampoline_kernelINS0_14default_configENS1_29binary_search_config_selectorIdiEEZNS1_14transform_implILb0ES3_S5_N6thrust23THRUST_200600_302600_NS6detail15normal_iteratorINS8_7pointerIdNS8_11hip_rocprim5par_tENS8_11use_defaultESE_EEEENSA_INSB_IiSD_SE_SE_EEEEZNS1_13binary_searchIS3_S5_PdSG_SI_NS1_16binary_search_opENS9_16wrapped_functionINS8_6system6detail7generic6detail18binary_search_lessEbEEEE10hipError_tPvRmT1_T2_T3_mmT4_T5_P12ihipStream_tbEUlRKdE_EEST_SX_SY_mSZ_S12_bEUlT_E_NS1_11comp_targetILNS1_3genE0ELNS1_11target_archE4294967295ELNS1_3gpuE0ELNS1_3repE0EEENS1_30default_config_static_selectorELNS0_4arch9wavefront6targetE0EEEvSW_.numbered_sgpr, 0
	.set _ZN7rocprim17ROCPRIM_400000_NS6detail17trampoline_kernelINS0_14default_configENS1_29binary_search_config_selectorIdiEEZNS1_14transform_implILb0ES3_S5_N6thrust23THRUST_200600_302600_NS6detail15normal_iteratorINS8_7pointerIdNS8_11hip_rocprim5par_tENS8_11use_defaultESE_EEEENSA_INSB_IiSD_SE_SE_EEEEZNS1_13binary_searchIS3_S5_PdSG_SI_NS1_16binary_search_opENS9_16wrapped_functionINS8_6system6detail7generic6detail18binary_search_lessEbEEEE10hipError_tPvRmT1_T2_T3_mmT4_T5_P12ihipStream_tbEUlRKdE_EEST_SX_SY_mSZ_S12_bEUlT_E_NS1_11comp_targetILNS1_3genE0ELNS1_11target_archE4294967295ELNS1_3gpuE0ELNS1_3repE0EEENS1_30default_config_static_selectorELNS0_4arch9wavefront6targetE0EEEvSW_.num_named_barrier, 0
	.set _ZN7rocprim17ROCPRIM_400000_NS6detail17trampoline_kernelINS0_14default_configENS1_29binary_search_config_selectorIdiEEZNS1_14transform_implILb0ES3_S5_N6thrust23THRUST_200600_302600_NS6detail15normal_iteratorINS8_7pointerIdNS8_11hip_rocprim5par_tENS8_11use_defaultESE_EEEENSA_INSB_IiSD_SE_SE_EEEEZNS1_13binary_searchIS3_S5_PdSG_SI_NS1_16binary_search_opENS9_16wrapped_functionINS8_6system6detail7generic6detail18binary_search_lessEbEEEE10hipError_tPvRmT1_T2_T3_mmT4_T5_P12ihipStream_tbEUlRKdE_EEST_SX_SY_mSZ_S12_bEUlT_E_NS1_11comp_targetILNS1_3genE0ELNS1_11target_archE4294967295ELNS1_3gpuE0ELNS1_3repE0EEENS1_30default_config_static_selectorELNS0_4arch9wavefront6targetE0EEEvSW_.private_seg_size, 0
	.set _ZN7rocprim17ROCPRIM_400000_NS6detail17trampoline_kernelINS0_14default_configENS1_29binary_search_config_selectorIdiEEZNS1_14transform_implILb0ES3_S5_N6thrust23THRUST_200600_302600_NS6detail15normal_iteratorINS8_7pointerIdNS8_11hip_rocprim5par_tENS8_11use_defaultESE_EEEENSA_INSB_IiSD_SE_SE_EEEEZNS1_13binary_searchIS3_S5_PdSG_SI_NS1_16binary_search_opENS9_16wrapped_functionINS8_6system6detail7generic6detail18binary_search_lessEbEEEE10hipError_tPvRmT1_T2_T3_mmT4_T5_P12ihipStream_tbEUlRKdE_EEST_SX_SY_mSZ_S12_bEUlT_E_NS1_11comp_targetILNS1_3genE0ELNS1_11target_archE4294967295ELNS1_3gpuE0ELNS1_3repE0EEENS1_30default_config_static_selectorELNS0_4arch9wavefront6targetE0EEEvSW_.uses_vcc, 0
	.set _ZN7rocprim17ROCPRIM_400000_NS6detail17trampoline_kernelINS0_14default_configENS1_29binary_search_config_selectorIdiEEZNS1_14transform_implILb0ES3_S5_N6thrust23THRUST_200600_302600_NS6detail15normal_iteratorINS8_7pointerIdNS8_11hip_rocprim5par_tENS8_11use_defaultESE_EEEENSA_INSB_IiSD_SE_SE_EEEEZNS1_13binary_searchIS3_S5_PdSG_SI_NS1_16binary_search_opENS9_16wrapped_functionINS8_6system6detail7generic6detail18binary_search_lessEbEEEE10hipError_tPvRmT1_T2_T3_mmT4_T5_P12ihipStream_tbEUlRKdE_EEST_SX_SY_mSZ_S12_bEUlT_E_NS1_11comp_targetILNS1_3genE0ELNS1_11target_archE4294967295ELNS1_3gpuE0ELNS1_3repE0EEENS1_30default_config_static_selectorELNS0_4arch9wavefront6targetE0EEEvSW_.uses_flat_scratch, 0
	.set _ZN7rocprim17ROCPRIM_400000_NS6detail17trampoline_kernelINS0_14default_configENS1_29binary_search_config_selectorIdiEEZNS1_14transform_implILb0ES3_S5_N6thrust23THRUST_200600_302600_NS6detail15normal_iteratorINS8_7pointerIdNS8_11hip_rocprim5par_tENS8_11use_defaultESE_EEEENSA_INSB_IiSD_SE_SE_EEEEZNS1_13binary_searchIS3_S5_PdSG_SI_NS1_16binary_search_opENS9_16wrapped_functionINS8_6system6detail7generic6detail18binary_search_lessEbEEEE10hipError_tPvRmT1_T2_T3_mmT4_T5_P12ihipStream_tbEUlRKdE_EEST_SX_SY_mSZ_S12_bEUlT_E_NS1_11comp_targetILNS1_3genE0ELNS1_11target_archE4294967295ELNS1_3gpuE0ELNS1_3repE0EEENS1_30default_config_static_selectorELNS0_4arch9wavefront6targetE0EEEvSW_.has_dyn_sized_stack, 0
	.set _ZN7rocprim17ROCPRIM_400000_NS6detail17trampoline_kernelINS0_14default_configENS1_29binary_search_config_selectorIdiEEZNS1_14transform_implILb0ES3_S5_N6thrust23THRUST_200600_302600_NS6detail15normal_iteratorINS8_7pointerIdNS8_11hip_rocprim5par_tENS8_11use_defaultESE_EEEENSA_INSB_IiSD_SE_SE_EEEEZNS1_13binary_searchIS3_S5_PdSG_SI_NS1_16binary_search_opENS9_16wrapped_functionINS8_6system6detail7generic6detail18binary_search_lessEbEEEE10hipError_tPvRmT1_T2_T3_mmT4_T5_P12ihipStream_tbEUlRKdE_EEST_SX_SY_mSZ_S12_bEUlT_E_NS1_11comp_targetILNS1_3genE0ELNS1_11target_archE4294967295ELNS1_3gpuE0ELNS1_3repE0EEENS1_30default_config_static_selectorELNS0_4arch9wavefront6targetE0EEEvSW_.has_recursion, 0
	.set _ZN7rocprim17ROCPRIM_400000_NS6detail17trampoline_kernelINS0_14default_configENS1_29binary_search_config_selectorIdiEEZNS1_14transform_implILb0ES3_S5_N6thrust23THRUST_200600_302600_NS6detail15normal_iteratorINS8_7pointerIdNS8_11hip_rocprim5par_tENS8_11use_defaultESE_EEEENSA_INSB_IiSD_SE_SE_EEEEZNS1_13binary_searchIS3_S5_PdSG_SI_NS1_16binary_search_opENS9_16wrapped_functionINS8_6system6detail7generic6detail18binary_search_lessEbEEEE10hipError_tPvRmT1_T2_T3_mmT4_T5_P12ihipStream_tbEUlRKdE_EEST_SX_SY_mSZ_S12_bEUlT_E_NS1_11comp_targetILNS1_3genE0ELNS1_11target_archE4294967295ELNS1_3gpuE0ELNS1_3repE0EEENS1_30default_config_static_selectorELNS0_4arch9wavefront6targetE0EEEvSW_.has_indirect_call, 0
	.section	.AMDGPU.csdata,"",@progbits
; Kernel info:
; codeLenInByte = 0
; TotalNumSgprs: 0
; NumVgprs: 0
; ScratchSize: 0
; MemoryBound: 0
; FloatMode: 240
; IeeeMode: 1
; LDSByteSize: 0 bytes/workgroup (compile time only)
; SGPRBlocks: 0
; VGPRBlocks: 0
; NumSGPRsForWavesPerEU: 1
; NumVGPRsForWavesPerEU: 1
; Occupancy: 16
; WaveLimiterHint : 0
; COMPUTE_PGM_RSRC2:SCRATCH_EN: 0
; COMPUTE_PGM_RSRC2:USER_SGPR: 6
; COMPUTE_PGM_RSRC2:TRAP_HANDLER: 0
; COMPUTE_PGM_RSRC2:TGID_X_EN: 1
; COMPUTE_PGM_RSRC2:TGID_Y_EN: 0
; COMPUTE_PGM_RSRC2:TGID_Z_EN: 0
; COMPUTE_PGM_RSRC2:TIDIG_COMP_CNT: 0
	.section	.text._ZN7rocprim17ROCPRIM_400000_NS6detail17trampoline_kernelINS0_14default_configENS1_29binary_search_config_selectorIdiEEZNS1_14transform_implILb0ES3_S5_N6thrust23THRUST_200600_302600_NS6detail15normal_iteratorINS8_7pointerIdNS8_11hip_rocprim5par_tENS8_11use_defaultESE_EEEENSA_INSB_IiSD_SE_SE_EEEEZNS1_13binary_searchIS3_S5_PdSG_SI_NS1_16binary_search_opENS9_16wrapped_functionINS8_6system6detail7generic6detail18binary_search_lessEbEEEE10hipError_tPvRmT1_T2_T3_mmT4_T5_P12ihipStream_tbEUlRKdE_EEST_SX_SY_mSZ_S12_bEUlT_E_NS1_11comp_targetILNS1_3genE5ELNS1_11target_archE942ELNS1_3gpuE9ELNS1_3repE0EEENS1_30default_config_static_selectorELNS0_4arch9wavefront6targetE0EEEvSW_,"axG",@progbits,_ZN7rocprim17ROCPRIM_400000_NS6detail17trampoline_kernelINS0_14default_configENS1_29binary_search_config_selectorIdiEEZNS1_14transform_implILb0ES3_S5_N6thrust23THRUST_200600_302600_NS6detail15normal_iteratorINS8_7pointerIdNS8_11hip_rocprim5par_tENS8_11use_defaultESE_EEEENSA_INSB_IiSD_SE_SE_EEEEZNS1_13binary_searchIS3_S5_PdSG_SI_NS1_16binary_search_opENS9_16wrapped_functionINS8_6system6detail7generic6detail18binary_search_lessEbEEEE10hipError_tPvRmT1_T2_T3_mmT4_T5_P12ihipStream_tbEUlRKdE_EEST_SX_SY_mSZ_S12_bEUlT_E_NS1_11comp_targetILNS1_3genE5ELNS1_11target_archE942ELNS1_3gpuE9ELNS1_3repE0EEENS1_30default_config_static_selectorELNS0_4arch9wavefront6targetE0EEEvSW_,comdat
	.protected	_ZN7rocprim17ROCPRIM_400000_NS6detail17trampoline_kernelINS0_14default_configENS1_29binary_search_config_selectorIdiEEZNS1_14transform_implILb0ES3_S5_N6thrust23THRUST_200600_302600_NS6detail15normal_iteratorINS8_7pointerIdNS8_11hip_rocprim5par_tENS8_11use_defaultESE_EEEENSA_INSB_IiSD_SE_SE_EEEEZNS1_13binary_searchIS3_S5_PdSG_SI_NS1_16binary_search_opENS9_16wrapped_functionINS8_6system6detail7generic6detail18binary_search_lessEbEEEE10hipError_tPvRmT1_T2_T3_mmT4_T5_P12ihipStream_tbEUlRKdE_EEST_SX_SY_mSZ_S12_bEUlT_E_NS1_11comp_targetILNS1_3genE5ELNS1_11target_archE942ELNS1_3gpuE9ELNS1_3repE0EEENS1_30default_config_static_selectorELNS0_4arch9wavefront6targetE0EEEvSW_ ; -- Begin function _ZN7rocprim17ROCPRIM_400000_NS6detail17trampoline_kernelINS0_14default_configENS1_29binary_search_config_selectorIdiEEZNS1_14transform_implILb0ES3_S5_N6thrust23THRUST_200600_302600_NS6detail15normal_iteratorINS8_7pointerIdNS8_11hip_rocprim5par_tENS8_11use_defaultESE_EEEENSA_INSB_IiSD_SE_SE_EEEEZNS1_13binary_searchIS3_S5_PdSG_SI_NS1_16binary_search_opENS9_16wrapped_functionINS8_6system6detail7generic6detail18binary_search_lessEbEEEE10hipError_tPvRmT1_T2_T3_mmT4_T5_P12ihipStream_tbEUlRKdE_EEST_SX_SY_mSZ_S12_bEUlT_E_NS1_11comp_targetILNS1_3genE5ELNS1_11target_archE942ELNS1_3gpuE9ELNS1_3repE0EEENS1_30default_config_static_selectorELNS0_4arch9wavefront6targetE0EEEvSW_
	.globl	_ZN7rocprim17ROCPRIM_400000_NS6detail17trampoline_kernelINS0_14default_configENS1_29binary_search_config_selectorIdiEEZNS1_14transform_implILb0ES3_S5_N6thrust23THRUST_200600_302600_NS6detail15normal_iteratorINS8_7pointerIdNS8_11hip_rocprim5par_tENS8_11use_defaultESE_EEEENSA_INSB_IiSD_SE_SE_EEEEZNS1_13binary_searchIS3_S5_PdSG_SI_NS1_16binary_search_opENS9_16wrapped_functionINS8_6system6detail7generic6detail18binary_search_lessEbEEEE10hipError_tPvRmT1_T2_T3_mmT4_T5_P12ihipStream_tbEUlRKdE_EEST_SX_SY_mSZ_S12_bEUlT_E_NS1_11comp_targetILNS1_3genE5ELNS1_11target_archE942ELNS1_3gpuE9ELNS1_3repE0EEENS1_30default_config_static_selectorELNS0_4arch9wavefront6targetE0EEEvSW_
	.p2align	8
	.type	_ZN7rocprim17ROCPRIM_400000_NS6detail17trampoline_kernelINS0_14default_configENS1_29binary_search_config_selectorIdiEEZNS1_14transform_implILb0ES3_S5_N6thrust23THRUST_200600_302600_NS6detail15normal_iteratorINS8_7pointerIdNS8_11hip_rocprim5par_tENS8_11use_defaultESE_EEEENSA_INSB_IiSD_SE_SE_EEEEZNS1_13binary_searchIS3_S5_PdSG_SI_NS1_16binary_search_opENS9_16wrapped_functionINS8_6system6detail7generic6detail18binary_search_lessEbEEEE10hipError_tPvRmT1_T2_T3_mmT4_T5_P12ihipStream_tbEUlRKdE_EEST_SX_SY_mSZ_S12_bEUlT_E_NS1_11comp_targetILNS1_3genE5ELNS1_11target_archE942ELNS1_3gpuE9ELNS1_3repE0EEENS1_30default_config_static_selectorELNS0_4arch9wavefront6targetE0EEEvSW_,@function
_ZN7rocprim17ROCPRIM_400000_NS6detail17trampoline_kernelINS0_14default_configENS1_29binary_search_config_selectorIdiEEZNS1_14transform_implILb0ES3_S5_N6thrust23THRUST_200600_302600_NS6detail15normal_iteratorINS8_7pointerIdNS8_11hip_rocprim5par_tENS8_11use_defaultESE_EEEENSA_INSB_IiSD_SE_SE_EEEEZNS1_13binary_searchIS3_S5_PdSG_SI_NS1_16binary_search_opENS9_16wrapped_functionINS8_6system6detail7generic6detail18binary_search_lessEbEEEE10hipError_tPvRmT1_T2_T3_mmT4_T5_P12ihipStream_tbEUlRKdE_EEST_SX_SY_mSZ_S12_bEUlT_E_NS1_11comp_targetILNS1_3genE5ELNS1_11target_archE942ELNS1_3gpuE9ELNS1_3repE0EEENS1_30default_config_static_selectorELNS0_4arch9wavefront6targetE0EEEvSW_: ; @_ZN7rocprim17ROCPRIM_400000_NS6detail17trampoline_kernelINS0_14default_configENS1_29binary_search_config_selectorIdiEEZNS1_14transform_implILb0ES3_S5_N6thrust23THRUST_200600_302600_NS6detail15normal_iteratorINS8_7pointerIdNS8_11hip_rocprim5par_tENS8_11use_defaultESE_EEEENSA_INSB_IiSD_SE_SE_EEEEZNS1_13binary_searchIS3_S5_PdSG_SI_NS1_16binary_search_opENS9_16wrapped_functionINS8_6system6detail7generic6detail18binary_search_lessEbEEEE10hipError_tPvRmT1_T2_T3_mmT4_T5_P12ihipStream_tbEUlRKdE_EEST_SX_SY_mSZ_S12_bEUlT_E_NS1_11comp_targetILNS1_3genE5ELNS1_11target_archE942ELNS1_3gpuE9ELNS1_3repE0EEENS1_30default_config_static_selectorELNS0_4arch9wavefront6targetE0EEEvSW_
; %bb.0:
	.section	.rodata,"a",@progbits
	.p2align	6, 0x0
	.amdhsa_kernel _ZN7rocprim17ROCPRIM_400000_NS6detail17trampoline_kernelINS0_14default_configENS1_29binary_search_config_selectorIdiEEZNS1_14transform_implILb0ES3_S5_N6thrust23THRUST_200600_302600_NS6detail15normal_iteratorINS8_7pointerIdNS8_11hip_rocprim5par_tENS8_11use_defaultESE_EEEENSA_INSB_IiSD_SE_SE_EEEEZNS1_13binary_searchIS3_S5_PdSG_SI_NS1_16binary_search_opENS9_16wrapped_functionINS8_6system6detail7generic6detail18binary_search_lessEbEEEE10hipError_tPvRmT1_T2_T3_mmT4_T5_P12ihipStream_tbEUlRKdE_EEST_SX_SY_mSZ_S12_bEUlT_E_NS1_11comp_targetILNS1_3genE5ELNS1_11target_archE942ELNS1_3gpuE9ELNS1_3repE0EEENS1_30default_config_static_selectorELNS0_4arch9wavefront6targetE0EEEvSW_
		.amdhsa_group_segment_fixed_size 0
		.amdhsa_private_segment_fixed_size 0
		.amdhsa_kernarg_size 56
		.amdhsa_user_sgpr_count 6
		.amdhsa_user_sgpr_private_segment_buffer 1
		.amdhsa_user_sgpr_dispatch_ptr 0
		.amdhsa_user_sgpr_queue_ptr 0
		.amdhsa_user_sgpr_kernarg_segment_ptr 1
		.amdhsa_user_sgpr_dispatch_id 0
		.amdhsa_user_sgpr_flat_scratch_init 0
		.amdhsa_user_sgpr_private_segment_size 0
		.amdhsa_wavefront_size32 1
		.amdhsa_uses_dynamic_stack 0
		.amdhsa_system_sgpr_private_segment_wavefront_offset 0
		.amdhsa_system_sgpr_workgroup_id_x 1
		.amdhsa_system_sgpr_workgroup_id_y 0
		.amdhsa_system_sgpr_workgroup_id_z 0
		.amdhsa_system_sgpr_workgroup_info 0
		.amdhsa_system_vgpr_workitem_id 0
		.amdhsa_next_free_vgpr 1
		.amdhsa_next_free_sgpr 1
		.amdhsa_reserve_vcc 0
		.amdhsa_reserve_flat_scratch 0
		.amdhsa_float_round_mode_32 0
		.amdhsa_float_round_mode_16_64 0
		.amdhsa_float_denorm_mode_32 3
		.amdhsa_float_denorm_mode_16_64 3
		.amdhsa_dx10_clamp 1
		.amdhsa_ieee_mode 1
		.amdhsa_fp16_overflow 0
		.amdhsa_workgroup_processor_mode 1
		.amdhsa_memory_ordered 1
		.amdhsa_forward_progress 1
		.amdhsa_shared_vgpr_count 0
		.amdhsa_exception_fp_ieee_invalid_op 0
		.amdhsa_exception_fp_denorm_src 0
		.amdhsa_exception_fp_ieee_div_zero 0
		.amdhsa_exception_fp_ieee_overflow 0
		.amdhsa_exception_fp_ieee_underflow 0
		.amdhsa_exception_fp_ieee_inexact 0
		.amdhsa_exception_int_div_zero 0
	.end_amdhsa_kernel
	.section	.text._ZN7rocprim17ROCPRIM_400000_NS6detail17trampoline_kernelINS0_14default_configENS1_29binary_search_config_selectorIdiEEZNS1_14transform_implILb0ES3_S5_N6thrust23THRUST_200600_302600_NS6detail15normal_iteratorINS8_7pointerIdNS8_11hip_rocprim5par_tENS8_11use_defaultESE_EEEENSA_INSB_IiSD_SE_SE_EEEEZNS1_13binary_searchIS3_S5_PdSG_SI_NS1_16binary_search_opENS9_16wrapped_functionINS8_6system6detail7generic6detail18binary_search_lessEbEEEE10hipError_tPvRmT1_T2_T3_mmT4_T5_P12ihipStream_tbEUlRKdE_EEST_SX_SY_mSZ_S12_bEUlT_E_NS1_11comp_targetILNS1_3genE5ELNS1_11target_archE942ELNS1_3gpuE9ELNS1_3repE0EEENS1_30default_config_static_selectorELNS0_4arch9wavefront6targetE0EEEvSW_,"axG",@progbits,_ZN7rocprim17ROCPRIM_400000_NS6detail17trampoline_kernelINS0_14default_configENS1_29binary_search_config_selectorIdiEEZNS1_14transform_implILb0ES3_S5_N6thrust23THRUST_200600_302600_NS6detail15normal_iteratorINS8_7pointerIdNS8_11hip_rocprim5par_tENS8_11use_defaultESE_EEEENSA_INSB_IiSD_SE_SE_EEEEZNS1_13binary_searchIS3_S5_PdSG_SI_NS1_16binary_search_opENS9_16wrapped_functionINS8_6system6detail7generic6detail18binary_search_lessEbEEEE10hipError_tPvRmT1_T2_T3_mmT4_T5_P12ihipStream_tbEUlRKdE_EEST_SX_SY_mSZ_S12_bEUlT_E_NS1_11comp_targetILNS1_3genE5ELNS1_11target_archE942ELNS1_3gpuE9ELNS1_3repE0EEENS1_30default_config_static_selectorELNS0_4arch9wavefront6targetE0EEEvSW_,comdat
.Lfunc_end244:
	.size	_ZN7rocprim17ROCPRIM_400000_NS6detail17trampoline_kernelINS0_14default_configENS1_29binary_search_config_selectorIdiEEZNS1_14transform_implILb0ES3_S5_N6thrust23THRUST_200600_302600_NS6detail15normal_iteratorINS8_7pointerIdNS8_11hip_rocprim5par_tENS8_11use_defaultESE_EEEENSA_INSB_IiSD_SE_SE_EEEEZNS1_13binary_searchIS3_S5_PdSG_SI_NS1_16binary_search_opENS9_16wrapped_functionINS8_6system6detail7generic6detail18binary_search_lessEbEEEE10hipError_tPvRmT1_T2_T3_mmT4_T5_P12ihipStream_tbEUlRKdE_EEST_SX_SY_mSZ_S12_bEUlT_E_NS1_11comp_targetILNS1_3genE5ELNS1_11target_archE942ELNS1_3gpuE9ELNS1_3repE0EEENS1_30default_config_static_selectorELNS0_4arch9wavefront6targetE0EEEvSW_, .Lfunc_end244-_ZN7rocprim17ROCPRIM_400000_NS6detail17trampoline_kernelINS0_14default_configENS1_29binary_search_config_selectorIdiEEZNS1_14transform_implILb0ES3_S5_N6thrust23THRUST_200600_302600_NS6detail15normal_iteratorINS8_7pointerIdNS8_11hip_rocprim5par_tENS8_11use_defaultESE_EEEENSA_INSB_IiSD_SE_SE_EEEEZNS1_13binary_searchIS3_S5_PdSG_SI_NS1_16binary_search_opENS9_16wrapped_functionINS8_6system6detail7generic6detail18binary_search_lessEbEEEE10hipError_tPvRmT1_T2_T3_mmT4_T5_P12ihipStream_tbEUlRKdE_EEST_SX_SY_mSZ_S12_bEUlT_E_NS1_11comp_targetILNS1_3genE5ELNS1_11target_archE942ELNS1_3gpuE9ELNS1_3repE0EEENS1_30default_config_static_selectorELNS0_4arch9wavefront6targetE0EEEvSW_
                                        ; -- End function
	.set _ZN7rocprim17ROCPRIM_400000_NS6detail17trampoline_kernelINS0_14default_configENS1_29binary_search_config_selectorIdiEEZNS1_14transform_implILb0ES3_S5_N6thrust23THRUST_200600_302600_NS6detail15normal_iteratorINS8_7pointerIdNS8_11hip_rocprim5par_tENS8_11use_defaultESE_EEEENSA_INSB_IiSD_SE_SE_EEEEZNS1_13binary_searchIS3_S5_PdSG_SI_NS1_16binary_search_opENS9_16wrapped_functionINS8_6system6detail7generic6detail18binary_search_lessEbEEEE10hipError_tPvRmT1_T2_T3_mmT4_T5_P12ihipStream_tbEUlRKdE_EEST_SX_SY_mSZ_S12_bEUlT_E_NS1_11comp_targetILNS1_3genE5ELNS1_11target_archE942ELNS1_3gpuE9ELNS1_3repE0EEENS1_30default_config_static_selectorELNS0_4arch9wavefront6targetE0EEEvSW_.num_vgpr, 0
	.set _ZN7rocprim17ROCPRIM_400000_NS6detail17trampoline_kernelINS0_14default_configENS1_29binary_search_config_selectorIdiEEZNS1_14transform_implILb0ES3_S5_N6thrust23THRUST_200600_302600_NS6detail15normal_iteratorINS8_7pointerIdNS8_11hip_rocprim5par_tENS8_11use_defaultESE_EEEENSA_INSB_IiSD_SE_SE_EEEEZNS1_13binary_searchIS3_S5_PdSG_SI_NS1_16binary_search_opENS9_16wrapped_functionINS8_6system6detail7generic6detail18binary_search_lessEbEEEE10hipError_tPvRmT1_T2_T3_mmT4_T5_P12ihipStream_tbEUlRKdE_EEST_SX_SY_mSZ_S12_bEUlT_E_NS1_11comp_targetILNS1_3genE5ELNS1_11target_archE942ELNS1_3gpuE9ELNS1_3repE0EEENS1_30default_config_static_selectorELNS0_4arch9wavefront6targetE0EEEvSW_.num_agpr, 0
	.set _ZN7rocprim17ROCPRIM_400000_NS6detail17trampoline_kernelINS0_14default_configENS1_29binary_search_config_selectorIdiEEZNS1_14transform_implILb0ES3_S5_N6thrust23THRUST_200600_302600_NS6detail15normal_iteratorINS8_7pointerIdNS8_11hip_rocprim5par_tENS8_11use_defaultESE_EEEENSA_INSB_IiSD_SE_SE_EEEEZNS1_13binary_searchIS3_S5_PdSG_SI_NS1_16binary_search_opENS9_16wrapped_functionINS8_6system6detail7generic6detail18binary_search_lessEbEEEE10hipError_tPvRmT1_T2_T3_mmT4_T5_P12ihipStream_tbEUlRKdE_EEST_SX_SY_mSZ_S12_bEUlT_E_NS1_11comp_targetILNS1_3genE5ELNS1_11target_archE942ELNS1_3gpuE9ELNS1_3repE0EEENS1_30default_config_static_selectorELNS0_4arch9wavefront6targetE0EEEvSW_.numbered_sgpr, 0
	.set _ZN7rocprim17ROCPRIM_400000_NS6detail17trampoline_kernelINS0_14default_configENS1_29binary_search_config_selectorIdiEEZNS1_14transform_implILb0ES3_S5_N6thrust23THRUST_200600_302600_NS6detail15normal_iteratorINS8_7pointerIdNS8_11hip_rocprim5par_tENS8_11use_defaultESE_EEEENSA_INSB_IiSD_SE_SE_EEEEZNS1_13binary_searchIS3_S5_PdSG_SI_NS1_16binary_search_opENS9_16wrapped_functionINS8_6system6detail7generic6detail18binary_search_lessEbEEEE10hipError_tPvRmT1_T2_T3_mmT4_T5_P12ihipStream_tbEUlRKdE_EEST_SX_SY_mSZ_S12_bEUlT_E_NS1_11comp_targetILNS1_3genE5ELNS1_11target_archE942ELNS1_3gpuE9ELNS1_3repE0EEENS1_30default_config_static_selectorELNS0_4arch9wavefront6targetE0EEEvSW_.num_named_barrier, 0
	.set _ZN7rocprim17ROCPRIM_400000_NS6detail17trampoline_kernelINS0_14default_configENS1_29binary_search_config_selectorIdiEEZNS1_14transform_implILb0ES3_S5_N6thrust23THRUST_200600_302600_NS6detail15normal_iteratorINS8_7pointerIdNS8_11hip_rocprim5par_tENS8_11use_defaultESE_EEEENSA_INSB_IiSD_SE_SE_EEEEZNS1_13binary_searchIS3_S5_PdSG_SI_NS1_16binary_search_opENS9_16wrapped_functionINS8_6system6detail7generic6detail18binary_search_lessEbEEEE10hipError_tPvRmT1_T2_T3_mmT4_T5_P12ihipStream_tbEUlRKdE_EEST_SX_SY_mSZ_S12_bEUlT_E_NS1_11comp_targetILNS1_3genE5ELNS1_11target_archE942ELNS1_3gpuE9ELNS1_3repE0EEENS1_30default_config_static_selectorELNS0_4arch9wavefront6targetE0EEEvSW_.private_seg_size, 0
	.set _ZN7rocprim17ROCPRIM_400000_NS6detail17trampoline_kernelINS0_14default_configENS1_29binary_search_config_selectorIdiEEZNS1_14transform_implILb0ES3_S5_N6thrust23THRUST_200600_302600_NS6detail15normal_iteratorINS8_7pointerIdNS8_11hip_rocprim5par_tENS8_11use_defaultESE_EEEENSA_INSB_IiSD_SE_SE_EEEEZNS1_13binary_searchIS3_S5_PdSG_SI_NS1_16binary_search_opENS9_16wrapped_functionINS8_6system6detail7generic6detail18binary_search_lessEbEEEE10hipError_tPvRmT1_T2_T3_mmT4_T5_P12ihipStream_tbEUlRKdE_EEST_SX_SY_mSZ_S12_bEUlT_E_NS1_11comp_targetILNS1_3genE5ELNS1_11target_archE942ELNS1_3gpuE9ELNS1_3repE0EEENS1_30default_config_static_selectorELNS0_4arch9wavefront6targetE0EEEvSW_.uses_vcc, 0
	.set _ZN7rocprim17ROCPRIM_400000_NS6detail17trampoline_kernelINS0_14default_configENS1_29binary_search_config_selectorIdiEEZNS1_14transform_implILb0ES3_S5_N6thrust23THRUST_200600_302600_NS6detail15normal_iteratorINS8_7pointerIdNS8_11hip_rocprim5par_tENS8_11use_defaultESE_EEEENSA_INSB_IiSD_SE_SE_EEEEZNS1_13binary_searchIS3_S5_PdSG_SI_NS1_16binary_search_opENS9_16wrapped_functionINS8_6system6detail7generic6detail18binary_search_lessEbEEEE10hipError_tPvRmT1_T2_T3_mmT4_T5_P12ihipStream_tbEUlRKdE_EEST_SX_SY_mSZ_S12_bEUlT_E_NS1_11comp_targetILNS1_3genE5ELNS1_11target_archE942ELNS1_3gpuE9ELNS1_3repE0EEENS1_30default_config_static_selectorELNS0_4arch9wavefront6targetE0EEEvSW_.uses_flat_scratch, 0
	.set _ZN7rocprim17ROCPRIM_400000_NS6detail17trampoline_kernelINS0_14default_configENS1_29binary_search_config_selectorIdiEEZNS1_14transform_implILb0ES3_S5_N6thrust23THRUST_200600_302600_NS6detail15normal_iteratorINS8_7pointerIdNS8_11hip_rocprim5par_tENS8_11use_defaultESE_EEEENSA_INSB_IiSD_SE_SE_EEEEZNS1_13binary_searchIS3_S5_PdSG_SI_NS1_16binary_search_opENS9_16wrapped_functionINS8_6system6detail7generic6detail18binary_search_lessEbEEEE10hipError_tPvRmT1_T2_T3_mmT4_T5_P12ihipStream_tbEUlRKdE_EEST_SX_SY_mSZ_S12_bEUlT_E_NS1_11comp_targetILNS1_3genE5ELNS1_11target_archE942ELNS1_3gpuE9ELNS1_3repE0EEENS1_30default_config_static_selectorELNS0_4arch9wavefront6targetE0EEEvSW_.has_dyn_sized_stack, 0
	.set _ZN7rocprim17ROCPRIM_400000_NS6detail17trampoline_kernelINS0_14default_configENS1_29binary_search_config_selectorIdiEEZNS1_14transform_implILb0ES3_S5_N6thrust23THRUST_200600_302600_NS6detail15normal_iteratorINS8_7pointerIdNS8_11hip_rocprim5par_tENS8_11use_defaultESE_EEEENSA_INSB_IiSD_SE_SE_EEEEZNS1_13binary_searchIS3_S5_PdSG_SI_NS1_16binary_search_opENS9_16wrapped_functionINS8_6system6detail7generic6detail18binary_search_lessEbEEEE10hipError_tPvRmT1_T2_T3_mmT4_T5_P12ihipStream_tbEUlRKdE_EEST_SX_SY_mSZ_S12_bEUlT_E_NS1_11comp_targetILNS1_3genE5ELNS1_11target_archE942ELNS1_3gpuE9ELNS1_3repE0EEENS1_30default_config_static_selectorELNS0_4arch9wavefront6targetE0EEEvSW_.has_recursion, 0
	.set _ZN7rocprim17ROCPRIM_400000_NS6detail17trampoline_kernelINS0_14default_configENS1_29binary_search_config_selectorIdiEEZNS1_14transform_implILb0ES3_S5_N6thrust23THRUST_200600_302600_NS6detail15normal_iteratorINS8_7pointerIdNS8_11hip_rocprim5par_tENS8_11use_defaultESE_EEEENSA_INSB_IiSD_SE_SE_EEEEZNS1_13binary_searchIS3_S5_PdSG_SI_NS1_16binary_search_opENS9_16wrapped_functionINS8_6system6detail7generic6detail18binary_search_lessEbEEEE10hipError_tPvRmT1_T2_T3_mmT4_T5_P12ihipStream_tbEUlRKdE_EEST_SX_SY_mSZ_S12_bEUlT_E_NS1_11comp_targetILNS1_3genE5ELNS1_11target_archE942ELNS1_3gpuE9ELNS1_3repE0EEENS1_30default_config_static_selectorELNS0_4arch9wavefront6targetE0EEEvSW_.has_indirect_call, 0
	.section	.AMDGPU.csdata,"",@progbits
; Kernel info:
; codeLenInByte = 0
; TotalNumSgprs: 0
; NumVgprs: 0
; ScratchSize: 0
; MemoryBound: 0
; FloatMode: 240
; IeeeMode: 1
; LDSByteSize: 0 bytes/workgroup (compile time only)
; SGPRBlocks: 0
; VGPRBlocks: 0
; NumSGPRsForWavesPerEU: 1
; NumVGPRsForWavesPerEU: 1
; Occupancy: 16
; WaveLimiterHint : 0
; COMPUTE_PGM_RSRC2:SCRATCH_EN: 0
; COMPUTE_PGM_RSRC2:USER_SGPR: 6
; COMPUTE_PGM_RSRC2:TRAP_HANDLER: 0
; COMPUTE_PGM_RSRC2:TGID_X_EN: 1
; COMPUTE_PGM_RSRC2:TGID_Y_EN: 0
; COMPUTE_PGM_RSRC2:TGID_Z_EN: 0
; COMPUTE_PGM_RSRC2:TIDIG_COMP_CNT: 0
	.section	.text._ZN7rocprim17ROCPRIM_400000_NS6detail17trampoline_kernelINS0_14default_configENS1_29binary_search_config_selectorIdiEEZNS1_14transform_implILb0ES3_S5_N6thrust23THRUST_200600_302600_NS6detail15normal_iteratorINS8_7pointerIdNS8_11hip_rocprim5par_tENS8_11use_defaultESE_EEEENSA_INSB_IiSD_SE_SE_EEEEZNS1_13binary_searchIS3_S5_PdSG_SI_NS1_16binary_search_opENS9_16wrapped_functionINS8_6system6detail7generic6detail18binary_search_lessEbEEEE10hipError_tPvRmT1_T2_T3_mmT4_T5_P12ihipStream_tbEUlRKdE_EEST_SX_SY_mSZ_S12_bEUlT_E_NS1_11comp_targetILNS1_3genE4ELNS1_11target_archE910ELNS1_3gpuE8ELNS1_3repE0EEENS1_30default_config_static_selectorELNS0_4arch9wavefront6targetE0EEEvSW_,"axG",@progbits,_ZN7rocprim17ROCPRIM_400000_NS6detail17trampoline_kernelINS0_14default_configENS1_29binary_search_config_selectorIdiEEZNS1_14transform_implILb0ES3_S5_N6thrust23THRUST_200600_302600_NS6detail15normal_iteratorINS8_7pointerIdNS8_11hip_rocprim5par_tENS8_11use_defaultESE_EEEENSA_INSB_IiSD_SE_SE_EEEEZNS1_13binary_searchIS3_S5_PdSG_SI_NS1_16binary_search_opENS9_16wrapped_functionINS8_6system6detail7generic6detail18binary_search_lessEbEEEE10hipError_tPvRmT1_T2_T3_mmT4_T5_P12ihipStream_tbEUlRKdE_EEST_SX_SY_mSZ_S12_bEUlT_E_NS1_11comp_targetILNS1_3genE4ELNS1_11target_archE910ELNS1_3gpuE8ELNS1_3repE0EEENS1_30default_config_static_selectorELNS0_4arch9wavefront6targetE0EEEvSW_,comdat
	.protected	_ZN7rocprim17ROCPRIM_400000_NS6detail17trampoline_kernelINS0_14default_configENS1_29binary_search_config_selectorIdiEEZNS1_14transform_implILb0ES3_S5_N6thrust23THRUST_200600_302600_NS6detail15normal_iteratorINS8_7pointerIdNS8_11hip_rocprim5par_tENS8_11use_defaultESE_EEEENSA_INSB_IiSD_SE_SE_EEEEZNS1_13binary_searchIS3_S5_PdSG_SI_NS1_16binary_search_opENS9_16wrapped_functionINS8_6system6detail7generic6detail18binary_search_lessEbEEEE10hipError_tPvRmT1_T2_T3_mmT4_T5_P12ihipStream_tbEUlRKdE_EEST_SX_SY_mSZ_S12_bEUlT_E_NS1_11comp_targetILNS1_3genE4ELNS1_11target_archE910ELNS1_3gpuE8ELNS1_3repE0EEENS1_30default_config_static_selectorELNS0_4arch9wavefront6targetE0EEEvSW_ ; -- Begin function _ZN7rocprim17ROCPRIM_400000_NS6detail17trampoline_kernelINS0_14default_configENS1_29binary_search_config_selectorIdiEEZNS1_14transform_implILb0ES3_S5_N6thrust23THRUST_200600_302600_NS6detail15normal_iteratorINS8_7pointerIdNS8_11hip_rocprim5par_tENS8_11use_defaultESE_EEEENSA_INSB_IiSD_SE_SE_EEEEZNS1_13binary_searchIS3_S5_PdSG_SI_NS1_16binary_search_opENS9_16wrapped_functionINS8_6system6detail7generic6detail18binary_search_lessEbEEEE10hipError_tPvRmT1_T2_T3_mmT4_T5_P12ihipStream_tbEUlRKdE_EEST_SX_SY_mSZ_S12_bEUlT_E_NS1_11comp_targetILNS1_3genE4ELNS1_11target_archE910ELNS1_3gpuE8ELNS1_3repE0EEENS1_30default_config_static_selectorELNS0_4arch9wavefront6targetE0EEEvSW_
	.globl	_ZN7rocprim17ROCPRIM_400000_NS6detail17trampoline_kernelINS0_14default_configENS1_29binary_search_config_selectorIdiEEZNS1_14transform_implILb0ES3_S5_N6thrust23THRUST_200600_302600_NS6detail15normal_iteratorINS8_7pointerIdNS8_11hip_rocprim5par_tENS8_11use_defaultESE_EEEENSA_INSB_IiSD_SE_SE_EEEEZNS1_13binary_searchIS3_S5_PdSG_SI_NS1_16binary_search_opENS9_16wrapped_functionINS8_6system6detail7generic6detail18binary_search_lessEbEEEE10hipError_tPvRmT1_T2_T3_mmT4_T5_P12ihipStream_tbEUlRKdE_EEST_SX_SY_mSZ_S12_bEUlT_E_NS1_11comp_targetILNS1_3genE4ELNS1_11target_archE910ELNS1_3gpuE8ELNS1_3repE0EEENS1_30default_config_static_selectorELNS0_4arch9wavefront6targetE0EEEvSW_
	.p2align	8
	.type	_ZN7rocprim17ROCPRIM_400000_NS6detail17trampoline_kernelINS0_14default_configENS1_29binary_search_config_selectorIdiEEZNS1_14transform_implILb0ES3_S5_N6thrust23THRUST_200600_302600_NS6detail15normal_iteratorINS8_7pointerIdNS8_11hip_rocprim5par_tENS8_11use_defaultESE_EEEENSA_INSB_IiSD_SE_SE_EEEEZNS1_13binary_searchIS3_S5_PdSG_SI_NS1_16binary_search_opENS9_16wrapped_functionINS8_6system6detail7generic6detail18binary_search_lessEbEEEE10hipError_tPvRmT1_T2_T3_mmT4_T5_P12ihipStream_tbEUlRKdE_EEST_SX_SY_mSZ_S12_bEUlT_E_NS1_11comp_targetILNS1_3genE4ELNS1_11target_archE910ELNS1_3gpuE8ELNS1_3repE0EEENS1_30default_config_static_selectorELNS0_4arch9wavefront6targetE0EEEvSW_,@function
_ZN7rocprim17ROCPRIM_400000_NS6detail17trampoline_kernelINS0_14default_configENS1_29binary_search_config_selectorIdiEEZNS1_14transform_implILb0ES3_S5_N6thrust23THRUST_200600_302600_NS6detail15normal_iteratorINS8_7pointerIdNS8_11hip_rocprim5par_tENS8_11use_defaultESE_EEEENSA_INSB_IiSD_SE_SE_EEEEZNS1_13binary_searchIS3_S5_PdSG_SI_NS1_16binary_search_opENS9_16wrapped_functionINS8_6system6detail7generic6detail18binary_search_lessEbEEEE10hipError_tPvRmT1_T2_T3_mmT4_T5_P12ihipStream_tbEUlRKdE_EEST_SX_SY_mSZ_S12_bEUlT_E_NS1_11comp_targetILNS1_3genE4ELNS1_11target_archE910ELNS1_3gpuE8ELNS1_3repE0EEENS1_30default_config_static_selectorELNS0_4arch9wavefront6targetE0EEEvSW_: ; @_ZN7rocprim17ROCPRIM_400000_NS6detail17trampoline_kernelINS0_14default_configENS1_29binary_search_config_selectorIdiEEZNS1_14transform_implILb0ES3_S5_N6thrust23THRUST_200600_302600_NS6detail15normal_iteratorINS8_7pointerIdNS8_11hip_rocprim5par_tENS8_11use_defaultESE_EEEENSA_INSB_IiSD_SE_SE_EEEEZNS1_13binary_searchIS3_S5_PdSG_SI_NS1_16binary_search_opENS9_16wrapped_functionINS8_6system6detail7generic6detail18binary_search_lessEbEEEE10hipError_tPvRmT1_T2_T3_mmT4_T5_P12ihipStream_tbEUlRKdE_EEST_SX_SY_mSZ_S12_bEUlT_E_NS1_11comp_targetILNS1_3genE4ELNS1_11target_archE910ELNS1_3gpuE8ELNS1_3repE0EEENS1_30default_config_static_selectorELNS0_4arch9wavefront6targetE0EEEvSW_
; %bb.0:
	.section	.rodata,"a",@progbits
	.p2align	6, 0x0
	.amdhsa_kernel _ZN7rocprim17ROCPRIM_400000_NS6detail17trampoline_kernelINS0_14default_configENS1_29binary_search_config_selectorIdiEEZNS1_14transform_implILb0ES3_S5_N6thrust23THRUST_200600_302600_NS6detail15normal_iteratorINS8_7pointerIdNS8_11hip_rocprim5par_tENS8_11use_defaultESE_EEEENSA_INSB_IiSD_SE_SE_EEEEZNS1_13binary_searchIS3_S5_PdSG_SI_NS1_16binary_search_opENS9_16wrapped_functionINS8_6system6detail7generic6detail18binary_search_lessEbEEEE10hipError_tPvRmT1_T2_T3_mmT4_T5_P12ihipStream_tbEUlRKdE_EEST_SX_SY_mSZ_S12_bEUlT_E_NS1_11comp_targetILNS1_3genE4ELNS1_11target_archE910ELNS1_3gpuE8ELNS1_3repE0EEENS1_30default_config_static_selectorELNS0_4arch9wavefront6targetE0EEEvSW_
		.amdhsa_group_segment_fixed_size 0
		.amdhsa_private_segment_fixed_size 0
		.amdhsa_kernarg_size 56
		.amdhsa_user_sgpr_count 6
		.amdhsa_user_sgpr_private_segment_buffer 1
		.amdhsa_user_sgpr_dispatch_ptr 0
		.amdhsa_user_sgpr_queue_ptr 0
		.amdhsa_user_sgpr_kernarg_segment_ptr 1
		.amdhsa_user_sgpr_dispatch_id 0
		.amdhsa_user_sgpr_flat_scratch_init 0
		.amdhsa_user_sgpr_private_segment_size 0
		.amdhsa_wavefront_size32 1
		.amdhsa_uses_dynamic_stack 0
		.amdhsa_system_sgpr_private_segment_wavefront_offset 0
		.amdhsa_system_sgpr_workgroup_id_x 1
		.amdhsa_system_sgpr_workgroup_id_y 0
		.amdhsa_system_sgpr_workgroup_id_z 0
		.amdhsa_system_sgpr_workgroup_info 0
		.amdhsa_system_vgpr_workitem_id 0
		.amdhsa_next_free_vgpr 1
		.amdhsa_next_free_sgpr 1
		.amdhsa_reserve_vcc 0
		.amdhsa_reserve_flat_scratch 0
		.amdhsa_float_round_mode_32 0
		.amdhsa_float_round_mode_16_64 0
		.amdhsa_float_denorm_mode_32 3
		.amdhsa_float_denorm_mode_16_64 3
		.amdhsa_dx10_clamp 1
		.amdhsa_ieee_mode 1
		.amdhsa_fp16_overflow 0
		.amdhsa_workgroup_processor_mode 1
		.amdhsa_memory_ordered 1
		.amdhsa_forward_progress 1
		.amdhsa_shared_vgpr_count 0
		.amdhsa_exception_fp_ieee_invalid_op 0
		.amdhsa_exception_fp_denorm_src 0
		.amdhsa_exception_fp_ieee_div_zero 0
		.amdhsa_exception_fp_ieee_overflow 0
		.amdhsa_exception_fp_ieee_underflow 0
		.amdhsa_exception_fp_ieee_inexact 0
		.amdhsa_exception_int_div_zero 0
	.end_amdhsa_kernel
	.section	.text._ZN7rocprim17ROCPRIM_400000_NS6detail17trampoline_kernelINS0_14default_configENS1_29binary_search_config_selectorIdiEEZNS1_14transform_implILb0ES3_S5_N6thrust23THRUST_200600_302600_NS6detail15normal_iteratorINS8_7pointerIdNS8_11hip_rocprim5par_tENS8_11use_defaultESE_EEEENSA_INSB_IiSD_SE_SE_EEEEZNS1_13binary_searchIS3_S5_PdSG_SI_NS1_16binary_search_opENS9_16wrapped_functionINS8_6system6detail7generic6detail18binary_search_lessEbEEEE10hipError_tPvRmT1_T2_T3_mmT4_T5_P12ihipStream_tbEUlRKdE_EEST_SX_SY_mSZ_S12_bEUlT_E_NS1_11comp_targetILNS1_3genE4ELNS1_11target_archE910ELNS1_3gpuE8ELNS1_3repE0EEENS1_30default_config_static_selectorELNS0_4arch9wavefront6targetE0EEEvSW_,"axG",@progbits,_ZN7rocprim17ROCPRIM_400000_NS6detail17trampoline_kernelINS0_14default_configENS1_29binary_search_config_selectorIdiEEZNS1_14transform_implILb0ES3_S5_N6thrust23THRUST_200600_302600_NS6detail15normal_iteratorINS8_7pointerIdNS8_11hip_rocprim5par_tENS8_11use_defaultESE_EEEENSA_INSB_IiSD_SE_SE_EEEEZNS1_13binary_searchIS3_S5_PdSG_SI_NS1_16binary_search_opENS9_16wrapped_functionINS8_6system6detail7generic6detail18binary_search_lessEbEEEE10hipError_tPvRmT1_T2_T3_mmT4_T5_P12ihipStream_tbEUlRKdE_EEST_SX_SY_mSZ_S12_bEUlT_E_NS1_11comp_targetILNS1_3genE4ELNS1_11target_archE910ELNS1_3gpuE8ELNS1_3repE0EEENS1_30default_config_static_selectorELNS0_4arch9wavefront6targetE0EEEvSW_,comdat
.Lfunc_end245:
	.size	_ZN7rocprim17ROCPRIM_400000_NS6detail17trampoline_kernelINS0_14default_configENS1_29binary_search_config_selectorIdiEEZNS1_14transform_implILb0ES3_S5_N6thrust23THRUST_200600_302600_NS6detail15normal_iteratorINS8_7pointerIdNS8_11hip_rocprim5par_tENS8_11use_defaultESE_EEEENSA_INSB_IiSD_SE_SE_EEEEZNS1_13binary_searchIS3_S5_PdSG_SI_NS1_16binary_search_opENS9_16wrapped_functionINS8_6system6detail7generic6detail18binary_search_lessEbEEEE10hipError_tPvRmT1_T2_T3_mmT4_T5_P12ihipStream_tbEUlRKdE_EEST_SX_SY_mSZ_S12_bEUlT_E_NS1_11comp_targetILNS1_3genE4ELNS1_11target_archE910ELNS1_3gpuE8ELNS1_3repE0EEENS1_30default_config_static_selectorELNS0_4arch9wavefront6targetE0EEEvSW_, .Lfunc_end245-_ZN7rocprim17ROCPRIM_400000_NS6detail17trampoline_kernelINS0_14default_configENS1_29binary_search_config_selectorIdiEEZNS1_14transform_implILb0ES3_S5_N6thrust23THRUST_200600_302600_NS6detail15normal_iteratorINS8_7pointerIdNS8_11hip_rocprim5par_tENS8_11use_defaultESE_EEEENSA_INSB_IiSD_SE_SE_EEEEZNS1_13binary_searchIS3_S5_PdSG_SI_NS1_16binary_search_opENS9_16wrapped_functionINS8_6system6detail7generic6detail18binary_search_lessEbEEEE10hipError_tPvRmT1_T2_T3_mmT4_T5_P12ihipStream_tbEUlRKdE_EEST_SX_SY_mSZ_S12_bEUlT_E_NS1_11comp_targetILNS1_3genE4ELNS1_11target_archE910ELNS1_3gpuE8ELNS1_3repE0EEENS1_30default_config_static_selectorELNS0_4arch9wavefront6targetE0EEEvSW_
                                        ; -- End function
	.set _ZN7rocprim17ROCPRIM_400000_NS6detail17trampoline_kernelINS0_14default_configENS1_29binary_search_config_selectorIdiEEZNS1_14transform_implILb0ES3_S5_N6thrust23THRUST_200600_302600_NS6detail15normal_iteratorINS8_7pointerIdNS8_11hip_rocprim5par_tENS8_11use_defaultESE_EEEENSA_INSB_IiSD_SE_SE_EEEEZNS1_13binary_searchIS3_S5_PdSG_SI_NS1_16binary_search_opENS9_16wrapped_functionINS8_6system6detail7generic6detail18binary_search_lessEbEEEE10hipError_tPvRmT1_T2_T3_mmT4_T5_P12ihipStream_tbEUlRKdE_EEST_SX_SY_mSZ_S12_bEUlT_E_NS1_11comp_targetILNS1_3genE4ELNS1_11target_archE910ELNS1_3gpuE8ELNS1_3repE0EEENS1_30default_config_static_selectorELNS0_4arch9wavefront6targetE0EEEvSW_.num_vgpr, 0
	.set _ZN7rocprim17ROCPRIM_400000_NS6detail17trampoline_kernelINS0_14default_configENS1_29binary_search_config_selectorIdiEEZNS1_14transform_implILb0ES3_S5_N6thrust23THRUST_200600_302600_NS6detail15normal_iteratorINS8_7pointerIdNS8_11hip_rocprim5par_tENS8_11use_defaultESE_EEEENSA_INSB_IiSD_SE_SE_EEEEZNS1_13binary_searchIS3_S5_PdSG_SI_NS1_16binary_search_opENS9_16wrapped_functionINS8_6system6detail7generic6detail18binary_search_lessEbEEEE10hipError_tPvRmT1_T2_T3_mmT4_T5_P12ihipStream_tbEUlRKdE_EEST_SX_SY_mSZ_S12_bEUlT_E_NS1_11comp_targetILNS1_3genE4ELNS1_11target_archE910ELNS1_3gpuE8ELNS1_3repE0EEENS1_30default_config_static_selectorELNS0_4arch9wavefront6targetE0EEEvSW_.num_agpr, 0
	.set _ZN7rocprim17ROCPRIM_400000_NS6detail17trampoline_kernelINS0_14default_configENS1_29binary_search_config_selectorIdiEEZNS1_14transform_implILb0ES3_S5_N6thrust23THRUST_200600_302600_NS6detail15normal_iteratorINS8_7pointerIdNS8_11hip_rocprim5par_tENS8_11use_defaultESE_EEEENSA_INSB_IiSD_SE_SE_EEEEZNS1_13binary_searchIS3_S5_PdSG_SI_NS1_16binary_search_opENS9_16wrapped_functionINS8_6system6detail7generic6detail18binary_search_lessEbEEEE10hipError_tPvRmT1_T2_T3_mmT4_T5_P12ihipStream_tbEUlRKdE_EEST_SX_SY_mSZ_S12_bEUlT_E_NS1_11comp_targetILNS1_3genE4ELNS1_11target_archE910ELNS1_3gpuE8ELNS1_3repE0EEENS1_30default_config_static_selectorELNS0_4arch9wavefront6targetE0EEEvSW_.numbered_sgpr, 0
	.set _ZN7rocprim17ROCPRIM_400000_NS6detail17trampoline_kernelINS0_14default_configENS1_29binary_search_config_selectorIdiEEZNS1_14transform_implILb0ES3_S5_N6thrust23THRUST_200600_302600_NS6detail15normal_iteratorINS8_7pointerIdNS8_11hip_rocprim5par_tENS8_11use_defaultESE_EEEENSA_INSB_IiSD_SE_SE_EEEEZNS1_13binary_searchIS3_S5_PdSG_SI_NS1_16binary_search_opENS9_16wrapped_functionINS8_6system6detail7generic6detail18binary_search_lessEbEEEE10hipError_tPvRmT1_T2_T3_mmT4_T5_P12ihipStream_tbEUlRKdE_EEST_SX_SY_mSZ_S12_bEUlT_E_NS1_11comp_targetILNS1_3genE4ELNS1_11target_archE910ELNS1_3gpuE8ELNS1_3repE0EEENS1_30default_config_static_selectorELNS0_4arch9wavefront6targetE0EEEvSW_.num_named_barrier, 0
	.set _ZN7rocprim17ROCPRIM_400000_NS6detail17trampoline_kernelINS0_14default_configENS1_29binary_search_config_selectorIdiEEZNS1_14transform_implILb0ES3_S5_N6thrust23THRUST_200600_302600_NS6detail15normal_iteratorINS8_7pointerIdNS8_11hip_rocprim5par_tENS8_11use_defaultESE_EEEENSA_INSB_IiSD_SE_SE_EEEEZNS1_13binary_searchIS3_S5_PdSG_SI_NS1_16binary_search_opENS9_16wrapped_functionINS8_6system6detail7generic6detail18binary_search_lessEbEEEE10hipError_tPvRmT1_T2_T3_mmT4_T5_P12ihipStream_tbEUlRKdE_EEST_SX_SY_mSZ_S12_bEUlT_E_NS1_11comp_targetILNS1_3genE4ELNS1_11target_archE910ELNS1_3gpuE8ELNS1_3repE0EEENS1_30default_config_static_selectorELNS0_4arch9wavefront6targetE0EEEvSW_.private_seg_size, 0
	.set _ZN7rocprim17ROCPRIM_400000_NS6detail17trampoline_kernelINS0_14default_configENS1_29binary_search_config_selectorIdiEEZNS1_14transform_implILb0ES3_S5_N6thrust23THRUST_200600_302600_NS6detail15normal_iteratorINS8_7pointerIdNS8_11hip_rocprim5par_tENS8_11use_defaultESE_EEEENSA_INSB_IiSD_SE_SE_EEEEZNS1_13binary_searchIS3_S5_PdSG_SI_NS1_16binary_search_opENS9_16wrapped_functionINS8_6system6detail7generic6detail18binary_search_lessEbEEEE10hipError_tPvRmT1_T2_T3_mmT4_T5_P12ihipStream_tbEUlRKdE_EEST_SX_SY_mSZ_S12_bEUlT_E_NS1_11comp_targetILNS1_3genE4ELNS1_11target_archE910ELNS1_3gpuE8ELNS1_3repE0EEENS1_30default_config_static_selectorELNS0_4arch9wavefront6targetE0EEEvSW_.uses_vcc, 0
	.set _ZN7rocprim17ROCPRIM_400000_NS6detail17trampoline_kernelINS0_14default_configENS1_29binary_search_config_selectorIdiEEZNS1_14transform_implILb0ES3_S5_N6thrust23THRUST_200600_302600_NS6detail15normal_iteratorINS8_7pointerIdNS8_11hip_rocprim5par_tENS8_11use_defaultESE_EEEENSA_INSB_IiSD_SE_SE_EEEEZNS1_13binary_searchIS3_S5_PdSG_SI_NS1_16binary_search_opENS9_16wrapped_functionINS8_6system6detail7generic6detail18binary_search_lessEbEEEE10hipError_tPvRmT1_T2_T3_mmT4_T5_P12ihipStream_tbEUlRKdE_EEST_SX_SY_mSZ_S12_bEUlT_E_NS1_11comp_targetILNS1_3genE4ELNS1_11target_archE910ELNS1_3gpuE8ELNS1_3repE0EEENS1_30default_config_static_selectorELNS0_4arch9wavefront6targetE0EEEvSW_.uses_flat_scratch, 0
	.set _ZN7rocprim17ROCPRIM_400000_NS6detail17trampoline_kernelINS0_14default_configENS1_29binary_search_config_selectorIdiEEZNS1_14transform_implILb0ES3_S5_N6thrust23THRUST_200600_302600_NS6detail15normal_iteratorINS8_7pointerIdNS8_11hip_rocprim5par_tENS8_11use_defaultESE_EEEENSA_INSB_IiSD_SE_SE_EEEEZNS1_13binary_searchIS3_S5_PdSG_SI_NS1_16binary_search_opENS9_16wrapped_functionINS8_6system6detail7generic6detail18binary_search_lessEbEEEE10hipError_tPvRmT1_T2_T3_mmT4_T5_P12ihipStream_tbEUlRKdE_EEST_SX_SY_mSZ_S12_bEUlT_E_NS1_11comp_targetILNS1_3genE4ELNS1_11target_archE910ELNS1_3gpuE8ELNS1_3repE0EEENS1_30default_config_static_selectorELNS0_4arch9wavefront6targetE0EEEvSW_.has_dyn_sized_stack, 0
	.set _ZN7rocprim17ROCPRIM_400000_NS6detail17trampoline_kernelINS0_14default_configENS1_29binary_search_config_selectorIdiEEZNS1_14transform_implILb0ES3_S5_N6thrust23THRUST_200600_302600_NS6detail15normal_iteratorINS8_7pointerIdNS8_11hip_rocprim5par_tENS8_11use_defaultESE_EEEENSA_INSB_IiSD_SE_SE_EEEEZNS1_13binary_searchIS3_S5_PdSG_SI_NS1_16binary_search_opENS9_16wrapped_functionINS8_6system6detail7generic6detail18binary_search_lessEbEEEE10hipError_tPvRmT1_T2_T3_mmT4_T5_P12ihipStream_tbEUlRKdE_EEST_SX_SY_mSZ_S12_bEUlT_E_NS1_11comp_targetILNS1_3genE4ELNS1_11target_archE910ELNS1_3gpuE8ELNS1_3repE0EEENS1_30default_config_static_selectorELNS0_4arch9wavefront6targetE0EEEvSW_.has_recursion, 0
	.set _ZN7rocprim17ROCPRIM_400000_NS6detail17trampoline_kernelINS0_14default_configENS1_29binary_search_config_selectorIdiEEZNS1_14transform_implILb0ES3_S5_N6thrust23THRUST_200600_302600_NS6detail15normal_iteratorINS8_7pointerIdNS8_11hip_rocprim5par_tENS8_11use_defaultESE_EEEENSA_INSB_IiSD_SE_SE_EEEEZNS1_13binary_searchIS3_S5_PdSG_SI_NS1_16binary_search_opENS9_16wrapped_functionINS8_6system6detail7generic6detail18binary_search_lessEbEEEE10hipError_tPvRmT1_T2_T3_mmT4_T5_P12ihipStream_tbEUlRKdE_EEST_SX_SY_mSZ_S12_bEUlT_E_NS1_11comp_targetILNS1_3genE4ELNS1_11target_archE910ELNS1_3gpuE8ELNS1_3repE0EEENS1_30default_config_static_selectorELNS0_4arch9wavefront6targetE0EEEvSW_.has_indirect_call, 0
	.section	.AMDGPU.csdata,"",@progbits
; Kernel info:
; codeLenInByte = 0
; TotalNumSgprs: 0
; NumVgprs: 0
; ScratchSize: 0
; MemoryBound: 0
; FloatMode: 240
; IeeeMode: 1
; LDSByteSize: 0 bytes/workgroup (compile time only)
; SGPRBlocks: 0
; VGPRBlocks: 0
; NumSGPRsForWavesPerEU: 1
; NumVGPRsForWavesPerEU: 1
; Occupancy: 16
; WaveLimiterHint : 0
; COMPUTE_PGM_RSRC2:SCRATCH_EN: 0
; COMPUTE_PGM_RSRC2:USER_SGPR: 6
; COMPUTE_PGM_RSRC2:TRAP_HANDLER: 0
; COMPUTE_PGM_RSRC2:TGID_X_EN: 1
; COMPUTE_PGM_RSRC2:TGID_Y_EN: 0
; COMPUTE_PGM_RSRC2:TGID_Z_EN: 0
; COMPUTE_PGM_RSRC2:TIDIG_COMP_CNT: 0
	.section	.text._ZN7rocprim17ROCPRIM_400000_NS6detail17trampoline_kernelINS0_14default_configENS1_29binary_search_config_selectorIdiEEZNS1_14transform_implILb0ES3_S5_N6thrust23THRUST_200600_302600_NS6detail15normal_iteratorINS8_7pointerIdNS8_11hip_rocprim5par_tENS8_11use_defaultESE_EEEENSA_INSB_IiSD_SE_SE_EEEEZNS1_13binary_searchIS3_S5_PdSG_SI_NS1_16binary_search_opENS9_16wrapped_functionINS8_6system6detail7generic6detail18binary_search_lessEbEEEE10hipError_tPvRmT1_T2_T3_mmT4_T5_P12ihipStream_tbEUlRKdE_EEST_SX_SY_mSZ_S12_bEUlT_E_NS1_11comp_targetILNS1_3genE3ELNS1_11target_archE908ELNS1_3gpuE7ELNS1_3repE0EEENS1_30default_config_static_selectorELNS0_4arch9wavefront6targetE0EEEvSW_,"axG",@progbits,_ZN7rocprim17ROCPRIM_400000_NS6detail17trampoline_kernelINS0_14default_configENS1_29binary_search_config_selectorIdiEEZNS1_14transform_implILb0ES3_S5_N6thrust23THRUST_200600_302600_NS6detail15normal_iteratorINS8_7pointerIdNS8_11hip_rocprim5par_tENS8_11use_defaultESE_EEEENSA_INSB_IiSD_SE_SE_EEEEZNS1_13binary_searchIS3_S5_PdSG_SI_NS1_16binary_search_opENS9_16wrapped_functionINS8_6system6detail7generic6detail18binary_search_lessEbEEEE10hipError_tPvRmT1_T2_T3_mmT4_T5_P12ihipStream_tbEUlRKdE_EEST_SX_SY_mSZ_S12_bEUlT_E_NS1_11comp_targetILNS1_3genE3ELNS1_11target_archE908ELNS1_3gpuE7ELNS1_3repE0EEENS1_30default_config_static_selectorELNS0_4arch9wavefront6targetE0EEEvSW_,comdat
	.protected	_ZN7rocprim17ROCPRIM_400000_NS6detail17trampoline_kernelINS0_14default_configENS1_29binary_search_config_selectorIdiEEZNS1_14transform_implILb0ES3_S5_N6thrust23THRUST_200600_302600_NS6detail15normal_iteratorINS8_7pointerIdNS8_11hip_rocprim5par_tENS8_11use_defaultESE_EEEENSA_INSB_IiSD_SE_SE_EEEEZNS1_13binary_searchIS3_S5_PdSG_SI_NS1_16binary_search_opENS9_16wrapped_functionINS8_6system6detail7generic6detail18binary_search_lessEbEEEE10hipError_tPvRmT1_T2_T3_mmT4_T5_P12ihipStream_tbEUlRKdE_EEST_SX_SY_mSZ_S12_bEUlT_E_NS1_11comp_targetILNS1_3genE3ELNS1_11target_archE908ELNS1_3gpuE7ELNS1_3repE0EEENS1_30default_config_static_selectorELNS0_4arch9wavefront6targetE0EEEvSW_ ; -- Begin function _ZN7rocprim17ROCPRIM_400000_NS6detail17trampoline_kernelINS0_14default_configENS1_29binary_search_config_selectorIdiEEZNS1_14transform_implILb0ES3_S5_N6thrust23THRUST_200600_302600_NS6detail15normal_iteratorINS8_7pointerIdNS8_11hip_rocprim5par_tENS8_11use_defaultESE_EEEENSA_INSB_IiSD_SE_SE_EEEEZNS1_13binary_searchIS3_S5_PdSG_SI_NS1_16binary_search_opENS9_16wrapped_functionINS8_6system6detail7generic6detail18binary_search_lessEbEEEE10hipError_tPvRmT1_T2_T3_mmT4_T5_P12ihipStream_tbEUlRKdE_EEST_SX_SY_mSZ_S12_bEUlT_E_NS1_11comp_targetILNS1_3genE3ELNS1_11target_archE908ELNS1_3gpuE7ELNS1_3repE0EEENS1_30default_config_static_selectorELNS0_4arch9wavefront6targetE0EEEvSW_
	.globl	_ZN7rocprim17ROCPRIM_400000_NS6detail17trampoline_kernelINS0_14default_configENS1_29binary_search_config_selectorIdiEEZNS1_14transform_implILb0ES3_S5_N6thrust23THRUST_200600_302600_NS6detail15normal_iteratorINS8_7pointerIdNS8_11hip_rocprim5par_tENS8_11use_defaultESE_EEEENSA_INSB_IiSD_SE_SE_EEEEZNS1_13binary_searchIS3_S5_PdSG_SI_NS1_16binary_search_opENS9_16wrapped_functionINS8_6system6detail7generic6detail18binary_search_lessEbEEEE10hipError_tPvRmT1_T2_T3_mmT4_T5_P12ihipStream_tbEUlRKdE_EEST_SX_SY_mSZ_S12_bEUlT_E_NS1_11comp_targetILNS1_3genE3ELNS1_11target_archE908ELNS1_3gpuE7ELNS1_3repE0EEENS1_30default_config_static_selectorELNS0_4arch9wavefront6targetE0EEEvSW_
	.p2align	8
	.type	_ZN7rocprim17ROCPRIM_400000_NS6detail17trampoline_kernelINS0_14default_configENS1_29binary_search_config_selectorIdiEEZNS1_14transform_implILb0ES3_S5_N6thrust23THRUST_200600_302600_NS6detail15normal_iteratorINS8_7pointerIdNS8_11hip_rocprim5par_tENS8_11use_defaultESE_EEEENSA_INSB_IiSD_SE_SE_EEEEZNS1_13binary_searchIS3_S5_PdSG_SI_NS1_16binary_search_opENS9_16wrapped_functionINS8_6system6detail7generic6detail18binary_search_lessEbEEEE10hipError_tPvRmT1_T2_T3_mmT4_T5_P12ihipStream_tbEUlRKdE_EEST_SX_SY_mSZ_S12_bEUlT_E_NS1_11comp_targetILNS1_3genE3ELNS1_11target_archE908ELNS1_3gpuE7ELNS1_3repE0EEENS1_30default_config_static_selectorELNS0_4arch9wavefront6targetE0EEEvSW_,@function
_ZN7rocprim17ROCPRIM_400000_NS6detail17trampoline_kernelINS0_14default_configENS1_29binary_search_config_selectorIdiEEZNS1_14transform_implILb0ES3_S5_N6thrust23THRUST_200600_302600_NS6detail15normal_iteratorINS8_7pointerIdNS8_11hip_rocprim5par_tENS8_11use_defaultESE_EEEENSA_INSB_IiSD_SE_SE_EEEEZNS1_13binary_searchIS3_S5_PdSG_SI_NS1_16binary_search_opENS9_16wrapped_functionINS8_6system6detail7generic6detail18binary_search_lessEbEEEE10hipError_tPvRmT1_T2_T3_mmT4_T5_P12ihipStream_tbEUlRKdE_EEST_SX_SY_mSZ_S12_bEUlT_E_NS1_11comp_targetILNS1_3genE3ELNS1_11target_archE908ELNS1_3gpuE7ELNS1_3repE0EEENS1_30default_config_static_selectorELNS0_4arch9wavefront6targetE0EEEvSW_: ; @_ZN7rocprim17ROCPRIM_400000_NS6detail17trampoline_kernelINS0_14default_configENS1_29binary_search_config_selectorIdiEEZNS1_14transform_implILb0ES3_S5_N6thrust23THRUST_200600_302600_NS6detail15normal_iteratorINS8_7pointerIdNS8_11hip_rocprim5par_tENS8_11use_defaultESE_EEEENSA_INSB_IiSD_SE_SE_EEEEZNS1_13binary_searchIS3_S5_PdSG_SI_NS1_16binary_search_opENS9_16wrapped_functionINS8_6system6detail7generic6detail18binary_search_lessEbEEEE10hipError_tPvRmT1_T2_T3_mmT4_T5_P12ihipStream_tbEUlRKdE_EEST_SX_SY_mSZ_S12_bEUlT_E_NS1_11comp_targetILNS1_3genE3ELNS1_11target_archE908ELNS1_3gpuE7ELNS1_3repE0EEENS1_30default_config_static_selectorELNS0_4arch9wavefront6targetE0EEEvSW_
; %bb.0:
	.section	.rodata,"a",@progbits
	.p2align	6, 0x0
	.amdhsa_kernel _ZN7rocprim17ROCPRIM_400000_NS6detail17trampoline_kernelINS0_14default_configENS1_29binary_search_config_selectorIdiEEZNS1_14transform_implILb0ES3_S5_N6thrust23THRUST_200600_302600_NS6detail15normal_iteratorINS8_7pointerIdNS8_11hip_rocprim5par_tENS8_11use_defaultESE_EEEENSA_INSB_IiSD_SE_SE_EEEEZNS1_13binary_searchIS3_S5_PdSG_SI_NS1_16binary_search_opENS9_16wrapped_functionINS8_6system6detail7generic6detail18binary_search_lessEbEEEE10hipError_tPvRmT1_T2_T3_mmT4_T5_P12ihipStream_tbEUlRKdE_EEST_SX_SY_mSZ_S12_bEUlT_E_NS1_11comp_targetILNS1_3genE3ELNS1_11target_archE908ELNS1_3gpuE7ELNS1_3repE0EEENS1_30default_config_static_selectorELNS0_4arch9wavefront6targetE0EEEvSW_
		.amdhsa_group_segment_fixed_size 0
		.amdhsa_private_segment_fixed_size 0
		.amdhsa_kernarg_size 56
		.amdhsa_user_sgpr_count 6
		.amdhsa_user_sgpr_private_segment_buffer 1
		.amdhsa_user_sgpr_dispatch_ptr 0
		.amdhsa_user_sgpr_queue_ptr 0
		.amdhsa_user_sgpr_kernarg_segment_ptr 1
		.amdhsa_user_sgpr_dispatch_id 0
		.amdhsa_user_sgpr_flat_scratch_init 0
		.amdhsa_user_sgpr_private_segment_size 0
		.amdhsa_wavefront_size32 1
		.amdhsa_uses_dynamic_stack 0
		.amdhsa_system_sgpr_private_segment_wavefront_offset 0
		.amdhsa_system_sgpr_workgroup_id_x 1
		.amdhsa_system_sgpr_workgroup_id_y 0
		.amdhsa_system_sgpr_workgroup_id_z 0
		.amdhsa_system_sgpr_workgroup_info 0
		.amdhsa_system_vgpr_workitem_id 0
		.amdhsa_next_free_vgpr 1
		.amdhsa_next_free_sgpr 1
		.amdhsa_reserve_vcc 0
		.amdhsa_reserve_flat_scratch 0
		.amdhsa_float_round_mode_32 0
		.amdhsa_float_round_mode_16_64 0
		.amdhsa_float_denorm_mode_32 3
		.amdhsa_float_denorm_mode_16_64 3
		.amdhsa_dx10_clamp 1
		.amdhsa_ieee_mode 1
		.amdhsa_fp16_overflow 0
		.amdhsa_workgroup_processor_mode 1
		.amdhsa_memory_ordered 1
		.amdhsa_forward_progress 1
		.amdhsa_shared_vgpr_count 0
		.amdhsa_exception_fp_ieee_invalid_op 0
		.amdhsa_exception_fp_denorm_src 0
		.amdhsa_exception_fp_ieee_div_zero 0
		.amdhsa_exception_fp_ieee_overflow 0
		.amdhsa_exception_fp_ieee_underflow 0
		.amdhsa_exception_fp_ieee_inexact 0
		.amdhsa_exception_int_div_zero 0
	.end_amdhsa_kernel
	.section	.text._ZN7rocprim17ROCPRIM_400000_NS6detail17trampoline_kernelINS0_14default_configENS1_29binary_search_config_selectorIdiEEZNS1_14transform_implILb0ES3_S5_N6thrust23THRUST_200600_302600_NS6detail15normal_iteratorINS8_7pointerIdNS8_11hip_rocprim5par_tENS8_11use_defaultESE_EEEENSA_INSB_IiSD_SE_SE_EEEEZNS1_13binary_searchIS3_S5_PdSG_SI_NS1_16binary_search_opENS9_16wrapped_functionINS8_6system6detail7generic6detail18binary_search_lessEbEEEE10hipError_tPvRmT1_T2_T3_mmT4_T5_P12ihipStream_tbEUlRKdE_EEST_SX_SY_mSZ_S12_bEUlT_E_NS1_11comp_targetILNS1_3genE3ELNS1_11target_archE908ELNS1_3gpuE7ELNS1_3repE0EEENS1_30default_config_static_selectorELNS0_4arch9wavefront6targetE0EEEvSW_,"axG",@progbits,_ZN7rocprim17ROCPRIM_400000_NS6detail17trampoline_kernelINS0_14default_configENS1_29binary_search_config_selectorIdiEEZNS1_14transform_implILb0ES3_S5_N6thrust23THRUST_200600_302600_NS6detail15normal_iteratorINS8_7pointerIdNS8_11hip_rocprim5par_tENS8_11use_defaultESE_EEEENSA_INSB_IiSD_SE_SE_EEEEZNS1_13binary_searchIS3_S5_PdSG_SI_NS1_16binary_search_opENS9_16wrapped_functionINS8_6system6detail7generic6detail18binary_search_lessEbEEEE10hipError_tPvRmT1_T2_T3_mmT4_T5_P12ihipStream_tbEUlRKdE_EEST_SX_SY_mSZ_S12_bEUlT_E_NS1_11comp_targetILNS1_3genE3ELNS1_11target_archE908ELNS1_3gpuE7ELNS1_3repE0EEENS1_30default_config_static_selectorELNS0_4arch9wavefront6targetE0EEEvSW_,comdat
.Lfunc_end246:
	.size	_ZN7rocprim17ROCPRIM_400000_NS6detail17trampoline_kernelINS0_14default_configENS1_29binary_search_config_selectorIdiEEZNS1_14transform_implILb0ES3_S5_N6thrust23THRUST_200600_302600_NS6detail15normal_iteratorINS8_7pointerIdNS8_11hip_rocprim5par_tENS8_11use_defaultESE_EEEENSA_INSB_IiSD_SE_SE_EEEEZNS1_13binary_searchIS3_S5_PdSG_SI_NS1_16binary_search_opENS9_16wrapped_functionINS8_6system6detail7generic6detail18binary_search_lessEbEEEE10hipError_tPvRmT1_T2_T3_mmT4_T5_P12ihipStream_tbEUlRKdE_EEST_SX_SY_mSZ_S12_bEUlT_E_NS1_11comp_targetILNS1_3genE3ELNS1_11target_archE908ELNS1_3gpuE7ELNS1_3repE0EEENS1_30default_config_static_selectorELNS0_4arch9wavefront6targetE0EEEvSW_, .Lfunc_end246-_ZN7rocprim17ROCPRIM_400000_NS6detail17trampoline_kernelINS0_14default_configENS1_29binary_search_config_selectorIdiEEZNS1_14transform_implILb0ES3_S5_N6thrust23THRUST_200600_302600_NS6detail15normal_iteratorINS8_7pointerIdNS8_11hip_rocprim5par_tENS8_11use_defaultESE_EEEENSA_INSB_IiSD_SE_SE_EEEEZNS1_13binary_searchIS3_S5_PdSG_SI_NS1_16binary_search_opENS9_16wrapped_functionINS8_6system6detail7generic6detail18binary_search_lessEbEEEE10hipError_tPvRmT1_T2_T3_mmT4_T5_P12ihipStream_tbEUlRKdE_EEST_SX_SY_mSZ_S12_bEUlT_E_NS1_11comp_targetILNS1_3genE3ELNS1_11target_archE908ELNS1_3gpuE7ELNS1_3repE0EEENS1_30default_config_static_selectorELNS0_4arch9wavefront6targetE0EEEvSW_
                                        ; -- End function
	.set _ZN7rocprim17ROCPRIM_400000_NS6detail17trampoline_kernelINS0_14default_configENS1_29binary_search_config_selectorIdiEEZNS1_14transform_implILb0ES3_S5_N6thrust23THRUST_200600_302600_NS6detail15normal_iteratorINS8_7pointerIdNS8_11hip_rocprim5par_tENS8_11use_defaultESE_EEEENSA_INSB_IiSD_SE_SE_EEEEZNS1_13binary_searchIS3_S5_PdSG_SI_NS1_16binary_search_opENS9_16wrapped_functionINS8_6system6detail7generic6detail18binary_search_lessEbEEEE10hipError_tPvRmT1_T2_T3_mmT4_T5_P12ihipStream_tbEUlRKdE_EEST_SX_SY_mSZ_S12_bEUlT_E_NS1_11comp_targetILNS1_3genE3ELNS1_11target_archE908ELNS1_3gpuE7ELNS1_3repE0EEENS1_30default_config_static_selectorELNS0_4arch9wavefront6targetE0EEEvSW_.num_vgpr, 0
	.set _ZN7rocprim17ROCPRIM_400000_NS6detail17trampoline_kernelINS0_14default_configENS1_29binary_search_config_selectorIdiEEZNS1_14transform_implILb0ES3_S5_N6thrust23THRUST_200600_302600_NS6detail15normal_iteratorINS8_7pointerIdNS8_11hip_rocprim5par_tENS8_11use_defaultESE_EEEENSA_INSB_IiSD_SE_SE_EEEEZNS1_13binary_searchIS3_S5_PdSG_SI_NS1_16binary_search_opENS9_16wrapped_functionINS8_6system6detail7generic6detail18binary_search_lessEbEEEE10hipError_tPvRmT1_T2_T3_mmT4_T5_P12ihipStream_tbEUlRKdE_EEST_SX_SY_mSZ_S12_bEUlT_E_NS1_11comp_targetILNS1_3genE3ELNS1_11target_archE908ELNS1_3gpuE7ELNS1_3repE0EEENS1_30default_config_static_selectorELNS0_4arch9wavefront6targetE0EEEvSW_.num_agpr, 0
	.set _ZN7rocprim17ROCPRIM_400000_NS6detail17trampoline_kernelINS0_14default_configENS1_29binary_search_config_selectorIdiEEZNS1_14transform_implILb0ES3_S5_N6thrust23THRUST_200600_302600_NS6detail15normal_iteratorINS8_7pointerIdNS8_11hip_rocprim5par_tENS8_11use_defaultESE_EEEENSA_INSB_IiSD_SE_SE_EEEEZNS1_13binary_searchIS3_S5_PdSG_SI_NS1_16binary_search_opENS9_16wrapped_functionINS8_6system6detail7generic6detail18binary_search_lessEbEEEE10hipError_tPvRmT1_T2_T3_mmT4_T5_P12ihipStream_tbEUlRKdE_EEST_SX_SY_mSZ_S12_bEUlT_E_NS1_11comp_targetILNS1_3genE3ELNS1_11target_archE908ELNS1_3gpuE7ELNS1_3repE0EEENS1_30default_config_static_selectorELNS0_4arch9wavefront6targetE0EEEvSW_.numbered_sgpr, 0
	.set _ZN7rocprim17ROCPRIM_400000_NS6detail17trampoline_kernelINS0_14default_configENS1_29binary_search_config_selectorIdiEEZNS1_14transform_implILb0ES3_S5_N6thrust23THRUST_200600_302600_NS6detail15normal_iteratorINS8_7pointerIdNS8_11hip_rocprim5par_tENS8_11use_defaultESE_EEEENSA_INSB_IiSD_SE_SE_EEEEZNS1_13binary_searchIS3_S5_PdSG_SI_NS1_16binary_search_opENS9_16wrapped_functionINS8_6system6detail7generic6detail18binary_search_lessEbEEEE10hipError_tPvRmT1_T2_T3_mmT4_T5_P12ihipStream_tbEUlRKdE_EEST_SX_SY_mSZ_S12_bEUlT_E_NS1_11comp_targetILNS1_3genE3ELNS1_11target_archE908ELNS1_3gpuE7ELNS1_3repE0EEENS1_30default_config_static_selectorELNS0_4arch9wavefront6targetE0EEEvSW_.num_named_barrier, 0
	.set _ZN7rocprim17ROCPRIM_400000_NS6detail17trampoline_kernelINS0_14default_configENS1_29binary_search_config_selectorIdiEEZNS1_14transform_implILb0ES3_S5_N6thrust23THRUST_200600_302600_NS6detail15normal_iteratorINS8_7pointerIdNS8_11hip_rocprim5par_tENS8_11use_defaultESE_EEEENSA_INSB_IiSD_SE_SE_EEEEZNS1_13binary_searchIS3_S5_PdSG_SI_NS1_16binary_search_opENS9_16wrapped_functionINS8_6system6detail7generic6detail18binary_search_lessEbEEEE10hipError_tPvRmT1_T2_T3_mmT4_T5_P12ihipStream_tbEUlRKdE_EEST_SX_SY_mSZ_S12_bEUlT_E_NS1_11comp_targetILNS1_3genE3ELNS1_11target_archE908ELNS1_3gpuE7ELNS1_3repE0EEENS1_30default_config_static_selectorELNS0_4arch9wavefront6targetE0EEEvSW_.private_seg_size, 0
	.set _ZN7rocprim17ROCPRIM_400000_NS6detail17trampoline_kernelINS0_14default_configENS1_29binary_search_config_selectorIdiEEZNS1_14transform_implILb0ES3_S5_N6thrust23THRUST_200600_302600_NS6detail15normal_iteratorINS8_7pointerIdNS8_11hip_rocprim5par_tENS8_11use_defaultESE_EEEENSA_INSB_IiSD_SE_SE_EEEEZNS1_13binary_searchIS3_S5_PdSG_SI_NS1_16binary_search_opENS9_16wrapped_functionINS8_6system6detail7generic6detail18binary_search_lessEbEEEE10hipError_tPvRmT1_T2_T3_mmT4_T5_P12ihipStream_tbEUlRKdE_EEST_SX_SY_mSZ_S12_bEUlT_E_NS1_11comp_targetILNS1_3genE3ELNS1_11target_archE908ELNS1_3gpuE7ELNS1_3repE0EEENS1_30default_config_static_selectorELNS0_4arch9wavefront6targetE0EEEvSW_.uses_vcc, 0
	.set _ZN7rocprim17ROCPRIM_400000_NS6detail17trampoline_kernelINS0_14default_configENS1_29binary_search_config_selectorIdiEEZNS1_14transform_implILb0ES3_S5_N6thrust23THRUST_200600_302600_NS6detail15normal_iteratorINS8_7pointerIdNS8_11hip_rocprim5par_tENS8_11use_defaultESE_EEEENSA_INSB_IiSD_SE_SE_EEEEZNS1_13binary_searchIS3_S5_PdSG_SI_NS1_16binary_search_opENS9_16wrapped_functionINS8_6system6detail7generic6detail18binary_search_lessEbEEEE10hipError_tPvRmT1_T2_T3_mmT4_T5_P12ihipStream_tbEUlRKdE_EEST_SX_SY_mSZ_S12_bEUlT_E_NS1_11comp_targetILNS1_3genE3ELNS1_11target_archE908ELNS1_3gpuE7ELNS1_3repE0EEENS1_30default_config_static_selectorELNS0_4arch9wavefront6targetE0EEEvSW_.uses_flat_scratch, 0
	.set _ZN7rocprim17ROCPRIM_400000_NS6detail17trampoline_kernelINS0_14default_configENS1_29binary_search_config_selectorIdiEEZNS1_14transform_implILb0ES3_S5_N6thrust23THRUST_200600_302600_NS6detail15normal_iteratorINS8_7pointerIdNS8_11hip_rocprim5par_tENS8_11use_defaultESE_EEEENSA_INSB_IiSD_SE_SE_EEEEZNS1_13binary_searchIS3_S5_PdSG_SI_NS1_16binary_search_opENS9_16wrapped_functionINS8_6system6detail7generic6detail18binary_search_lessEbEEEE10hipError_tPvRmT1_T2_T3_mmT4_T5_P12ihipStream_tbEUlRKdE_EEST_SX_SY_mSZ_S12_bEUlT_E_NS1_11comp_targetILNS1_3genE3ELNS1_11target_archE908ELNS1_3gpuE7ELNS1_3repE0EEENS1_30default_config_static_selectorELNS0_4arch9wavefront6targetE0EEEvSW_.has_dyn_sized_stack, 0
	.set _ZN7rocprim17ROCPRIM_400000_NS6detail17trampoline_kernelINS0_14default_configENS1_29binary_search_config_selectorIdiEEZNS1_14transform_implILb0ES3_S5_N6thrust23THRUST_200600_302600_NS6detail15normal_iteratorINS8_7pointerIdNS8_11hip_rocprim5par_tENS8_11use_defaultESE_EEEENSA_INSB_IiSD_SE_SE_EEEEZNS1_13binary_searchIS3_S5_PdSG_SI_NS1_16binary_search_opENS9_16wrapped_functionINS8_6system6detail7generic6detail18binary_search_lessEbEEEE10hipError_tPvRmT1_T2_T3_mmT4_T5_P12ihipStream_tbEUlRKdE_EEST_SX_SY_mSZ_S12_bEUlT_E_NS1_11comp_targetILNS1_3genE3ELNS1_11target_archE908ELNS1_3gpuE7ELNS1_3repE0EEENS1_30default_config_static_selectorELNS0_4arch9wavefront6targetE0EEEvSW_.has_recursion, 0
	.set _ZN7rocprim17ROCPRIM_400000_NS6detail17trampoline_kernelINS0_14default_configENS1_29binary_search_config_selectorIdiEEZNS1_14transform_implILb0ES3_S5_N6thrust23THRUST_200600_302600_NS6detail15normal_iteratorINS8_7pointerIdNS8_11hip_rocprim5par_tENS8_11use_defaultESE_EEEENSA_INSB_IiSD_SE_SE_EEEEZNS1_13binary_searchIS3_S5_PdSG_SI_NS1_16binary_search_opENS9_16wrapped_functionINS8_6system6detail7generic6detail18binary_search_lessEbEEEE10hipError_tPvRmT1_T2_T3_mmT4_T5_P12ihipStream_tbEUlRKdE_EEST_SX_SY_mSZ_S12_bEUlT_E_NS1_11comp_targetILNS1_3genE3ELNS1_11target_archE908ELNS1_3gpuE7ELNS1_3repE0EEENS1_30default_config_static_selectorELNS0_4arch9wavefront6targetE0EEEvSW_.has_indirect_call, 0
	.section	.AMDGPU.csdata,"",@progbits
; Kernel info:
; codeLenInByte = 0
; TotalNumSgprs: 0
; NumVgprs: 0
; ScratchSize: 0
; MemoryBound: 0
; FloatMode: 240
; IeeeMode: 1
; LDSByteSize: 0 bytes/workgroup (compile time only)
; SGPRBlocks: 0
; VGPRBlocks: 0
; NumSGPRsForWavesPerEU: 1
; NumVGPRsForWavesPerEU: 1
; Occupancy: 16
; WaveLimiterHint : 0
; COMPUTE_PGM_RSRC2:SCRATCH_EN: 0
; COMPUTE_PGM_RSRC2:USER_SGPR: 6
; COMPUTE_PGM_RSRC2:TRAP_HANDLER: 0
; COMPUTE_PGM_RSRC2:TGID_X_EN: 1
; COMPUTE_PGM_RSRC2:TGID_Y_EN: 0
; COMPUTE_PGM_RSRC2:TGID_Z_EN: 0
; COMPUTE_PGM_RSRC2:TIDIG_COMP_CNT: 0
	.section	.text._ZN7rocprim17ROCPRIM_400000_NS6detail17trampoline_kernelINS0_14default_configENS1_29binary_search_config_selectorIdiEEZNS1_14transform_implILb0ES3_S5_N6thrust23THRUST_200600_302600_NS6detail15normal_iteratorINS8_7pointerIdNS8_11hip_rocprim5par_tENS8_11use_defaultESE_EEEENSA_INSB_IiSD_SE_SE_EEEEZNS1_13binary_searchIS3_S5_PdSG_SI_NS1_16binary_search_opENS9_16wrapped_functionINS8_6system6detail7generic6detail18binary_search_lessEbEEEE10hipError_tPvRmT1_T2_T3_mmT4_T5_P12ihipStream_tbEUlRKdE_EEST_SX_SY_mSZ_S12_bEUlT_E_NS1_11comp_targetILNS1_3genE2ELNS1_11target_archE906ELNS1_3gpuE6ELNS1_3repE0EEENS1_30default_config_static_selectorELNS0_4arch9wavefront6targetE0EEEvSW_,"axG",@progbits,_ZN7rocprim17ROCPRIM_400000_NS6detail17trampoline_kernelINS0_14default_configENS1_29binary_search_config_selectorIdiEEZNS1_14transform_implILb0ES3_S5_N6thrust23THRUST_200600_302600_NS6detail15normal_iteratorINS8_7pointerIdNS8_11hip_rocprim5par_tENS8_11use_defaultESE_EEEENSA_INSB_IiSD_SE_SE_EEEEZNS1_13binary_searchIS3_S5_PdSG_SI_NS1_16binary_search_opENS9_16wrapped_functionINS8_6system6detail7generic6detail18binary_search_lessEbEEEE10hipError_tPvRmT1_T2_T3_mmT4_T5_P12ihipStream_tbEUlRKdE_EEST_SX_SY_mSZ_S12_bEUlT_E_NS1_11comp_targetILNS1_3genE2ELNS1_11target_archE906ELNS1_3gpuE6ELNS1_3repE0EEENS1_30default_config_static_selectorELNS0_4arch9wavefront6targetE0EEEvSW_,comdat
	.protected	_ZN7rocprim17ROCPRIM_400000_NS6detail17trampoline_kernelINS0_14default_configENS1_29binary_search_config_selectorIdiEEZNS1_14transform_implILb0ES3_S5_N6thrust23THRUST_200600_302600_NS6detail15normal_iteratorINS8_7pointerIdNS8_11hip_rocprim5par_tENS8_11use_defaultESE_EEEENSA_INSB_IiSD_SE_SE_EEEEZNS1_13binary_searchIS3_S5_PdSG_SI_NS1_16binary_search_opENS9_16wrapped_functionINS8_6system6detail7generic6detail18binary_search_lessEbEEEE10hipError_tPvRmT1_T2_T3_mmT4_T5_P12ihipStream_tbEUlRKdE_EEST_SX_SY_mSZ_S12_bEUlT_E_NS1_11comp_targetILNS1_3genE2ELNS1_11target_archE906ELNS1_3gpuE6ELNS1_3repE0EEENS1_30default_config_static_selectorELNS0_4arch9wavefront6targetE0EEEvSW_ ; -- Begin function _ZN7rocprim17ROCPRIM_400000_NS6detail17trampoline_kernelINS0_14default_configENS1_29binary_search_config_selectorIdiEEZNS1_14transform_implILb0ES3_S5_N6thrust23THRUST_200600_302600_NS6detail15normal_iteratorINS8_7pointerIdNS8_11hip_rocprim5par_tENS8_11use_defaultESE_EEEENSA_INSB_IiSD_SE_SE_EEEEZNS1_13binary_searchIS3_S5_PdSG_SI_NS1_16binary_search_opENS9_16wrapped_functionINS8_6system6detail7generic6detail18binary_search_lessEbEEEE10hipError_tPvRmT1_T2_T3_mmT4_T5_P12ihipStream_tbEUlRKdE_EEST_SX_SY_mSZ_S12_bEUlT_E_NS1_11comp_targetILNS1_3genE2ELNS1_11target_archE906ELNS1_3gpuE6ELNS1_3repE0EEENS1_30default_config_static_selectorELNS0_4arch9wavefront6targetE0EEEvSW_
	.globl	_ZN7rocprim17ROCPRIM_400000_NS6detail17trampoline_kernelINS0_14default_configENS1_29binary_search_config_selectorIdiEEZNS1_14transform_implILb0ES3_S5_N6thrust23THRUST_200600_302600_NS6detail15normal_iteratorINS8_7pointerIdNS8_11hip_rocprim5par_tENS8_11use_defaultESE_EEEENSA_INSB_IiSD_SE_SE_EEEEZNS1_13binary_searchIS3_S5_PdSG_SI_NS1_16binary_search_opENS9_16wrapped_functionINS8_6system6detail7generic6detail18binary_search_lessEbEEEE10hipError_tPvRmT1_T2_T3_mmT4_T5_P12ihipStream_tbEUlRKdE_EEST_SX_SY_mSZ_S12_bEUlT_E_NS1_11comp_targetILNS1_3genE2ELNS1_11target_archE906ELNS1_3gpuE6ELNS1_3repE0EEENS1_30default_config_static_selectorELNS0_4arch9wavefront6targetE0EEEvSW_
	.p2align	8
	.type	_ZN7rocprim17ROCPRIM_400000_NS6detail17trampoline_kernelINS0_14default_configENS1_29binary_search_config_selectorIdiEEZNS1_14transform_implILb0ES3_S5_N6thrust23THRUST_200600_302600_NS6detail15normal_iteratorINS8_7pointerIdNS8_11hip_rocprim5par_tENS8_11use_defaultESE_EEEENSA_INSB_IiSD_SE_SE_EEEEZNS1_13binary_searchIS3_S5_PdSG_SI_NS1_16binary_search_opENS9_16wrapped_functionINS8_6system6detail7generic6detail18binary_search_lessEbEEEE10hipError_tPvRmT1_T2_T3_mmT4_T5_P12ihipStream_tbEUlRKdE_EEST_SX_SY_mSZ_S12_bEUlT_E_NS1_11comp_targetILNS1_3genE2ELNS1_11target_archE906ELNS1_3gpuE6ELNS1_3repE0EEENS1_30default_config_static_selectorELNS0_4arch9wavefront6targetE0EEEvSW_,@function
_ZN7rocprim17ROCPRIM_400000_NS6detail17trampoline_kernelINS0_14default_configENS1_29binary_search_config_selectorIdiEEZNS1_14transform_implILb0ES3_S5_N6thrust23THRUST_200600_302600_NS6detail15normal_iteratorINS8_7pointerIdNS8_11hip_rocprim5par_tENS8_11use_defaultESE_EEEENSA_INSB_IiSD_SE_SE_EEEEZNS1_13binary_searchIS3_S5_PdSG_SI_NS1_16binary_search_opENS9_16wrapped_functionINS8_6system6detail7generic6detail18binary_search_lessEbEEEE10hipError_tPvRmT1_T2_T3_mmT4_T5_P12ihipStream_tbEUlRKdE_EEST_SX_SY_mSZ_S12_bEUlT_E_NS1_11comp_targetILNS1_3genE2ELNS1_11target_archE906ELNS1_3gpuE6ELNS1_3repE0EEENS1_30default_config_static_selectorELNS0_4arch9wavefront6targetE0EEEvSW_: ; @_ZN7rocprim17ROCPRIM_400000_NS6detail17trampoline_kernelINS0_14default_configENS1_29binary_search_config_selectorIdiEEZNS1_14transform_implILb0ES3_S5_N6thrust23THRUST_200600_302600_NS6detail15normal_iteratorINS8_7pointerIdNS8_11hip_rocprim5par_tENS8_11use_defaultESE_EEEENSA_INSB_IiSD_SE_SE_EEEEZNS1_13binary_searchIS3_S5_PdSG_SI_NS1_16binary_search_opENS9_16wrapped_functionINS8_6system6detail7generic6detail18binary_search_lessEbEEEE10hipError_tPvRmT1_T2_T3_mmT4_T5_P12ihipStream_tbEUlRKdE_EEST_SX_SY_mSZ_S12_bEUlT_E_NS1_11comp_targetILNS1_3genE2ELNS1_11target_archE906ELNS1_3gpuE6ELNS1_3repE0EEENS1_30default_config_static_selectorELNS0_4arch9wavefront6targetE0EEEvSW_
; %bb.0:
	.section	.rodata,"a",@progbits
	.p2align	6, 0x0
	.amdhsa_kernel _ZN7rocprim17ROCPRIM_400000_NS6detail17trampoline_kernelINS0_14default_configENS1_29binary_search_config_selectorIdiEEZNS1_14transform_implILb0ES3_S5_N6thrust23THRUST_200600_302600_NS6detail15normal_iteratorINS8_7pointerIdNS8_11hip_rocprim5par_tENS8_11use_defaultESE_EEEENSA_INSB_IiSD_SE_SE_EEEEZNS1_13binary_searchIS3_S5_PdSG_SI_NS1_16binary_search_opENS9_16wrapped_functionINS8_6system6detail7generic6detail18binary_search_lessEbEEEE10hipError_tPvRmT1_T2_T3_mmT4_T5_P12ihipStream_tbEUlRKdE_EEST_SX_SY_mSZ_S12_bEUlT_E_NS1_11comp_targetILNS1_3genE2ELNS1_11target_archE906ELNS1_3gpuE6ELNS1_3repE0EEENS1_30default_config_static_selectorELNS0_4arch9wavefront6targetE0EEEvSW_
		.amdhsa_group_segment_fixed_size 0
		.amdhsa_private_segment_fixed_size 0
		.amdhsa_kernarg_size 56
		.amdhsa_user_sgpr_count 6
		.amdhsa_user_sgpr_private_segment_buffer 1
		.amdhsa_user_sgpr_dispatch_ptr 0
		.amdhsa_user_sgpr_queue_ptr 0
		.amdhsa_user_sgpr_kernarg_segment_ptr 1
		.amdhsa_user_sgpr_dispatch_id 0
		.amdhsa_user_sgpr_flat_scratch_init 0
		.amdhsa_user_sgpr_private_segment_size 0
		.amdhsa_wavefront_size32 1
		.amdhsa_uses_dynamic_stack 0
		.amdhsa_system_sgpr_private_segment_wavefront_offset 0
		.amdhsa_system_sgpr_workgroup_id_x 1
		.amdhsa_system_sgpr_workgroup_id_y 0
		.amdhsa_system_sgpr_workgroup_id_z 0
		.amdhsa_system_sgpr_workgroup_info 0
		.amdhsa_system_vgpr_workitem_id 0
		.amdhsa_next_free_vgpr 1
		.amdhsa_next_free_sgpr 1
		.amdhsa_reserve_vcc 0
		.amdhsa_reserve_flat_scratch 0
		.amdhsa_float_round_mode_32 0
		.amdhsa_float_round_mode_16_64 0
		.amdhsa_float_denorm_mode_32 3
		.amdhsa_float_denorm_mode_16_64 3
		.amdhsa_dx10_clamp 1
		.amdhsa_ieee_mode 1
		.amdhsa_fp16_overflow 0
		.amdhsa_workgroup_processor_mode 1
		.amdhsa_memory_ordered 1
		.amdhsa_forward_progress 1
		.amdhsa_shared_vgpr_count 0
		.amdhsa_exception_fp_ieee_invalid_op 0
		.amdhsa_exception_fp_denorm_src 0
		.amdhsa_exception_fp_ieee_div_zero 0
		.amdhsa_exception_fp_ieee_overflow 0
		.amdhsa_exception_fp_ieee_underflow 0
		.amdhsa_exception_fp_ieee_inexact 0
		.amdhsa_exception_int_div_zero 0
	.end_amdhsa_kernel
	.section	.text._ZN7rocprim17ROCPRIM_400000_NS6detail17trampoline_kernelINS0_14default_configENS1_29binary_search_config_selectorIdiEEZNS1_14transform_implILb0ES3_S5_N6thrust23THRUST_200600_302600_NS6detail15normal_iteratorINS8_7pointerIdNS8_11hip_rocprim5par_tENS8_11use_defaultESE_EEEENSA_INSB_IiSD_SE_SE_EEEEZNS1_13binary_searchIS3_S5_PdSG_SI_NS1_16binary_search_opENS9_16wrapped_functionINS8_6system6detail7generic6detail18binary_search_lessEbEEEE10hipError_tPvRmT1_T2_T3_mmT4_T5_P12ihipStream_tbEUlRKdE_EEST_SX_SY_mSZ_S12_bEUlT_E_NS1_11comp_targetILNS1_3genE2ELNS1_11target_archE906ELNS1_3gpuE6ELNS1_3repE0EEENS1_30default_config_static_selectorELNS0_4arch9wavefront6targetE0EEEvSW_,"axG",@progbits,_ZN7rocprim17ROCPRIM_400000_NS6detail17trampoline_kernelINS0_14default_configENS1_29binary_search_config_selectorIdiEEZNS1_14transform_implILb0ES3_S5_N6thrust23THRUST_200600_302600_NS6detail15normal_iteratorINS8_7pointerIdNS8_11hip_rocprim5par_tENS8_11use_defaultESE_EEEENSA_INSB_IiSD_SE_SE_EEEEZNS1_13binary_searchIS3_S5_PdSG_SI_NS1_16binary_search_opENS9_16wrapped_functionINS8_6system6detail7generic6detail18binary_search_lessEbEEEE10hipError_tPvRmT1_T2_T3_mmT4_T5_P12ihipStream_tbEUlRKdE_EEST_SX_SY_mSZ_S12_bEUlT_E_NS1_11comp_targetILNS1_3genE2ELNS1_11target_archE906ELNS1_3gpuE6ELNS1_3repE0EEENS1_30default_config_static_selectorELNS0_4arch9wavefront6targetE0EEEvSW_,comdat
.Lfunc_end247:
	.size	_ZN7rocprim17ROCPRIM_400000_NS6detail17trampoline_kernelINS0_14default_configENS1_29binary_search_config_selectorIdiEEZNS1_14transform_implILb0ES3_S5_N6thrust23THRUST_200600_302600_NS6detail15normal_iteratorINS8_7pointerIdNS8_11hip_rocprim5par_tENS8_11use_defaultESE_EEEENSA_INSB_IiSD_SE_SE_EEEEZNS1_13binary_searchIS3_S5_PdSG_SI_NS1_16binary_search_opENS9_16wrapped_functionINS8_6system6detail7generic6detail18binary_search_lessEbEEEE10hipError_tPvRmT1_T2_T3_mmT4_T5_P12ihipStream_tbEUlRKdE_EEST_SX_SY_mSZ_S12_bEUlT_E_NS1_11comp_targetILNS1_3genE2ELNS1_11target_archE906ELNS1_3gpuE6ELNS1_3repE0EEENS1_30default_config_static_selectorELNS0_4arch9wavefront6targetE0EEEvSW_, .Lfunc_end247-_ZN7rocprim17ROCPRIM_400000_NS6detail17trampoline_kernelINS0_14default_configENS1_29binary_search_config_selectorIdiEEZNS1_14transform_implILb0ES3_S5_N6thrust23THRUST_200600_302600_NS6detail15normal_iteratorINS8_7pointerIdNS8_11hip_rocprim5par_tENS8_11use_defaultESE_EEEENSA_INSB_IiSD_SE_SE_EEEEZNS1_13binary_searchIS3_S5_PdSG_SI_NS1_16binary_search_opENS9_16wrapped_functionINS8_6system6detail7generic6detail18binary_search_lessEbEEEE10hipError_tPvRmT1_T2_T3_mmT4_T5_P12ihipStream_tbEUlRKdE_EEST_SX_SY_mSZ_S12_bEUlT_E_NS1_11comp_targetILNS1_3genE2ELNS1_11target_archE906ELNS1_3gpuE6ELNS1_3repE0EEENS1_30default_config_static_selectorELNS0_4arch9wavefront6targetE0EEEvSW_
                                        ; -- End function
	.set _ZN7rocprim17ROCPRIM_400000_NS6detail17trampoline_kernelINS0_14default_configENS1_29binary_search_config_selectorIdiEEZNS1_14transform_implILb0ES3_S5_N6thrust23THRUST_200600_302600_NS6detail15normal_iteratorINS8_7pointerIdNS8_11hip_rocprim5par_tENS8_11use_defaultESE_EEEENSA_INSB_IiSD_SE_SE_EEEEZNS1_13binary_searchIS3_S5_PdSG_SI_NS1_16binary_search_opENS9_16wrapped_functionINS8_6system6detail7generic6detail18binary_search_lessEbEEEE10hipError_tPvRmT1_T2_T3_mmT4_T5_P12ihipStream_tbEUlRKdE_EEST_SX_SY_mSZ_S12_bEUlT_E_NS1_11comp_targetILNS1_3genE2ELNS1_11target_archE906ELNS1_3gpuE6ELNS1_3repE0EEENS1_30default_config_static_selectorELNS0_4arch9wavefront6targetE0EEEvSW_.num_vgpr, 0
	.set _ZN7rocprim17ROCPRIM_400000_NS6detail17trampoline_kernelINS0_14default_configENS1_29binary_search_config_selectorIdiEEZNS1_14transform_implILb0ES3_S5_N6thrust23THRUST_200600_302600_NS6detail15normal_iteratorINS8_7pointerIdNS8_11hip_rocprim5par_tENS8_11use_defaultESE_EEEENSA_INSB_IiSD_SE_SE_EEEEZNS1_13binary_searchIS3_S5_PdSG_SI_NS1_16binary_search_opENS9_16wrapped_functionINS8_6system6detail7generic6detail18binary_search_lessEbEEEE10hipError_tPvRmT1_T2_T3_mmT4_T5_P12ihipStream_tbEUlRKdE_EEST_SX_SY_mSZ_S12_bEUlT_E_NS1_11comp_targetILNS1_3genE2ELNS1_11target_archE906ELNS1_3gpuE6ELNS1_3repE0EEENS1_30default_config_static_selectorELNS0_4arch9wavefront6targetE0EEEvSW_.num_agpr, 0
	.set _ZN7rocprim17ROCPRIM_400000_NS6detail17trampoline_kernelINS0_14default_configENS1_29binary_search_config_selectorIdiEEZNS1_14transform_implILb0ES3_S5_N6thrust23THRUST_200600_302600_NS6detail15normal_iteratorINS8_7pointerIdNS8_11hip_rocprim5par_tENS8_11use_defaultESE_EEEENSA_INSB_IiSD_SE_SE_EEEEZNS1_13binary_searchIS3_S5_PdSG_SI_NS1_16binary_search_opENS9_16wrapped_functionINS8_6system6detail7generic6detail18binary_search_lessEbEEEE10hipError_tPvRmT1_T2_T3_mmT4_T5_P12ihipStream_tbEUlRKdE_EEST_SX_SY_mSZ_S12_bEUlT_E_NS1_11comp_targetILNS1_3genE2ELNS1_11target_archE906ELNS1_3gpuE6ELNS1_3repE0EEENS1_30default_config_static_selectorELNS0_4arch9wavefront6targetE0EEEvSW_.numbered_sgpr, 0
	.set _ZN7rocprim17ROCPRIM_400000_NS6detail17trampoline_kernelINS0_14default_configENS1_29binary_search_config_selectorIdiEEZNS1_14transform_implILb0ES3_S5_N6thrust23THRUST_200600_302600_NS6detail15normal_iteratorINS8_7pointerIdNS8_11hip_rocprim5par_tENS8_11use_defaultESE_EEEENSA_INSB_IiSD_SE_SE_EEEEZNS1_13binary_searchIS3_S5_PdSG_SI_NS1_16binary_search_opENS9_16wrapped_functionINS8_6system6detail7generic6detail18binary_search_lessEbEEEE10hipError_tPvRmT1_T2_T3_mmT4_T5_P12ihipStream_tbEUlRKdE_EEST_SX_SY_mSZ_S12_bEUlT_E_NS1_11comp_targetILNS1_3genE2ELNS1_11target_archE906ELNS1_3gpuE6ELNS1_3repE0EEENS1_30default_config_static_selectorELNS0_4arch9wavefront6targetE0EEEvSW_.num_named_barrier, 0
	.set _ZN7rocprim17ROCPRIM_400000_NS6detail17trampoline_kernelINS0_14default_configENS1_29binary_search_config_selectorIdiEEZNS1_14transform_implILb0ES3_S5_N6thrust23THRUST_200600_302600_NS6detail15normal_iteratorINS8_7pointerIdNS8_11hip_rocprim5par_tENS8_11use_defaultESE_EEEENSA_INSB_IiSD_SE_SE_EEEEZNS1_13binary_searchIS3_S5_PdSG_SI_NS1_16binary_search_opENS9_16wrapped_functionINS8_6system6detail7generic6detail18binary_search_lessEbEEEE10hipError_tPvRmT1_T2_T3_mmT4_T5_P12ihipStream_tbEUlRKdE_EEST_SX_SY_mSZ_S12_bEUlT_E_NS1_11comp_targetILNS1_3genE2ELNS1_11target_archE906ELNS1_3gpuE6ELNS1_3repE0EEENS1_30default_config_static_selectorELNS0_4arch9wavefront6targetE0EEEvSW_.private_seg_size, 0
	.set _ZN7rocprim17ROCPRIM_400000_NS6detail17trampoline_kernelINS0_14default_configENS1_29binary_search_config_selectorIdiEEZNS1_14transform_implILb0ES3_S5_N6thrust23THRUST_200600_302600_NS6detail15normal_iteratorINS8_7pointerIdNS8_11hip_rocprim5par_tENS8_11use_defaultESE_EEEENSA_INSB_IiSD_SE_SE_EEEEZNS1_13binary_searchIS3_S5_PdSG_SI_NS1_16binary_search_opENS9_16wrapped_functionINS8_6system6detail7generic6detail18binary_search_lessEbEEEE10hipError_tPvRmT1_T2_T3_mmT4_T5_P12ihipStream_tbEUlRKdE_EEST_SX_SY_mSZ_S12_bEUlT_E_NS1_11comp_targetILNS1_3genE2ELNS1_11target_archE906ELNS1_3gpuE6ELNS1_3repE0EEENS1_30default_config_static_selectorELNS0_4arch9wavefront6targetE0EEEvSW_.uses_vcc, 0
	.set _ZN7rocprim17ROCPRIM_400000_NS6detail17trampoline_kernelINS0_14default_configENS1_29binary_search_config_selectorIdiEEZNS1_14transform_implILb0ES3_S5_N6thrust23THRUST_200600_302600_NS6detail15normal_iteratorINS8_7pointerIdNS8_11hip_rocprim5par_tENS8_11use_defaultESE_EEEENSA_INSB_IiSD_SE_SE_EEEEZNS1_13binary_searchIS3_S5_PdSG_SI_NS1_16binary_search_opENS9_16wrapped_functionINS8_6system6detail7generic6detail18binary_search_lessEbEEEE10hipError_tPvRmT1_T2_T3_mmT4_T5_P12ihipStream_tbEUlRKdE_EEST_SX_SY_mSZ_S12_bEUlT_E_NS1_11comp_targetILNS1_3genE2ELNS1_11target_archE906ELNS1_3gpuE6ELNS1_3repE0EEENS1_30default_config_static_selectorELNS0_4arch9wavefront6targetE0EEEvSW_.uses_flat_scratch, 0
	.set _ZN7rocprim17ROCPRIM_400000_NS6detail17trampoline_kernelINS0_14default_configENS1_29binary_search_config_selectorIdiEEZNS1_14transform_implILb0ES3_S5_N6thrust23THRUST_200600_302600_NS6detail15normal_iteratorINS8_7pointerIdNS8_11hip_rocprim5par_tENS8_11use_defaultESE_EEEENSA_INSB_IiSD_SE_SE_EEEEZNS1_13binary_searchIS3_S5_PdSG_SI_NS1_16binary_search_opENS9_16wrapped_functionINS8_6system6detail7generic6detail18binary_search_lessEbEEEE10hipError_tPvRmT1_T2_T3_mmT4_T5_P12ihipStream_tbEUlRKdE_EEST_SX_SY_mSZ_S12_bEUlT_E_NS1_11comp_targetILNS1_3genE2ELNS1_11target_archE906ELNS1_3gpuE6ELNS1_3repE0EEENS1_30default_config_static_selectorELNS0_4arch9wavefront6targetE0EEEvSW_.has_dyn_sized_stack, 0
	.set _ZN7rocprim17ROCPRIM_400000_NS6detail17trampoline_kernelINS0_14default_configENS1_29binary_search_config_selectorIdiEEZNS1_14transform_implILb0ES3_S5_N6thrust23THRUST_200600_302600_NS6detail15normal_iteratorINS8_7pointerIdNS8_11hip_rocprim5par_tENS8_11use_defaultESE_EEEENSA_INSB_IiSD_SE_SE_EEEEZNS1_13binary_searchIS3_S5_PdSG_SI_NS1_16binary_search_opENS9_16wrapped_functionINS8_6system6detail7generic6detail18binary_search_lessEbEEEE10hipError_tPvRmT1_T2_T3_mmT4_T5_P12ihipStream_tbEUlRKdE_EEST_SX_SY_mSZ_S12_bEUlT_E_NS1_11comp_targetILNS1_3genE2ELNS1_11target_archE906ELNS1_3gpuE6ELNS1_3repE0EEENS1_30default_config_static_selectorELNS0_4arch9wavefront6targetE0EEEvSW_.has_recursion, 0
	.set _ZN7rocprim17ROCPRIM_400000_NS6detail17trampoline_kernelINS0_14default_configENS1_29binary_search_config_selectorIdiEEZNS1_14transform_implILb0ES3_S5_N6thrust23THRUST_200600_302600_NS6detail15normal_iteratorINS8_7pointerIdNS8_11hip_rocprim5par_tENS8_11use_defaultESE_EEEENSA_INSB_IiSD_SE_SE_EEEEZNS1_13binary_searchIS3_S5_PdSG_SI_NS1_16binary_search_opENS9_16wrapped_functionINS8_6system6detail7generic6detail18binary_search_lessEbEEEE10hipError_tPvRmT1_T2_T3_mmT4_T5_P12ihipStream_tbEUlRKdE_EEST_SX_SY_mSZ_S12_bEUlT_E_NS1_11comp_targetILNS1_3genE2ELNS1_11target_archE906ELNS1_3gpuE6ELNS1_3repE0EEENS1_30default_config_static_selectorELNS0_4arch9wavefront6targetE0EEEvSW_.has_indirect_call, 0
	.section	.AMDGPU.csdata,"",@progbits
; Kernel info:
; codeLenInByte = 0
; TotalNumSgprs: 0
; NumVgprs: 0
; ScratchSize: 0
; MemoryBound: 0
; FloatMode: 240
; IeeeMode: 1
; LDSByteSize: 0 bytes/workgroup (compile time only)
; SGPRBlocks: 0
; VGPRBlocks: 0
; NumSGPRsForWavesPerEU: 1
; NumVGPRsForWavesPerEU: 1
; Occupancy: 16
; WaveLimiterHint : 0
; COMPUTE_PGM_RSRC2:SCRATCH_EN: 0
; COMPUTE_PGM_RSRC2:USER_SGPR: 6
; COMPUTE_PGM_RSRC2:TRAP_HANDLER: 0
; COMPUTE_PGM_RSRC2:TGID_X_EN: 1
; COMPUTE_PGM_RSRC2:TGID_Y_EN: 0
; COMPUTE_PGM_RSRC2:TGID_Z_EN: 0
; COMPUTE_PGM_RSRC2:TIDIG_COMP_CNT: 0
	.section	.text._ZN7rocprim17ROCPRIM_400000_NS6detail17trampoline_kernelINS0_14default_configENS1_29binary_search_config_selectorIdiEEZNS1_14transform_implILb0ES3_S5_N6thrust23THRUST_200600_302600_NS6detail15normal_iteratorINS8_7pointerIdNS8_11hip_rocprim5par_tENS8_11use_defaultESE_EEEENSA_INSB_IiSD_SE_SE_EEEEZNS1_13binary_searchIS3_S5_PdSG_SI_NS1_16binary_search_opENS9_16wrapped_functionINS8_6system6detail7generic6detail18binary_search_lessEbEEEE10hipError_tPvRmT1_T2_T3_mmT4_T5_P12ihipStream_tbEUlRKdE_EEST_SX_SY_mSZ_S12_bEUlT_E_NS1_11comp_targetILNS1_3genE10ELNS1_11target_archE1201ELNS1_3gpuE5ELNS1_3repE0EEENS1_30default_config_static_selectorELNS0_4arch9wavefront6targetE0EEEvSW_,"axG",@progbits,_ZN7rocprim17ROCPRIM_400000_NS6detail17trampoline_kernelINS0_14default_configENS1_29binary_search_config_selectorIdiEEZNS1_14transform_implILb0ES3_S5_N6thrust23THRUST_200600_302600_NS6detail15normal_iteratorINS8_7pointerIdNS8_11hip_rocprim5par_tENS8_11use_defaultESE_EEEENSA_INSB_IiSD_SE_SE_EEEEZNS1_13binary_searchIS3_S5_PdSG_SI_NS1_16binary_search_opENS9_16wrapped_functionINS8_6system6detail7generic6detail18binary_search_lessEbEEEE10hipError_tPvRmT1_T2_T3_mmT4_T5_P12ihipStream_tbEUlRKdE_EEST_SX_SY_mSZ_S12_bEUlT_E_NS1_11comp_targetILNS1_3genE10ELNS1_11target_archE1201ELNS1_3gpuE5ELNS1_3repE0EEENS1_30default_config_static_selectorELNS0_4arch9wavefront6targetE0EEEvSW_,comdat
	.protected	_ZN7rocprim17ROCPRIM_400000_NS6detail17trampoline_kernelINS0_14default_configENS1_29binary_search_config_selectorIdiEEZNS1_14transform_implILb0ES3_S5_N6thrust23THRUST_200600_302600_NS6detail15normal_iteratorINS8_7pointerIdNS8_11hip_rocprim5par_tENS8_11use_defaultESE_EEEENSA_INSB_IiSD_SE_SE_EEEEZNS1_13binary_searchIS3_S5_PdSG_SI_NS1_16binary_search_opENS9_16wrapped_functionINS8_6system6detail7generic6detail18binary_search_lessEbEEEE10hipError_tPvRmT1_T2_T3_mmT4_T5_P12ihipStream_tbEUlRKdE_EEST_SX_SY_mSZ_S12_bEUlT_E_NS1_11comp_targetILNS1_3genE10ELNS1_11target_archE1201ELNS1_3gpuE5ELNS1_3repE0EEENS1_30default_config_static_selectorELNS0_4arch9wavefront6targetE0EEEvSW_ ; -- Begin function _ZN7rocprim17ROCPRIM_400000_NS6detail17trampoline_kernelINS0_14default_configENS1_29binary_search_config_selectorIdiEEZNS1_14transform_implILb0ES3_S5_N6thrust23THRUST_200600_302600_NS6detail15normal_iteratorINS8_7pointerIdNS8_11hip_rocprim5par_tENS8_11use_defaultESE_EEEENSA_INSB_IiSD_SE_SE_EEEEZNS1_13binary_searchIS3_S5_PdSG_SI_NS1_16binary_search_opENS9_16wrapped_functionINS8_6system6detail7generic6detail18binary_search_lessEbEEEE10hipError_tPvRmT1_T2_T3_mmT4_T5_P12ihipStream_tbEUlRKdE_EEST_SX_SY_mSZ_S12_bEUlT_E_NS1_11comp_targetILNS1_3genE10ELNS1_11target_archE1201ELNS1_3gpuE5ELNS1_3repE0EEENS1_30default_config_static_selectorELNS0_4arch9wavefront6targetE0EEEvSW_
	.globl	_ZN7rocprim17ROCPRIM_400000_NS6detail17trampoline_kernelINS0_14default_configENS1_29binary_search_config_selectorIdiEEZNS1_14transform_implILb0ES3_S5_N6thrust23THRUST_200600_302600_NS6detail15normal_iteratorINS8_7pointerIdNS8_11hip_rocprim5par_tENS8_11use_defaultESE_EEEENSA_INSB_IiSD_SE_SE_EEEEZNS1_13binary_searchIS3_S5_PdSG_SI_NS1_16binary_search_opENS9_16wrapped_functionINS8_6system6detail7generic6detail18binary_search_lessEbEEEE10hipError_tPvRmT1_T2_T3_mmT4_T5_P12ihipStream_tbEUlRKdE_EEST_SX_SY_mSZ_S12_bEUlT_E_NS1_11comp_targetILNS1_3genE10ELNS1_11target_archE1201ELNS1_3gpuE5ELNS1_3repE0EEENS1_30default_config_static_selectorELNS0_4arch9wavefront6targetE0EEEvSW_
	.p2align	8
	.type	_ZN7rocprim17ROCPRIM_400000_NS6detail17trampoline_kernelINS0_14default_configENS1_29binary_search_config_selectorIdiEEZNS1_14transform_implILb0ES3_S5_N6thrust23THRUST_200600_302600_NS6detail15normal_iteratorINS8_7pointerIdNS8_11hip_rocprim5par_tENS8_11use_defaultESE_EEEENSA_INSB_IiSD_SE_SE_EEEEZNS1_13binary_searchIS3_S5_PdSG_SI_NS1_16binary_search_opENS9_16wrapped_functionINS8_6system6detail7generic6detail18binary_search_lessEbEEEE10hipError_tPvRmT1_T2_T3_mmT4_T5_P12ihipStream_tbEUlRKdE_EEST_SX_SY_mSZ_S12_bEUlT_E_NS1_11comp_targetILNS1_3genE10ELNS1_11target_archE1201ELNS1_3gpuE5ELNS1_3repE0EEENS1_30default_config_static_selectorELNS0_4arch9wavefront6targetE0EEEvSW_,@function
_ZN7rocprim17ROCPRIM_400000_NS6detail17trampoline_kernelINS0_14default_configENS1_29binary_search_config_selectorIdiEEZNS1_14transform_implILb0ES3_S5_N6thrust23THRUST_200600_302600_NS6detail15normal_iteratorINS8_7pointerIdNS8_11hip_rocprim5par_tENS8_11use_defaultESE_EEEENSA_INSB_IiSD_SE_SE_EEEEZNS1_13binary_searchIS3_S5_PdSG_SI_NS1_16binary_search_opENS9_16wrapped_functionINS8_6system6detail7generic6detail18binary_search_lessEbEEEE10hipError_tPvRmT1_T2_T3_mmT4_T5_P12ihipStream_tbEUlRKdE_EEST_SX_SY_mSZ_S12_bEUlT_E_NS1_11comp_targetILNS1_3genE10ELNS1_11target_archE1201ELNS1_3gpuE5ELNS1_3repE0EEENS1_30default_config_static_selectorELNS0_4arch9wavefront6targetE0EEEvSW_: ; @_ZN7rocprim17ROCPRIM_400000_NS6detail17trampoline_kernelINS0_14default_configENS1_29binary_search_config_selectorIdiEEZNS1_14transform_implILb0ES3_S5_N6thrust23THRUST_200600_302600_NS6detail15normal_iteratorINS8_7pointerIdNS8_11hip_rocprim5par_tENS8_11use_defaultESE_EEEENSA_INSB_IiSD_SE_SE_EEEEZNS1_13binary_searchIS3_S5_PdSG_SI_NS1_16binary_search_opENS9_16wrapped_functionINS8_6system6detail7generic6detail18binary_search_lessEbEEEE10hipError_tPvRmT1_T2_T3_mmT4_T5_P12ihipStream_tbEUlRKdE_EEST_SX_SY_mSZ_S12_bEUlT_E_NS1_11comp_targetILNS1_3genE10ELNS1_11target_archE1201ELNS1_3gpuE5ELNS1_3repE0EEENS1_30default_config_static_selectorELNS0_4arch9wavefront6targetE0EEEvSW_
; %bb.0:
	.section	.rodata,"a",@progbits
	.p2align	6, 0x0
	.amdhsa_kernel _ZN7rocprim17ROCPRIM_400000_NS6detail17trampoline_kernelINS0_14default_configENS1_29binary_search_config_selectorIdiEEZNS1_14transform_implILb0ES3_S5_N6thrust23THRUST_200600_302600_NS6detail15normal_iteratorINS8_7pointerIdNS8_11hip_rocprim5par_tENS8_11use_defaultESE_EEEENSA_INSB_IiSD_SE_SE_EEEEZNS1_13binary_searchIS3_S5_PdSG_SI_NS1_16binary_search_opENS9_16wrapped_functionINS8_6system6detail7generic6detail18binary_search_lessEbEEEE10hipError_tPvRmT1_T2_T3_mmT4_T5_P12ihipStream_tbEUlRKdE_EEST_SX_SY_mSZ_S12_bEUlT_E_NS1_11comp_targetILNS1_3genE10ELNS1_11target_archE1201ELNS1_3gpuE5ELNS1_3repE0EEENS1_30default_config_static_selectorELNS0_4arch9wavefront6targetE0EEEvSW_
		.amdhsa_group_segment_fixed_size 0
		.amdhsa_private_segment_fixed_size 0
		.amdhsa_kernarg_size 56
		.amdhsa_user_sgpr_count 6
		.amdhsa_user_sgpr_private_segment_buffer 1
		.amdhsa_user_sgpr_dispatch_ptr 0
		.amdhsa_user_sgpr_queue_ptr 0
		.amdhsa_user_sgpr_kernarg_segment_ptr 1
		.amdhsa_user_sgpr_dispatch_id 0
		.amdhsa_user_sgpr_flat_scratch_init 0
		.amdhsa_user_sgpr_private_segment_size 0
		.amdhsa_wavefront_size32 1
		.amdhsa_uses_dynamic_stack 0
		.amdhsa_system_sgpr_private_segment_wavefront_offset 0
		.amdhsa_system_sgpr_workgroup_id_x 1
		.amdhsa_system_sgpr_workgroup_id_y 0
		.amdhsa_system_sgpr_workgroup_id_z 0
		.amdhsa_system_sgpr_workgroup_info 0
		.amdhsa_system_vgpr_workitem_id 0
		.amdhsa_next_free_vgpr 1
		.amdhsa_next_free_sgpr 1
		.amdhsa_reserve_vcc 0
		.amdhsa_reserve_flat_scratch 0
		.amdhsa_float_round_mode_32 0
		.amdhsa_float_round_mode_16_64 0
		.amdhsa_float_denorm_mode_32 3
		.amdhsa_float_denorm_mode_16_64 3
		.amdhsa_dx10_clamp 1
		.amdhsa_ieee_mode 1
		.amdhsa_fp16_overflow 0
		.amdhsa_workgroup_processor_mode 1
		.amdhsa_memory_ordered 1
		.amdhsa_forward_progress 1
		.amdhsa_shared_vgpr_count 0
		.amdhsa_exception_fp_ieee_invalid_op 0
		.amdhsa_exception_fp_denorm_src 0
		.amdhsa_exception_fp_ieee_div_zero 0
		.amdhsa_exception_fp_ieee_overflow 0
		.amdhsa_exception_fp_ieee_underflow 0
		.amdhsa_exception_fp_ieee_inexact 0
		.amdhsa_exception_int_div_zero 0
	.end_amdhsa_kernel
	.section	.text._ZN7rocprim17ROCPRIM_400000_NS6detail17trampoline_kernelINS0_14default_configENS1_29binary_search_config_selectorIdiEEZNS1_14transform_implILb0ES3_S5_N6thrust23THRUST_200600_302600_NS6detail15normal_iteratorINS8_7pointerIdNS8_11hip_rocprim5par_tENS8_11use_defaultESE_EEEENSA_INSB_IiSD_SE_SE_EEEEZNS1_13binary_searchIS3_S5_PdSG_SI_NS1_16binary_search_opENS9_16wrapped_functionINS8_6system6detail7generic6detail18binary_search_lessEbEEEE10hipError_tPvRmT1_T2_T3_mmT4_T5_P12ihipStream_tbEUlRKdE_EEST_SX_SY_mSZ_S12_bEUlT_E_NS1_11comp_targetILNS1_3genE10ELNS1_11target_archE1201ELNS1_3gpuE5ELNS1_3repE0EEENS1_30default_config_static_selectorELNS0_4arch9wavefront6targetE0EEEvSW_,"axG",@progbits,_ZN7rocprim17ROCPRIM_400000_NS6detail17trampoline_kernelINS0_14default_configENS1_29binary_search_config_selectorIdiEEZNS1_14transform_implILb0ES3_S5_N6thrust23THRUST_200600_302600_NS6detail15normal_iteratorINS8_7pointerIdNS8_11hip_rocprim5par_tENS8_11use_defaultESE_EEEENSA_INSB_IiSD_SE_SE_EEEEZNS1_13binary_searchIS3_S5_PdSG_SI_NS1_16binary_search_opENS9_16wrapped_functionINS8_6system6detail7generic6detail18binary_search_lessEbEEEE10hipError_tPvRmT1_T2_T3_mmT4_T5_P12ihipStream_tbEUlRKdE_EEST_SX_SY_mSZ_S12_bEUlT_E_NS1_11comp_targetILNS1_3genE10ELNS1_11target_archE1201ELNS1_3gpuE5ELNS1_3repE0EEENS1_30default_config_static_selectorELNS0_4arch9wavefront6targetE0EEEvSW_,comdat
.Lfunc_end248:
	.size	_ZN7rocprim17ROCPRIM_400000_NS6detail17trampoline_kernelINS0_14default_configENS1_29binary_search_config_selectorIdiEEZNS1_14transform_implILb0ES3_S5_N6thrust23THRUST_200600_302600_NS6detail15normal_iteratorINS8_7pointerIdNS8_11hip_rocprim5par_tENS8_11use_defaultESE_EEEENSA_INSB_IiSD_SE_SE_EEEEZNS1_13binary_searchIS3_S5_PdSG_SI_NS1_16binary_search_opENS9_16wrapped_functionINS8_6system6detail7generic6detail18binary_search_lessEbEEEE10hipError_tPvRmT1_T2_T3_mmT4_T5_P12ihipStream_tbEUlRKdE_EEST_SX_SY_mSZ_S12_bEUlT_E_NS1_11comp_targetILNS1_3genE10ELNS1_11target_archE1201ELNS1_3gpuE5ELNS1_3repE0EEENS1_30default_config_static_selectorELNS0_4arch9wavefront6targetE0EEEvSW_, .Lfunc_end248-_ZN7rocprim17ROCPRIM_400000_NS6detail17trampoline_kernelINS0_14default_configENS1_29binary_search_config_selectorIdiEEZNS1_14transform_implILb0ES3_S5_N6thrust23THRUST_200600_302600_NS6detail15normal_iteratorINS8_7pointerIdNS8_11hip_rocprim5par_tENS8_11use_defaultESE_EEEENSA_INSB_IiSD_SE_SE_EEEEZNS1_13binary_searchIS3_S5_PdSG_SI_NS1_16binary_search_opENS9_16wrapped_functionINS8_6system6detail7generic6detail18binary_search_lessEbEEEE10hipError_tPvRmT1_T2_T3_mmT4_T5_P12ihipStream_tbEUlRKdE_EEST_SX_SY_mSZ_S12_bEUlT_E_NS1_11comp_targetILNS1_3genE10ELNS1_11target_archE1201ELNS1_3gpuE5ELNS1_3repE0EEENS1_30default_config_static_selectorELNS0_4arch9wavefront6targetE0EEEvSW_
                                        ; -- End function
	.set _ZN7rocprim17ROCPRIM_400000_NS6detail17trampoline_kernelINS0_14default_configENS1_29binary_search_config_selectorIdiEEZNS1_14transform_implILb0ES3_S5_N6thrust23THRUST_200600_302600_NS6detail15normal_iteratorINS8_7pointerIdNS8_11hip_rocprim5par_tENS8_11use_defaultESE_EEEENSA_INSB_IiSD_SE_SE_EEEEZNS1_13binary_searchIS3_S5_PdSG_SI_NS1_16binary_search_opENS9_16wrapped_functionINS8_6system6detail7generic6detail18binary_search_lessEbEEEE10hipError_tPvRmT1_T2_T3_mmT4_T5_P12ihipStream_tbEUlRKdE_EEST_SX_SY_mSZ_S12_bEUlT_E_NS1_11comp_targetILNS1_3genE10ELNS1_11target_archE1201ELNS1_3gpuE5ELNS1_3repE0EEENS1_30default_config_static_selectorELNS0_4arch9wavefront6targetE0EEEvSW_.num_vgpr, 0
	.set _ZN7rocprim17ROCPRIM_400000_NS6detail17trampoline_kernelINS0_14default_configENS1_29binary_search_config_selectorIdiEEZNS1_14transform_implILb0ES3_S5_N6thrust23THRUST_200600_302600_NS6detail15normal_iteratorINS8_7pointerIdNS8_11hip_rocprim5par_tENS8_11use_defaultESE_EEEENSA_INSB_IiSD_SE_SE_EEEEZNS1_13binary_searchIS3_S5_PdSG_SI_NS1_16binary_search_opENS9_16wrapped_functionINS8_6system6detail7generic6detail18binary_search_lessEbEEEE10hipError_tPvRmT1_T2_T3_mmT4_T5_P12ihipStream_tbEUlRKdE_EEST_SX_SY_mSZ_S12_bEUlT_E_NS1_11comp_targetILNS1_3genE10ELNS1_11target_archE1201ELNS1_3gpuE5ELNS1_3repE0EEENS1_30default_config_static_selectorELNS0_4arch9wavefront6targetE0EEEvSW_.num_agpr, 0
	.set _ZN7rocprim17ROCPRIM_400000_NS6detail17trampoline_kernelINS0_14default_configENS1_29binary_search_config_selectorIdiEEZNS1_14transform_implILb0ES3_S5_N6thrust23THRUST_200600_302600_NS6detail15normal_iteratorINS8_7pointerIdNS8_11hip_rocprim5par_tENS8_11use_defaultESE_EEEENSA_INSB_IiSD_SE_SE_EEEEZNS1_13binary_searchIS3_S5_PdSG_SI_NS1_16binary_search_opENS9_16wrapped_functionINS8_6system6detail7generic6detail18binary_search_lessEbEEEE10hipError_tPvRmT1_T2_T3_mmT4_T5_P12ihipStream_tbEUlRKdE_EEST_SX_SY_mSZ_S12_bEUlT_E_NS1_11comp_targetILNS1_3genE10ELNS1_11target_archE1201ELNS1_3gpuE5ELNS1_3repE0EEENS1_30default_config_static_selectorELNS0_4arch9wavefront6targetE0EEEvSW_.numbered_sgpr, 0
	.set _ZN7rocprim17ROCPRIM_400000_NS6detail17trampoline_kernelINS0_14default_configENS1_29binary_search_config_selectorIdiEEZNS1_14transform_implILb0ES3_S5_N6thrust23THRUST_200600_302600_NS6detail15normal_iteratorINS8_7pointerIdNS8_11hip_rocprim5par_tENS8_11use_defaultESE_EEEENSA_INSB_IiSD_SE_SE_EEEEZNS1_13binary_searchIS3_S5_PdSG_SI_NS1_16binary_search_opENS9_16wrapped_functionINS8_6system6detail7generic6detail18binary_search_lessEbEEEE10hipError_tPvRmT1_T2_T3_mmT4_T5_P12ihipStream_tbEUlRKdE_EEST_SX_SY_mSZ_S12_bEUlT_E_NS1_11comp_targetILNS1_3genE10ELNS1_11target_archE1201ELNS1_3gpuE5ELNS1_3repE0EEENS1_30default_config_static_selectorELNS0_4arch9wavefront6targetE0EEEvSW_.num_named_barrier, 0
	.set _ZN7rocprim17ROCPRIM_400000_NS6detail17trampoline_kernelINS0_14default_configENS1_29binary_search_config_selectorIdiEEZNS1_14transform_implILb0ES3_S5_N6thrust23THRUST_200600_302600_NS6detail15normal_iteratorINS8_7pointerIdNS8_11hip_rocprim5par_tENS8_11use_defaultESE_EEEENSA_INSB_IiSD_SE_SE_EEEEZNS1_13binary_searchIS3_S5_PdSG_SI_NS1_16binary_search_opENS9_16wrapped_functionINS8_6system6detail7generic6detail18binary_search_lessEbEEEE10hipError_tPvRmT1_T2_T3_mmT4_T5_P12ihipStream_tbEUlRKdE_EEST_SX_SY_mSZ_S12_bEUlT_E_NS1_11comp_targetILNS1_3genE10ELNS1_11target_archE1201ELNS1_3gpuE5ELNS1_3repE0EEENS1_30default_config_static_selectorELNS0_4arch9wavefront6targetE0EEEvSW_.private_seg_size, 0
	.set _ZN7rocprim17ROCPRIM_400000_NS6detail17trampoline_kernelINS0_14default_configENS1_29binary_search_config_selectorIdiEEZNS1_14transform_implILb0ES3_S5_N6thrust23THRUST_200600_302600_NS6detail15normal_iteratorINS8_7pointerIdNS8_11hip_rocprim5par_tENS8_11use_defaultESE_EEEENSA_INSB_IiSD_SE_SE_EEEEZNS1_13binary_searchIS3_S5_PdSG_SI_NS1_16binary_search_opENS9_16wrapped_functionINS8_6system6detail7generic6detail18binary_search_lessEbEEEE10hipError_tPvRmT1_T2_T3_mmT4_T5_P12ihipStream_tbEUlRKdE_EEST_SX_SY_mSZ_S12_bEUlT_E_NS1_11comp_targetILNS1_3genE10ELNS1_11target_archE1201ELNS1_3gpuE5ELNS1_3repE0EEENS1_30default_config_static_selectorELNS0_4arch9wavefront6targetE0EEEvSW_.uses_vcc, 0
	.set _ZN7rocprim17ROCPRIM_400000_NS6detail17trampoline_kernelINS0_14default_configENS1_29binary_search_config_selectorIdiEEZNS1_14transform_implILb0ES3_S5_N6thrust23THRUST_200600_302600_NS6detail15normal_iteratorINS8_7pointerIdNS8_11hip_rocprim5par_tENS8_11use_defaultESE_EEEENSA_INSB_IiSD_SE_SE_EEEEZNS1_13binary_searchIS3_S5_PdSG_SI_NS1_16binary_search_opENS9_16wrapped_functionINS8_6system6detail7generic6detail18binary_search_lessEbEEEE10hipError_tPvRmT1_T2_T3_mmT4_T5_P12ihipStream_tbEUlRKdE_EEST_SX_SY_mSZ_S12_bEUlT_E_NS1_11comp_targetILNS1_3genE10ELNS1_11target_archE1201ELNS1_3gpuE5ELNS1_3repE0EEENS1_30default_config_static_selectorELNS0_4arch9wavefront6targetE0EEEvSW_.uses_flat_scratch, 0
	.set _ZN7rocprim17ROCPRIM_400000_NS6detail17trampoline_kernelINS0_14default_configENS1_29binary_search_config_selectorIdiEEZNS1_14transform_implILb0ES3_S5_N6thrust23THRUST_200600_302600_NS6detail15normal_iteratorINS8_7pointerIdNS8_11hip_rocprim5par_tENS8_11use_defaultESE_EEEENSA_INSB_IiSD_SE_SE_EEEEZNS1_13binary_searchIS3_S5_PdSG_SI_NS1_16binary_search_opENS9_16wrapped_functionINS8_6system6detail7generic6detail18binary_search_lessEbEEEE10hipError_tPvRmT1_T2_T3_mmT4_T5_P12ihipStream_tbEUlRKdE_EEST_SX_SY_mSZ_S12_bEUlT_E_NS1_11comp_targetILNS1_3genE10ELNS1_11target_archE1201ELNS1_3gpuE5ELNS1_3repE0EEENS1_30default_config_static_selectorELNS0_4arch9wavefront6targetE0EEEvSW_.has_dyn_sized_stack, 0
	.set _ZN7rocprim17ROCPRIM_400000_NS6detail17trampoline_kernelINS0_14default_configENS1_29binary_search_config_selectorIdiEEZNS1_14transform_implILb0ES3_S5_N6thrust23THRUST_200600_302600_NS6detail15normal_iteratorINS8_7pointerIdNS8_11hip_rocprim5par_tENS8_11use_defaultESE_EEEENSA_INSB_IiSD_SE_SE_EEEEZNS1_13binary_searchIS3_S5_PdSG_SI_NS1_16binary_search_opENS9_16wrapped_functionINS8_6system6detail7generic6detail18binary_search_lessEbEEEE10hipError_tPvRmT1_T2_T3_mmT4_T5_P12ihipStream_tbEUlRKdE_EEST_SX_SY_mSZ_S12_bEUlT_E_NS1_11comp_targetILNS1_3genE10ELNS1_11target_archE1201ELNS1_3gpuE5ELNS1_3repE0EEENS1_30default_config_static_selectorELNS0_4arch9wavefront6targetE0EEEvSW_.has_recursion, 0
	.set _ZN7rocprim17ROCPRIM_400000_NS6detail17trampoline_kernelINS0_14default_configENS1_29binary_search_config_selectorIdiEEZNS1_14transform_implILb0ES3_S5_N6thrust23THRUST_200600_302600_NS6detail15normal_iteratorINS8_7pointerIdNS8_11hip_rocprim5par_tENS8_11use_defaultESE_EEEENSA_INSB_IiSD_SE_SE_EEEEZNS1_13binary_searchIS3_S5_PdSG_SI_NS1_16binary_search_opENS9_16wrapped_functionINS8_6system6detail7generic6detail18binary_search_lessEbEEEE10hipError_tPvRmT1_T2_T3_mmT4_T5_P12ihipStream_tbEUlRKdE_EEST_SX_SY_mSZ_S12_bEUlT_E_NS1_11comp_targetILNS1_3genE10ELNS1_11target_archE1201ELNS1_3gpuE5ELNS1_3repE0EEENS1_30default_config_static_selectorELNS0_4arch9wavefront6targetE0EEEvSW_.has_indirect_call, 0
	.section	.AMDGPU.csdata,"",@progbits
; Kernel info:
; codeLenInByte = 0
; TotalNumSgprs: 0
; NumVgprs: 0
; ScratchSize: 0
; MemoryBound: 0
; FloatMode: 240
; IeeeMode: 1
; LDSByteSize: 0 bytes/workgroup (compile time only)
; SGPRBlocks: 0
; VGPRBlocks: 0
; NumSGPRsForWavesPerEU: 1
; NumVGPRsForWavesPerEU: 1
; Occupancy: 16
; WaveLimiterHint : 0
; COMPUTE_PGM_RSRC2:SCRATCH_EN: 0
; COMPUTE_PGM_RSRC2:USER_SGPR: 6
; COMPUTE_PGM_RSRC2:TRAP_HANDLER: 0
; COMPUTE_PGM_RSRC2:TGID_X_EN: 1
; COMPUTE_PGM_RSRC2:TGID_Y_EN: 0
; COMPUTE_PGM_RSRC2:TGID_Z_EN: 0
; COMPUTE_PGM_RSRC2:TIDIG_COMP_CNT: 0
	.section	.text._ZN7rocprim17ROCPRIM_400000_NS6detail17trampoline_kernelINS0_14default_configENS1_29binary_search_config_selectorIdiEEZNS1_14transform_implILb0ES3_S5_N6thrust23THRUST_200600_302600_NS6detail15normal_iteratorINS8_7pointerIdNS8_11hip_rocprim5par_tENS8_11use_defaultESE_EEEENSA_INSB_IiSD_SE_SE_EEEEZNS1_13binary_searchIS3_S5_PdSG_SI_NS1_16binary_search_opENS9_16wrapped_functionINS8_6system6detail7generic6detail18binary_search_lessEbEEEE10hipError_tPvRmT1_T2_T3_mmT4_T5_P12ihipStream_tbEUlRKdE_EEST_SX_SY_mSZ_S12_bEUlT_E_NS1_11comp_targetILNS1_3genE10ELNS1_11target_archE1200ELNS1_3gpuE4ELNS1_3repE0EEENS1_30default_config_static_selectorELNS0_4arch9wavefront6targetE0EEEvSW_,"axG",@progbits,_ZN7rocprim17ROCPRIM_400000_NS6detail17trampoline_kernelINS0_14default_configENS1_29binary_search_config_selectorIdiEEZNS1_14transform_implILb0ES3_S5_N6thrust23THRUST_200600_302600_NS6detail15normal_iteratorINS8_7pointerIdNS8_11hip_rocprim5par_tENS8_11use_defaultESE_EEEENSA_INSB_IiSD_SE_SE_EEEEZNS1_13binary_searchIS3_S5_PdSG_SI_NS1_16binary_search_opENS9_16wrapped_functionINS8_6system6detail7generic6detail18binary_search_lessEbEEEE10hipError_tPvRmT1_T2_T3_mmT4_T5_P12ihipStream_tbEUlRKdE_EEST_SX_SY_mSZ_S12_bEUlT_E_NS1_11comp_targetILNS1_3genE10ELNS1_11target_archE1200ELNS1_3gpuE4ELNS1_3repE0EEENS1_30default_config_static_selectorELNS0_4arch9wavefront6targetE0EEEvSW_,comdat
	.protected	_ZN7rocprim17ROCPRIM_400000_NS6detail17trampoline_kernelINS0_14default_configENS1_29binary_search_config_selectorIdiEEZNS1_14transform_implILb0ES3_S5_N6thrust23THRUST_200600_302600_NS6detail15normal_iteratorINS8_7pointerIdNS8_11hip_rocprim5par_tENS8_11use_defaultESE_EEEENSA_INSB_IiSD_SE_SE_EEEEZNS1_13binary_searchIS3_S5_PdSG_SI_NS1_16binary_search_opENS9_16wrapped_functionINS8_6system6detail7generic6detail18binary_search_lessEbEEEE10hipError_tPvRmT1_T2_T3_mmT4_T5_P12ihipStream_tbEUlRKdE_EEST_SX_SY_mSZ_S12_bEUlT_E_NS1_11comp_targetILNS1_3genE10ELNS1_11target_archE1200ELNS1_3gpuE4ELNS1_3repE0EEENS1_30default_config_static_selectorELNS0_4arch9wavefront6targetE0EEEvSW_ ; -- Begin function _ZN7rocprim17ROCPRIM_400000_NS6detail17trampoline_kernelINS0_14default_configENS1_29binary_search_config_selectorIdiEEZNS1_14transform_implILb0ES3_S5_N6thrust23THRUST_200600_302600_NS6detail15normal_iteratorINS8_7pointerIdNS8_11hip_rocprim5par_tENS8_11use_defaultESE_EEEENSA_INSB_IiSD_SE_SE_EEEEZNS1_13binary_searchIS3_S5_PdSG_SI_NS1_16binary_search_opENS9_16wrapped_functionINS8_6system6detail7generic6detail18binary_search_lessEbEEEE10hipError_tPvRmT1_T2_T3_mmT4_T5_P12ihipStream_tbEUlRKdE_EEST_SX_SY_mSZ_S12_bEUlT_E_NS1_11comp_targetILNS1_3genE10ELNS1_11target_archE1200ELNS1_3gpuE4ELNS1_3repE0EEENS1_30default_config_static_selectorELNS0_4arch9wavefront6targetE0EEEvSW_
	.globl	_ZN7rocprim17ROCPRIM_400000_NS6detail17trampoline_kernelINS0_14default_configENS1_29binary_search_config_selectorIdiEEZNS1_14transform_implILb0ES3_S5_N6thrust23THRUST_200600_302600_NS6detail15normal_iteratorINS8_7pointerIdNS8_11hip_rocprim5par_tENS8_11use_defaultESE_EEEENSA_INSB_IiSD_SE_SE_EEEEZNS1_13binary_searchIS3_S5_PdSG_SI_NS1_16binary_search_opENS9_16wrapped_functionINS8_6system6detail7generic6detail18binary_search_lessEbEEEE10hipError_tPvRmT1_T2_T3_mmT4_T5_P12ihipStream_tbEUlRKdE_EEST_SX_SY_mSZ_S12_bEUlT_E_NS1_11comp_targetILNS1_3genE10ELNS1_11target_archE1200ELNS1_3gpuE4ELNS1_3repE0EEENS1_30default_config_static_selectorELNS0_4arch9wavefront6targetE0EEEvSW_
	.p2align	8
	.type	_ZN7rocprim17ROCPRIM_400000_NS6detail17trampoline_kernelINS0_14default_configENS1_29binary_search_config_selectorIdiEEZNS1_14transform_implILb0ES3_S5_N6thrust23THRUST_200600_302600_NS6detail15normal_iteratorINS8_7pointerIdNS8_11hip_rocprim5par_tENS8_11use_defaultESE_EEEENSA_INSB_IiSD_SE_SE_EEEEZNS1_13binary_searchIS3_S5_PdSG_SI_NS1_16binary_search_opENS9_16wrapped_functionINS8_6system6detail7generic6detail18binary_search_lessEbEEEE10hipError_tPvRmT1_T2_T3_mmT4_T5_P12ihipStream_tbEUlRKdE_EEST_SX_SY_mSZ_S12_bEUlT_E_NS1_11comp_targetILNS1_3genE10ELNS1_11target_archE1200ELNS1_3gpuE4ELNS1_3repE0EEENS1_30default_config_static_selectorELNS0_4arch9wavefront6targetE0EEEvSW_,@function
_ZN7rocprim17ROCPRIM_400000_NS6detail17trampoline_kernelINS0_14default_configENS1_29binary_search_config_selectorIdiEEZNS1_14transform_implILb0ES3_S5_N6thrust23THRUST_200600_302600_NS6detail15normal_iteratorINS8_7pointerIdNS8_11hip_rocprim5par_tENS8_11use_defaultESE_EEEENSA_INSB_IiSD_SE_SE_EEEEZNS1_13binary_searchIS3_S5_PdSG_SI_NS1_16binary_search_opENS9_16wrapped_functionINS8_6system6detail7generic6detail18binary_search_lessEbEEEE10hipError_tPvRmT1_T2_T3_mmT4_T5_P12ihipStream_tbEUlRKdE_EEST_SX_SY_mSZ_S12_bEUlT_E_NS1_11comp_targetILNS1_3genE10ELNS1_11target_archE1200ELNS1_3gpuE4ELNS1_3repE0EEENS1_30default_config_static_selectorELNS0_4arch9wavefront6targetE0EEEvSW_: ; @_ZN7rocprim17ROCPRIM_400000_NS6detail17trampoline_kernelINS0_14default_configENS1_29binary_search_config_selectorIdiEEZNS1_14transform_implILb0ES3_S5_N6thrust23THRUST_200600_302600_NS6detail15normal_iteratorINS8_7pointerIdNS8_11hip_rocprim5par_tENS8_11use_defaultESE_EEEENSA_INSB_IiSD_SE_SE_EEEEZNS1_13binary_searchIS3_S5_PdSG_SI_NS1_16binary_search_opENS9_16wrapped_functionINS8_6system6detail7generic6detail18binary_search_lessEbEEEE10hipError_tPvRmT1_T2_T3_mmT4_T5_P12ihipStream_tbEUlRKdE_EEST_SX_SY_mSZ_S12_bEUlT_E_NS1_11comp_targetILNS1_3genE10ELNS1_11target_archE1200ELNS1_3gpuE4ELNS1_3repE0EEENS1_30default_config_static_selectorELNS0_4arch9wavefront6targetE0EEEvSW_
; %bb.0:
	.section	.rodata,"a",@progbits
	.p2align	6, 0x0
	.amdhsa_kernel _ZN7rocprim17ROCPRIM_400000_NS6detail17trampoline_kernelINS0_14default_configENS1_29binary_search_config_selectorIdiEEZNS1_14transform_implILb0ES3_S5_N6thrust23THRUST_200600_302600_NS6detail15normal_iteratorINS8_7pointerIdNS8_11hip_rocprim5par_tENS8_11use_defaultESE_EEEENSA_INSB_IiSD_SE_SE_EEEEZNS1_13binary_searchIS3_S5_PdSG_SI_NS1_16binary_search_opENS9_16wrapped_functionINS8_6system6detail7generic6detail18binary_search_lessEbEEEE10hipError_tPvRmT1_T2_T3_mmT4_T5_P12ihipStream_tbEUlRKdE_EEST_SX_SY_mSZ_S12_bEUlT_E_NS1_11comp_targetILNS1_3genE10ELNS1_11target_archE1200ELNS1_3gpuE4ELNS1_3repE0EEENS1_30default_config_static_selectorELNS0_4arch9wavefront6targetE0EEEvSW_
		.amdhsa_group_segment_fixed_size 0
		.amdhsa_private_segment_fixed_size 0
		.amdhsa_kernarg_size 56
		.amdhsa_user_sgpr_count 6
		.amdhsa_user_sgpr_private_segment_buffer 1
		.amdhsa_user_sgpr_dispatch_ptr 0
		.amdhsa_user_sgpr_queue_ptr 0
		.amdhsa_user_sgpr_kernarg_segment_ptr 1
		.amdhsa_user_sgpr_dispatch_id 0
		.amdhsa_user_sgpr_flat_scratch_init 0
		.amdhsa_user_sgpr_private_segment_size 0
		.amdhsa_wavefront_size32 1
		.amdhsa_uses_dynamic_stack 0
		.amdhsa_system_sgpr_private_segment_wavefront_offset 0
		.amdhsa_system_sgpr_workgroup_id_x 1
		.amdhsa_system_sgpr_workgroup_id_y 0
		.amdhsa_system_sgpr_workgroup_id_z 0
		.amdhsa_system_sgpr_workgroup_info 0
		.amdhsa_system_vgpr_workitem_id 0
		.amdhsa_next_free_vgpr 1
		.amdhsa_next_free_sgpr 1
		.amdhsa_reserve_vcc 0
		.amdhsa_reserve_flat_scratch 0
		.amdhsa_float_round_mode_32 0
		.amdhsa_float_round_mode_16_64 0
		.amdhsa_float_denorm_mode_32 3
		.amdhsa_float_denorm_mode_16_64 3
		.amdhsa_dx10_clamp 1
		.amdhsa_ieee_mode 1
		.amdhsa_fp16_overflow 0
		.amdhsa_workgroup_processor_mode 1
		.amdhsa_memory_ordered 1
		.amdhsa_forward_progress 1
		.amdhsa_shared_vgpr_count 0
		.amdhsa_exception_fp_ieee_invalid_op 0
		.amdhsa_exception_fp_denorm_src 0
		.amdhsa_exception_fp_ieee_div_zero 0
		.amdhsa_exception_fp_ieee_overflow 0
		.amdhsa_exception_fp_ieee_underflow 0
		.amdhsa_exception_fp_ieee_inexact 0
		.amdhsa_exception_int_div_zero 0
	.end_amdhsa_kernel
	.section	.text._ZN7rocprim17ROCPRIM_400000_NS6detail17trampoline_kernelINS0_14default_configENS1_29binary_search_config_selectorIdiEEZNS1_14transform_implILb0ES3_S5_N6thrust23THRUST_200600_302600_NS6detail15normal_iteratorINS8_7pointerIdNS8_11hip_rocprim5par_tENS8_11use_defaultESE_EEEENSA_INSB_IiSD_SE_SE_EEEEZNS1_13binary_searchIS3_S5_PdSG_SI_NS1_16binary_search_opENS9_16wrapped_functionINS8_6system6detail7generic6detail18binary_search_lessEbEEEE10hipError_tPvRmT1_T2_T3_mmT4_T5_P12ihipStream_tbEUlRKdE_EEST_SX_SY_mSZ_S12_bEUlT_E_NS1_11comp_targetILNS1_3genE10ELNS1_11target_archE1200ELNS1_3gpuE4ELNS1_3repE0EEENS1_30default_config_static_selectorELNS0_4arch9wavefront6targetE0EEEvSW_,"axG",@progbits,_ZN7rocprim17ROCPRIM_400000_NS6detail17trampoline_kernelINS0_14default_configENS1_29binary_search_config_selectorIdiEEZNS1_14transform_implILb0ES3_S5_N6thrust23THRUST_200600_302600_NS6detail15normal_iteratorINS8_7pointerIdNS8_11hip_rocprim5par_tENS8_11use_defaultESE_EEEENSA_INSB_IiSD_SE_SE_EEEEZNS1_13binary_searchIS3_S5_PdSG_SI_NS1_16binary_search_opENS9_16wrapped_functionINS8_6system6detail7generic6detail18binary_search_lessEbEEEE10hipError_tPvRmT1_T2_T3_mmT4_T5_P12ihipStream_tbEUlRKdE_EEST_SX_SY_mSZ_S12_bEUlT_E_NS1_11comp_targetILNS1_3genE10ELNS1_11target_archE1200ELNS1_3gpuE4ELNS1_3repE0EEENS1_30default_config_static_selectorELNS0_4arch9wavefront6targetE0EEEvSW_,comdat
.Lfunc_end249:
	.size	_ZN7rocprim17ROCPRIM_400000_NS6detail17trampoline_kernelINS0_14default_configENS1_29binary_search_config_selectorIdiEEZNS1_14transform_implILb0ES3_S5_N6thrust23THRUST_200600_302600_NS6detail15normal_iteratorINS8_7pointerIdNS8_11hip_rocprim5par_tENS8_11use_defaultESE_EEEENSA_INSB_IiSD_SE_SE_EEEEZNS1_13binary_searchIS3_S5_PdSG_SI_NS1_16binary_search_opENS9_16wrapped_functionINS8_6system6detail7generic6detail18binary_search_lessEbEEEE10hipError_tPvRmT1_T2_T3_mmT4_T5_P12ihipStream_tbEUlRKdE_EEST_SX_SY_mSZ_S12_bEUlT_E_NS1_11comp_targetILNS1_3genE10ELNS1_11target_archE1200ELNS1_3gpuE4ELNS1_3repE0EEENS1_30default_config_static_selectorELNS0_4arch9wavefront6targetE0EEEvSW_, .Lfunc_end249-_ZN7rocprim17ROCPRIM_400000_NS6detail17trampoline_kernelINS0_14default_configENS1_29binary_search_config_selectorIdiEEZNS1_14transform_implILb0ES3_S5_N6thrust23THRUST_200600_302600_NS6detail15normal_iteratorINS8_7pointerIdNS8_11hip_rocprim5par_tENS8_11use_defaultESE_EEEENSA_INSB_IiSD_SE_SE_EEEEZNS1_13binary_searchIS3_S5_PdSG_SI_NS1_16binary_search_opENS9_16wrapped_functionINS8_6system6detail7generic6detail18binary_search_lessEbEEEE10hipError_tPvRmT1_T2_T3_mmT4_T5_P12ihipStream_tbEUlRKdE_EEST_SX_SY_mSZ_S12_bEUlT_E_NS1_11comp_targetILNS1_3genE10ELNS1_11target_archE1200ELNS1_3gpuE4ELNS1_3repE0EEENS1_30default_config_static_selectorELNS0_4arch9wavefront6targetE0EEEvSW_
                                        ; -- End function
	.set _ZN7rocprim17ROCPRIM_400000_NS6detail17trampoline_kernelINS0_14default_configENS1_29binary_search_config_selectorIdiEEZNS1_14transform_implILb0ES3_S5_N6thrust23THRUST_200600_302600_NS6detail15normal_iteratorINS8_7pointerIdNS8_11hip_rocprim5par_tENS8_11use_defaultESE_EEEENSA_INSB_IiSD_SE_SE_EEEEZNS1_13binary_searchIS3_S5_PdSG_SI_NS1_16binary_search_opENS9_16wrapped_functionINS8_6system6detail7generic6detail18binary_search_lessEbEEEE10hipError_tPvRmT1_T2_T3_mmT4_T5_P12ihipStream_tbEUlRKdE_EEST_SX_SY_mSZ_S12_bEUlT_E_NS1_11comp_targetILNS1_3genE10ELNS1_11target_archE1200ELNS1_3gpuE4ELNS1_3repE0EEENS1_30default_config_static_selectorELNS0_4arch9wavefront6targetE0EEEvSW_.num_vgpr, 0
	.set _ZN7rocprim17ROCPRIM_400000_NS6detail17trampoline_kernelINS0_14default_configENS1_29binary_search_config_selectorIdiEEZNS1_14transform_implILb0ES3_S5_N6thrust23THRUST_200600_302600_NS6detail15normal_iteratorINS8_7pointerIdNS8_11hip_rocprim5par_tENS8_11use_defaultESE_EEEENSA_INSB_IiSD_SE_SE_EEEEZNS1_13binary_searchIS3_S5_PdSG_SI_NS1_16binary_search_opENS9_16wrapped_functionINS8_6system6detail7generic6detail18binary_search_lessEbEEEE10hipError_tPvRmT1_T2_T3_mmT4_T5_P12ihipStream_tbEUlRKdE_EEST_SX_SY_mSZ_S12_bEUlT_E_NS1_11comp_targetILNS1_3genE10ELNS1_11target_archE1200ELNS1_3gpuE4ELNS1_3repE0EEENS1_30default_config_static_selectorELNS0_4arch9wavefront6targetE0EEEvSW_.num_agpr, 0
	.set _ZN7rocprim17ROCPRIM_400000_NS6detail17trampoline_kernelINS0_14default_configENS1_29binary_search_config_selectorIdiEEZNS1_14transform_implILb0ES3_S5_N6thrust23THRUST_200600_302600_NS6detail15normal_iteratorINS8_7pointerIdNS8_11hip_rocprim5par_tENS8_11use_defaultESE_EEEENSA_INSB_IiSD_SE_SE_EEEEZNS1_13binary_searchIS3_S5_PdSG_SI_NS1_16binary_search_opENS9_16wrapped_functionINS8_6system6detail7generic6detail18binary_search_lessEbEEEE10hipError_tPvRmT1_T2_T3_mmT4_T5_P12ihipStream_tbEUlRKdE_EEST_SX_SY_mSZ_S12_bEUlT_E_NS1_11comp_targetILNS1_3genE10ELNS1_11target_archE1200ELNS1_3gpuE4ELNS1_3repE0EEENS1_30default_config_static_selectorELNS0_4arch9wavefront6targetE0EEEvSW_.numbered_sgpr, 0
	.set _ZN7rocprim17ROCPRIM_400000_NS6detail17trampoline_kernelINS0_14default_configENS1_29binary_search_config_selectorIdiEEZNS1_14transform_implILb0ES3_S5_N6thrust23THRUST_200600_302600_NS6detail15normal_iteratorINS8_7pointerIdNS8_11hip_rocprim5par_tENS8_11use_defaultESE_EEEENSA_INSB_IiSD_SE_SE_EEEEZNS1_13binary_searchIS3_S5_PdSG_SI_NS1_16binary_search_opENS9_16wrapped_functionINS8_6system6detail7generic6detail18binary_search_lessEbEEEE10hipError_tPvRmT1_T2_T3_mmT4_T5_P12ihipStream_tbEUlRKdE_EEST_SX_SY_mSZ_S12_bEUlT_E_NS1_11comp_targetILNS1_3genE10ELNS1_11target_archE1200ELNS1_3gpuE4ELNS1_3repE0EEENS1_30default_config_static_selectorELNS0_4arch9wavefront6targetE0EEEvSW_.num_named_barrier, 0
	.set _ZN7rocprim17ROCPRIM_400000_NS6detail17trampoline_kernelINS0_14default_configENS1_29binary_search_config_selectorIdiEEZNS1_14transform_implILb0ES3_S5_N6thrust23THRUST_200600_302600_NS6detail15normal_iteratorINS8_7pointerIdNS8_11hip_rocprim5par_tENS8_11use_defaultESE_EEEENSA_INSB_IiSD_SE_SE_EEEEZNS1_13binary_searchIS3_S5_PdSG_SI_NS1_16binary_search_opENS9_16wrapped_functionINS8_6system6detail7generic6detail18binary_search_lessEbEEEE10hipError_tPvRmT1_T2_T3_mmT4_T5_P12ihipStream_tbEUlRKdE_EEST_SX_SY_mSZ_S12_bEUlT_E_NS1_11comp_targetILNS1_3genE10ELNS1_11target_archE1200ELNS1_3gpuE4ELNS1_3repE0EEENS1_30default_config_static_selectorELNS0_4arch9wavefront6targetE0EEEvSW_.private_seg_size, 0
	.set _ZN7rocprim17ROCPRIM_400000_NS6detail17trampoline_kernelINS0_14default_configENS1_29binary_search_config_selectorIdiEEZNS1_14transform_implILb0ES3_S5_N6thrust23THRUST_200600_302600_NS6detail15normal_iteratorINS8_7pointerIdNS8_11hip_rocprim5par_tENS8_11use_defaultESE_EEEENSA_INSB_IiSD_SE_SE_EEEEZNS1_13binary_searchIS3_S5_PdSG_SI_NS1_16binary_search_opENS9_16wrapped_functionINS8_6system6detail7generic6detail18binary_search_lessEbEEEE10hipError_tPvRmT1_T2_T3_mmT4_T5_P12ihipStream_tbEUlRKdE_EEST_SX_SY_mSZ_S12_bEUlT_E_NS1_11comp_targetILNS1_3genE10ELNS1_11target_archE1200ELNS1_3gpuE4ELNS1_3repE0EEENS1_30default_config_static_selectorELNS0_4arch9wavefront6targetE0EEEvSW_.uses_vcc, 0
	.set _ZN7rocprim17ROCPRIM_400000_NS6detail17trampoline_kernelINS0_14default_configENS1_29binary_search_config_selectorIdiEEZNS1_14transform_implILb0ES3_S5_N6thrust23THRUST_200600_302600_NS6detail15normal_iteratorINS8_7pointerIdNS8_11hip_rocprim5par_tENS8_11use_defaultESE_EEEENSA_INSB_IiSD_SE_SE_EEEEZNS1_13binary_searchIS3_S5_PdSG_SI_NS1_16binary_search_opENS9_16wrapped_functionINS8_6system6detail7generic6detail18binary_search_lessEbEEEE10hipError_tPvRmT1_T2_T3_mmT4_T5_P12ihipStream_tbEUlRKdE_EEST_SX_SY_mSZ_S12_bEUlT_E_NS1_11comp_targetILNS1_3genE10ELNS1_11target_archE1200ELNS1_3gpuE4ELNS1_3repE0EEENS1_30default_config_static_selectorELNS0_4arch9wavefront6targetE0EEEvSW_.uses_flat_scratch, 0
	.set _ZN7rocprim17ROCPRIM_400000_NS6detail17trampoline_kernelINS0_14default_configENS1_29binary_search_config_selectorIdiEEZNS1_14transform_implILb0ES3_S5_N6thrust23THRUST_200600_302600_NS6detail15normal_iteratorINS8_7pointerIdNS8_11hip_rocprim5par_tENS8_11use_defaultESE_EEEENSA_INSB_IiSD_SE_SE_EEEEZNS1_13binary_searchIS3_S5_PdSG_SI_NS1_16binary_search_opENS9_16wrapped_functionINS8_6system6detail7generic6detail18binary_search_lessEbEEEE10hipError_tPvRmT1_T2_T3_mmT4_T5_P12ihipStream_tbEUlRKdE_EEST_SX_SY_mSZ_S12_bEUlT_E_NS1_11comp_targetILNS1_3genE10ELNS1_11target_archE1200ELNS1_3gpuE4ELNS1_3repE0EEENS1_30default_config_static_selectorELNS0_4arch9wavefront6targetE0EEEvSW_.has_dyn_sized_stack, 0
	.set _ZN7rocprim17ROCPRIM_400000_NS6detail17trampoline_kernelINS0_14default_configENS1_29binary_search_config_selectorIdiEEZNS1_14transform_implILb0ES3_S5_N6thrust23THRUST_200600_302600_NS6detail15normal_iteratorINS8_7pointerIdNS8_11hip_rocprim5par_tENS8_11use_defaultESE_EEEENSA_INSB_IiSD_SE_SE_EEEEZNS1_13binary_searchIS3_S5_PdSG_SI_NS1_16binary_search_opENS9_16wrapped_functionINS8_6system6detail7generic6detail18binary_search_lessEbEEEE10hipError_tPvRmT1_T2_T3_mmT4_T5_P12ihipStream_tbEUlRKdE_EEST_SX_SY_mSZ_S12_bEUlT_E_NS1_11comp_targetILNS1_3genE10ELNS1_11target_archE1200ELNS1_3gpuE4ELNS1_3repE0EEENS1_30default_config_static_selectorELNS0_4arch9wavefront6targetE0EEEvSW_.has_recursion, 0
	.set _ZN7rocprim17ROCPRIM_400000_NS6detail17trampoline_kernelINS0_14default_configENS1_29binary_search_config_selectorIdiEEZNS1_14transform_implILb0ES3_S5_N6thrust23THRUST_200600_302600_NS6detail15normal_iteratorINS8_7pointerIdNS8_11hip_rocprim5par_tENS8_11use_defaultESE_EEEENSA_INSB_IiSD_SE_SE_EEEEZNS1_13binary_searchIS3_S5_PdSG_SI_NS1_16binary_search_opENS9_16wrapped_functionINS8_6system6detail7generic6detail18binary_search_lessEbEEEE10hipError_tPvRmT1_T2_T3_mmT4_T5_P12ihipStream_tbEUlRKdE_EEST_SX_SY_mSZ_S12_bEUlT_E_NS1_11comp_targetILNS1_3genE10ELNS1_11target_archE1200ELNS1_3gpuE4ELNS1_3repE0EEENS1_30default_config_static_selectorELNS0_4arch9wavefront6targetE0EEEvSW_.has_indirect_call, 0
	.section	.AMDGPU.csdata,"",@progbits
; Kernel info:
; codeLenInByte = 0
; TotalNumSgprs: 0
; NumVgprs: 0
; ScratchSize: 0
; MemoryBound: 0
; FloatMode: 240
; IeeeMode: 1
; LDSByteSize: 0 bytes/workgroup (compile time only)
; SGPRBlocks: 0
; VGPRBlocks: 0
; NumSGPRsForWavesPerEU: 1
; NumVGPRsForWavesPerEU: 1
; Occupancy: 16
; WaveLimiterHint : 0
; COMPUTE_PGM_RSRC2:SCRATCH_EN: 0
; COMPUTE_PGM_RSRC2:USER_SGPR: 6
; COMPUTE_PGM_RSRC2:TRAP_HANDLER: 0
; COMPUTE_PGM_RSRC2:TGID_X_EN: 1
; COMPUTE_PGM_RSRC2:TGID_Y_EN: 0
; COMPUTE_PGM_RSRC2:TGID_Z_EN: 0
; COMPUTE_PGM_RSRC2:TIDIG_COMP_CNT: 0
	.section	.text._ZN7rocprim17ROCPRIM_400000_NS6detail17trampoline_kernelINS0_14default_configENS1_29binary_search_config_selectorIdiEEZNS1_14transform_implILb0ES3_S5_N6thrust23THRUST_200600_302600_NS6detail15normal_iteratorINS8_7pointerIdNS8_11hip_rocprim5par_tENS8_11use_defaultESE_EEEENSA_INSB_IiSD_SE_SE_EEEEZNS1_13binary_searchIS3_S5_PdSG_SI_NS1_16binary_search_opENS9_16wrapped_functionINS8_6system6detail7generic6detail18binary_search_lessEbEEEE10hipError_tPvRmT1_T2_T3_mmT4_T5_P12ihipStream_tbEUlRKdE_EEST_SX_SY_mSZ_S12_bEUlT_E_NS1_11comp_targetILNS1_3genE9ELNS1_11target_archE1100ELNS1_3gpuE3ELNS1_3repE0EEENS1_30default_config_static_selectorELNS0_4arch9wavefront6targetE0EEEvSW_,"axG",@progbits,_ZN7rocprim17ROCPRIM_400000_NS6detail17trampoline_kernelINS0_14default_configENS1_29binary_search_config_selectorIdiEEZNS1_14transform_implILb0ES3_S5_N6thrust23THRUST_200600_302600_NS6detail15normal_iteratorINS8_7pointerIdNS8_11hip_rocprim5par_tENS8_11use_defaultESE_EEEENSA_INSB_IiSD_SE_SE_EEEEZNS1_13binary_searchIS3_S5_PdSG_SI_NS1_16binary_search_opENS9_16wrapped_functionINS8_6system6detail7generic6detail18binary_search_lessEbEEEE10hipError_tPvRmT1_T2_T3_mmT4_T5_P12ihipStream_tbEUlRKdE_EEST_SX_SY_mSZ_S12_bEUlT_E_NS1_11comp_targetILNS1_3genE9ELNS1_11target_archE1100ELNS1_3gpuE3ELNS1_3repE0EEENS1_30default_config_static_selectorELNS0_4arch9wavefront6targetE0EEEvSW_,comdat
	.protected	_ZN7rocprim17ROCPRIM_400000_NS6detail17trampoline_kernelINS0_14default_configENS1_29binary_search_config_selectorIdiEEZNS1_14transform_implILb0ES3_S5_N6thrust23THRUST_200600_302600_NS6detail15normal_iteratorINS8_7pointerIdNS8_11hip_rocprim5par_tENS8_11use_defaultESE_EEEENSA_INSB_IiSD_SE_SE_EEEEZNS1_13binary_searchIS3_S5_PdSG_SI_NS1_16binary_search_opENS9_16wrapped_functionINS8_6system6detail7generic6detail18binary_search_lessEbEEEE10hipError_tPvRmT1_T2_T3_mmT4_T5_P12ihipStream_tbEUlRKdE_EEST_SX_SY_mSZ_S12_bEUlT_E_NS1_11comp_targetILNS1_3genE9ELNS1_11target_archE1100ELNS1_3gpuE3ELNS1_3repE0EEENS1_30default_config_static_selectorELNS0_4arch9wavefront6targetE0EEEvSW_ ; -- Begin function _ZN7rocprim17ROCPRIM_400000_NS6detail17trampoline_kernelINS0_14default_configENS1_29binary_search_config_selectorIdiEEZNS1_14transform_implILb0ES3_S5_N6thrust23THRUST_200600_302600_NS6detail15normal_iteratorINS8_7pointerIdNS8_11hip_rocprim5par_tENS8_11use_defaultESE_EEEENSA_INSB_IiSD_SE_SE_EEEEZNS1_13binary_searchIS3_S5_PdSG_SI_NS1_16binary_search_opENS9_16wrapped_functionINS8_6system6detail7generic6detail18binary_search_lessEbEEEE10hipError_tPvRmT1_T2_T3_mmT4_T5_P12ihipStream_tbEUlRKdE_EEST_SX_SY_mSZ_S12_bEUlT_E_NS1_11comp_targetILNS1_3genE9ELNS1_11target_archE1100ELNS1_3gpuE3ELNS1_3repE0EEENS1_30default_config_static_selectorELNS0_4arch9wavefront6targetE0EEEvSW_
	.globl	_ZN7rocprim17ROCPRIM_400000_NS6detail17trampoline_kernelINS0_14default_configENS1_29binary_search_config_selectorIdiEEZNS1_14transform_implILb0ES3_S5_N6thrust23THRUST_200600_302600_NS6detail15normal_iteratorINS8_7pointerIdNS8_11hip_rocprim5par_tENS8_11use_defaultESE_EEEENSA_INSB_IiSD_SE_SE_EEEEZNS1_13binary_searchIS3_S5_PdSG_SI_NS1_16binary_search_opENS9_16wrapped_functionINS8_6system6detail7generic6detail18binary_search_lessEbEEEE10hipError_tPvRmT1_T2_T3_mmT4_T5_P12ihipStream_tbEUlRKdE_EEST_SX_SY_mSZ_S12_bEUlT_E_NS1_11comp_targetILNS1_3genE9ELNS1_11target_archE1100ELNS1_3gpuE3ELNS1_3repE0EEENS1_30default_config_static_selectorELNS0_4arch9wavefront6targetE0EEEvSW_
	.p2align	8
	.type	_ZN7rocprim17ROCPRIM_400000_NS6detail17trampoline_kernelINS0_14default_configENS1_29binary_search_config_selectorIdiEEZNS1_14transform_implILb0ES3_S5_N6thrust23THRUST_200600_302600_NS6detail15normal_iteratorINS8_7pointerIdNS8_11hip_rocprim5par_tENS8_11use_defaultESE_EEEENSA_INSB_IiSD_SE_SE_EEEEZNS1_13binary_searchIS3_S5_PdSG_SI_NS1_16binary_search_opENS9_16wrapped_functionINS8_6system6detail7generic6detail18binary_search_lessEbEEEE10hipError_tPvRmT1_T2_T3_mmT4_T5_P12ihipStream_tbEUlRKdE_EEST_SX_SY_mSZ_S12_bEUlT_E_NS1_11comp_targetILNS1_3genE9ELNS1_11target_archE1100ELNS1_3gpuE3ELNS1_3repE0EEENS1_30default_config_static_selectorELNS0_4arch9wavefront6targetE0EEEvSW_,@function
_ZN7rocprim17ROCPRIM_400000_NS6detail17trampoline_kernelINS0_14default_configENS1_29binary_search_config_selectorIdiEEZNS1_14transform_implILb0ES3_S5_N6thrust23THRUST_200600_302600_NS6detail15normal_iteratorINS8_7pointerIdNS8_11hip_rocprim5par_tENS8_11use_defaultESE_EEEENSA_INSB_IiSD_SE_SE_EEEEZNS1_13binary_searchIS3_S5_PdSG_SI_NS1_16binary_search_opENS9_16wrapped_functionINS8_6system6detail7generic6detail18binary_search_lessEbEEEE10hipError_tPvRmT1_T2_T3_mmT4_T5_P12ihipStream_tbEUlRKdE_EEST_SX_SY_mSZ_S12_bEUlT_E_NS1_11comp_targetILNS1_3genE9ELNS1_11target_archE1100ELNS1_3gpuE3ELNS1_3repE0EEENS1_30default_config_static_selectorELNS0_4arch9wavefront6targetE0EEEvSW_: ; @_ZN7rocprim17ROCPRIM_400000_NS6detail17trampoline_kernelINS0_14default_configENS1_29binary_search_config_selectorIdiEEZNS1_14transform_implILb0ES3_S5_N6thrust23THRUST_200600_302600_NS6detail15normal_iteratorINS8_7pointerIdNS8_11hip_rocprim5par_tENS8_11use_defaultESE_EEEENSA_INSB_IiSD_SE_SE_EEEEZNS1_13binary_searchIS3_S5_PdSG_SI_NS1_16binary_search_opENS9_16wrapped_functionINS8_6system6detail7generic6detail18binary_search_lessEbEEEE10hipError_tPvRmT1_T2_T3_mmT4_T5_P12ihipStream_tbEUlRKdE_EEST_SX_SY_mSZ_S12_bEUlT_E_NS1_11comp_targetILNS1_3genE9ELNS1_11target_archE1100ELNS1_3gpuE3ELNS1_3repE0EEENS1_30default_config_static_selectorELNS0_4arch9wavefront6targetE0EEEvSW_
; %bb.0:
	.section	.rodata,"a",@progbits
	.p2align	6, 0x0
	.amdhsa_kernel _ZN7rocprim17ROCPRIM_400000_NS6detail17trampoline_kernelINS0_14default_configENS1_29binary_search_config_selectorIdiEEZNS1_14transform_implILb0ES3_S5_N6thrust23THRUST_200600_302600_NS6detail15normal_iteratorINS8_7pointerIdNS8_11hip_rocprim5par_tENS8_11use_defaultESE_EEEENSA_INSB_IiSD_SE_SE_EEEEZNS1_13binary_searchIS3_S5_PdSG_SI_NS1_16binary_search_opENS9_16wrapped_functionINS8_6system6detail7generic6detail18binary_search_lessEbEEEE10hipError_tPvRmT1_T2_T3_mmT4_T5_P12ihipStream_tbEUlRKdE_EEST_SX_SY_mSZ_S12_bEUlT_E_NS1_11comp_targetILNS1_3genE9ELNS1_11target_archE1100ELNS1_3gpuE3ELNS1_3repE0EEENS1_30default_config_static_selectorELNS0_4arch9wavefront6targetE0EEEvSW_
		.amdhsa_group_segment_fixed_size 0
		.amdhsa_private_segment_fixed_size 0
		.amdhsa_kernarg_size 56
		.amdhsa_user_sgpr_count 6
		.amdhsa_user_sgpr_private_segment_buffer 1
		.amdhsa_user_sgpr_dispatch_ptr 0
		.amdhsa_user_sgpr_queue_ptr 0
		.amdhsa_user_sgpr_kernarg_segment_ptr 1
		.amdhsa_user_sgpr_dispatch_id 0
		.amdhsa_user_sgpr_flat_scratch_init 0
		.amdhsa_user_sgpr_private_segment_size 0
		.amdhsa_wavefront_size32 1
		.amdhsa_uses_dynamic_stack 0
		.amdhsa_system_sgpr_private_segment_wavefront_offset 0
		.amdhsa_system_sgpr_workgroup_id_x 1
		.amdhsa_system_sgpr_workgroup_id_y 0
		.amdhsa_system_sgpr_workgroup_id_z 0
		.amdhsa_system_sgpr_workgroup_info 0
		.amdhsa_system_vgpr_workitem_id 0
		.amdhsa_next_free_vgpr 1
		.amdhsa_next_free_sgpr 1
		.amdhsa_reserve_vcc 0
		.amdhsa_reserve_flat_scratch 0
		.amdhsa_float_round_mode_32 0
		.amdhsa_float_round_mode_16_64 0
		.amdhsa_float_denorm_mode_32 3
		.amdhsa_float_denorm_mode_16_64 3
		.amdhsa_dx10_clamp 1
		.amdhsa_ieee_mode 1
		.amdhsa_fp16_overflow 0
		.amdhsa_workgroup_processor_mode 1
		.amdhsa_memory_ordered 1
		.amdhsa_forward_progress 1
		.amdhsa_shared_vgpr_count 0
		.amdhsa_exception_fp_ieee_invalid_op 0
		.amdhsa_exception_fp_denorm_src 0
		.amdhsa_exception_fp_ieee_div_zero 0
		.amdhsa_exception_fp_ieee_overflow 0
		.amdhsa_exception_fp_ieee_underflow 0
		.amdhsa_exception_fp_ieee_inexact 0
		.amdhsa_exception_int_div_zero 0
	.end_amdhsa_kernel
	.section	.text._ZN7rocprim17ROCPRIM_400000_NS6detail17trampoline_kernelINS0_14default_configENS1_29binary_search_config_selectorIdiEEZNS1_14transform_implILb0ES3_S5_N6thrust23THRUST_200600_302600_NS6detail15normal_iteratorINS8_7pointerIdNS8_11hip_rocprim5par_tENS8_11use_defaultESE_EEEENSA_INSB_IiSD_SE_SE_EEEEZNS1_13binary_searchIS3_S5_PdSG_SI_NS1_16binary_search_opENS9_16wrapped_functionINS8_6system6detail7generic6detail18binary_search_lessEbEEEE10hipError_tPvRmT1_T2_T3_mmT4_T5_P12ihipStream_tbEUlRKdE_EEST_SX_SY_mSZ_S12_bEUlT_E_NS1_11comp_targetILNS1_3genE9ELNS1_11target_archE1100ELNS1_3gpuE3ELNS1_3repE0EEENS1_30default_config_static_selectorELNS0_4arch9wavefront6targetE0EEEvSW_,"axG",@progbits,_ZN7rocprim17ROCPRIM_400000_NS6detail17trampoline_kernelINS0_14default_configENS1_29binary_search_config_selectorIdiEEZNS1_14transform_implILb0ES3_S5_N6thrust23THRUST_200600_302600_NS6detail15normal_iteratorINS8_7pointerIdNS8_11hip_rocprim5par_tENS8_11use_defaultESE_EEEENSA_INSB_IiSD_SE_SE_EEEEZNS1_13binary_searchIS3_S5_PdSG_SI_NS1_16binary_search_opENS9_16wrapped_functionINS8_6system6detail7generic6detail18binary_search_lessEbEEEE10hipError_tPvRmT1_T2_T3_mmT4_T5_P12ihipStream_tbEUlRKdE_EEST_SX_SY_mSZ_S12_bEUlT_E_NS1_11comp_targetILNS1_3genE9ELNS1_11target_archE1100ELNS1_3gpuE3ELNS1_3repE0EEENS1_30default_config_static_selectorELNS0_4arch9wavefront6targetE0EEEvSW_,comdat
.Lfunc_end250:
	.size	_ZN7rocprim17ROCPRIM_400000_NS6detail17trampoline_kernelINS0_14default_configENS1_29binary_search_config_selectorIdiEEZNS1_14transform_implILb0ES3_S5_N6thrust23THRUST_200600_302600_NS6detail15normal_iteratorINS8_7pointerIdNS8_11hip_rocprim5par_tENS8_11use_defaultESE_EEEENSA_INSB_IiSD_SE_SE_EEEEZNS1_13binary_searchIS3_S5_PdSG_SI_NS1_16binary_search_opENS9_16wrapped_functionINS8_6system6detail7generic6detail18binary_search_lessEbEEEE10hipError_tPvRmT1_T2_T3_mmT4_T5_P12ihipStream_tbEUlRKdE_EEST_SX_SY_mSZ_S12_bEUlT_E_NS1_11comp_targetILNS1_3genE9ELNS1_11target_archE1100ELNS1_3gpuE3ELNS1_3repE0EEENS1_30default_config_static_selectorELNS0_4arch9wavefront6targetE0EEEvSW_, .Lfunc_end250-_ZN7rocprim17ROCPRIM_400000_NS6detail17trampoline_kernelINS0_14default_configENS1_29binary_search_config_selectorIdiEEZNS1_14transform_implILb0ES3_S5_N6thrust23THRUST_200600_302600_NS6detail15normal_iteratorINS8_7pointerIdNS8_11hip_rocprim5par_tENS8_11use_defaultESE_EEEENSA_INSB_IiSD_SE_SE_EEEEZNS1_13binary_searchIS3_S5_PdSG_SI_NS1_16binary_search_opENS9_16wrapped_functionINS8_6system6detail7generic6detail18binary_search_lessEbEEEE10hipError_tPvRmT1_T2_T3_mmT4_T5_P12ihipStream_tbEUlRKdE_EEST_SX_SY_mSZ_S12_bEUlT_E_NS1_11comp_targetILNS1_3genE9ELNS1_11target_archE1100ELNS1_3gpuE3ELNS1_3repE0EEENS1_30default_config_static_selectorELNS0_4arch9wavefront6targetE0EEEvSW_
                                        ; -- End function
	.set _ZN7rocprim17ROCPRIM_400000_NS6detail17trampoline_kernelINS0_14default_configENS1_29binary_search_config_selectorIdiEEZNS1_14transform_implILb0ES3_S5_N6thrust23THRUST_200600_302600_NS6detail15normal_iteratorINS8_7pointerIdNS8_11hip_rocprim5par_tENS8_11use_defaultESE_EEEENSA_INSB_IiSD_SE_SE_EEEEZNS1_13binary_searchIS3_S5_PdSG_SI_NS1_16binary_search_opENS9_16wrapped_functionINS8_6system6detail7generic6detail18binary_search_lessEbEEEE10hipError_tPvRmT1_T2_T3_mmT4_T5_P12ihipStream_tbEUlRKdE_EEST_SX_SY_mSZ_S12_bEUlT_E_NS1_11comp_targetILNS1_3genE9ELNS1_11target_archE1100ELNS1_3gpuE3ELNS1_3repE0EEENS1_30default_config_static_selectorELNS0_4arch9wavefront6targetE0EEEvSW_.num_vgpr, 0
	.set _ZN7rocprim17ROCPRIM_400000_NS6detail17trampoline_kernelINS0_14default_configENS1_29binary_search_config_selectorIdiEEZNS1_14transform_implILb0ES3_S5_N6thrust23THRUST_200600_302600_NS6detail15normal_iteratorINS8_7pointerIdNS8_11hip_rocprim5par_tENS8_11use_defaultESE_EEEENSA_INSB_IiSD_SE_SE_EEEEZNS1_13binary_searchIS3_S5_PdSG_SI_NS1_16binary_search_opENS9_16wrapped_functionINS8_6system6detail7generic6detail18binary_search_lessEbEEEE10hipError_tPvRmT1_T2_T3_mmT4_T5_P12ihipStream_tbEUlRKdE_EEST_SX_SY_mSZ_S12_bEUlT_E_NS1_11comp_targetILNS1_3genE9ELNS1_11target_archE1100ELNS1_3gpuE3ELNS1_3repE0EEENS1_30default_config_static_selectorELNS0_4arch9wavefront6targetE0EEEvSW_.num_agpr, 0
	.set _ZN7rocprim17ROCPRIM_400000_NS6detail17trampoline_kernelINS0_14default_configENS1_29binary_search_config_selectorIdiEEZNS1_14transform_implILb0ES3_S5_N6thrust23THRUST_200600_302600_NS6detail15normal_iteratorINS8_7pointerIdNS8_11hip_rocprim5par_tENS8_11use_defaultESE_EEEENSA_INSB_IiSD_SE_SE_EEEEZNS1_13binary_searchIS3_S5_PdSG_SI_NS1_16binary_search_opENS9_16wrapped_functionINS8_6system6detail7generic6detail18binary_search_lessEbEEEE10hipError_tPvRmT1_T2_T3_mmT4_T5_P12ihipStream_tbEUlRKdE_EEST_SX_SY_mSZ_S12_bEUlT_E_NS1_11comp_targetILNS1_3genE9ELNS1_11target_archE1100ELNS1_3gpuE3ELNS1_3repE0EEENS1_30default_config_static_selectorELNS0_4arch9wavefront6targetE0EEEvSW_.numbered_sgpr, 0
	.set _ZN7rocprim17ROCPRIM_400000_NS6detail17trampoline_kernelINS0_14default_configENS1_29binary_search_config_selectorIdiEEZNS1_14transform_implILb0ES3_S5_N6thrust23THRUST_200600_302600_NS6detail15normal_iteratorINS8_7pointerIdNS8_11hip_rocprim5par_tENS8_11use_defaultESE_EEEENSA_INSB_IiSD_SE_SE_EEEEZNS1_13binary_searchIS3_S5_PdSG_SI_NS1_16binary_search_opENS9_16wrapped_functionINS8_6system6detail7generic6detail18binary_search_lessEbEEEE10hipError_tPvRmT1_T2_T3_mmT4_T5_P12ihipStream_tbEUlRKdE_EEST_SX_SY_mSZ_S12_bEUlT_E_NS1_11comp_targetILNS1_3genE9ELNS1_11target_archE1100ELNS1_3gpuE3ELNS1_3repE0EEENS1_30default_config_static_selectorELNS0_4arch9wavefront6targetE0EEEvSW_.num_named_barrier, 0
	.set _ZN7rocprim17ROCPRIM_400000_NS6detail17trampoline_kernelINS0_14default_configENS1_29binary_search_config_selectorIdiEEZNS1_14transform_implILb0ES3_S5_N6thrust23THRUST_200600_302600_NS6detail15normal_iteratorINS8_7pointerIdNS8_11hip_rocprim5par_tENS8_11use_defaultESE_EEEENSA_INSB_IiSD_SE_SE_EEEEZNS1_13binary_searchIS3_S5_PdSG_SI_NS1_16binary_search_opENS9_16wrapped_functionINS8_6system6detail7generic6detail18binary_search_lessEbEEEE10hipError_tPvRmT1_T2_T3_mmT4_T5_P12ihipStream_tbEUlRKdE_EEST_SX_SY_mSZ_S12_bEUlT_E_NS1_11comp_targetILNS1_3genE9ELNS1_11target_archE1100ELNS1_3gpuE3ELNS1_3repE0EEENS1_30default_config_static_selectorELNS0_4arch9wavefront6targetE0EEEvSW_.private_seg_size, 0
	.set _ZN7rocprim17ROCPRIM_400000_NS6detail17trampoline_kernelINS0_14default_configENS1_29binary_search_config_selectorIdiEEZNS1_14transform_implILb0ES3_S5_N6thrust23THRUST_200600_302600_NS6detail15normal_iteratorINS8_7pointerIdNS8_11hip_rocprim5par_tENS8_11use_defaultESE_EEEENSA_INSB_IiSD_SE_SE_EEEEZNS1_13binary_searchIS3_S5_PdSG_SI_NS1_16binary_search_opENS9_16wrapped_functionINS8_6system6detail7generic6detail18binary_search_lessEbEEEE10hipError_tPvRmT1_T2_T3_mmT4_T5_P12ihipStream_tbEUlRKdE_EEST_SX_SY_mSZ_S12_bEUlT_E_NS1_11comp_targetILNS1_3genE9ELNS1_11target_archE1100ELNS1_3gpuE3ELNS1_3repE0EEENS1_30default_config_static_selectorELNS0_4arch9wavefront6targetE0EEEvSW_.uses_vcc, 0
	.set _ZN7rocprim17ROCPRIM_400000_NS6detail17trampoline_kernelINS0_14default_configENS1_29binary_search_config_selectorIdiEEZNS1_14transform_implILb0ES3_S5_N6thrust23THRUST_200600_302600_NS6detail15normal_iteratorINS8_7pointerIdNS8_11hip_rocprim5par_tENS8_11use_defaultESE_EEEENSA_INSB_IiSD_SE_SE_EEEEZNS1_13binary_searchIS3_S5_PdSG_SI_NS1_16binary_search_opENS9_16wrapped_functionINS8_6system6detail7generic6detail18binary_search_lessEbEEEE10hipError_tPvRmT1_T2_T3_mmT4_T5_P12ihipStream_tbEUlRKdE_EEST_SX_SY_mSZ_S12_bEUlT_E_NS1_11comp_targetILNS1_3genE9ELNS1_11target_archE1100ELNS1_3gpuE3ELNS1_3repE0EEENS1_30default_config_static_selectorELNS0_4arch9wavefront6targetE0EEEvSW_.uses_flat_scratch, 0
	.set _ZN7rocprim17ROCPRIM_400000_NS6detail17trampoline_kernelINS0_14default_configENS1_29binary_search_config_selectorIdiEEZNS1_14transform_implILb0ES3_S5_N6thrust23THRUST_200600_302600_NS6detail15normal_iteratorINS8_7pointerIdNS8_11hip_rocprim5par_tENS8_11use_defaultESE_EEEENSA_INSB_IiSD_SE_SE_EEEEZNS1_13binary_searchIS3_S5_PdSG_SI_NS1_16binary_search_opENS9_16wrapped_functionINS8_6system6detail7generic6detail18binary_search_lessEbEEEE10hipError_tPvRmT1_T2_T3_mmT4_T5_P12ihipStream_tbEUlRKdE_EEST_SX_SY_mSZ_S12_bEUlT_E_NS1_11comp_targetILNS1_3genE9ELNS1_11target_archE1100ELNS1_3gpuE3ELNS1_3repE0EEENS1_30default_config_static_selectorELNS0_4arch9wavefront6targetE0EEEvSW_.has_dyn_sized_stack, 0
	.set _ZN7rocprim17ROCPRIM_400000_NS6detail17trampoline_kernelINS0_14default_configENS1_29binary_search_config_selectorIdiEEZNS1_14transform_implILb0ES3_S5_N6thrust23THRUST_200600_302600_NS6detail15normal_iteratorINS8_7pointerIdNS8_11hip_rocprim5par_tENS8_11use_defaultESE_EEEENSA_INSB_IiSD_SE_SE_EEEEZNS1_13binary_searchIS3_S5_PdSG_SI_NS1_16binary_search_opENS9_16wrapped_functionINS8_6system6detail7generic6detail18binary_search_lessEbEEEE10hipError_tPvRmT1_T2_T3_mmT4_T5_P12ihipStream_tbEUlRKdE_EEST_SX_SY_mSZ_S12_bEUlT_E_NS1_11comp_targetILNS1_3genE9ELNS1_11target_archE1100ELNS1_3gpuE3ELNS1_3repE0EEENS1_30default_config_static_selectorELNS0_4arch9wavefront6targetE0EEEvSW_.has_recursion, 0
	.set _ZN7rocprim17ROCPRIM_400000_NS6detail17trampoline_kernelINS0_14default_configENS1_29binary_search_config_selectorIdiEEZNS1_14transform_implILb0ES3_S5_N6thrust23THRUST_200600_302600_NS6detail15normal_iteratorINS8_7pointerIdNS8_11hip_rocprim5par_tENS8_11use_defaultESE_EEEENSA_INSB_IiSD_SE_SE_EEEEZNS1_13binary_searchIS3_S5_PdSG_SI_NS1_16binary_search_opENS9_16wrapped_functionINS8_6system6detail7generic6detail18binary_search_lessEbEEEE10hipError_tPvRmT1_T2_T3_mmT4_T5_P12ihipStream_tbEUlRKdE_EEST_SX_SY_mSZ_S12_bEUlT_E_NS1_11comp_targetILNS1_3genE9ELNS1_11target_archE1100ELNS1_3gpuE3ELNS1_3repE0EEENS1_30default_config_static_selectorELNS0_4arch9wavefront6targetE0EEEvSW_.has_indirect_call, 0
	.section	.AMDGPU.csdata,"",@progbits
; Kernel info:
; codeLenInByte = 0
; TotalNumSgprs: 0
; NumVgprs: 0
; ScratchSize: 0
; MemoryBound: 0
; FloatMode: 240
; IeeeMode: 1
; LDSByteSize: 0 bytes/workgroup (compile time only)
; SGPRBlocks: 0
; VGPRBlocks: 0
; NumSGPRsForWavesPerEU: 1
; NumVGPRsForWavesPerEU: 1
; Occupancy: 16
; WaveLimiterHint : 0
; COMPUTE_PGM_RSRC2:SCRATCH_EN: 0
; COMPUTE_PGM_RSRC2:USER_SGPR: 6
; COMPUTE_PGM_RSRC2:TRAP_HANDLER: 0
; COMPUTE_PGM_RSRC2:TGID_X_EN: 1
; COMPUTE_PGM_RSRC2:TGID_Y_EN: 0
; COMPUTE_PGM_RSRC2:TGID_Z_EN: 0
; COMPUTE_PGM_RSRC2:TIDIG_COMP_CNT: 0
	.section	.text._ZN7rocprim17ROCPRIM_400000_NS6detail17trampoline_kernelINS0_14default_configENS1_29binary_search_config_selectorIdiEEZNS1_14transform_implILb0ES3_S5_N6thrust23THRUST_200600_302600_NS6detail15normal_iteratorINS8_7pointerIdNS8_11hip_rocprim5par_tENS8_11use_defaultESE_EEEENSA_INSB_IiSD_SE_SE_EEEEZNS1_13binary_searchIS3_S5_PdSG_SI_NS1_16binary_search_opENS9_16wrapped_functionINS8_6system6detail7generic6detail18binary_search_lessEbEEEE10hipError_tPvRmT1_T2_T3_mmT4_T5_P12ihipStream_tbEUlRKdE_EEST_SX_SY_mSZ_S12_bEUlT_E_NS1_11comp_targetILNS1_3genE8ELNS1_11target_archE1030ELNS1_3gpuE2ELNS1_3repE0EEENS1_30default_config_static_selectorELNS0_4arch9wavefront6targetE0EEEvSW_,"axG",@progbits,_ZN7rocprim17ROCPRIM_400000_NS6detail17trampoline_kernelINS0_14default_configENS1_29binary_search_config_selectorIdiEEZNS1_14transform_implILb0ES3_S5_N6thrust23THRUST_200600_302600_NS6detail15normal_iteratorINS8_7pointerIdNS8_11hip_rocprim5par_tENS8_11use_defaultESE_EEEENSA_INSB_IiSD_SE_SE_EEEEZNS1_13binary_searchIS3_S5_PdSG_SI_NS1_16binary_search_opENS9_16wrapped_functionINS8_6system6detail7generic6detail18binary_search_lessEbEEEE10hipError_tPvRmT1_T2_T3_mmT4_T5_P12ihipStream_tbEUlRKdE_EEST_SX_SY_mSZ_S12_bEUlT_E_NS1_11comp_targetILNS1_3genE8ELNS1_11target_archE1030ELNS1_3gpuE2ELNS1_3repE0EEENS1_30default_config_static_selectorELNS0_4arch9wavefront6targetE0EEEvSW_,comdat
	.protected	_ZN7rocprim17ROCPRIM_400000_NS6detail17trampoline_kernelINS0_14default_configENS1_29binary_search_config_selectorIdiEEZNS1_14transform_implILb0ES3_S5_N6thrust23THRUST_200600_302600_NS6detail15normal_iteratorINS8_7pointerIdNS8_11hip_rocprim5par_tENS8_11use_defaultESE_EEEENSA_INSB_IiSD_SE_SE_EEEEZNS1_13binary_searchIS3_S5_PdSG_SI_NS1_16binary_search_opENS9_16wrapped_functionINS8_6system6detail7generic6detail18binary_search_lessEbEEEE10hipError_tPvRmT1_T2_T3_mmT4_T5_P12ihipStream_tbEUlRKdE_EEST_SX_SY_mSZ_S12_bEUlT_E_NS1_11comp_targetILNS1_3genE8ELNS1_11target_archE1030ELNS1_3gpuE2ELNS1_3repE0EEENS1_30default_config_static_selectorELNS0_4arch9wavefront6targetE0EEEvSW_ ; -- Begin function _ZN7rocprim17ROCPRIM_400000_NS6detail17trampoline_kernelINS0_14default_configENS1_29binary_search_config_selectorIdiEEZNS1_14transform_implILb0ES3_S5_N6thrust23THRUST_200600_302600_NS6detail15normal_iteratorINS8_7pointerIdNS8_11hip_rocprim5par_tENS8_11use_defaultESE_EEEENSA_INSB_IiSD_SE_SE_EEEEZNS1_13binary_searchIS3_S5_PdSG_SI_NS1_16binary_search_opENS9_16wrapped_functionINS8_6system6detail7generic6detail18binary_search_lessEbEEEE10hipError_tPvRmT1_T2_T3_mmT4_T5_P12ihipStream_tbEUlRKdE_EEST_SX_SY_mSZ_S12_bEUlT_E_NS1_11comp_targetILNS1_3genE8ELNS1_11target_archE1030ELNS1_3gpuE2ELNS1_3repE0EEENS1_30default_config_static_selectorELNS0_4arch9wavefront6targetE0EEEvSW_
	.globl	_ZN7rocprim17ROCPRIM_400000_NS6detail17trampoline_kernelINS0_14default_configENS1_29binary_search_config_selectorIdiEEZNS1_14transform_implILb0ES3_S5_N6thrust23THRUST_200600_302600_NS6detail15normal_iteratorINS8_7pointerIdNS8_11hip_rocprim5par_tENS8_11use_defaultESE_EEEENSA_INSB_IiSD_SE_SE_EEEEZNS1_13binary_searchIS3_S5_PdSG_SI_NS1_16binary_search_opENS9_16wrapped_functionINS8_6system6detail7generic6detail18binary_search_lessEbEEEE10hipError_tPvRmT1_T2_T3_mmT4_T5_P12ihipStream_tbEUlRKdE_EEST_SX_SY_mSZ_S12_bEUlT_E_NS1_11comp_targetILNS1_3genE8ELNS1_11target_archE1030ELNS1_3gpuE2ELNS1_3repE0EEENS1_30default_config_static_selectorELNS0_4arch9wavefront6targetE0EEEvSW_
	.p2align	8
	.type	_ZN7rocprim17ROCPRIM_400000_NS6detail17trampoline_kernelINS0_14default_configENS1_29binary_search_config_selectorIdiEEZNS1_14transform_implILb0ES3_S5_N6thrust23THRUST_200600_302600_NS6detail15normal_iteratorINS8_7pointerIdNS8_11hip_rocprim5par_tENS8_11use_defaultESE_EEEENSA_INSB_IiSD_SE_SE_EEEEZNS1_13binary_searchIS3_S5_PdSG_SI_NS1_16binary_search_opENS9_16wrapped_functionINS8_6system6detail7generic6detail18binary_search_lessEbEEEE10hipError_tPvRmT1_T2_T3_mmT4_T5_P12ihipStream_tbEUlRKdE_EEST_SX_SY_mSZ_S12_bEUlT_E_NS1_11comp_targetILNS1_3genE8ELNS1_11target_archE1030ELNS1_3gpuE2ELNS1_3repE0EEENS1_30default_config_static_selectorELNS0_4arch9wavefront6targetE0EEEvSW_,@function
_ZN7rocprim17ROCPRIM_400000_NS6detail17trampoline_kernelINS0_14default_configENS1_29binary_search_config_selectorIdiEEZNS1_14transform_implILb0ES3_S5_N6thrust23THRUST_200600_302600_NS6detail15normal_iteratorINS8_7pointerIdNS8_11hip_rocprim5par_tENS8_11use_defaultESE_EEEENSA_INSB_IiSD_SE_SE_EEEEZNS1_13binary_searchIS3_S5_PdSG_SI_NS1_16binary_search_opENS9_16wrapped_functionINS8_6system6detail7generic6detail18binary_search_lessEbEEEE10hipError_tPvRmT1_T2_T3_mmT4_T5_P12ihipStream_tbEUlRKdE_EEST_SX_SY_mSZ_S12_bEUlT_E_NS1_11comp_targetILNS1_3genE8ELNS1_11target_archE1030ELNS1_3gpuE2ELNS1_3repE0EEENS1_30default_config_static_selectorELNS0_4arch9wavefront6targetE0EEEvSW_: ; @_ZN7rocprim17ROCPRIM_400000_NS6detail17trampoline_kernelINS0_14default_configENS1_29binary_search_config_selectorIdiEEZNS1_14transform_implILb0ES3_S5_N6thrust23THRUST_200600_302600_NS6detail15normal_iteratorINS8_7pointerIdNS8_11hip_rocprim5par_tENS8_11use_defaultESE_EEEENSA_INSB_IiSD_SE_SE_EEEEZNS1_13binary_searchIS3_S5_PdSG_SI_NS1_16binary_search_opENS9_16wrapped_functionINS8_6system6detail7generic6detail18binary_search_lessEbEEEE10hipError_tPvRmT1_T2_T3_mmT4_T5_P12ihipStream_tbEUlRKdE_EEST_SX_SY_mSZ_S12_bEUlT_E_NS1_11comp_targetILNS1_3genE8ELNS1_11target_archE1030ELNS1_3gpuE2ELNS1_3repE0EEENS1_30default_config_static_selectorELNS0_4arch9wavefront6targetE0EEEvSW_
; %bb.0:
	s_clause 0x3
	s_load_dwordx4 s[0:3], s[4:5], 0x0
	s_load_dword s17, s[4:5], 0x38
	s_load_dwordx2 s[14:15], s[4:5], 0x28
	s_load_dwordx4 s[8:11], s[4:5], 0x18
	s_waitcnt lgkmcnt(0)
	s_lshl_b64 s[12:13], s[2:3], 3
	s_add_u32 s7, s0, s12
	s_addc_u32 s16, s1, s13
	s_add_i32 s17, s17, -1
	s_lshl_b32 s12, s6, 8
	s_mov_b32 s13, 0
	s_cmp_lg_u32 s6, s17
	s_mov_b32 s0, -1
	s_cbranch_scc0 .LBB251_6
; %bb.1:
	v_lshlrev_b32_e32 v1, 3, v0
	s_lshl_b64 s[0:1], s[12:13], 3
	v_mov_b32_e32 v4, 0
	s_add_u32 s0, s7, s0
	s_addc_u32 s1, s16, s1
	v_add_co_u32 v1, s0, s0, v1
	v_add_co_ci_u32_e64 v2, null, s1, 0, s0
	v_mov_b32_e32 v5, 0
	s_cmp_eq_u64 s[14:15], 0
	flat_load_dwordx2 v[2:3], v[1:2]
	v_mov_b32_e32 v1, 0
	s_cbranch_scc1 .LBB251_5
; %bb.2:
	v_mov_b32_e32 v6, s14
	v_mov_b32_e32 v7, s15
	s_mov_b32 s1, 0
	s_inst_prefetch 0x1
	.p2align	6
.LBB251_3:                              ; =>This Inner Loop Header: Depth=1
	v_sub_co_u32 v8, vcc_lo, v6, v4
	v_sub_co_ci_u32_e64 v9, null, v7, v5, vcc_lo
	v_lshrrev_b64 v[10:11], 1, v[8:9]
	v_lshrrev_b64 v[8:9], 6, v[8:9]
	v_add_co_u32 v10, vcc_lo, v10, v4
	v_add_co_ci_u32_e64 v11, null, v11, v5, vcc_lo
	v_add_co_u32 v8, vcc_lo, v10, v8
	v_add_co_ci_u32_e64 v9, null, v11, v9, vcc_lo
	v_lshlrev_b64 v[10:11], 3, v[8:9]
	v_add_co_u32 v10, vcc_lo, s10, v10
	v_add_co_ci_u32_e64 v11, null, s11, v11, vcc_lo
	global_load_dwordx2 v[10:11], v[10:11], off
	s_waitcnt vmcnt(0) lgkmcnt(0)
	v_cmp_lt_f64_e32 vcc_lo, v[10:11], v[2:3]
	v_add_co_u32 v10, s0, v8, 1
	v_add_co_ci_u32_e64 v11, null, 0, v9, s0
	v_cndmask_b32_e32 v7, v9, v7, vcc_lo
	v_cndmask_b32_e32 v6, v8, v6, vcc_lo
	;; [unrolled: 1-line block ×4, first 2 shown]
	v_cmp_ge_u64_e32 vcc_lo, v[4:5], v[6:7]
	s_or_b32 s1, vcc_lo, s1
	s_andn2_b32 exec_lo, exec_lo, s1
	s_cbranch_execnz .LBB251_3
; %bb.4:
	s_inst_prefetch 0x2
	s_or_b32 exec_lo, exec_lo, s1
.LBB251_5:
	v_cmp_eq_u64_e64 s1, s[14:15], v[4:5]
	v_cmp_ne_u64_e64 s6, s[14:15], v[4:5]
	s_branch .LBB251_14
.LBB251_6:
	s_mov_b32 s6, s13
	s_mov_b32 s1, s13
                                        ; implicit-def: $vgpr2_vgpr3
                                        ; implicit-def: $vgpr4_vgpr5
	s_and_b32 vcc_lo, exec_lo, s0
	s_cbranch_vccz .LBB251_14
; %bb.7:
	s_load_dword s0, s[4:5], 0x10
	s_mov_b32 s4, exec_lo
                                        ; implicit-def: $vgpr2_vgpr3
                                        ; implicit-def: $vgpr4_vgpr5
	s_waitcnt lgkmcnt(0)
	s_sub_i32 s0, s0, s12
	v_cmpx_gt_u32_e64 s0, v0
	s_cbranch_execz .LBB251_13
; %bb.8:
	v_lshlrev_b32_e32 v1, 3, v0
	s_lshl_b64 s[18:19], s[12:13], 3
	v_mov_b32_e32 v4, 0
	s_add_u32 s0, s7, s18
	s_addc_u32 s5, s16, s19
	v_add_co_u32 v1, s0, s0, v1
	s_waitcnt vmcnt(0)
	v_add_co_ci_u32_e64 v2, null, s5, 0, s0
	v_mov_b32_e32 v5, 0
	s_cmp_eq_u64 s[14:15], 0
	flat_load_dwordx2 v[2:3], v[1:2]
	v_mov_b32_e32 v1, 0
	s_cbranch_scc1 .LBB251_12
; %bb.9:
	v_mov_b32_e32 v6, s14
	v_mov_b32_e32 v7, s15
	s_mov_b32 s5, 0
	s_inst_prefetch 0x1
	.p2align	6
.LBB251_10:                             ; =>This Inner Loop Header: Depth=1
	v_sub_co_u32 v8, vcc_lo, v6, v4
	v_sub_co_ci_u32_e64 v9, null, v7, v5, vcc_lo
	v_lshrrev_b64 v[10:11], 1, v[8:9]
	v_lshrrev_b64 v[8:9], 6, v[8:9]
	v_add_co_u32 v10, vcc_lo, v10, v4
	v_add_co_ci_u32_e64 v11, null, v11, v5, vcc_lo
	v_add_co_u32 v8, vcc_lo, v10, v8
	v_add_co_ci_u32_e64 v9, null, v11, v9, vcc_lo
	v_lshlrev_b64 v[10:11], 3, v[8:9]
	v_add_co_u32 v10, vcc_lo, s10, v10
	v_add_co_ci_u32_e64 v11, null, s11, v11, vcc_lo
	global_load_dwordx2 v[10:11], v[10:11], off
	s_waitcnt vmcnt(0) lgkmcnt(0)
	v_cmp_lt_f64_e32 vcc_lo, v[10:11], v[2:3]
	v_add_co_u32 v10, s0, v8, 1
	v_add_co_ci_u32_e64 v11, null, 0, v9, s0
	v_cndmask_b32_e32 v7, v9, v7, vcc_lo
	v_cndmask_b32_e32 v6, v8, v6, vcc_lo
	;; [unrolled: 1-line block ×4, first 2 shown]
	v_cmp_ge_u64_e32 vcc_lo, v[4:5], v[6:7]
	s_or_b32 s5, vcc_lo, s5
	s_andn2_b32 exec_lo, exec_lo, s5
	s_cbranch_execnz .LBB251_10
; %bb.11:
	s_inst_prefetch 0x2
	s_or_b32 exec_lo, exec_lo, s5
.LBB251_12:
	v_cmp_eq_u64_e32 vcc_lo, s[14:15], v[4:5]
	v_cmp_ne_u64_e64 s0, s[14:15], v[4:5]
	s_andn2_b32 s1, s1, exec_lo
	s_andn2_b32 s5, s6, exec_lo
	s_and_b32 s6, vcc_lo, exec_lo
	s_and_b32 s0, s0, exec_lo
	s_or_b32 s1, s1, s6
	s_or_b32 s6, s5, s0
.LBB251_13:
	s_or_b32 exec_lo, exec_lo, s4
.LBB251_14:
	v_mov_b32_e32 v6, 0
	s_and_saveexec_b32 s0, s6
	s_cbranch_execnz .LBB251_17
; %bb.15:
	s_or_b32 exec_lo, exec_lo, s0
	s_and_saveexec_b32 s0, s1
	s_cbranch_execnz .LBB251_18
.LBB251_16:
	s_endpgm
.LBB251_17:
	v_lshlrev_b64 v[4:5], 3, v[4:5]
	s_or_b32 s1, s1, exec_lo
	v_add_co_u32 v4, vcc_lo, s10, v4
	v_add_co_ci_u32_e64 v5, null, s11, v5, vcc_lo
	global_load_dwordx2 v[4:5], v[4:5], off
	s_waitcnt vmcnt(0) lgkmcnt(0)
	v_cmp_nlt_f64_e32 vcc_lo, v[2:3], v[4:5]
	v_cndmask_b32_e64 v6, 0, 1, vcc_lo
	s_or_b32 exec_lo, exec_lo, s0
	s_and_saveexec_b32 s0, s1
	s_cbranch_execz .LBB251_16
.LBB251_18:
	s_lshl_b64 s[0:1], s[2:3], 2
	v_lshlrev_b64 v[0:1], 2, v[0:1]
	s_add_u32 s2, s8, s0
	s_addc_u32 s3, s9, s1
	s_lshl_b64 s[0:1], s[12:13], 2
	s_add_u32 s0, s2, s0
	s_addc_u32 s1, s3, s1
	v_add_co_u32 v0, vcc_lo, s0, v0
	v_add_co_ci_u32_e64 v1, null, s1, v1, vcc_lo
	flat_store_dword v[0:1], v6
	s_endpgm
	.section	.rodata,"a",@progbits
	.p2align	6, 0x0
	.amdhsa_kernel _ZN7rocprim17ROCPRIM_400000_NS6detail17trampoline_kernelINS0_14default_configENS1_29binary_search_config_selectorIdiEEZNS1_14transform_implILb0ES3_S5_N6thrust23THRUST_200600_302600_NS6detail15normal_iteratorINS8_7pointerIdNS8_11hip_rocprim5par_tENS8_11use_defaultESE_EEEENSA_INSB_IiSD_SE_SE_EEEEZNS1_13binary_searchIS3_S5_PdSG_SI_NS1_16binary_search_opENS9_16wrapped_functionINS8_6system6detail7generic6detail18binary_search_lessEbEEEE10hipError_tPvRmT1_T2_T3_mmT4_T5_P12ihipStream_tbEUlRKdE_EEST_SX_SY_mSZ_S12_bEUlT_E_NS1_11comp_targetILNS1_3genE8ELNS1_11target_archE1030ELNS1_3gpuE2ELNS1_3repE0EEENS1_30default_config_static_selectorELNS0_4arch9wavefront6targetE0EEEvSW_
		.amdhsa_group_segment_fixed_size 0
		.amdhsa_private_segment_fixed_size 0
		.amdhsa_kernarg_size 312
		.amdhsa_user_sgpr_count 6
		.amdhsa_user_sgpr_private_segment_buffer 1
		.amdhsa_user_sgpr_dispatch_ptr 0
		.amdhsa_user_sgpr_queue_ptr 0
		.amdhsa_user_sgpr_kernarg_segment_ptr 1
		.amdhsa_user_sgpr_dispatch_id 0
		.amdhsa_user_sgpr_flat_scratch_init 0
		.amdhsa_user_sgpr_private_segment_size 0
		.amdhsa_wavefront_size32 1
		.amdhsa_uses_dynamic_stack 0
		.amdhsa_system_sgpr_private_segment_wavefront_offset 0
		.amdhsa_system_sgpr_workgroup_id_x 1
		.amdhsa_system_sgpr_workgroup_id_y 0
		.amdhsa_system_sgpr_workgroup_id_z 0
		.amdhsa_system_sgpr_workgroup_info 0
		.amdhsa_system_vgpr_workitem_id 0
		.amdhsa_next_free_vgpr 12
		.amdhsa_next_free_sgpr 20
		.amdhsa_reserve_vcc 1
		.amdhsa_reserve_flat_scratch 0
		.amdhsa_float_round_mode_32 0
		.amdhsa_float_round_mode_16_64 0
		.amdhsa_float_denorm_mode_32 3
		.amdhsa_float_denorm_mode_16_64 3
		.amdhsa_dx10_clamp 1
		.amdhsa_ieee_mode 1
		.amdhsa_fp16_overflow 0
		.amdhsa_workgroup_processor_mode 1
		.amdhsa_memory_ordered 1
		.amdhsa_forward_progress 1
		.amdhsa_shared_vgpr_count 0
		.amdhsa_exception_fp_ieee_invalid_op 0
		.amdhsa_exception_fp_denorm_src 0
		.amdhsa_exception_fp_ieee_div_zero 0
		.amdhsa_exception_fp_ieee_overflow 0
		.amdhsa_exception_fp_ieee_underflow 0
		.amdhsa_exception_fp_ieee_inexact 0
		.amdhsa_exception_int_div_zero 0
	.end_amdhsa_kernel
	.section	.text._ZN7rocprim17ROCPRIM_400000_NS6detail17trampoline_kernelINS0_14default_configENS1_29binary_search_config_selectorIdiEEZNS1_14transform_implILb0ES3_S5_N6thrust23THRUST_200600_302600_NS6detail15normal_iteratorINS8_7pointerIdNS8_11hip_rocprim5par_tENS8_11use_defaultESE_EEEENSA_INSB_IiSD_SE_SE_EEEEZNS1_13binary_searchIS3_S5_PdSG_SI_NS1_16binary_search_opENS9_16wrapped_functionINS8_6system6detail7generic6detail18binary_search_lessEbEEEE10hipError_tPvRmT1_T2_T3_mmT4_T5_P12ihipStream_tbEUlRKdE_EEST_SX_SY_mSZ_S12_bEUlT_E_NS1_11comp_targetILNS1_3genE8ELNS1_11target_archE1030ELNS1_3gpuE2ELNS1_3repE0EEENS1_30default_config_static_selectorELNS0_4arch9wavefront6targetE0EEEvSW_,"axG",@progbits,_ZN7rocprim17ROCPRIM_400000_NS6detail17trampoline_kernelINS0_14default_configENS1_29binary_search_config_selectorIdiEEZNS1_14transform_implILb0ES3_S5_N6thrust23THRUST_200600_302600_NS6detail15normal_iteratorINS8_7pointerIdNS8_11hip_rocprim5par_tENS8_11use_defaultESE_EEEENSA_INSB_IiSD_SE_SE_EEEEZNS1_13binary_searchIS3_S5_PdSG_SI_NS1_16binary_search_opENS9_16wrapped_functionINS8_6system6detail7generic6detail18binary_search_lessEbEEEE10hipError_tPvRmT1_T2_T3_mmT4_T5_P12ihipStream_tbEUlRKdE_EEST_SX_SY_mSZ_S12_bEUlT_E_NS1_11comp_targetILNS1_3genE8ELNS1_11target_archE1030ELNS1_3gpuE2ELNS1_3repE0EEENS1_30default_config_static_selectorELNS0_4arch9wavefront6targetE0EEEvSW_,comdat
.Lfunc_end251:
	.size	_ZN7rocprim17ROCPRIM_400000_NS6detail17trampoline_kernelINS0_14default_configENS1_29binary_search_config_selectorIdiEEZNS1_14transform_implILb0ES3_S5_N6thrust23THRUST_200600_302600_NS6detail15normal_iteratorINS8_7pointerIdNS8_11hip_rocprim5par_tENS8_11use_defaultESE_EEEENSA_INSB_IiSD_SE_SE_EEEEZNS1_13binary_searchIS3_S5_PdSG_SI_NS1_16binary_search_opENS9_16wrapped_functionINS8_6system6detail7generic6detail18binary_search_lessEbEEEE10hipError_tPvRmT1_T2_T3_mmT4_T5_P12ihipStream_tbEUlRKdE_EEST_SX_SY_mSZ_S12_bEUlT_E_NS1_11comp_targetILNS1_3genE8ELNS1_11target_archE1030ELNS1_3gpuE2ELNS1_3repE0EEENS1_30default_config_static_selectorELNS0_4arch9wavefront6targetE0EEEvSW_, .Lfunc_end251-_ZN7rocprim17ROCPRIM_400000_NS6detail17trampoline_kernelINS0_14default_configENS1_29binary_search_config_selectorIdiEEZNS1_14transform_implILb0ES3_S5_N6thrust23THRUST_200600_302600_NS6detail15normal_iteratorINS8_7pointerIdNS8_11hip_rocprim5par_tENS8_11use_defaultESE_EEEENSA_INSB_IiSD_SE_SE_EEEEZNS1_13binary_searchIS3_S5_PdSG_SI_NS1_16binary_search_opENS9_16wrapped_functionINS8_6system6detail7generic6detail18binary_search_lessEbEEEE10hipError_tPvRmT1_T2_T3_mmT4_T5_P12ihipStream_tbEUlRKdE_EEST_SX_SY_mSZ_S12_bEUlT_E_NS1_11comp_targetILNS1_3genE8ELNS1_11target_archE1030ELNS1_3gpuE2ELNS1_3repE0EEENS1_30default_config_static_selectorELNS0_4arch9wavefront6targetE0EEEvSW_
                                        ; -- End function
	.set _ZN7rocprim17ROCPRIM_400000_NS6detail17trampoline_kernelINS0_14default_configENS1_29binary_search_config_selectorIdiEEZNS1_14transform_implILb0ES3_S5_N6thrust23THRUST_200600_302600_NS6detail15normal_iteratorINS8_7pointerIdNS8_11hip_rocprim5par_tENS8_11use_defaultESE_EEEENSA_INSB_IiSD_SE_SE_EEEEZNS1_13binary_searchIS3_S5_PdSG_SI_NS1_16binary_search_opENS9_16wrapped_functionINS8_6system6detail7generic6detail18binary_search_lessEbEEEE10hipError_tPvRmT1_T2_T3_mmT4_T5_P12ihipStream_tbEUlRKdE_EEST_SX_SY_mSZ_S12_bEUlT_E_NS1_11comp_targetILNS1_3genE8ELNS1_11target_archE1030ELNS1_3gpuE2ELNS1_3repE0EEENS1_30default_config_static_selectorELNS0_4arch9wavefront6targetE0EEEvSW_.num_vgpr, 12
	.set _ZN7rocprim17ROCPRIM_400000_NS6detail17trampoline_kernelINS0_14default_configENS1_29binary_search_config_selectorIdiEEZNS1_14transform_implILb0ES3_S5_N6thrust23THRUST_200600_302600_NS6detail15normal_iteratorINS8_7pointerIdNS8_11hip_rocprim5par_tENS8_11use_defaultESE_EEEENSA_INSB_IiSD_SE_SE_EEEEZNS1_13binary_searchIS3_S5_PdSG_SI_NS1_16binary_search_opENS9_16wrapped_functionINS8_6system6detail7generic6detail18binary_search_lessEbEEEE10hipError_tPvRmT1_T2_T3_mmT4_T5_P12ihipStream_tbEUlRKdE_EEST_SX_SY_mSZ_S12_bEUlT_E_NS1_11comp_targetILNS1_3genE8ELNS1_11target_archE1030ELNS1_3gpuE2ELNS1_3repE0EEENS1_30default_config_static_selectorELNS0_4arch9wavefront6targetE0EEEvSW_.num_agpr, 0
	.set _ZN7rocprim17ROCPRIM_400000_NS6detail17trampoline_kernelINS0_14default_configENS1_29binary_search_config_selectorIdiEEZNS1_14transform_implILb0ES3_S5_N6thrust23THRUST_200600_302600_NS6detail15normal_iteratorINS8_7pointerIdNS8_11hip_rocprim5par_tENS8_11use_defaultESE_EEEENSA_INSB_IiSD_SE_SE_EEEEZNS1_13binary_searchIS3_S5_PdSG_SI_NS1_16binary_search_opENS9_16wrapped_functionINS8_6system6detail7generic6detail18binary_search_lessEbEEEE10hipError_tPvRmT1_T2_T3_mmT4_T5_P12ihipStream_tbEUlRKdE_EEST_SX_SY_mSZ_S12_bEUlT_E_NS1_11comp_targetILNS1_3genE8ELNS1_11target_archE1030ELNS1_3gpuE2ELNS1_3repE0EEENS1_30default_config_static_selectorELNS0_4arch9wavefront6targetE0EEEvSW_.numbered_sgpr, 20
	.set _ZN7rocprim17ROCPRIM_400000_NS6detail17trampoline_kernelINS0_14default_configENS1_29binary_search_config_selectorIdiEEZNS1_14transform_implILb0ES3_S5_N6thrust23THRUST_200600_302600_NS6detail15normal_iteratorINS8_7pointerIdNS8_11hip_rocprim5par_tENS8_11use_defaultESE_EEEENSA_INSB_IiSD_SE_SE_EEEEZNS1_13binary_searchIS3_S5_PdSG_SI_NS1_16binary_search_opENS9_16wrapped_functionINS8_6system6detail7generic6detail18binary_search_lessEbEEEE10hipError_tPvRmT1_T2_T3_mmT4_T5_P12ihipStream_tbEUlRKdE_EEST_SX_SY_mSZ_S12_bEUlT_E_NS1_11comp_targetILNS1_3genE8ELNS1_11target_archE1030ELNS1_3gpuE2ELNS1_3repE0EEENS1_30default_config_static_selectorELNS0_4arch9wavefront6targetE0EEEvSW_.num_named_barrier, 0
	.set _ZN7rocprim17ROCPRIM_400000_NS6detail17trampoline_kernelINS0_14default_configENS1_29binary_search_config_selectorIdiEEZNS1_14transform_implILb0ES3_S5_N6thrust23THRUST_200600_302600_NS6detail15normal_iteratorINS8_7pointerIdNS8_11hip_rocprim5par_tENS8_11use_defaultESE_EEEENSA_INSB_IiSD_SE_SE_EEEEZNS1_13binary_searchIS3_S5_PdSG_SI_NS1_16binary_search_opENS9_16wrapped_functionINS8_6system6detail7generic6detail18binary_search_lessEbEEEE10hipError_tPvRmT1_T2_T3_mmT4_T5_P12ihipStream_tbEUlRKdE_EEST_SX_SY_mSZ_S12_bEUlT_E_NS1_11comp_targetILNS1_3genE8ELNS1_11target_archE1030ELNS1_3gpuE2ELNS1_3repE0EEENS1_30default_config_static_selectorELNS0_4arch9wavefront6targetE0EEEvSW_.private_seg_size, 0
	.set _ZN7rocprim17ROCPRIM_400000_NS6detail17trampoline_kernelINS0_14default_configENS1_29binary_search_config_selectorIdiEEZNS1_14transform_implILb0ES3_S5_N6thrust23THRUST_200600_302600_NS6detail15normal_iteratorINS8_7pointerIdNS8_11hip_rocprim5par_tENS8_11use_defaultESE_EEEENSA_INSB_IiSD_SE_SE_EEEEZNS1_13binary_searchIS3_S5_PdSG_SI_NS1_16binary_search_opENS9_16wrapped_functionINS8_6system6detail7generic6detail18binary_search_lessEbEEEE10hipError_tPvRmT1_T2_T3_mmT4_T5_P12ihipStream_tbEUlRKdE_EEST_SX_SY_mSZ_S12_bEUlT_E_NS1_11comp_targetILNS1_3genE8ELNS1_11target_archE1030ELNS1_3gpuE2ELNS1_3repE0EEENS1_30default_config_static_selectorELNS0_4arch9wavefront6targetE0EEEvSW_.uses_vcc, 1
	.set _ZN7rocprim17ROCPRIM_400000_NS6detail17trampoline_kernelINS0_14default_configENS1_29binary_search_config_selectorIdiEEZNS1_14transform_implILb0ES3_S5_N6thrust23THRUST_200600_302600_NS6detail15normal_iteratorINS8_7pointerIdNS8_11hip_rocprim5par_tENS8_11use_defaultESE_EEEENSA_INSB_IiSD_SE_SE_EEEEZNS1_13binary_searchIS3_S5_PdSG_SI_NS1_16binary_search_opENS9_16wrapped_functionINS8_6system6detail7generic6detail18binary_search_lessEbEEEE10hipError_tPvRmT1_T2_T3_mmT4_T5_P12ihipStream_tbEUlRKdE_EEST_SX_SY_mSZ_S12_bEUlT_E_NS1_11comp_targetILNS1_3genE8ELNS1_11target_archE1030ELNS1_3gpuE2ELNS1_3repE0EEENS1_30default_config_static_selectorELNS0_4arch9wavefront6targetE0EEEvSW_.uses_flat_scratch, 0
	.set _ZN7rocprim17ROCPRIM_400000_NS6detail17trampoline_kernelINS0_14default_configENS1_29binary_search_config_selectorIdiEEZNS1_14transform_implILb0ES3_S5_N6thrust23THRUST_200600_302600_NS6detail15normal_iteratorINS8_7pointerIdNS8_11hip_rocprim5par_tENS8_11use_defaultESE_EEEENSA_INSB_IiSD_SE_SE_EEEEZNS1_13binary_searchIS3_S5_PdSG_SI_NS1_16binary_search_opENS9_16wrapped_functionINS8_6system6detail7generic6detail18binary_search_lessEbEEEE10hipError_tPvRmT1_T2_T3_mmT4_T5_P12ihipStream_tbEUlRKdE_EEST_SX_SY_mSZ_S12_bEUlT_E_NS1_11comp_targetILNS1_3genE8ELNS1_11target_archE1030ELNS1_3gpuE2ELNS1_3repE0EEENS1_30default_config_static_selectorELNS0_4arch9wavefront6targetE0EEEvSW_.has_dyn_sized_stack, 0
	.set _ZN7rocprim17ROCPRIM_400000_NS6detail17trampoline_kernelINS0_14default_configENS1_29binary_search_config_selectorIdiEEZNS1_14transform_implILb0ES3_S5_N6thrust23THRUST_200600_302600_NS6detail15normal_iteratorINS8_7pointerIdNS8_11hip_rocprim5par_tENS8_11use_defaultESE_EEEENSA_INSB_IiSD_SE_SE_EEEEZNS1_13binary_searchIS3_S5_PdSG_SI_NS1_16binary_search_opENS9_16wrapped_functionINS8_6system6detail7generic6detail18binary_search_lessEbEEEE10hipError_tPvRmT1_T2_T3_mmT4_T5_P12ihipStream_tbEUlRKdE_EEST_SX_SY_mSZ_S12_bEUlT_E_NS1_11comp_targetILNS1_3genE8ELNS1_11target_archE1030ELNS1_3gpuE2ELNS1_3repE0EEENS1_30default_config_static_selectorELNS0_4arch9wavefront6targetE0EEEvSW_.has_recursion, 0
	.set _ZN7rocprim17ROCPRIM_400000_NS6detail17trampoline_kernelINS0_14default_configENS1_29binary_search_config_selectorIdiEEZNS1_14transform_implILb0ES3_S5_N6thrust23THRUST_200600_302600_NS6detail15normal_iteratorINS8_7pointerIdNS8_11hip_rocprim5par_tENS8_11use_defaultESE_EEEENSA_INSB_IiSD_SE_SE_EEEEZNS1_13binary_searchIS3_S5_PdSG_SI_NS1_16binary_search_opENS9_16wrapped_functionINS8_6system6detail7generic6detail18binary_search_lessEbEEEE10hipError_tPvRmT1_T2_T3_mmT4_T5_P12ihipStream_tbEUlRKdE_EEST_SX_SY_mSZ_S12_bEUlT_E_NS1_11comp_targetILNS1_3genE8ELNS1_11target_archE1030ELNS1_3gpuE2ELNS1_3repE0EEENS1_30default_config_static_selectorELNS0_4arch9wavefront6targetE0EEEvSW_.has_indirect_call, 0
	.section	.AMDGPU.csdata,"",@progbits
; Kernel info:
; codeLenInByte = 864
; TotalNumSgprs: 22
; NumVgprs: 12
; ScratchSize: 0
; MemoryBound: 0
; FloatMode: 240
; IeeeMode: 1
; LDSByteSize: 0 bytes/workgroup (compile time only)
; SGPRBlocks: 0
; VGPRBlocks: 1
; NumSGPRsForWavesPerEU: 22
; NumVGPRsForWavesPerEU: 12
; Occupancy: 16
; WaveLimiterHint : 0
; COMPUTE_PGM_RSRC2:SCRATCH_EN: 0
; COMPUTE_PGM_RSRC2:USER_SGPR: 6
; COMPUTE_PGM_RSRC2:TRAP_HANDLER: 0
; COMPUTE_PGM_RSRC2:TGID_X_EN: 1
; COMPUTE_PGM_RSRC2:TGID_Y_EN: 0
; COMPUTE_PGM_RSRC2:TGID_Z_EN: 0
; COMPUTE_PGM_RSRC2:TIDIG_COMP_CNT: 0
	.section	.text._Z20binary_search_kernelIfEvmPT_Pb,"axG",@progbits,_Z20binary_search_kernelIfEvmPT_Pb,comdat
	.protected	_Z20binary_search_kernelIfEvmPT_Pb ; -- Begin function _Z20binary_search_kernelIfEvmPT_Pb
	.globl	_Z20binary_search_kernelIfEvmPT_Pb
	.p2align	8
	.type	_Z20binary_search_kernelIfEvmPT_Pb,@function
_Z20binary_search_kernelIfEvmPT_Pb:     ; @_Z20binary_search_kernelIfEvmPT_Pb
; %bb.0:
	s_clause 0x1
	s_load_dwordx4 s[8:11], s[4:5], 0x0
	s_load_dwordx2 s[2:3], s[4:5], 0x10
	s_waitcnt lgkmcnt(0)
	s_lshl_b64 s[0:1], s[8:9], 2
	s_add_u32 s0, s10, s0
	s_addc_u32 s1, s11, s1
	s_sub_u32 s0, s0, s10
	s_subb_u32 s1, s1, s11
	s_ashr_i64 s[4:5], s[0:1], 2
	v_cmp_lt_i64_e64 s0, s[4:5], 1
	s_and_b32 vcc_lo, exec_lo, s0
	s_mov_b64 s[0:1], 0
	s_cbranch_vccnz .LBB252_3
; %bb.1:
	s_mov_b64 s[6:7], s[4:5]
	.p2align	6
.LBB252_2:                              ; =>This Inner Loop Header: Depth=1
	s_sub_u32 s12, s6, s0
	s_subb_u32 s13, s7, s1
	s_lshr_b64 s[12:13], s[12:13], 1
	s_add_u32 s12, s12, s0
	s_addc_u32 s13, s13, s1
	s_lshl_b64 s[14:15], s[12:13], 2
	s_add_u32 s14, s10, s14
	s_addc_u32 s15, s11, s15
	s_load_dword s14, s[14:15], 0x0
	s_add_u32 s15, s12, 1
	s_addc_u32 s16, s13, 0
	s_waitcnt lgkmcnt(0)
	v_cmp_lt_f32_e64 s14, s14, 0
	s_and_b32 s14, s14, exec_lo
	s_cselect_b32 s1, s16, s1
	s_cselect_b32 s0, s15, s0
	;; [unrolled: 1-line block ×4, first 2 shown]
	v_cmp_lt_i64_e64 s12, s[0:1], s[6:7]
	s_and_b32 vcc_lo, exec_lo, s12
	s_cbranch_vccnz .LBB252_2
.LBB252_3:
	v_cmp_gt_i64_e64 s6, s[4:5], 0
	s_cmp_eq_u64 s[0:1], s[8:9]
	s_mov_b32 s7, 0
	s_cbranch_scc1 .LBB252_5
; %bb.4:
	s_lshl_b64 s[0:1], s[0:1], 2
	s_add_u32 s0, s10, s0
	s_addc_u32 s1, s11, s1
	s_load_dword s0, s[0:1], 0x0
	s_waitcnt lgkmcnt(0)
	v_cmp_ngt_f32_e64 s7, s0, 0
.LBB252_5:
	v_cndmask_b32_e64 v0, 0, 1, s6
	v_cndmask_b32_e64 v1, 0, 1, s7
	s_andn2_b32 vcc_lo, exec_lo, s6
	s_mov_b64 s[6:7], 0
	v_cmp_ne_u32_e64 s0, 1, v0
	v_mov_b32_e32 v0, 0
	global_store_byte v0, v1, s[2:3]
	s_cbranch_vccnz .LBB252_8
; %bb.6:
	s_mov_b64 s[12:13], s[4:5]
	.p2align	6
.LBB252_7:                              ; =>This Inner Loop Header: Depth=1
	s_sub_u32 s14, s12, s6
	s_subb_u32 s15, s13, s7
	s_lshr_b64 s[14:15], s[14:15], 1
	s_add_u32 s14, s14, s6
	s_addc_u32 s15, s15, s7
	s_lshl_b64 s[16:17], s[14:15], 2
	s_add_u32 s16, s10, s16
	s_addc_u32 s17, s11, s17
	s_load_dword s1, s[16:17], 0x0
	s_add_u32 s16, s14, 1
	s_addc_u32 s17, s15, 0
	s_waitcnt lgkmcnt(0)
	v_cmp_lt_f32_e64 s1, s1, 1.0
	s_and_b32 s1, s1, exec_lo
	s_cselect_b32 s7, s17, s7
	s_cselect_b32 s6, s16, s6
	;; [unrolled: 1-line block ×4, first 2 shown]
	v_cmp_lt_i64_e64 s1, s[6:7], s[12:13]
	s_and_b32 vcc_lo, exec_lo, s1
	s_cbranch_vccnz .LBB252_7
.LBB252_8:
	s_cmp_eq_u64 s[6:7], s[8:9]
	s_mov_b32 s1, 0
	s_cbranch_scc1 .LBB252_10
; %bb.9:
	s_lshl_b64 s[6:7], s[6:7], 2
	s_add_u32 s6, s10, s6
	s_addc_u32 s7, s11, s7
	s_load_dword s1, s[6:7], 0x0
	s_waitcnt lgkmcnt(0)
	v_cmp_ngt_f32_e64 s1, s1, 1.0
.LBB252_10:
	v_mov_b32_e32 v0, 0
	v_cndmask_b32_e64 v1, 0, 1, s1
	s_and_b32 vcc_lo, exec_lo, s0
	s_mov_b64 s[6:7], 0
	global_store_byte v0, v1, s[2:3] offset:1
	s_cbranch_vccnz .LBB252_13
; %bb.11:
	s_mov_b64 s[12:13], s[4:5]
	.p2align	6
.LBB252_12:                             ; =>This Inner Loop Header: Depth=1
	s_sub_u32 s14, s12, s6
	s_subb_u32 s15, s13, s7
	s_lshr_b64 s[14:15], s[14:15], 1
	s_add_u32 s14, s14, s6
	s_addc_u32 s15, s15, s7
	s_lshl_b64 s[16:17], s[14:15], 2
	s_add_u32 s16, s10, s16
	s_addc_u32 s17, s11, s17
	s_load_dword s1, s[16:17], 0x0
	s_add_u32 s16, s14, 1
	s_addc_u32 s17, s15, 0
	s_waitcnt lgkmcnt(0)
	v_cmp_lt_f32_e64 s1, s1, 2.0
	s_and_b32 s1, s1, exec_lo
	s_cselect_b32 s7, s17, s7
	s_cselect_b32 s6, s16, s6
	;; [unrolled: 1-line block ×4, first 2 shown]
	v_cmp_lt_i64_e64 s1, s[6:7], s[12:13]
	s_and_b32 vcc_lo, exec_lo, s1
	s_cbranch_vccnz .LBB252_12
.LBB252_13:
	s_cmp_eq_u64 s[6:7], s[8:9]
	s_mov_b32 s1, 0
	s_cbranch_scc1 .LBB252_15
; %bb.14:
	s_lshl_b64 s[6:7], s[6:7], 2
	s_add_u32 s6, s10, s6
	s_addc_u32 s7, s11, s7
	s_load_dword s1, s[6:7], 0x0
	s_waitcnt lgkmcnt(0)
	v_cmp_ngt_f32_e64 s1, s1, 2.0
.LBB252_15:
	v_mov_b32_e32 v0, 0
	v_cndmask_b32_e64 v1, 0, 1, s1
	s_and_b32 vcc_lo, exec_lo, s0
	s_mov_b64 s[6:7], 0
	global_store_byte v0, v1, s[2:3] offset:2
	s_cbranch_vccnz .LBB252_18
; %bb.16:
	s_mov_b64 s[12:13], s[4:5]
	.p2align	6
.LBB252_17:                             ; =>This Inner Loop Header: Depth=1
	s_sub_u32 s14, s12, s6
	s_subb_u32 s15, s13, s7
	s_lshr_b64 s[14:15], s[14:15], 1
	s_add_u32 s14, s14, s6
	s_addc_u32 s15, s15, s7
	s_lshl_b64 s[16:17], s[14:15], 2
	s_add_u32 s16, s10, s16
	s_addc_u32 s17, s11, s17
	s_load_dword s1, s[16:17], 0x0
	s_add_u32 s16, s14, 1
	s_addc_u32 s17, s15, 0
	s_waitcnt lgkmcnt(0)
	v_cmp_gt_f32_e64 s1, 0x40400000, s1
	s_and_b32 s1, s1, exec_lo
	s_cselect_b32 s7, s17, s7
	s_cselect_b32 s6, s16, s6
	;; [unrolled: 1-line block ×4, first 2 shown]
	v_cmp_lt_i64_e64 s1, s[6:7], s[12:13]
	s_and_b32 vcc_lo, exec_lo, s1
	s_cbranch_vccnz .LBB252_17
.LBB252_18:
	s_cmp_eq_u64 s[6:7], s[8:9]
	s_mov_b32 s1, 0
	s_cbranch_scc1 .LBB252_20
; %bb.19:
	s_lshl_b64 s[6:7], s[6:7], 2
	s_add_u32 s6, s10, s6
	s_addc_u32 s7, s11, s7
	s_load_dword s1, s[6:7], 0x0
	s_waitcnt lgkmcnt(0)
	v_cmp_nlt_f32_e64 s1, 0x40400000, s1
.LBB252_20:
	v_mov_b32_e32 v0, 0
	v_cndmask_b32_e64 v1, 0, 1, s1
	s_and_b32 vcc_lo, exec_lo, s0
	s_mov_b64 s[6:7], 0
	global_store_byte v0, v1, s[2:3] offset:3
	s_cbranch_vccnz .LBB252_23
; %bb.21:
	s_mov_b64 s[12:13], s[4:5]
	.p2align	6
.LBB252_22:                             ; =>This Inner Loop Header: Depth=1
	s_sub_u32 s14, s12, s6
	s_subb_u32 s15, s13, s7
	s_lshr_b64 s[14:15], s[14:15], 1
	s_add_u32 s14, s14, s6
	s_addc_u32 s15, s15, s7
	s_lshl_b64 s[16:17], s[14:15], 2
	s_add_u32 s16, s10, s16
	s_addc_u32 s17, s11, s17
	s_load_dword s1, s[16:17], 0x0
	s_add_u32 s16, s14, 1
	s_addc_u32 s17, s15, 0
	s_waitcnt lgkmcnt(0)
	v_cmp_lt_f32_e64 s1, s1, 4.0
	s_and_b32 s1, s1, exec_lo
	s_cselect_b32 s7, s17, s7
	s_cselect_b32 s6, s16, s6
	;; [unrolled: 1-line block ×4, first 2 shown]
	v_cmp_lt_i64_e64 s1, s[6:7], s[12:13]
	s_and_b32 vcc_lo, exec_lo, s1
	s_cbranch_vccnz .LBB252_22
.LBB252_23:
	s_cmp_eq_u64 s[6:7], s[8:9]
	s_mov_b32 s1, 0
	s_cbranch_scc1 .LBB252_25
; %bb.24:
	s_lshl_b64 s[6:7], s[6:7], 2
	s_add_u32 s6, s10, s6
	s_addc_u32 s7, s11, s7
	s_load_dword s1, s[6:7], 0x0
	s_waitcnt lgkmcnt(0)
	v_cmp_ngt_f32_e64 s1, s1, 4.0
.LBB252_25:
	v_mov_b32_e32 v0, 0
	v_cndmask_b32_e64 v1, 0, 1, s1
	s_and_b32 vcc_lo, exec_lo, s0
	s_mov_b64 s[6:7], 0
	global_store_byte v0, v1, s[2:3] offset:4
	s_cbranch_vccnz .LBB252_28
; %bb.26:
	s_mov_b64 s[12:13], s[4:5]
	.p2align	6
.LBB252_27:                             ; =>This Inner Loop Header: Depth=1
	s_sub_u32 s14, s12, s6
	s_subb_u32 s15, s13, s7
	s_lshr_b64 s[14:15], s[14:15], 1
	s_add_u32 s14, s14, s6
	s_addc_u32 s15, s15, s7
	s_lshl_b64 s[16:17], s[14:15], 2
	s_add_u32 s16, s10, s16
	s_addc_u32 s17, s11, s17
	s_load_dword s1, s[16:17], 0x0
	s_add_u32 s16, s14, 1
	s_addc_u32 s17, s15, 0
	s_waitcnt lgkmcnt(0)
	v_cmp_gt_f32_e64 s1, 0x40a00000, s1
	s_and_b32 s1, s1, exec_lo
	s_cselect_b32 s7, s17, s7
	s_cselect_b32 s6, s16, s6
	;; [unrolled: 1-line block ×4, first 2 shown]
	v_cmp_lt_i64_e64 s1, s[6:7], s[12:13]
	s_and_b32 vcc_lo, exec_lo, s1
	s_cbranch_vccnz .LBB252_27
.LBB252_28:
	s_cmp_eq_u64 s[6:7], s[8:9]
	s_mov_b32 s1, 0
	s_cbranch_scc1 .LBB252_30
; %bb.29:
	s_lshl_b64 s[6:7], s[6:7], 2
	s_add_u32 s6, s10, s6
	s_addc_u32 s7, s11, s7
	s_load_dword s1, s[6:7], 0x0
	s_waitcnt lgkmcnt(0)
	v_cmp_nlt_f32_e64 s1, 0x40a00000, s1
.LBB252_30:
	v_mov_b32_e32 v0, 0
	v_cndmask_b32_e64 v1, 0, 1, s1
	s_and_b32 vcc_lo, exec_lo, s0
	s_mov_b64 s[6:7], 0
	global_store_byte v0, v1, s[2:3] offset:5
	s_cbranch_vccnz .LBB252_33
; %bb.31:
	s_mov_b64 s[12:13], s[4:5]
	.p2align	6
.LBB252_32:                             ; =>This Inner Loop Header: Depth=1
	s_sub_u32 s14, s12, s6
	s_subb_u32 s15, s13, s7
	s_lshr_b64 s[14:15], s[14:15], 1
	s_add_u32 s14, s14, s6
	s_addc_u32 s15, s15, s7
	s_lshl_b64 s[16:17], s[14:15], 2
	s_add_u32 s16, s10, s16
	s_addc_u32 s17, s11, s17
	s_load_dword s1, s[16:17], 0x0
	s_add_u32 s16, s14, 1
	s_addc_u32 s17, s15, 0
	s_waitcnt lgkmcnt(0)
	v_cmp_gt_f32_e64 s1, 0x40c00000, s1
	s_and_b32 s1, s1, exec_lo
	s_cselect_b32 s7, s17, s7
	s_cselect_b32 s6, s16, s6
	;; [unrolled: 1-line block ×4, first 2 shown]
	v_cmp_lt_i64_e64 s1, s[6:7], s[12:13]
	s_and_b32 vcc_lo, exec_lo, s1
	s_cbranch_vccnz .LBB252_32
.LBB252_33:
	s_cmp_eq_u64 s[6:7], s[8:9]
	s_mov_b32 s1, 0
	s_cbranch_scc1 .LBB252_35
; %bb.34:
	s_lshl_b64 s[6:7], s[6:7], 2
	s_add_u32 s6, s10, s6
	s_addc_u32 s7, s11, s7
	s_load_dword s1, s[6:7], 0x0
	s_waitcnt lgkmcnt(0)
	v_cmp_nlt_f32_e64 s1, 0x40c00000, s1
.LBB252_35:
	v_mov_b32_e32 v0, 0
	v_cndmask_b32_e64 v1, 0, 1, s1
	s_and_b32 vcc_lo, exec_lo, s0
	s_mov_b64 s[6:7], 0
	global_store_byte v0, v1, s[2:3] offset:6
	s_cbranch_vccnz .LBB252_38
; %bb.36:
	s_mov_b64 s[12:13], s[4:5]
	.p2align	6
.LBB252_37:                             ; =>This Inner Loop Header: Depth=1
	s_sub_u32 s14, s12, s6
	s_subb_u32 s15, s13, s7
	s_lshr_b64 s[14:15], s[14:15], 1
	s_add_u32 s14, s14, s6
	s_addc_u32 s15, s15, s7
	s_lshl_b64 s[16:17], s[14:15], 2
	s_add_u32 s16, s10, s16
	s_addc_u32 s17, s11, s17
	s_load_dword s1, s[16:17], 0x0
	s_add_u32 s16, s14, 1
	s_addc_u32 s17, s15, 0
	s_waitcnt lgkmcnt(0)
	v_cmp_gt_f32_e64 s1, 0x40e00000, s1
	s_and_b32 s1, s1, exec_lo
	s_cselect_b32 s7, s17, s7
	s_cselect_b32 s6, s16, s6
	;; [unrolled: 1-line block ×4, first 2 shown]
	v_cmp_lt_i64_e64 s1, s[6:7], s[12:13]
	s_and_b32 vcc_lo, exec_lo, s1
	s_cbranch_vccnz .LBB252_37
.LBB252_38:
	s_cmp_eq_u64 s[6:7], s[8:9]
	s_mov_b32 s1, 0
	s_cbranch_scc1 .LBB252_40
; %bb.39:
	s_lshl_b64 s[6:7], s[6:7], 2
	s_add_u32 s6, s10, s6
	s_addc_u32 s7, s11, s7
	s_load_dword s1, s[6:7], 0x0
	s_waitcnt lgkmcnt(0)
	v_cmp_nlt_f32_e64 s1, 0x40e00000, s1
.LBB252_40:
	v_mov_b32_e32 v0, 0
	v_cndmask_b32_e64 v1, 0, 1, s1
	s_and_b32 vcc_lo, exec_lo, s0
	s_mov_b64 s[6:7], 0
	global_store_byte v0, v1, s[2:3] offset:7
	s_cbranch_vccnz .LBB252_43
; %bb.41:
	s_mov_b64 s[12:13], s[4:5]
	.p2align	6
.LBB252_42:                             ; =>This Inner Loop Header: Depth=1
	s_sub_u32 s14, s12, s6
	s_subb_u32 s15, s13, s7
	s_lshr_b64 s[14:15], s[14:15], 1
	s_add_u32 s14, s14, s6
	s_addc_u32 s15, s15, s7
	s_lshl_b64 s[16:17], s[14:15], 2
	s_add_u32 s16, s10, s16
	s_addc_u32 s17, s11, s17
	s_load_dword s1, s[16:17], 0x0
	s_add_u32 s16, s14, 1
	s_addc_u32 s17, s15, 0
	s_waitcnt lgkmcnt(0)
	v_cmp_gt_f32_e64 s1, 0x41000000, s1
	s_and_b32 s1, s1, exec_lo
	s_cselect_b32 s7, s17, s7
	s_cselect_b32 s6, s16, s6
	;; [unrolled: 1-line block ×4, first 2 shown]
	v_cmp_lt_i64_e64 s1, s[6:7], s[12:13]
	s_and_b32 vcc_lo, exec_lo, s1
	s_cbranch_vccnz .LBB252_42
.LBB252_43:
	s_cmp_eq_u64 s[6:7], s[8:9]
	s_mov_b32 s1, 0
	s_cbranch_scc1 .LBB252_45
; %bb.44:
	s_lshl_b64 s[6:7], s[6:7], 2
	s_add_u32 s6, s10, s6
	s_addc_u32 s7, s11, s7
	s_load_dword s1, s[6:7], 0x0
	s_waitcnt lgkmcnt(0)
	v_cmp_nlt_f32_e64 s1, 0x41000000, s1
.LBB252_45:
	v_mov_b32_e32 v0, 0
	v_cndmask_b32_e64 v1, 0, 1, s1
	s_and_b32 vcc_lo, exec_lo, s0
	s_mov_b64 s[0:1], 0
	global_store_byte v0, v1, s[2:3] offset:8
	s_cbranch_vccnz .LBB252_47
	.p2align	6
.LBB252_46:                             ; =>This Inner Loop Header: Depth=1
	s_sub_u32 s6, s4, s0
	s_subb_u32 s7, s5, s1
	s_lshr_b64 s[6:7], s[6:7], 1
	s_add_u32 s6, s6, s0
	s_addc_u32 s7, s7, s1
	s_lshl_b64 s[12:13], s[6:7], 2
	s_add_u32 s12, s10, s12
	s_addc_u32 s13, s11, s13
	s_load_dword s12, s[12:13], 0x0
	s_add_u32 s13, s6, 1
	s_addc_u32 s14, s7, 0
	s_waitcnt lgkmcnt(0)
	v_cmp_gt_f32_e64 s12, 0x41100000, s12
	s_and_b32 s12, s12, exec_lo
	s_cselect_b32 s1, s14, s1
	s_cselect_b32 s0, s13, s0
	;; [unrolled: 1-line block ×4, first 2 shown]
	v_cmp_lt_i64_e64 s6, s[0:1], s[4:5]
	s_and_b32 vcc_lo, exec_lo, s6
	s_cbranch_vccnz .LBB252_46
.LBB252_47:
	s_cmp_eq_u64 s[0:1], s[8:9]
	s_mov_b32 s4, 0
	s_cbranch_scc1 .LBB252_49
; %bb.48:
	s_lshl_b64 s[0:1], s[0:1], 2
	s_add_u32 s0, s10, s0
	s_addc_u32 s1, s11, s1
	s_load_dword s0, s[0:1], 0x0
	s_waitcnt lgkmcnt(0)
	v_cmp_nlt_f32_e64 s4, 0x41100000, s0
.LBB252_49:
	v_mov_b32_e32 v0, 0
	v_cndmask_b32_e64 v1, 0, 1, s4
	global_store_byte v0, v1, s[2:3] offset:9
	s_endpgm
	.section	.rodata,"a",@progbits
	.p2align	6, 0x0
	.amdhsa_kernel _Z20binary_search_kernelIfEvmPT_Pb
		.amdhsa_group_segment_fixed_size 0
		.amdhsa_private_segment_fixed_size 0
		.amdhsa_kernarg_size 24
		.amdhsa_user_sgpr_count 6
		.amdhsa_user_sgpr_private_segment_buffer 1
		.amdhsa_user_sgpr_dispatch_ptr 0
		.amdhsa_user_sgpr_queue_ptr 0
		.amdhsa_user_sgpr_kernarg_segment_ptr 1
		.amdhsa_user_sgpr_dispatch_id 0
		.amdhsa_user_sgpr_flat_scratch_init 0
		.amdhsa_user_sgpr_private_segment_size 0
		.amdhsa_wavefront_size32 1
		.amdhsa_uses_dynamic_stack 0
		.amdhsa_system_sgpr_private_segment_wavefront_offset 0
		.amdhsa_system_sgpr_workgroup_id_x 1
		.amdhsa_system_sgpr_workgroup_id_y 0
		.amdhsa_system_sgpr_workgroup_id_z 0
		.amdhsa_system_sgpr_workgroup_info 0
		.amdhsa_system_vgpr_workitem_id 0
		.amdhsa_next_free_vgpr 2
		.amdhsa_next_free_sgpr 18
		.amdhsa_reserve_vcc 1
		.amdhsa_reserve_flat_scratch 0
		.amdhsa_float_round_mode_32 0
		.amdhsa_float_round_mode_16_64 0
		.amdhsa_float_denorm_mode_32 3
		.amdhsa_float_denorm_mode_16_64 3
		.amdhsa_dx10_clamp 1
		.amdhsa_ieee_mode 1
		.amdhsa_fp16_overflow 0
		.amdhsa_workgroup_processor_mode 1
		.amdhsa_memory_ordered 1
		.amdhsa_forward_progress 1
		.amdhsa_shared_vgpr_count 0
		.amdhsa_exception_fp_ieee_invalid_op 0
		.amdhsa_exception_fp_denorm_src 0
		.amdhsa_exception_fp_ieee_div_zero 0
		.amdhsa_exception_fp_ieee_overflow 0
		.amdhsa_exception_fp_ieee_underflow 0
		.amdhsa_exception_fp_ieee_inexact 0
		.amdhsa_exception_int_div_zero 0
	.end_amdhsa_kernel
	.section	.text._Z20binary_search_kernelIfEvmPT_Pb,"axG",@progbits,_Z20binary_search_kernelIfEvmPT_Pb,comdat
.Lfunc_end252:
	.size	_Z20binary_search_kernelIfEvmPT_Pb, .Lfunc_end252-_Z20binary_search_kernelIfEvmPT_Pb
                                        ; -- End function
	.set _Z20binary_search_kernelIfEvmPT_Pb.num_vgpr, 2
	.set _Z20binary_search_kernelIfEvmPT_Pb.num_agpr, 0
	.set _Z20binary_search_kernelIfEvmPT_Pb.numbered_sgpr, 18
	.set _Z20binary_search_kernelIfEvmPT_Pb.num_named_barrier, 0
	.set _Z20binary_search_kernelIfEvmPT_Pb.private_seg_size, 0
	.set _Z20binary_search_kernelIfEvmPT_Pb.uses_vcc, 1
	.set _Z20binary_search_kernelIfEvmPT_Pb.uses_flat_scratch, 0
	.set _Z20binary_search_kernelIfEvmPT_Pb.has_dyn_sized_stack, 0
	.set _Z20binary_search_kernelIfEvmPT_Pb.has_recursion, 0
	.set _Z20binary_search_kernelIfEvmPT_Pb.has_indirect_call, 0
	.section	.AMDGPU.csdata,"",@progbits
; Kernel info:
; codeLenInByte = 2092
; TotalNumSgprs: 20
; NumVgprs: 2
; ScratchSize: 0
; MemoryBound: 0
; FloatMode: 240
; IeeeMode: 1
; LDSByteSize: 0 bytes/workgroup (compile time only)
; SGPRBlocks: 0
; VGPRBlocks: 0
; NumSGPRsForWavesPerEU: 20
; NumVGPRsForWavesPerEU: 2
; Occupancy: 16
; WaveLimiterHint : 0
; COMPUTE_PGM_RSRC2:SCRATCH_EN: 0
; COMPUTE_PGM_RSRC2:USER_SGPR: 6
; COMPUTE_PGM_RSRC2:TRAP_HANDLER: 0
; COMPUTE_PGM_RSRC2:TGID_X_EN: 1
; COMPUTE_PGM_RSRC2:TGID_Y_EN: 0
; COMPUTE_PGM_RSRC2:TGID_Z_EN: 0
; COMPUTE_PGM_RSRC2:TIDIG_COMP_CNT: 0
	.section	.text._ZN7rocprim17ROCPRIM_400000_NS6detail17trampoline_kernelINS0_14default_configENS1_29binary_search_config_selectorIfiEEZNS1_14transform_implILb0ES3_S5_N6thrust23THRUST_200600_302600_NS6detail15normal_iteratorINS8_7pointerIfNS8_11hip_rocprim5par_tENS8_11use_defaultESE_EEEENSA_INSB_IiSD_SE_SE_EEEEZNS1_13binary_searchIS3_S5_PfSG_SI_NS1_16binary_search_opENS9_16wrapped_functionINS8_6system6detail7generic6detail18binary_search_lessEbEEEE10hipError_tPvRmT1_T2_T3_mmT4_T5_P12ihipStream_tbEUlRKfE_EEST_SX_SY_mSZ_S12_bEUlT_E_NS1_11comp_targetILNS1_3genE0ELNS1_11target_archE4294967295ELNS1_3gpuE0ELNS1_3repE0EEENS1_30default_config_static_selectorELNS0_4arch9wavefront6targetE0EEEvSW_,"axG",@progbits,_ZN7rocprim17ROCPRIM_400000_NS6detail17trampoline_kernelINS0_14default_configENS1_29binary_search_config_selectorIfiEEZNS1_14transform_implILb0ES3_S5_N6thrust23THRUST_200600_302600_NS6detail15normal_iteratorINS8_7pointerIfNS8_11hip_rocprim5par_tENS8_11use_defaultESE_EEEENSA_INSB_IiSD_SE_SE_EEEEZNS1_13binary_searchIS3_S5_PfSG_SI_NS1_16binary_search_opENS9_16wrapped_functionINS8_6system6detail7generic6detail18binary_search_lessEbEEEE10hipError_tPvRmT1_T2_T3_mmT4_T5_P12ihipStream_tbEUlRKfE_EEST_SX_SY_mSZ_S12_bEUlT_E_NS1_11comp_targetILNS1_3genE0ELNS1_11target_archE4294967295ELNS1_3gpuE0ELNS1_3repE0EEENS1_30default_config_static_selectorELNS0_4arch9wavefront6targetE0EEEvSW_,comdat
	.protected	_ZN7rocprim17ROCPRIM_400000_NS6detail17trampoline_kernelINS0_14default_configENS1_29binary_search_config_selectorIfiEEZNS1_14transform_implILb0ES3_S5_N6thrust23THRUST_200600_302600_NS6detail15normal_iteratorINS8_7pointerIfNS8_11hip_rocprim5par_tENS8_11use_defaultESE_EEEENSA_INSB_IiSD_SE_SE_EEEEZNS1_13binary_searchIS3_S5_PfSG_SI_NS1_16binary_search_opENS9_16wrapped_functionINS8_6system6detail7generic6detail18binary_search_lessEbEEEE10hipError_tPvRmT1_T2_T3_mmT4_T5_P12ihipStream_tbEUlRKfE_EEST_SX_SY_mSZ_S12_bEUlT_E_NS1_11comp_targetILNS1_3genE0ELNS1_11target_archE4294967295ELNS1_3gpuE0ELNS1_3repE0EEENS1_30default_config_static_selectorELNS0_4arch9wavefront6targetE0EEEvSW_ ; -- Begin function _ZN7rocprim17ROCPRIM_400000_NS6detail17trampoline_kernelINS0_14default_configENS1_29binary_search_config_selectorIfiEEZNS1_14transform_implILb0ES3_S5_N6thrust23THRUST_200600_302600_NS6detail15normal_iteratorINS8_7pointerIfNS8_11hip_rocprim5par_tENS8_11use_defaultESE_EEEENSA_INSB_IiSD_SE_SE_EEEEZNS1_13binary_searchIS3_S5_PfSG_SI_NS1_16binary_search_opENS9_16wrapped_functionINS8_6system6detail7generic6detail18binary_search_lessEbEEEE10hipError_tPvRmT1_T2_T3_mmT4_T5_P12ihipStream_tbEUlRKfE_EEST_SX_SY_mSZ_S12_bEUlT_E_NS1_11comp_targetILNS1_3genE0ELNS1_11target_archE4294967295ELNS1_3gpuE0ELNS1_3repE0EEENS1_30default_config_static_selectorELNS0_4arch9wavefront6targetE0EEEvSW_
	.globl	_ZN7rocprim17ROCPRIM_400000_NS6detail17trampoline_kernelINS0_14default_configENS1_29binary_search_config_selectorIfiEEZNS1_14transform_implILb0ES3_S5_N6thrust23THRUST_200600_302600_NS6detail15normal_iteratorINS8_7pointerIfNS8_11hip_rocprim5par_tENS8_11use_defaultESE_EEEENSA_INSB_IiSD_SE_SE_EEEEZNS1_13binary_searchIS3_S5_PfSG_SI_NS1_16binary_search_opENS9_16wrapped_functionINS8_6system6detail7generic6detail18binary_search_lessEbEEEE10hipError_tPvRmT1_T2_T3_mmT4_T5_P12ihipStream_tbEUlRKfE_EEST_SX_SY_mSZ_S12_bEUlT_E_NS1_11comp_targetILNS1_3genE0ELNS1_11target_archE4294967295ELNS1_3gpuE0ELNS1_3repE0EEENS1_30default_config_static_selectorELNS0_4arch9wavefront6targetE0EEEvSW_
	.p2align	8
	.type	_ZN7rocprim17ROCPRIM_400000_NS6detail17trampoline_kernelINS0_14default_configENS1_29binary_search_config_selectorIfiEEZNS1_14transform_implILb0ES3_S5_N6thrust23THRUST_200600_302600_NS6detail15normal_iteratorINS8_7pointerIfNS8_11hip_rocprim5par_tENS8_11use_defaultESE_EEEENSA_INSB_IiSD_SE_SE_EEEEZNS1_13binary_searchIS3_S5_PfSG_SI_NS1_16binary_search_opENS9_16wrapped_functionINS8_6system6detail7generic6detail18binary_search_lessEbEEEE10hipError_tPvRmT1_T2_T3_mmT4_T5_P12ihipStream_tbEUlRKfE_EEST_SX_SY_mSZ_S12_bEUlT_E_NS1_11comp_targetILNS1_3genE0ELNS1_11target_archE4294967295ELNS1_3gpuE0ELNS1_3repE0EEENS1_30default_config_static_selectorELNS0_4arch9wavefront6targetE0EEEvSW_,@function
_ZN7rocprim17ROCPRIM_400000_NS6detail17trampoline_kernelINS0_14default_configENS1_29binary_search_config_selectorIfiEEZNS1_14transform_implILb0ES3_S5_N6thrust23THRUST_200600_302600_NS6detail15normal_iteratorINS8_7pointerIfNS8_11hip_rocprim5par_tENS8_11use_defaultESE_EEEENSA_INSB_IiSD_SE_SE_EEEEZNS1_13binary_searchIS3_S5_PfSG_SI_NS1_16binary_search_opENS9_16wrapped_functionINS8_6system6detail7generic6detail18binary_search_lessEbEEEE10hipError_tPvRmT1_T2_T3_mmT4_T5_P12ihipStream_tbEUlRKfE_EEST_SX_SY_mSZ_S12_bEUlT_E_NS1_11comp_targetILNS1_3genE0ELNS1_11target_archE4294967295ELNS1_3gpuE0ELNS1_3repE0EEENS1_30default_config_static_selectorELNS0_4arch9wavefront6targetE0EEEvSW_: ; @_ZN7rocprim17ROCPRIM_400000_NS6detail17trampoline_kernelINS0_14default_configENS1_29binary_search_config_selectorIfiEEZNS1_14transform_implILb0ES3_S5_N6thrust23THRUST_200600_302600_NS6detail15normal_iteratorINS8_7pointerIfNS8_11hip_rocprim5par_tENS8_11use_defaultESE_EEEENSA_INSB_IiSD_SE_SE_EEEEZNS1_13binary_searchIS3_S5_PfSG_SI_NS1_16binary_search_opENS9_16wrapped_functionINS8_6system6detail7generic6detail18binary_search_lessEbEEEE10hipError_tPvRmT1_T2_T3_mmT4_T5_P12ihipStream_tbEUlRKfE_EEST_SX_SY_mSZ_S12_bEUlT_E_NS1_11comp_targetILNS1_3genE0ELNS1_11target_archE4294967295ELNS1_3gpuE0ELNS1_3repE0EEENS1_30default_config_static_selectorELNS0_4arch9wavefront6targetE0EEEvSW_
; %bb.0:
	.section	.rodata,"a",@progbits
	.p2align	6, 0x0
	.amdhsa_kernel _ZN7rocprim17ROCPRIM_400000_NS6detail17trampoline_kernelINS0_14default_configENS1_29binary_search_config_selectorIfiEEZNS1_14transform_implILb0ES3_S5_N6thrust23THRUST_200600_302600_NS6detail15normal_iteratorINS8_7pointerIfNS8_11hip_rocprim5par_tENS8_11use_defaultESE_EEEENSA_INSB_IiSD_SE_SE_EEEEZNS1_13binary_searchIS3_S5_PfSG_SI_NS1_16binary_search_opENS9_16wrapped_functionINS8_6system6detail7generic6detail18binary_search_lessEbEEEE10hipError_tPvRmT1_T2_T3_mmT4_T5_P12ihipStream_tbEUlRKfE_EEST_SX_SY_mSZ_S12_bEUlT_E_NS1_11comp_targetILNS1_3genE0ELNS1_11target_archE4294967295ELNS1_3gpuE0ELNS1_3repE0EEENS1_30default_config_static_selectorELNS0_4arch9wavefront6targetE0EEEvSW_
		.amdhsa_group_segment_fixed_size 0
		.amdhsa_private_segment_fixed_size 0
		.amdhsa_kernarg_size 56
		.amdhsa_user_sgpr_count 6
		.amdhsa_user_sgpr_private_segment_buffer 1
		.amdhsa_user_sgpr_dispatch_ptr 0
		.amdhsa_user_sgpr_queue_ptr 0
		.amdhsa_user_sgpr_kernarg_segment_ptr 1
		.amdhsa_user_sgpr_dispatch_id 0
		.amdhsa_user_sgpr_flat_scratch_init 0
		.amdhsa_user_sgpr_private_segment_size 0
		.amdhsa_wavefront_size32 1
		.amdhsa_uses_dynamic_stack 0
		.amdhsa_system_sgpr_private_segment_wavefront_offset 0
		.amdhsa_system_sgpr_workgroup_id_x 1
		.amdhsa_system_sgpr_workgroup_id_y 0
		.amdhsa_system_sgpr_workgroup_id_z 0
		.amdhsa_system_sgpr_workgroup_info 0
		.amdhsa_system_vgpr_workitem_id 0
		.amdhsa_next_free_vgpr 1
		.amdhsa_next_free_sgpr 1
		.amdhsa_reserve_vcc 0
		.amdhsa_reserve_flat_scratch 0
		.amdhsa_float_round_mode_32 0
		.amdhsa_float_round_mode_16_64 0
		.amdhsa_float_denorm_mode_32 3
		.amdhsa_float_denorm_mode_16_64 3
		.amdhsa_dx10_clamp 1
		.amdhsa_ieee_mode 1
		.amdhsa_fp16_overflow 0
		.amdhsa_workgroup_processor_mode 1
		.amdhsa_memory_ordered 1
		.amdhsa_forward_progress 1
		.amdhsa_shared_vgpr_count 0
		.amdhsa_exception_fp_ieee_invalid_op 0
		.amdhsa_exception_fp_denorm_src 0
		.amdhsa_exception_fp_ieee_div_zero 0
		.amdhsa_exception_fp_ieee_overflow 0
		.amdhsa_exception_fp_ieee_underflow 0
		.amdhsa_exception_fp_ieee_inexact 0
		.amdhsa_exception_int_div_zero 0
	.end_amdhsa_kernel
	.section	.text._ZN7rocprim17ROCPRIM_400000_NS6detail17trampoline_kernelINS0_14default_configENS1_29binary_search_config_selectorIfiEEZNS1_14transform_implILb0ES3_S5_N6thrust23THRUST_200600_302600_NS6detail15normal_iteratorINS8_7pointerIfNS8_11hip_rocprim5par_tENS8_11use_defaultESE_EEEENSA_INSB_IiSD_SE_SE_EEEEZNS1_13binary_searchIS3_S5_PfSG_SI_NS1_16binary_search_opENS9_16wrapped_functionINS8_6system6detail7generic6detail18binary_search_lessEbEEEE10hipError_tPvRmT1_T2_T3_mmT4_T5_P12ihipStream_tbEUlRKfE_EEST_SX_SY_mSZ_S12_bEUlT_E_NS1_11comp_targetILNS1_3genE0ELNS1_11target_archE4294967295ELNS1_3gpuE0ELNS1_3repE0EEENS1_30default_config_static_selectorELNS0_4arch9wavefront6targetE0EEEvSW_,"axG",@progbits,_ZN7rocprim17ROCPRIM_400000_NS6detail17trampoline_kernelINS0_14default_configENS1_29binary_search_config_selectorIfiEEZNS1_14transform_implILb0ES3_S5_N6thrust23THRUST_200600_302600_NS6detail15normal_iteratorINS8_7pointerIfNS8_11hip_rocprim5par_tENS8_11use_defaultESE_EEEENSA_INSB_IiSD_SE_SE_EEEEZNS1_13binary_searchIS3_S5_PfSG_SI_NS1_16binary_search_opENS9_16wrapped_functionINS8_6system6detail7generic6detail18binary_search_lessEbEEEE10hipError_tPvRmT1_T2_T3_mmT4_T5_P12ihipStream_tbEUlRKfE_EEST_SX_SY_mSZ_S12_bEUlT_E_NS1_11comp_targetILNS1_3genE0ELNS1_11target_archE4294967295ELNS1_3gpuE0ELNS1_3repE0EEENS1_30default_config_static_selectorELNS0_4arch9wavefront6targetE0EEEvSW_,comdat
.Lfunc_end253:
	.size	_ZN7rocprim17ROCPRIM_400000_NS6detail17trampoline_kernelINS0_14default_configENS1_29binary_search_config_selectorIfiEEZNS1_14transform_implILb0ES3_S5_N6thrust23THRUST_200600_302600_NS6detail15normal_iteratorINS8_7pointerIfNS8_11hip_rocprim5par_tENS8_11use_defaultESE_EEEENSA_INSB_IiSD_SE_SE_EEEEZNS1_13binary_searchIS3_S5_PfSG_SI_NS1_16binary_search_opENS9_16wrapped_functionINS8_6system6detail7generic6detail18binary_search_lessEbEEEE10hipError_tPvRmT1_T2_T3_mmT4_T5_P12ihipStream_tbEUlRKfE_EEST_SX_SY_mSZ_S12_bEUlT_E_NS1_11comp_targetILNS1_3genE0ELNS1_11target_archE4294967295ELNS1_3gpuE0ELNS1_3repE0EEENS1_30default_config_static_selectorELNS0_4arch9wavefront6targetE0EEEvSW_, .Lfunc_end253-_ZN7rocprim17ROCPRIM_400000_NS6detail17trampoline_kernelINS0_14default_configENS1_29binary_search_config_selectorIfiEEZNS1_14transform_implILb0ES3_S5_N6thrust23THRUST_200600_302600_NS6detail15normal_iteratorINS8_7pointerIfNS8_11hip_rocprim5par_tENS8_11use_defaultESE_EEEENSA_INSB_IiSD_SE_SE_EEEEZNS1_13binary_searchIS3_S5_PfSG_SI_NS1_16binary_search_opENS9_16wrapped_functionINS8_6system6detail7generic6detail18binary_search_lessEbEEEE10hipError_tPvRmT1_T2_T3_mmT4_T5_P12ihipStream_tbEUlRKfE_EEST_SX_SY_mSZ_S12_bEUlT_E_NS1_11comp_targetILNS1_3genE0ELNS1_11target_archE4294967295ELNS1_3gpuE0ELNS1_3repE0EEENS1_30default_config_static_selectorELNS0_4arch9wavefront6targetE0EEEvSW_
                                        ; -- End function
	.set _ZN7rocprim17ROCPRIM_400000_NS6detail17trampoline_kernelINS0_14default_configENS1_29binary_search_config_selectorIfiEEZNS1_14transform_implILb0ES3_S5_N6thrust23THRUST_200600_302600_NS6detail15normal_iteratorINS8_7pointerIfNS8_11hip_rocprim5par_tENS8_11use_defaultESE_EEEENSA_INSB_IiSD_SE_SE_EEEEZNS1_13binary_searchIS3_S5_PfSG_SI_NS1_16binary_search_opENS9_16wrapped_functionINS8_6system6detail7generic6detail18binary_search_lessEbEEEE10hipError_tPvRmT1_T2_T3_mmT4_T5_P12ihipStream_tbEUlRKfE_EEST_SX_SY_mSZ_S12_bEUlT_E_NS1_11comp_targetILNS1_3genE0ELNS1_11target_archE4294967295ELNS1_3gpuE0ELNS1_3repE0EEENS1_30default_config_static_selectorELNS0_4arch9wavefront6targetE0EEEvSW_.num_vgpr, 0
	.set _ZN7rocprim17ROCPRIM_400000_NS6detail17trampoline_kernelINS0_14default_configENS1_29binary_search_config_selectorIfiEEZNS1_14transform_implILb0ES3_S5_N6thrust23THRUST_200600_302600_NS6detail15normal_iteratorINS8_7pointerIfNS8_11hip_rocprim5par_tENS8_11use_defaultESE_EEEENSA_INSB_IiSD_SE_SE_EEEEZNS1_13binary_searchIS3_S5_PfSG_SI_NS1_16binary_search_opENS9_16wrapped_functionINS8_6system6detail7generic6detail18binary_search_lessEbEEEE10hipError_tPvRmT1_T2_T3_mmT4_T5_P12ihipStream_tbEUlRKfE_EEST_SX_SY_mSZ_S12_bEUlT_E_NS1_11comp_targetILNS1_3genE0ELNS1_11target_archE4294967295ELNS1_3gpuE0ELNS1_3repE0EEENS1_30default_config_static_selectorELNS0_4arch9wavefront6targetE0EEEvSW_.num_agpr, 0
	.set _ZN7rocprim17ROCPRIM_400000_NS6detail17trampoline_kernelINS0_14default_configENS1_29binary_search_config_selectorIfiEEZNS1_14transform_implILb0ES3_S5_N6thrust23THRUST_200600_302600_NS6detail15normal_iteratorINS8_7pointerIfNS8_11hip_rocprim5par_tENS8_11use_defaultESE_EEEENSA_INSB_IiSD_SE_SE_EEEEZNS1_13binary_searchIS3_S5_PfSG_SI_NS1_16binary_search_opENS9_16wrapped_functionINS8_6system6detail7generic6detail18binary_search_lessEbEEEE10hipError_tPvRmT1_T2_T3_mmT4_T5_P12ihipStream_tbEUlRKfE_EEST_SX_SY_mSZ_S12_bEUlT_E_NS1_11comp_targetILNS1_3genE0ELNS1_11target_archE4294967295ELNS1_3gpuE0ELNS1_3repE0EEENS1_30default_config_static_selectorELNS0_4arch9wavefront6targetE0EEEvSW_.numbered_sgpr, 0
	.set _ZN7rocprim17ROCPRIM_400000_NS6detail17trampoline_kernelINS0_14default_configENS1_29binary_search_config_selectorIfiEEZNS1_14transform_implILb0ES3_S5_N6thrust23THRUST_200600_302600_NS6detail15normal_iteratorINS8_7pointerIfNS8_11hip_rocprim5par_tENS8_11use_defaultESE_EEEENSA_INSB_IiSD_SE_SE_EEEEZNS1_13binary_searchIS3_S5_PfSG_SI_NS1_16binary_search_opENS9_16wrapped_functionINS8_6system6detail7generic6detail18binary_search_lessEbEEEE10hipError_tPvRmT1_T2_T3_mmT4_T5_P12ihipStream_tbEUlRKfE_EEST_SX_SY_mSZ_S12_bEUlT_E_NS1_11comp_targetILNS1_3genE0ELNS1_11target_archE4294967295ELNS1_3gpuE0ELNS1_3repE0EEENS1_30default_config_static_selectorELNS0_4arch9wavefront6targetE0EEEvSW_.num_named_barrier, 0
	.set _ZN7rocprim17ROCPRIM_400000_NS6detail17trampoline_kernelINS0_14default_configENS1_29binary_search_config_selectorIfiEEZNS1_14transform_implILb0ES3_S5_N6thrust23THRUST_200600_302600_NS6detail15normal_iteratorINS8_7pointerIfNS8_11hip_rocprim5par_tENS8_11use_defaultESE_EEEENSA_INSB_IiSD_SE_SE_EEEEZNS1_13binary_searchIS3_S5_PfSG_SI_NS1_16binary_search_opENS9_16wrapped_functionINS8_6system6detail7generic6detail18binary_search_lessEbEEEE10hipError_tPvRmT1_T2_T3_mmT4_T5_P12ihipStream_tbEUlRKfE_EEST_SX_SY_mSZ_S12_bEUlT_E_NS1_11comp_targetILNS1_3genE0ELNS1_11target_archE4294967295ELNS1_3gpuE0ELNS1_3repE0EEENS1_30default_config_static_selectorELNS0_4arch9wavefront6targetE0EEEvSW_.private_seg_size, 0
	.set _ZN7rocprim17ROCPRIM_400000_NS6detail17trampoline_kernelINS0_14default_configENS1_29binary_search_config_selectorIfiEEZNS1_14transform_implILb0ES3_S5_N6thrust23THRUST_200600_302600_NS6detail15normal_iteratorINS8_7pointerIfNS8_11hip_rocprim5par_tENS8_11use_defaultESE_EEEENSA_INSB_IiSD_SE_SE_EEEEZNS1_13binary_searchIS3_S5_PfSG_SI_NS1_16binary_search_opENS9_16wrapped_functionINS8_6system6detail7generic6detail18binary_search_lessEbEEEE10hipError_tPvRmT1_T2_T3_mmT4_T5_P12ihipStream_tbEUlRKfE_EEST_SX_SY_mSZ_S12_bEUlT_E_NS1_11comp_targetILNS1_3genE0ELNS1_11target_archE4294967295ELNS1_3gpuE0ELNS1_3repE0EEENS1_30default_config_static_selectorELNS0_4arch9wavefront6targetE0EEEvSW_.uses_vcc, 0
	.set _ZN7rocprim17ROCPRIM_400000_NS6detail17trampoline_kernelINS0_14default_configENS1_29binary_search_config_selectorIfiEEZNS1_14transform_implILb0ES3_S5_N6thrust23THRUST_200600_302600_NS6detail15normal_iteratorINS8_7pointerIfNS8_11hip_rocprim5par_tENS8_11use_defaultESE_EEEENSA_INSB_IiSD_SE_SE_EEEEZNS1_13binary_searchIS3_S5_PfSG_SI_NS1_16binary_search_opENS9_16wrapped_functionINS8_6system6detail7generic6detail18binary_search_lessEbEEEE10hipError_tPvRmT1_T2_T3_mmT4_T5_P12ihipStream_tbEUlRKfE_EEST_SX_SY_mSZ_S12_bEUlT_E_NS1_11comp_targetILNS1_3genE0ELNS1_11target_archE4294967295ELNS1_3gpuE0ELNS1_3repE0EEENS1_30default_config_static_selectorELNS0_4arch9wavefront6targetE0EEEvSW_.uses_flat_scratch, 0
	.set _ZN7rocprim17ROCPRIM_400000_NS6detail17trampoline_kernelINS0_14default_configENS1_29binary_search_config_selectorIfiEEZNS1_14transform_implILb0ES3_S5_N6thrust23THRUST_200600_302600_NS6detail15normal_iteratorINS8_7pointerIfNS8_11hip_rocprim5par_tENS8_11use_defaultESE_EEEENSA_INSB_IiSD_SE_SE_EEEEZNS1_13binary_searchIS3_S5_PfSG_SI_NS1_16binary_search_opENS9_16wrapped_functionINS8_6system6detail7generic6detail18binary_search_lessEbEEEE10hipError_tPvRmT1_T2_T3_mmT4_T5_P12ihipStream_tbEUlRKfE_EEST_SX_SY_mSZ_S12_bEUlT_E_NS1_11comp_targetILNS1_3genE0ELNS1_11target_archE4294967295ELNS1_3gpuE0ELNS1_3repE0EEENS1_30default_config_static_selectorELNS0_4arch9wavefront6targetE0EEEvSW_.has_dyn_sized_stack, 0
	.set _ZN7rocprim17ROCPRIM_400000_NS6detail17trampoline_kernelINS0_14default_configENS1_29binary_search_config_selectorIfiEEZNS1_14transform_implILb0ES3_S5_N6thrust23THRUST_200600_302600_NS6detail15normal_iteratorINS8_7pointerIfNS8_11hip_rocprim5par_tENS8_11use_defaultESE_EEEENSA_INSB_IiSD_SE_SE_EEEEZNS1_13binary_searchIS3_S5_PfSG_SI_NS1_16binary_search_opENS9_16wrapped_functionINS8_6system6detail7generic6detail18binary_search_lessEbEEEE10hipError_tPvRmT1_T2_T3_mmT4_T5_P12ihipStream_tbEUlRKfE_EEST_SX_SY_mSZ_S12_bEUlT_E_NS1_11comp_targetILNS1_3genE0ELNS1_11target_archE4294967295ELNS1_3gpuE0ELNS1_3repE0EEENS1_30default_config_static_selectorELNS0_4arch9wavefront6targetE0EEEvSW_.has_recursion, 0
	.set _ZN7rocprim17ROCPRIM_400000_NS6detail17trampoline_kernelINS0_14default_configENS1_29binary_search_config_selectorIfiEEZNS1_14transform_implILb0ES3_S5_N6thrust23THRUST_200600_302600_NS6detail15normal_iteratorINS8_7pointerIfNS8_11hip_rocprim5par_tENS8_11use_defaultESE_EEEENSA_INSB_IiSD_SE_SE_EEEEZNS1_13binary_searchIS3_S5_PfSG_SI_NS1_16binary_search_opENS9_16wrapped_functionINS8_6system6detail7generic6detail18binary_search_lessEbEEEE10hipError_tPvRmT1_T2_T3_mmT4_T5_P12ihipStream_tbEUlRKfE_EEST_SX_SY_mSZ_S12_bEUlT_E_NS1_11comp_targetILNS1_3genE0ELNS1_11target_archE4294967295ELNS1_3gpuE0ELNS1_3repE0EEENS1_30default_config_static_selectorELNS0_4arch9wavefront6targetE0EEEvSW_.has_indirect_call, 0
	.section	.AMDGPU.csdata,"",@progbits
; Kernel info:
; codeLenInByte = 0
; TotalNumSgprs: 0
; NumVgprs: 0
; ScratchSize: 0
; MemoryBound: 0
; FloatMode: 240
; IeeeMode: 1
; LDSByteSize: 0 bytes/workgroup (compile time only)
; SGPRBlocks: 0
; VGPRBlocks: 0
; NumSGPRsForWavesPerEU: 1
; NumVGPRsForWavesPerEU: 1
; Occupancy: 16
; WaveLimiterHint : 0
; COMPUTE_PGM_RSRC2:SCRATCH_EN: 0
; COMPUTE_PGM_RSRC2:USER_SGPR: 6
; COMPUTE_PGM_RSRC2:TRAP_HANDLER: 0
; COMPUTE_PGM_RSRC2:TGID_X_EN: 1
; COMPUTE_PGM_RSRC2:TGID_Y_EN: 0
; COMPUTE_PGM_RSRC2:TGID_Z_EN: 0
; COMPUTE_PGM_RSRC2:TIDIG_COMP_CNT: 0
	.section	.text._ZN7rocprim17ROCPRIM_400000_NS6detail17trampoline_kernelINS0_14default_configENS1_29binary_search_config_selectorIfiEEZNS1_14transform_implILb0ES3_S5_N6thrust23THRUST_200600_302600_NS6detail15normal_iteratorINS8_7pointerIfNS8_11hip_rocprim5par_tENS8_11use_defaultESE_EEEENSA_INSB_IiSD_SE_SE_EEEEZNS1_13binary_searchIS3_S5_PfSG_SI_NS1_16binary_search_opENS9_16wrapped_functionINS8_6system6detail7generic6detail18binary_search_lessEbEEEE10hipError_tPvRmT1_T2_T3_mmT4_T5_P12ihipStream_tbEUlRKfE_EEST_SX_SY_mSZ_S12_bEUlT_E_NS1_11comp_targetILNS1_3genE5ELNS1_11target_archE942ELNS1_3gpuE9ELNS1_3repE0EEENS1_30default_config_static_selectorELNS0_4arch9wavefront6targetE0EEEvSW_,"axG",@progbits,_ZN7rocprim17ROCPRIM_400000_NS6detail17trampoline_kernelINS0_14default_configENS1_29binary_search_config_selectorIfiEEZNS1_14transform_implILb0ES3_S5_N6thrust23THRUST_200600_302600_NS6detail15normal_iteratorINS8_7pointerIfNS8_11hip_rocprim5par_tENS8_11use_defaultESE_EEEENSA_INSB_IiSD_SE_SE_EEEEZNS1_13binary_searchIS3_S5_PfSG_SI_NS1_16binary_search_opENS9_16wrapped_functionINS8_6system6detail7generic6detail18binary_search_lessEbEEEE10hipError_tPvRmT1_T2_T3_mmT4_T5_P12ihipStream_tbEUlRKfE_EEST_SX_SY_mSZ_S12_bEUlT_E_NS1_11comp_targetILNS1_3genE5ELNS1_11target_archE942ELNS1_3gpuE9ELNS1_3repE0EEENS1_30default_config_static_selectorELNS0_4arch9wavefront6targetE0EEEvSW_,comdat
	.protected	_ZN7rocprim17ROCPRIM_400000_NS6detail17trampoline_kernelINS0_14default_configENS1_29binary_search_config_selectorIfiEEZNS1_14transform_implILb0ES3_S5_N6thrust23THRUST_200600_302600_NS6detail15normal_iteratorINS8_7pointerIfNS8_11hip_rocprim5par_tENS8_11use_defaultESE_EEEENSA_INSB_IiSD_SE_SE_EEEEZNS1_13binary_searchIS3_S5_PfSG_SI_NS1_16binary_search_opENS9_16wrapped_functionINS8_6system6detail7generic6detail18binary_search_lessEbEEEE10hipError_tPvRmT1_T2_T3_mmT4_T5_P12ihipStream_tbEUlRKfE_EEST_SX_SY_mSZ_S12_bEUlT_E_NS1_11comp_targetILNS1_3genE5ELNS1_11target_archE942ELNS1_3gpuE9ELNS1_3repE0EEENS1_30default_config_static_selectorELNS0_4arch9wavefront6targetE0EEEvSW_ ; -- Begin function _ZN7rocprim17ROCPRIM_400000_NS6detail17trampoline_kernelINS0_14default_configENS1_29binary_search_config_selectorIfiEEZNS1_14transform_implILb0ES3_S5_N6thrust23THRUST_200600_302600_NS6detail15normal_iteratorINS8_7pointerIfNS8_11hip_rocprim5par_tENS8_11use_defaultESE_EEEENSA_INSB_IiSD_SE_SE_EEEEZNS1_13binary_searchIS3_S5_PfSG_SI_NS1_16binary_search_opENS9_16wrapped_functionINS8_6system6detail7generic6detail18binary_search_lessEbEEEE10hipError_tPvRmT1_T2_T3_mmT4_T5_P12ihipStream_tbEUlRKfE_EEST_SX_SY_mSZ_S12_bEUlT_E_NS1_11comp_targetILNS1_3genE5ELNS1_11target_archE942ELNS1_3gpuE9ELNS1_3repE0EEENS1_30default_config_static_selectorELNS0_4arch9wavefront6targetE0EEEvSW_
	.globl	_ZN7rocprim17ROCPRIM_400000_NS6detail17trampoline_kernelINS0_14default_configENS1_29binary_search_config_selectorIfiEEZNS1_14transform_implILb0ES3_S5_N6thrust23THRUST_200600_302600_NS6detail15normal_iteratorINS8_7pointerIfNS8_11hip_rocprim5par_tENS8_11use_defaultESE_EEEENSA_INSB_IiSD_SE_SE_EEEEZNS1_13binary_searchIS3_S5_PfSG_SI_NS1_16binary_search_opENS9_16wrapped_functionINS8_6system6detail7generic6detail18binary_search_lessEbEEEE10hipError_tPvRmT1_T2_T3_mmT4_T5_P12ihipStream_tbEUlRKfE_EEST_SX_SY_mSZ_S12_bEUlT_E_NS1_11comp_targetILNS1_3genE5ELNS1_11target_archE942ELNS1_3gpuE9ELNS1_3repE0EEENS1_30default_config_static_selectorELNS0_4arch9wavefront6targetE0EEEvSW_
	.p2align	8
	.type	_ZN7rocprim17ROCPRIM_400000_NS6detail17trampoline_kernelINS0_14default_configENS1_29binary_search_config_selectorIfiEEZNS1_14transform_implILb0ES3_S5_N6thrust23THRUST_200600_302600_NS6detail15normal_iteratorINS8_7pointerIfNS8_11hip_rocprim5par_tENS8_11use_defaultESE_EEEENSA_INSB_IiSD_SE_SE_EEEEZNS1_13binary_searchIS3_S5_PfSG_SI_NS1_16binary_search_opENS9_16wrapped_functionINS8_6system6detail7generic6detail18binary_search_lessEbEEEE10hipError_tPvRmT1_T2_T3_mmT4_T5_P12ihipStream_tbEUlRKfE_EEST_SX_SY_mSZ_S12_bEUlT_E_NS1_11comp_targetILNS1_3genE5ELNS1_11target_archE942ELNS1_3gpuE9ELNS1_3repE0EEENS1_30default_config_static_selectorELNS0_4arch9wavefront6targetE0EEEvSW_,@function
_ZN7rocprim17ROCPRIM_400000_NS6detail17trampoline_kernelINS0_14default_configENS1_29binary_search_config_selectorIfiEEZNS1_14transform_implILb0ES3_S5_N6thrust23THRUST_200600_302600_NS6detail15normal_iteratorINS8_7pointerIfNS8_11hip_rocprim5par_tENS8_11use_defaultESE_EEEENSA_INSB_IiSD_SE_SE_EEEEZNS1_13binary_searchIS3_S5_PfSG_SI_NS1_16binary_search_opENS9_16wrapped_functionINS8_6system6detail7generic6detail18binary_search_lessEbEEEE10hipError_tPvRmT1_T2_T3_mmT4_T5_P12ihipStream_tbEUlRKfE_EEST_SX_SY_mSZ_S12_bEUlT_E_NS1_11comp_targetILNS1_3genE5ELNS1_11target_archE942ELNS1_3gpuE9ELNS1_3repE0EEENS1_30default_config_static_selectorELNS0_4arch9wavefront6targetE0EEEvSW_: ; @_ZN7rocprim17ROCPRIM_400000_NS6detail17trampoline_kernelINS0_14default_configENS1_29binary_search_config_selectorIfiEEZNS1_14transform_implILb0ES3_S5_N6thrust23THRUST_200600_302600_NS6detail15normal_iteratorINS8_7pointerIfNS8_11hip_rocprim5par_tENS8_11use_defaultESE_EEEENSA_INSB_IiSD_SE_SE_EEEEZNS1_13binary_searchIS3_S5_PfSG_SI_NS1_16binary_search_opENS9_16wrapped_functionINS8_6system6detail7generic6detail18binary_search_lessEbEEEE10hipError_tPvRmT1_T2_T3_mmT4_T5_P12ihipStream_tbEUlRKfE_EEST_SX_SY_mSZ_S12_bEUlT_E_NS1_11comp_targetILNS1_3genE5ELNS1_11target_archE942ELNS1_3gpuE9ELNS1_3repE0EEENS1_30default_config_static_selectorELNS0_4arch9wavefront6targetE0EEEvSW_
; %bb.0:
	.section	.rodata,"a",@progbits
	.p2align	6, 0x0
	.amdhsa_kernel _ZN7rocprim17ROCPRIM_400000_NS6detail17trampoline_kernelINS0_14default_configENS1_29binary_search_config_selectorIfiEEZNS1_14transform_implILb0ES3_S5_N6thrust23THRUST_200600_302600_NS6detail15normal_iteratorINS8_7pointerIfNS8_11hip_rocprim5par_tENS8_11use_defaultESE_EEEENSA_INSB_IiSD_SE_SE_EEEEZNS1_13binary_searchIS3_S5_PfSG_SI_NS1_16binary_search_opENS9_16wrapped_functionINS8_6system6detail7generic6detail18binary_search_lessEbEEEE10hipError_tPvRmT1_T2_T3_mmT4_T5_P12ihipStream_tbEUlRKfE_EEST_SX_SY_mSZ_S12_bEUlT_E_NS1_11comp_targetILNS1_3genE5ELNS1_11target_archE942ELNS1_3gpuE9ELNS1_3repE0EEENS1_30default_config_static_selectorELNS0_4arch9wavefront6targetE0EEEvSW_
		.amdhsa_group_segment_fixed_size 0
		.amdhsa_private_segment_fixed_size 0
		.amdhsa_kernarg_size 56
		.amdhsa_user_sgpr_count 6
		.amdhsa_user_sgpr_private_segment_buffer 1
		.amdhsa_user_sgpr_dispatch_ptr 0
		.amdhsa_user_sgpr_queue_ptr 0
		.amdhsa_user_sgpr_kernarg_segment_ptr 1
		.amdhsa_user_sgpr_dispatch_id 0
		.amdhsa_user_sgpr_flat_scratch_init 0
		.amdhsa_user_sgpr_private_segment_size 0
		.amdhsa_wavefront_size32 1
		.amdhsa_uses_dynamic_stack 0
		.amdhsa_system_sgpr_private_segment_wavefront_offset 0
		.amdhsa_system_sgpr_workgroup_id_x 1
		.amdhsa_system_sgpr_workgroup_id_y 0
		.amdhsa_system_sgpr_workgroup_id_z 0
		.amdhsa_system_sgpr_workgroup_info 0
		.amdhsa_system_vgpr_workitem_id 0
		.amdhsa_next_free_vgpr 1
		.amdhsa_next_free_sgpr 1
		.amdhsa_reserve_vcc 0
		.amdhsa_reserve_flat_scratch 0
		.amdhsa_float_round_mode_32 0
		.amdhsa_float_round_mode_16_64 0
		.amdhsa_float_denorm_mode_32 3
		.amdhsa_float_denorm_mode_16_64 3
		.amdhsa_dx10_clamp 1
		.amdhsa_ieee_mode 1
		.amdhsa_fp16_overflow 0
		.amdhsa_workgroup_processor_mode 1
		.amdhsa_memory_ordered 1
		.amdhsa_forward_progress 1
		.amdhsa_shared_vgpr_count 0
		.amdhsa_exception_fp_ieee_invalid_op 0
		.amdhsa_exception_fp_denorm_src 0
		.amdhsa_exception_fp_ieee_div_zero 0
		.amdhsa_exception_fp_ieee_overflow 0
		.amdhsa_exception_fp_ieee_underflow 0
		.amdhsa_exception_fp_ieee_inexact 0
		.amdhsa_exception_int_div_zero 0
	.end_amdhsa_kernel
	.section	.text._ZN7rocprim17ROCPRIM_400000_NS6detail17trampoline_kernelINS0_14default_configENS1_29binary_search_config_selectorIfiEEZNS1_14transform_implILb0ES3_S5_N6thrust23THRUST_200600_302600_NS6detail15normal_iteratorINS8_7pointerIfNS8_11hip_rocprim5par_tENS8_11use_defaultESE_EEEENSA_INSB_IiSD_SE_SE_EEEEZNS1_13binary_searchIS3_S5_PfSG_SI_NS1_16binary_search_opENS9_16wrapped_functionINS8_6system6detail7generic6detail18binary_search_lessEbEEEE10hipError_tPvRmT1_T2_T3_mmT4_T5_P12ihipStream_tbEUlRKfE_EEST_SX_SY_mSZ_S12_bEUlT_E_NS1_11comp_targetILNS1_3genE5ELNS1_11target_archE942ELNS1_3gpuE9ELNS1_3repE0EEENS1_30default_config_static_selectorELNS0_4arch9wavefront6targetE0EEEvSW_,"axG",@progbits,_ZN7rocprim17ROCPRIM_400000_NS6detail17trampoline_kernelINS0_14default_configENS1_29binary_search_config_selectorIfiEEZNS1_14transform_implILb0ES3_S5_N6thrust23THRUST_200600_302600_NS6detail15normal_iteratorINS8_7pointerIfNS8_11hip_rocprim5par_tENS8_11use_defaultESE_EEEENSA_INSB_IiSD_SE_SE_EEEEZNS1_13binary_searchIS3_S5_PfSG_SI_NS1_16binary_search_opENS9_16wrapped_functionINS8_6system6detail7generic6detail18binary_search_lessEbEEEE10hipError_tPvRmT1_T2_T3_mmT4_T5_P12ihipStream_tbEUlRKfE_EEST_SX_SY_mSZ_S12_bEUlT_E_NS1_11comp_targetILNS1_3genE5ELNS1_11target_archE942ELNS1_3gpuE9ELNS1_3repE0EEENS1_30default_config_static_selectorELNS0_4arch9wavefront6targetE0EEEvSW_,comdat
.Lfunc_end254:
	.size	_ZN7rocprim17ROCPRIM_400000_NS6detail17trampoline_kernelINS0_14default_configENS1_29binary_search_config_selectorIfiEEZNS1_14transform_implILb0ES3_S5_N6thrust23THRUST_200600_302600_NS6detail15normal_iteratorINS8_7pointerIfNS8_11hip_rocprim5par_tENS8_11use_defaultESE_EEEENSA_INSB_IiSD_SE_SE_EEEEZNS1_13binary_searchIS3_S5_PfSG_SI_NS1_16binary_search_opENS9_16wrapped_functionINS8_6system6detail7generic6detail18binary_search_lessEbEEEE10hipError_tPvRmT1_T2_T3_mmT4_T5_P12ihipStream_tbEUlRKfE_EEST_SX_SY_mSZ_S12_bEUlT_E_NS1_11comp_targetILNS1_3genE5ELNS1_11target_archE942ELNS1_3gpuE9ELNS1_3repE0EEENS1_30default_config_static_selectorELNS0_4arch9wavefront6targetE0EEEvSW_, .Lfunc_end254-_ZN7rocprim17ROCPRIM_400000_NS6detail17trampoline_kernelINS0_14default_configENS1_29binary_search_config_selectorIfiEEZNS1_14transform_implILb0ES3_S5_N6thrust23THRUST_200600_302600_NS6detail15normal_iteratorINS8_7pointerIfNS8_11hip_rocprim5par_tENS8_11use_defaultESE_EEEENSA_INSB_IiSD_SE_SE_EEEEZNS1_13binary_searchIS3_S5_PfSG_SI_NS1_16binary_search_opENS9_16wrapped_functionINS8_6system6detail7generic6detail18binary_search_lessEbEEEE10hipError_tPvRmT1_T2_T3_mmT4_T5_P12ihipStream_tbEUlRKfE_EEST_SX_SY_mSZ_S12_bEUlT_E_NS1_11comp_targetILNS1_3genE5ELNS1_11target_archE942ELNS1_3gpuE9ELNS1_3repE0EEENS1_30default_config_static_selectorELNS0_4arch9wavefront6targetE0EEEvSW_
                                        ; -- End function
	.set _ZN7rocprim17ROCPRIM_400000_NS6detail17trampoline_kernelINS0_14default_configENS1_29binary_search_config_selectorIfiEEZNS1_14transform_implILb0ES3_S5_N6thrust23THRUST_200600_302600_NS6detail15normal_iteratorINS8_7pointerIfNS8_11hip_rocprim5par_tENS8_11use_defaultESE_EEEENSA_INSB_IiSD_SE_SE_EEEEZNS1_13binary_searchIS3_S5_PfSG_SI_NS1_16binary_search_opENS9_16wrapped_functionINS8_6system6detail7generic6detail18binary_search_lessEbEEEE10hipError_tPvRmT1_T2_T3_mmT4_T5_P12ihipStream_tbEUlRKfE_EEST_SX_SY_mSZ_S12_bEUlT_E_NS1_11comp_targetILNS1_3genE5ELNS1_11target_archE942ELNS1_3gpuE9ELNS1_3repE0EEENS1_30default_config_static_selectorELNS0_4arch9wavefront6targetE0EEEvSW_.num_vgpr, 0
	.set _ZN7rocprim17ROCPRIM_400000_NS6detail17trampoline_kernelINS0_14default_configENS1_29binary_search_config_selectorIfiEEZNS1_14transform_implILb0ES3_S5_N6thrust23THRUST_200600_302600_NS6detail15normal_iteratorINS8_7pointerIfNS8_11hip_rocprim5par_tENS8_11use_defaultESE_EEEENSA_INSB_IiSD_SE_SE_EEEEZNS1_13binary_searchIS3_S5_PfSG_SI_NS1_16binary_search_opENS9_16wrapped_functionINS8_6system6detail7generic6detail18binary_search_lessEbEEEE10hipError_tPvRmT1_T2_T3_mmT4_T5_P12ihipStream_tbEUlRKfE_EEST_SX_SY_mSZ_S12_bEUlT_E_NS1_11comp_targetILNS1_3genE5ELNS1_11target_archE942ELNS1_3gpuE9ELNS1_3repE0EEENS1_30default_config_static_selectorELNS0_4arch9wavefront6targetE0EEEvSW_.num_agpr, 0
	.set _ZN7rocprim17ROCPRIM_400000_NS6detail17trampoline_kernelINS0_14default_configENS1_29binary_search_config_selectorIfiEEZNS1_14transform_implILb0ES3_S5_N6thrust23THRUST_200600_302600_NS6detail15normal_iteratorINS8_7pointerIfNS8_11hip_rocprim5par_tENS8_11use_defaultESE_EEEENSA_INSB_IiSD_SE_SE_EEEEZNS1_13binary_searchIS3_S5_PfSG_SI_NS1_16binary_search_opENS9_16wrapped_functionINS8_6system6detail7generic6detail18binary_search_lessEbEEEE10hipError_tPvRmT1_T2_T3_mmT4_T5_P12ihipStream_tbEUlRKfE_EEST_SX_SY_mSZ_S12_bEUlT_E_NS1_11comp_targetILNS1_3genE5ELNS1_11target_archE942ELNS1_3gpuE9ELNS1_3repE0EEENS1_30default_config_static_selectorELNS0_4arch9wavefront6targetE0EEEvSW_.numbered_sgpr, 0
	.set _ZN7rocprim17ROCPRIM_400000_NS6detail17trampoline_kernelINS0_14default_configENS1_29binary_search_config_selectorIfiEEZNS1_14transform_implILb0ES3_S5_N6thrust23THRUST_200600_302600_NS6detail15normal_iteratorINS8_7pointerIfNS8_11hip_rocprim5par_tENS8_11use_defaultESE_EEEENSA_INSB_IiSD_SE_SE_EEEEZNS1_13binary_searchIS3_S5_PfSG_SI_NS1_16binary_search_opENS9_16wrapped_functionINS8_6system6detail7generic6detail18binary_search_lessEbEEEE10hipError_tPvRmT1_T2_T3_mmT4_T5_P12ihipStream_tbEUlRKfE_EEST_SX_SY_mSZ_S12_bEUlT_E_NS1_11comp_targetILNS1_3genE5ELNS1_11target_archE942ELNS1_3gpuE9ELNS1_3repE0EEENS1_30default_config_static_selectorELNS0_4arch9wavefront6targetE0EEEvSW_.num_named_barrier, 0
	.set _ZN7rocprim17ROCPRIM_400000_NS6detail17trampoline_kernelINS0_14default_configENS1_29binary_search_config_selectorIfiEEZNS1_14transform_implILb0ES3_S5_N6thrust23THRUST_200600_302600_NS6detail15normal_iteratorINS8_7pointerIfNS8_11hip_rocprim5par_tENS8_11use_defaultESE_EEEENSA_INSB_IiSD_SE_SE_EEEEZNS1_13binary_searchIS3_S5_PfSG_SI_NS1_16binary_search_opENS9_16wrapped_functionINS8_6system6detail7generic6detail18binary_search_lessEbEEEE10hipError_tPvRmT1_T2_T3_mmT4_T5_P12ihipStream_tbEUlRKfE_EEST_SX_SY_mSZ_S12_bEUlT_E_NS1_11comp_targetILNS1_3genE5ELNS1_11target_archE942ELNS1_3gpuE9ELNS1_3repE0EEENS1_30default_config_static_selectorELNS0_4arch9wavefront6targetE0EEEvSW_.private_seg_size, 0
	.set _ZN7rocprim17ROCPRIM_400000_NS6detail17trampoline_kernelINS0_14default_configENS1_29binary_search_config_selectorIfiEEZNS1_14transform_implILb0ES3_S5_N6thrust23THRUST_200600_302600_NS6detail15normal_iteratorINS8_7pointerIfNS8_11hip_rocprim5par_tENS8_11use_defaultESE_EEEENSA_INSB_IiSD_SE_SE_EEEEZNS1_13binary_searchIS3_S5_PfSG_SI_NS1_16binary_search_opENS9_16wrapped_functionINS8_6system6detail7generic6detail18binary_search_lessEbEEEE10hipError_tPvRmT1_T2_T3_mmT4_T5_P12ihipStream_tbEUlRKfE_EEST_SX_SY_mSZ_S12_bEUlT_E_NS1_11comp_targetILNS1_3genE5ELNS1_11target_archE942ELNS1_3gpuE9ELNS1_3repE0EEENS1_30default_config_static_selectorELNS0_4arch9wavefront6targetE0EEEvSW_.uses_vcc, 0
	.set _ZN7rocprim17ROCPRIM_400000_NS6detail17trampoline_kernelINS0_14default_configENS1_29binary_search_config_selectorIfiEEZNS1_14transform_implILb0ES3_S5_N6thrust23THRUST_200600_302600_NS6detail15normal_iteratorINS8_7pointerIfNS8_11hip_rocprim5par_tENS8_11use_defaultESE_EEEENSA_INSB_IiSD_SE_SE_EEEEZNS1_13binary_searchIS3_S5_PfSG_SI_NS1_16binary_search_opENS9_16wrapped_functionINS8_6system6detail7generic6detail18binary_search_lessEbEEEE10hipError_tPvRmT1_T2_T3_mmT4_T5_P12ihipStream_tbEUlRKfE_EEST_SX_SY_mSZ_S12_bEUlT_E_NS1_11comp_targetILNS1_3genE5ELNS1_11target_archE942ELNS1_3gpuE9ELNS1_3repE0EEENS1_30default_config_static_selectorELNS0_4arch9wavefront6targetE0EEEvSW_.uses_flat_scratch, 0
	.set _ZN7rocprim17ROCPRIM_400000_NS6detail17trampoline_kernelINS0_14default_configENS1_29binary_search_config_selectorIfiEEZNS1_14transform_implILb0ES3_S5_N6thrust23THRUST_200600_302600_NS6detail15normal_iteratorINS8_7pointerIfNS8_11hip_rocprim5par_tENS8_11use_defaultESE_EEEENSA_INSB_IiSD_SE_SE_EEEEZNS1_13binary_searchIS3_S5_PfSG_SI_NS1_16binary_search_opENS9_16wrapped_functionINS8_6system6detail7generic6detail18binary_search_lessEbEEEE10hipError_tPvRmT1_T2_T3_mmT4_T5_P12ihipStream_tbEUlRKfE_EEST_SX_SY_mSZ_S12_bEUlT_E_NS1_11comp_targetILNS1_3genE5ELNS1_11target_archE942ELNS1_3gpuE9ELNS1_3repE0EEENS1_30default_config_static_selectorELNS0_4arch9wavefront6targetE0EEEvSW_.has_dyn_sized_stack, 0
	.set _ZN7rocprim17ROCPRIM_400000_NS6detail17trampoline_kernelINS0_14default_configENS1_29binary_search_config_selectorIfiEEZNS1_14transform_implILb0ES3_S5_N6thrust23THRUST_200600_302600_NS6detail15normal_iteratorINS8_7pointerIfNS8_11hip_rocprim5par_tENS8_11use_defaultESE_EEEENSA_INSB_IiSD_SE_SE_EEEEZNS1_13binary_searchIS3_S5_PfSG_SI_NS1_16binary_search_opENS9_16wrapped_functionINS8_6system6detail7generic6detail18binary_search_lessEbEEEE10hipError_tPvRmT1_T2_T3_mmT4_T5_P12ihipStream_tbEUlRKfE_EEST_SX_SY_mSZ_S12_bEUlT_E_NS1_11comp_targetILNS1_3genE5ELNS1_11target_archE942ELNS1_3gpuE9ELNS1_3repE0EEENS1_30default_config_static_selectorELNS0_4arch9wavefront6targetE0EEEvSW_.has_recursion, 0
	.set _ZN7rocprim17ROCPRIM_400000_NS6detail17trampoline_kernelINS0_14default_configENS1_29binary_search_config_selectorIfiEEZNS1_14transform_implILb0ES3_S5_N6thrust23THRUST_200600_302600_NS6detail15normal_iteratorINS8_7pointerIfNS8_11hip_rocprim5par_tENS8_11use_defaultESE_EEEENSA_INSB_IiSD_SE_SE_EEEEZNS1_13binary_searchIS3_S5_PfSG_SI_NS1_16binary_search_opENS9_16wrapped_functionINS8_6system6detail7generic6detail18binary_search_lessEbEEEE10hipError_tPvRmT1_T2_T3_mmT4_T5_P12ihipStream_tbEUlRKfE_EEST_SX_SY_mSZ_S12_bEUlT_E_NS1_11comp_targetILNS1_3genE5ELNS1_11target_archE942ELNS1_3gpuE9ELNS1_3repE0EEENS1_30default_config_static_selectorELNS0_4arch9wavefront6targetE0EEEvSW_.has_indirect_call, 0
	.section	.AMDGPU.csdata,"",@progbits
; Kernel info:
; codeLenInByte = 0
; TotalNumSgprs: 0
; NumVgprs: 0
; ScratchSize: 0
; MemoryBound: 0
; FloatMode: 240
; IeeeMode: 1
; LDSByteSize: 0 bytes/workgroup (compile time only)
; SGPRBlocks: 0
; VGPRBlocks: 0
; NumSGPRsForWavesPerEU: 1
; NumVGPRsForWavesPerEU: 1
; Occupancy: 16
; WaveLimiterHint : 0
; COMPUTE_PGM_RSRC2:SCRATCH_EN: 0
; COMPUTE_PGM_RSRC2:USER_SGPR: 6
; COMPUTE_PGM_RSRC2:TRAP_HANDLER: 0
; COMPUTE_PGM_RSRC2:TGID_X_EN: 1
; COMPUTE_PGM_RSRC2:TGID_Y_EN: 0
; COMPUTE_PGM_RSRC2:TGID_Z_EN: 0
; COMPUTE_PGM_RSRC2:TIDIG_COMP_CNT: 0
	.section	.text._ZN7rocprim17ROCPRIM_400000_NS6detail17trampoline_kernelINS0_14default_configENS1_29binary_search_config_selectorIfiEEZNS1_14transform_implILb0ES3_S5_N6thrust23THRUST_200600_302600_NS6detail15normal_iteratorINS8_7pointerIfNS8_11hip_rocprim5par_tENS8_11use_defaultESE_EEEENSA_INSB_IiSD_SE_SE_EEEEZNS1_13binary_searchIS3_S5_PfSG_SI_NS1_16binary_search_opENS9_16wrapped_functionINS8_6system6detail7generic6detail18binary_search_lessEbEEEE10hipError_tPvRmT1_T2_T3_mmT4_T5_P12ihipStream_tbEUlRKfE_EEST_SX_SY_mSZ_S12_bEUlT_E_NS1_11comp_targetILNS1_3genE4ELNS1_11target_archE910ELNS1_3gpuE8ELNS1_3repE0EEENS1_30default_config_static_selectorELNS0_4arch9wavefront6targetE0EEEvSW_,"axG",@progbits,_ZN7rocprim17ROCPRIM_400000_NS6detail17trampoline_kernelINS0_14default_configENS1_29binary_search_config_selectorIfiEEZNS1_14transform_implILb0ES3_S5_N6thrust23THRUST_200600_302600_NS6detail15normal_iteratorINS8_7pointerIfNS8_11hip_rocprim5par_tENS8_11use_defaultESE_EEEENSA_INSB_IiSD_SE_SE_EEEEZNS1_13binary_searchIS3_S5_PfSG_SI_NS1_16binary_search_opENS9_16wrapped_functionINS8_6system6detail7generic6detail18binary_search_lessEbEEEE10hipError_tPvRmT1_T2_T3_mmT4_T5_P12ihipStream_tbEUlRKfE_EEST_SX_SY_mSZ_S12_bEUlT_E_NS1_11comp_targetILNS1_3genE4ELNS1_11target_archE910ELNS1_3gpuE8ELNS1_3repE0EEENS1_30default_config_static_selectorELNS0_4arch9wavefront6targetE0EEEvSW_,comdat
	.protected	_ZN7rocprim17ROCPRIM_400000_NS6detail17trampoline_kernelINS0_14default_configENS1_29binary_search_config_selectorIfiEEZNS1_14transform_implILb0ES3_S5_N6thrust23THRUST_200600_302600_NS6detail15normal_iteratorINS8_7pointerIfNS8_11hip_rocprim5par_tENS8_11use_defaultESE_EEEENSA_INSB_IiSD_SE_SE_EEEEZNS1_13binary_searchIS3_S5_PfSG_SI_NS1_16binary_search_opENS9_16wrapped_functionINS8_6system6detail7generic6detail18binary_search_lessEbEEEE10hipError_tPvRmT1_T2_T3_mmT4_T5_P12ihipStream_tbEUlRKfE_EEST_SX_SY_mSZ_S12_bEUlT_E_NS1_11comp_targetILNS1_3genE4ELNS1_11target_archE910ELNS1_3gpuE8ELNS1_3repE0EEENS1_30default_config_static_selectorELNS0_4arch9wavefront6targetE0EEEvSW_ ; -- Begin function _ZN7rocprim17ROCPRIM_400000_NS6detail17trampoline_kernelINS0_14default_configENS1_29binary_search_config_selectorIfiEEZNS1_14transform_implILb0ES3_S5_N6thrust23THRUST_200600_302600_NS6detail15normal_iteratorINS8_7pointerIfNS8_11hip_rocprim5par_tENS8_11use_defaultESE_EEEENSA_INSB_IiSD_SE_SE_EEEEZNS1_13binary_searchIS3_S5_PfSG_SI_NS1_16binary_search_opENS9_16wrapped_functionINS8_6system6detail7generic6detail18binary_search_lessEbEEEE10hipError_tPvRmT1_T2_T3_mmT4_T5_P12ihipStream_tbEUlRKfE_EEST_SX_SY_mSZ_S12_bEUlT_E_NS1_11comp_targetILNS1_3genE4ELNS1_11target_archE910ELNS1_3gpuE8ELNS1_3repE0EEENS1_30default_config_static_selectorELNS0_4arch9wavefront6targetE0EEEvSW_
	.globl	_ZN7rocprim17ROCPRIM_400000_NS6detail17trampoline_kernelINS0_14default_configENS1_29binary_search_config_selectorIfiEEZNS1_14transform_implILb0ES3_S5_N6thrust23THRUST_200600_302600_NS6detail15normal_iteratorINS8_7pointerIfNS8_11hip_rocprim5par_tENS8_11use_defaultESE_EEEENSA_INSB_IiSD_SE_SE_EEEEZNS1_13binary_searchIS3_S5_PfSG_SI_NS1_16binary_search_opENS9_16wrapped_functionINS8_6system6detail7generic6detail18binary_search_lessEbEEEE10hipError_tPvRmT1_T2_T3_mmT4_T5_P12ihipStream_tbEUlRKfE_EEST_SX_SY_mSZ_S12_bEUlT_E_NS1_11comp_targetILNS1_3genE4ELNS1_11target_archE910ELNS1_3gpuE8ELNS1_3repE0EEENS1_30default_config_static_selectorELNS0_4arch9wavefront6targetE0EEEvSW_
	.p2align	8
	.type	_ZN7rocprim17ROCPRIM_400000_NS6detail17trampoline_kernelINS0_14default_configENS1_29binary_search_config_selectorIfiEEZNS1_14transform_implILb0ES3_S5_N6thrust23THRUST_200600_302600_NS6detail15normal_iteratorINS8_7pointerIfNS8_11hip_rocprim5par_tENS8_11use_defaultESE_EEEENSA_INSB_IiSD_SE_SE_EEEEZNS1_13binary_searchIS3_S5_PfSG_SI_NS1_16binary_search_opENS9_16wrapped_functionINS8_6system6detail7generic6detail18binary_search_lessEbEEEE10hipError_tPvRmT1_T2_T3_mmT4_T5_P12ihipStream_tbEUlRKfE_EEST_SX_SY_mSZ_S12_bEUlT_E_NS1_11comp_targetILNS1_3genE4ELNS1_11target_archE910ELNS1_3gpuE8ELNS1_3repE0EEENS1_30default_config_static_selectorELNS0_4arch9wavefront6targetE0EEEvSW_,@function
_ZN7rocprim17ROCPRIM_400000_NS6detail17trampoline_kernelINS0_14default_configENS1_29binary_search_config_selectorIfiEEZNS1_14transform_implILb0ES3_S5_N6thrust23THRUST_200600_302600_NS6detail15normal_iteratorINS8_7pointerIfNS8_11hip_rocprim5par_tENS8_11use_defaultESE_EEEENSA_INSB_IiSD_SE_SE_EEEEZNS1_13binary_searchIS3_S5_PfSG_SI_NS1_16binary_search_opENS9_16wrapped_functionINS8_6system6detail7generic6detail18binary_search_lessEbEEEE10hipError_tPvRmT1_T2_T3_mmT4_T5_P12ihipStream_tbEUlRKfE_EEST_SX_SY_mSZ_S12_bEUlT_E_NS1_11comp_targetILNS1_3genE4ELNS1_11target_archE910ELNS1_3gpuE8ELNS1_3repE0EEENS1_30default_config_static_selectorELNS0_4arch9wavefront6targetE0EEEvSW_: ; @_ZN7rocprim17ROCPRIM_400000_NS6detail17trampoline_kernelINS0_14default_configENS1_29binary_search_config_selectorIfiEEZNS1_14transform_implILb0ES3_S5_N6thrust23THRUST_200600_302600_NS6detail15normal_iteratorINS8_7pointerIfNS8_11hip_rocprim5par_tENS8_11use_defaultESE_EEEENSA_INSB_IiSD_SE_SE_EEEEZNS1_13binary_searchIS3_S5_PfSG_SI_NS1_16binary_search_opENS9_16wrapped_functionINS8_6system6detail7generic6detail18binary_search_lessEbEEEE10hipError_tPvRmT1_T2_T3_mmT4_T5_P12ihipStream_tbEUlRKfE_EEST_SX_SY_mSZ_S12_bEUlT_E_NS1_11comp_targetILNS1_3genE4ELNS1_11target_archE910ELNS1_3gpuE8ELNS1_3repE0EEENS1_30default_config_static_selectorELNS0_4arch9wavefront6targetE0EEEvSW_
; %bb.0:
	.section	.rodata,"a",@progbits
	.p2align	6, 0x0
	.amdhsa_kernel _ZN7rocprim17ROCPRIM_400000_NS6detail17trampoline_kernelINS0_14default_configENS1_29binary_search_config_selectorIfiEEZNS1_14transform_implILb0ES3_S5_N6thrust23THRUST_200600_302600_NS6detail15normal_iteratorINS8_7pointerIfNS8_11hip_rocprim5par_tENS8_11use_defaultESE_EEEENSA_INSB_IiSD_SE_SE_EEEEZNS1_13binary_searchIS3_S5_PfSG_SI_NS1_16binary_search_opENS9_16wrapped_functionINS8_6system6detail7generic6detail18binary_search_lessEbEEEE10hipError_tPvRmT1_T2_T3_mmT4_T5_P12ihipStream_tbEUlRKfE_EEST_SX_SY_mSZ_S12_bEUlT_E_NS1_11comp_targetILNS1_3genE4ELNS1_11target_archE910ELNS1_3gpuE8ELNS1_3repE0EEENS1_30default_config_static_selectorELNS0_4arch9wavefront6targetE0EEEvSW_
		.amdhsa_group_segment_fixed_size 0
		.amdhsa_private_segment_fixed_size 0
		.amdhsa_kernarg_size 56
		.amdhsa_user_sgpr_count 6
		.amdhsa_user_sgpr_private_segment_buffer 1
		.amdhsa_user_sgpr_dispatch_ptr 0
		.amdhsa_user_sgpr_queue_ptr 0
		.amdhsa_user_sgpr_kernarg_segment_ptr 1
		.amdhsa_user_sgpr_dispatch_id 0
		.amdhsa_user_sgpr_flat_scratch_init 0
		.amdhsa_user_sgpr_private_segment_size 0
		.amdhsa_wavefront_size32 1
		.amdhsa_uses_dynamic_stack 0
		.amdhsa_system_sgpr_private_segment_wavefront_offset 0
		.amdhsa_system_sgpr_workgroup_id_x 1
		.amdhsa_system_sgpr_workgroup_id_y 0
		.amdhsa_system_sgpr_workgroup_id_z 0
		.amdhsa_system_sgpr_workgroup_info 0
		.amdhsa_system_vgpr_workitem_id 0
		.amdhsa_next_free_vgpr 1
		.amdhsa_next_free_sgpr 1
		.amdhsa_reserve_vcc 0
		.amdhsa_reserve_flat_scratch 0
		.amdhsa_float_round_mode_32 0
		.amdhsa_float_round_mode_16_64 0
		.amdhsa_float_denorm_mode_32 3
		.amdhsa_float_denorm_mode_16_64 3
		.amdhsa_dx10_clamp 1
		.amdhsa_ieee_mode 1
		.amdhsa_fp16_overflow 0
		.amdhsa_workgroup_processor_mode 1
		.amdhsa_memory_ordered 1
		.amdhsa_forward_progress 1
		.amdhsa_shared_vgpr_count 0
		.amdhsa_exception_fp_ieee_invalid_op 0
		.amdhsa_exception_fp_denorm_src 0
		.amdhsa_exception_fp_ieee_div_zero 0
		.amdhsa_exception_fp_ieee_overflow 0
		.amdhsa_exception_fp_ieee_underflow 0
		.amdhsa_exception_fp_ieee_inexact 0
		.amdhsa_exception_int_div_zero 0
	.end_amdhsa_kernel
	.section	.text._ZN7rocprim17ROCPRIM_400000_NS6detail17trampoline_kernelINS0_14default_configENS1_29binary_search_config_selectorIfiEEZNS1_14transform_implILb0ES3_S5_N6thrust23THRUST_200600_302600_NS6detail15normal_iteratorINS8_7pointerIfNS8_11hip_rocprim5par_tENS8_11use_defaultESE_EEEENSA_INSB_IiSD_SE_SE_EEEEZNS1_13binary_searchIS3_S5_PfSG_SI_NS1_16binary_search_opENS9_16wrapped_functionINS8_6system6detail7generic6detail18binary_search_lessEbEEEE10hipError_tPvRmT1_T2_T3_mmT4_T5_P12ihipStream_tbEUlRKfE_EEST_SX_SY_mSZ_S12_bEUlT_E_NS1_11comp_targetILNS1_3genE4ELNS1_11target_archE910ELNS1_3gpuE8ELNS1_3repE0EEENS1_30default_config_static_selectorELNS0_4arch9wavefront6targetE0EEEvSW_,"axG",@progbits,_ZN7rocprim17ROCPRIM_400000_NS6detail17trampoline_kernelINS0_14default_configENS1_29binary_search_config_selectorIfiEEZNS1_14transform_implILb0ES3_S5_N6thrust23THRUST_200600_302600_NS6detail15normal_iteratorINS8_7pointerIfNS8_11hip_rocprim5par_tENS8_11use_defaultESE_EEEENSA_INSB_IiSD_SE_SE_EEEEZNS1_13binary_searchIS3_S5_PfSG_SI_NS1_16binary_search_opENS9_16wrapped_functionINS8_6system6detail7generic6detail18binary_search_lessEbEEEE10hipError_tPvRmT1_T2_T3_mmT4_T5_P12ihipStream_tbEUlRKfE_EEST_SX_SY_mSZ_S12_bEUlT_E_NS1_11comp_targetILNS1_3genE4ELNS1_11target_archE910ELNS1_3gpuE8ELNS1_3repE0EEENS1_30default_config_static_selectorELNS0_4arch9wavefront6targetE0EEEvSW_,comdat
.Lfunc_end255:
	.size	_ZN7rocprim17ROCPRIM_400000_NS6detail17trampoline_kernelINS0_14default_configENS1_29binary_search_config_selectorIfiEEZNS1_14transform_implILb0ES3_S5_N6thrust23THRUST_200600_302600_NS6detail15normal_iteratorINS8_7pointerIfNS8_11hip_rocprim5par_tENS8_11use_defaultESE_EEEENSA_INSB_IiSD_SE_SE_EEEEZNS1_13binary_searchIS3_S5_PfSG_SI_NS1_16binary_search_opENS9_16wrapped_functionINS8_6system6detail7generic6detail18binary_search_lessEbEEEE10hipError_tPvRmT1_T2_T3_mmT4_T5_P12ihipStream_tbEUlRKfE_EEST_SX_SY_mSZ_S12_bEUlT_E_NS1_11comp_targetILNS1_3genE4ELNS1_11target_archE910ELNS1_3gpuE8ELNS1_3repE0EEENS1_30default_config_static_selectorELNS0_4arch9wavefront6targetE0EEEvSW_, .Lfunc_end255-_ZN7rocprim17ROCPRIM_400000_NS6detail17trampoline_kernelINS0_14default_configENS1_29binary_search_config_selectorIfiEEZNS1_14transform_implILb0ES3_S5_N6thrust23THRUST_200600_302600_NS6detail15normal_iteratorINS8_7pointerIfNS8_11hip_rocprim5par_tENS8_11use_defaultESE_EEEENSA_INSB_IiSD_SE_SE_EEEEZNS1_13binary_searchIS3_S5_PfSG_SI_NS1_16binary_search_opENS9_16wrapped_functionINS8_6system6detail7generic6detail18binary_search_lessEbEEEE10hipError_tPvRmT1_T2_T3_mmT4_T5_P12ihipStream_tbEUlRKfE_EEST_SX_SY_mSZ_S12_bEUlT_E_NS1_11comp_targetILNS1_3genE4ELNS1_11target_archE910ELNS1_3gpuE8ELNS1_3repE0EEENS1_30default_config_static_selectorELNS0_4arch9wavefront6targetE0EEEvSW_
                                        ; -- End function
	.set _ZN7rocprim17ROCPRIM_400000_NS6detail17trampoline_kernelINS0_14default_configENS1_29binary_search_config_selectorIfiEEZNS1_14transform_implILb0ES3_S5_N6thrust23THRUST_200600_302600_NS6detail15normal_iteratorINS8_7pointerIfNS8_11hip_rocprim5par_tENS8_11use_defaultESE_EEEENSA_INSB_IiSD_SE_SE_EEEEZNS1_13binary_searchIS3_S5_PfSG_SI_NS1_16binary_search_opENS9_16wrapped_functionINS8_6system6detail7generic6detail18binary_search_lessEbEEEE10hipError_tPvRmT1_T2_T3_mmT4_T5_P12ihipStream_tbEUlRKfE_EEST_SX_SY_mSZ_S12_bEUlT_E_NS1_11comp_targetILNS1_3genE4ELNS1_11target_archE910ELNS1_3gpuE8ELNS1_3repE0EEENS1_30default_config_static_selectorELNS0_4arch9wavefront6targetE0EEEvSW_.num_vgpr, 0
	.set _ZN7rocprim17ROCPRIM_400000_NS6detail17trampoline_kernelINS0_14default_configENS1_29binary_search_config_selectorIfiEEZNS1_14transform_implILb0ES3_S5_N6thrust23THRUST_200600_302600_NS6detail15normal_iteratorINS8_7pointerIfNS8_11hip_rocprim5par_tENS8_11use_defaultESE_EEEENSA_INSB_IiSD_SE_SE_EEEEZNS1_13binary_searchIS3_S5_PfSG_SI_NS1_16binary_search_opENS9_16wrapped_functionINS8_6system6detail7generic6detail18binary_search_lessEbEEEE10hipError_tPvRmT1_T2_T3_mmT4_T5_P12ihipStream_tbEUlRKfE_EEST_SX_SY_mSZ_S12_bEUlT_E_NS1_11comp_targetILNS1_3genE4ELNS1_11target_archE910ELNS1_3gpuE8ELNS1_3repE0EEENS1_30default_config_static_selectorELNS0_4arch9wavefront6targetE0EEEvSW_.num_agpr, 0
	.set _ZN7rocprim17ROCPRIM_400000_NS6detail17trampoline_kernelINS0_14default_configENS1_29binary_search_config_selectorIfiEEZNS1_14transform_implILb0ES3_S5_N6thrust23THRUST_200600_302600_NS6detail15normal_iteratorINS8_7pointerIfNS8_11hip_rocprim5par_tENS8_11use_defaultESE_EEEENSA_INSB_IiSD_SE_SE_EEEEZNS1_13binary_searchIS3_S5_PfSG_SI_NS1_16binary_search_opENS9_16wrapped_functionINS8_6system6detail7generic6detail18binary_search_lessEbEEEE10hipError_tPvRmT1_T2_T3_mmT4_T5_P12ihipStream_tbEUlRKfE_EEST_SX_SY_mSZ_S12_bEUlT_E_NS1_11comp_targetILNS1_3genE4ELNS1_11target_archE910ELNS1_3gpuE8ELNS1_3repE0EEENS1_30default_config_static_selectorELNS0_4arch9wavefront6targetE0EEEvSW_.numbered_sgpr, 0
	.set _ZN7rocprim17ROCPRIM_400000_NS6detail17trampoline_kernelINS0_14default_configENS1_29binary_search_config_selectorIfiEEZNS1_14transform_implILb0ES3_S5_N6thrust23THRUST_200600_302600_NS6detail15normal_iteratorINS8_7pointerIfNS8_11hip_rocprim5par_tENS8_11use_defaultESE_EEEENSA_INSB_IiSD_SE_SE_EEEEZNS1_13binary_searchIS3_S5_PfSG_SI_NS1_16binary_search_opENS9_16wrapped_functionINS8_6system6detail7generic6detail18binary_search_lessEbEEEE10hipError_tPvRmT1_T2_T3_mmT4_T5_P12ihipStream_tbEUlRKfE_EEST_SX_SY_mSZ_S12_bEUlT_E_NS1_11comp_targetILNS1_3genE4ELNS1_11target_archE910ELNS1_3gpuE8ELNS1_3repE0EEENS1_30default_config_static_selectorELNS0_4arch9wavefront6targetE0EEEvSW_.num_named_barrier, 0
	.set _ZN7rocprim17ROCPRIM_400000_NS6detail17trampoline_kernelINS0_14default_configENS1_29binary_search_config_selectorIfiEEZNS1_14transform_implILb0ES3_S5_N6thrust23THRUST_200600_302600_NS6detail15normal_iteratorINS8_7pointerIfNS8_11hip_rocprim5par_tENS8_11use_defaultESE_EEEENSA_INSB_IiSD_SE_SE_EEEEZNS1_13binary_searchIS3_S5_PfSG_SI_NS1_16binary_search_opENS9_16wrapped_functionINS8_6system6detail7generic6detail18binary_search_lessEbEEEE10hipError_tPvRmT1_T2_T3_mmT4_T5_P12ihipStream_tbEUlRKfE_EEST_SX_SY_mSZ_S12_bEUlT_E_NS1_11comp_targetILNS1_3genE4ELNS1_11target_archE910ELNS1_3gpuE8ELNS1_3repE0EEENS1_30default_config_static_selectorELNS0_4arch9wavefront6targetE0EEEvSW_.private_seg_size, 0
	.set _ZN7rocprim17ROCPRIM_400000_NS6detail17trampoline_kernelINS0_14default_configENS1_29binary_search_config_selectorIfiEEZNS1_14transform_implILb0ES3_S5_N6thrust23THRUST_200600_302600_NS6detail15normal_iteratorINS8_7pointerIfNS8_11hip_rocprim5par_tENS8_11use_defaultESE_EEEENSA_INSB_IiSD_SE_SE_EEEEZNS1_13binary_searchIS3_S5_PfSG_SI_NS1_16binary_search_opENS9_16wrapped_functionINS8_6system6detail7generic6detail18binary_search_lessEbEEEE10hipError_tPvRmT1_T2_T3_mmT4_T5_P12ihipStream_tbEUlRKfE_EEST_SX_SY_mSZ_S12_bEUlT_E_NS1_11comp_targetILNS1_3genE4ELNS1_11target_archE910ELNS1_3gpuE8ELNS1_3repE0EEENS1_30default_config_static_selectorELNS0_4arch9wavefront6targetE0EEEvSW_.uses_vcc, 0
	.set _ZN7rocprim17ROCPRIM_400000_NS6detail17trampoline_kernelINS0_14default_configENS1_29binary_search_config_selectorIfiEEZNS1_14transform_implILb0ES3_S5_N6thrust23THRUST_200600_302600_NS6detail15normal_iteratorINS8_7pointerIfNS8_11hip_rocprim5par_tENS8_11use_defaultESE_EEEENSA_INSB_IiSD_SE_SE_EEEEZNS1_13binary_searchIS3_S5_PfSG_SI_NS1_16binary_search_opENS9_16wrapped_functionINS8_6system6detail7generic6detail18binary_search_lessEbEEEE10hipError_tPvRmT1_T2_T3_mmT4_T5_P12ihipStream_tbEUlRKfE_EEST_SX_SY_mSZ_S12_bEUlT_E_NS1_11comp_targetILNS1_3genE4ELNS1_11target_archE910ELNS1_3gpuE8ELNS1_3repE0EEENS1_30default_config_static_selectorELNS0_4arch9wavefront6targetE0EEEvSW_.uses_flat_scratch, 0
	.set _ZN7rocprim17ROCPRIM_400000_NS6detail17trampoline_kernelINS0_14default_configENS1_29binary_search_config_selectorIfiEEZNS1_14transform_implILb0ES3_S5_N6thrust23THRUST_200600_302600_NS6detail15normal_iteratorINS8_7pointerIfNS8_11hip_rocprim5par_tENS8_11use_defaultESE_EEEENSA_INSB_IiSD_SE_SE_EEEEZNS1_13binary_searchIS3_S5_PfSG_SI_NS1_16binary_search_opENS9_16wrapped_functionINS8_6system6detail7generic6detail18binary_search_lessEbEEEE10hipError_tPvRmT1_T2_T3_mmT4_T5_P12ihipStream_tbEUlRKfE_EEST_SX_SY_mSZ_S12_bEUlT_E_NS1_11comp_targetILNS1_3genE4ELNS1_11target_archE910ELNS1_3gpuE8ELNS1_3repE0EEENS1_30default_config_static_selectorELNS0_4arch9wavefront6targetE0EEEvSW_.has_dyn_sized_stack, 0
	.set _ZN7rocprim17ROCPRIM_400000_NS6detail17trampoline_kernelINS0_14default_configENS1_29binary_search_config_selectorIfiEEZNS1_14transform_implILb0ES3_S5_N6thrust23THRUST_200600_302600_NS6detail15normal_iteratorINS8_7pointerIfNS8_11hip_rocprim5par_tENS8_11use_defaultESE_EEEENSA_INSB_IiSD_SE_SE_EEEEZNS1_13binary_searchIS3_S5_PfSG_SI_NS1_16binary_search_opENS9_16wrapped_functionINS8_6system6detail7generic6detail18binary_search_lessEbEEEE10hipError_tPvRmT1_T2_T3_mmT4_T5_P12ihipStream_tbEUlRKfE_EEST_SX_SY_mSZ_S12_bEUlT_E_NS1_11comp_targetILNS1_3genE4ELNS1_11target_archE910ELNS1_3gpuE8ELNS1_3repE0EEENS1_30default_config_static_selectorELNS0_4arch9wavefront6targetE0EEEvSW_.has_recursion, 0
	.set _ZN7rocprim17ROCPRIM_400000_NS6detail17trampoline_kernelINS0_14default_configENS1_29binary_search_config_selectorIfiEEZNS1_14transform_implILb0ES3_S5_N6thrust23THRUST_200600_302600_NS6detail15normal_iteratorINS8_7pointerIfNS8_11hip_rocprim5par_tENS8_11use_defaultESE_EEEENSA_INSB_IiSD_SE_SE_EEEEZNS1_13binary_searchIS3_S5_PfSG_SI_NS1_16binary_search_opENS9_16wrapped_functionINS8_6system6detail7generic6detail18binary_search_lessEbEEEE10hipError_tPvRmT1_T2_T3_mmT4_T5_P12ihipStream_tbEUlRKfE_EEST_SX_SY_mSZ_S12_bEUlT_E_NS1_11comp_targetILNS1_3genE4ELNS1_11target_archE910ELNS1_3gpuE8ELNS1_3repE0EEENS1_30default_config_static_selectorELNS0_4arch9wavefront6targetE0EEEvSW_.has_indirect_call, 0
	.section	.AMDGPU.csdata,"",@progbits
; Kernel info:
; codeLenInByte = 0
; TotalNumSgprs: 0
; NumVgprs: 0
; ScratchSize: 0
; MemoryBound: 0
; FloatMode: 240
; IeeeMode: 1
; LDSByteSize: 0 bytes/workgroup (compile time only)
; SGPRBlocks: 0
; VGPRBlocks: 0
; NumSGPRsForWavesPerEU: 1
; NumVGPRsForWavesPerEU: 1
; Occupancy: 16
; WaveLimiterHint : 0
; COMPUTE_PGM_RSRC2:SCRATCH_EN: 0
; COMPUTE_PGM_RSRC2:USER_SGPR: 6
; COMPUTE_PGM_RSRC2:TRAP_HANDLER: 0
; COMPUTE_PGM_RSRC2:TGID_X_EN: 1
; COMPUTE_PGM_RSRC2:TGID_Y_EN: 0
; COMPUTE_PGM_RSRC2:TGID_Z_EN: 0
; COMPUTE_PGM_RSRC2:TIDIG_COMP_CNT: 0
	.section	.text._ZN7rocprim17ROCPRIM_400000_NS6detail17trampoline_kernelINS0_14default_configENS1_29binary_search_config_selectorIfiEEZNS1_14transform_implILb0ES3_S5_N6thrust23THRUST_200600_302600_NS6detail15normal_iteratorINS8_7pointerIfNS8_11hip_rocprim5par_tENS8_11use_defaultESE_EEEENSA_INSB_IiSD_SE_SE_EEEEZNS1_13binary_searchIS3_S5_PfSG_SI_NS1_16binary_search_opENS9_16wrapped_functionINS8_6system6detail7generic6detail18binary_search_lessEbEEEE10hipError_tPvRmT1_T2_T3_mmT4_T5_P12ihipStream_tbEUlRKfE_EEST_SX_SY_mSZ_S12_bEUlT_E_NS1_11comp_targetILNS1_3genE3ELNS1_11target_archE908ELNS1_3gpuE7ELNS1_3repE0EEENS1_30default_config_static_selectorELNS0_4arch9wavefront6targetE0EEEvSW_,"axG",@progbits,_ZN7rocprim17ROCPRIM_400000_NS6detail17trampoline_kernelINS0_14default_configENS1_29binary_search_config_selectorIfiEEZNS1_14transform_implILb0ES3_S5_N6thrust23THRUST_200600_302600_NS6detail15normal_iteratorINS8_7pointerIfNS8_11hip_rocprim5par_tENS8_11use_defaultESE_EEEENSA_INSB_IiSD_SE_SE_EEEEZNS1_13binary_searchIS3_S5_PfSG_SI_NS1_16binary_search_opENS9_16wrapped_functionINS8_6system6detail7generic6detail18binary_search_lessEbEEEE10hipError_tPvRmT1_T2_T3_mmT4_T5_P12ihipStream_tbEUlRKfE_EEST_SX_SY_mSZ_S12_bEUlT_E_NS1_11comp_targetILNS1_3genE3ELNS1_11target_archE908ELNS1_3gpuE7ELNS1_3repE0EEENS1_30default_config_static_selectorELNS0_4arch9wavefront6targetE0EEEvSW_,comdat
	.protected	_ZN7rocprim17ROCPRIM_400000_NS6detail17trampoline_kernelINS0_14default_configENS1_29binary_search_config_selectorIfiEEZNS1_14transform_implILb0ES3_S5_N6thrust23THRUST_200600_302600_NS6detail15normal_iteratorINS8_7pointerIfNS8_11hip_rocprim5par_tENS8_11use_defaultESE_EEEENSA_INSB_IiSD_SE_SE_EEEEZNS1_13binary_searchIS3_S5_PfSG_SI_NS1_16binary_search_opENS9_16wrapped_functionINS8_6system6detail7generic6detail18binary_search_lessEbEEEE10hipError_tPvRmT1_T2_T3_mmT4_T5_P12ihipStream_tbEUlRKfE_EEST_SX_SY_mSZ_S12_bEUlT_E_NS1_11comp_targetILNS1_3genE3ELNS1_11target_archE908ELNS1_3gpuE7ELNS1_3repE0EEENS1_30default_config_static_selectorELNS0_4arch9wavefront6targetE0EEEvSW_ ; -- Begin function _ZN7rocprim17ROCPRIM_400000_NS6detail17trampoline_kernelINS0_14default_configENS1_29binary_search_config_selectorIfiEEZNS1_14transform_implILb0ES3_S5_N6thrust23THRUST_200600_302600_NS6detail15normal_iteratorINS8_7pointerIfNS8_11hip_rocprim5par_tENS8_11use_defaultESE_EEEENSA_INSB_IiSD_SE_SE_EEEEZNS1_13binary_searchIS3_S5_PfSG_SI_NS1_16binary_search_opENS9_16wrapped_functionINS8_6system6detail7generic6detail18binary_search_lessEbEEEE10hipError_tPvRmT1_T2_T3_mmT4_T5_P12ihipStream_tbEUlRKfE_EEST_SX_SY_mSZ_S12_bEUlT_E_NS1_11comp_targetILNS1_3genE3ELNS1_11target_archE908ELNS1_3gpuE7ELNS1_3repE0EEENS1_30default_config_static_selectorELNS0_4arch9wavefront6targetE0EEEvSW_
	.globl	_ZN7rocprim17ROCPRIM_400000_NS6detail17trampoline_kernelINS0_14default_configENS1_29binary_search_config_selectorIfiEEZNS1_14transform_implILb0ES3_S5_N6thrust23THRUST_200600_302600_NS6detail15normal_iteratorINS8_7pointerIfNS8_11hip_rocprim5par_tENS8_11use_defaultESE_EEEENSA_INSB_IiSD_SE_SE_EEEEZNS1_13binary_searchIS3_S5_PfSG_SI_NS1_16binary_search_opENS9_16wrapped_functionINS8_6system6detail7generic6detail18binary_search_lessEbEEEE10hipError_tPvRmT1_T2_T3_mmT4_T5_P12ihipStream_tbEUlRKfE_EEST_SX_SY_mSZ_S12_bEUlT_E_NS1_11comp_targetILNS1_3genE3ELNS1_11target_archE908ELNS1_3gpuE7ELNS1_3repE0EEENS1_30default_config_static_selectorELNS0_4arch9wavefront6targetE0EEEvSW_
	.p2align	8
	.type	_ZN7rocprim17ROCPRIM_400000_NS6detail17trampoline_kernelINS0_14default_configENS1_29binary_search_config_selectorIfiEEZNS1_14transform_implILb0ES3_S5_N6thrust23THRUST_200600_302600_NS6detail15normal_iteratorINS8_7pointerIfNS8_11hip_rocprim5par_tENS8_11use_defaultESE_EEEENSA_INSB_IiSD_SE_SE_EEEEZNS1_13binary_searchIS3_S5_PfSG_SI_NS1_16binary_search_opENS9_16wrapped_functionINS8_6system6detail7generic6detail18binary_search_lessEbEEEE10hipError_tPvRmT1_T2_T3_mmT4_T5_P12ihipStream_tbEUlRKfE_EEST_SX_SY_mSZ_S12_bEUlT_E_NS1_11comp_targetILNS1_3genE3ELNS1_11target_archE908ELNS1_3gpuE7ELNS1_3repE0EEENS1_30default_config_static_selectorELNS0_4arch9wavefront6targetE0EEEvSW_,@function
_ZN7rocprim17ROCPRIM_400000_NS6detail17trampoline_kernelINS0_14default_configENS1_29binary_search_config_selectorIfiEEZNS1_14transform_implILb0ES3_S5_N6thrust23THRUST_200600_302600_NS6detail15normal_iteratorINS8_7pointerIfNS8_11hip_rocprim5par_tENS8_11use_defaultESE_EEEENSA_INSB_IiSD_SE_SE_EEEEZNS1_13binary_searchIS3_S5_PfSG_SI_NS1_16binary_search_opENS9_16wrapped_functionINS8_6system6detail7generic6detail18binary_search_lessEbEEEE10hipError_tPvRmT1_T2_T3_mmT4_T5_P12ihipStream_tbEUlRKfE_EEST_SX_SY_mSZ_S12_bEUlT_E_NS1_11comp_targetILNS1_3genE3ELNS1_11target_archE908ELNS1_3gpuE7ELNS1_3repE0EEENS1_30default_config_static_selectorELNS0_4arch9wavefront6targetE0EEEvSW_: ; @_ZN7rocprim17ROCPRIM_400000_NS6detail17trampoline_kernelINS0_14default_configENS1_29binary_search_config_selectorIfiEEZNS1_14transform_implILb0ES3_S5_N6thrust23THRUST_200600_302600_NS6detail15normal_iteratorINS8_7pointerIfNS8_11hip_rocprim5par_tENS8_11use_defaultESE_EEEENSA_INSB_IiSD_SE_SE_EEEEZNS1_13binary_searchIS3_S5_PfSG_SI_NS1_16binary_search_opENS9_16wrapped_functionINS8_6system6detail7generic6detail18binary_search_lessEbEEEE10hipError_tPvRmT1_T2_T3_mmT4_T5_P12ihipStream_tbEUlRKfE_EEST_SX_SY_mSZ_S12_bEUlT_E_NS1_11comp_targetILNS1_3genE3ELNS1_11target_archE908ELNS1_3gpuE7ELNS1_3repE0EEENS1_30default_config_static_selectorELNS0_4arch9wavefront6targetE0EEEvSW_
; %bb.0:
	.section	.rodata,"a",@progbits
	.p2align	6, 0x0
	.amdhsa_kernel _ZN7rocprim17ROCPRIM_400000_NS6detail17trampoline_kernelINS0_14default_configENS1_29binary_search_config_selectorIfiEEZNS1_14transform_implILb0ES3_S5_N6thrust23THRUST_200600_302600_NS6detail15normal_iteratorINS8_7pointerIfNS8_11hip_rocprim5par_tENS8_11use_defaultESE_EEEENSA_INSB_IiSD_SE_SE_EEEEZNS1_13binary_searchIS3_S5_PfSG_SI_NS1_16binary_search_opENS9_16wrapped_functionINS8_6system6detail7generic6detail18binary_search_lessEbEEEE10hipError_tPvRmT1_T2_T3_mmT4_T5_P12ihipStream_tbEUlRKfE_EEST_SX_SY_mSZ_S12_bEUlT_E_NS1_11comp_targetILNS1_3genE3ELNS1_11target_archE908ELNS1_3gpuE7ELNS1_3repE0EEENS1_30default_config_static_selectorELNS0_4arch9wavefront6targetE0EEEvSW_
		.amdhsa_group_segment_fixed_size 0
		.amdhsa_private_segment_fixed_size 0
		.amdhsa_kernarg_size 56
		.amdhsa_user_sgpr_count 6
		.amdhsa_user_sgpr_private_segment_buffer 1
		.amdhsa_user_sgpr_dispatch_ptr 0
		.amdhsa_user_sgpr_queue_ptr 0
		.amdhsa_user_sgpr_kernarg_segment_ptr 1
		.amdhsa_user_sgpr_dispatch_id 0
		.amdhsa_user_sgpr_flat_scratch_init 0
		.amdhsa_user_sgpr_private_segment_size 0
		.amdhsa_wavefront_size32 1
		.amdhsa_uses_dynamic_stack 0
		.amdhsa_system_sgpr_private_segment_wavefront_offset 0
		.amdhsa_system_sgpr_workgroup_id_x 1
		.amdhsa_system_sgpr_workgroup_id_y 0
		.amdhsa_system_sgpr_workgroup_id_z 0
		.amdhsa_system_sgpr_workgroup_info 0
		.amdhsa_system_vgpr_workitem_id 0
		.amdhsa_next_free_vgpr 1
		.amdhsa_next_free_sgpr 1
		.amdhsa_reserve_vcc 0
		.amdhsa_reserve_flat_scratch 0
		.amdhsa_float_round_mode_32 0
		.amdhsa_float_round_mode_16_64 0
		.amdhsa_float_denorm_mode_32 3
		.amdhsa_float_denorm_mode_16_64 3
		.amdhsa_dx10_clamp 1
		.amdhsa_ieee_mode 1
		.amdhsa_fp16_overflow 0
		.amdhsa_workgroup_processor_mode 1
		.amdhsa_memory_ordered 1
		.amdhsa_forward_progress 1
		.amdhsa_shared_vgpr_count 0
		.amdhsa_exception_fp_ieee_invalid_op 0
		.amdhsa_exception_fp_denorm_src 0
		.amdhsa_exception_fp_ieee_div_zero 0
		.amdhsa_exception_fp_ieee_overflow 0
		.amdhsa_exception_fp_ieee_underflow 0
		.amdhsa_exception_fp_ieee_inexact 0
		.amdhsa_exception_int_div_zero 0
	.end_amdhsa_kernel
	.section	.text._ZN7rocprim17ROCPRIM_400000_NS6detail17trampoline_kernelINS0_14default_configENS1_29binary_search_config_selectorIfiEEZNS1_14transform_implILb0ES3_S5_N6thrust23THRUST_200600_302600_NS6detail15normal_iteratorINS8_7pointerIfNS8_11hip_rocprim5par_tENS8_11use_defaultESE_EEEENSA_INSB_IiSD_SE_SE_EEEEZNS1_13binary_searchIS3_S5_PfSG_SI_NS1_16binary_search_opENS9_16wrapped_functionINS8_6system6detail7generic6detail18binary_search_lessEbEEEE10hipError_tPvRmT1_T2_T3_mmT4_T5_P12ihipStream_tbEUlRKfE_EEST_SX_SY_mSZ_S12_bEUlT_E_NS1_11comp_targetILNS1_3genE3ELNS1_11target_archE908ELNS1_3gpuE7ELNS1_3repE0EEENS1_30default_config_static_selectorELNS0_4arch9wavefront6targetE0EEEvSW_,"axG",@progbits,_ZN7rocprim17ROCPRIM_400000_NS6detail17trampoline_kernelINS0_14default_configENS1_29binary_search_config_selectorIfiEEZNS1_14transform_implILb0ES3_S5_N6thrust23THRUST_200600_302600_NS6detail15normal_iteratorINS8_7pointerIfNS8_11hip_rocprim5par_tENS8_11use_defaultESE_EEEENSA_INSB_IiSD_SE_SE_EEEEZNS1_13binary_searchIS3_S5_PfSG_SI_NS1_16binary_search_opENS9_16wrapped_functionINS8_6system6detail7generic6detail18binary_search_lessEbEEEE10hipError_tPvRmT1_T2_T3_mmT4_T5_P12ihipStream_tbEUlRKfE_EEST_SX_SY_mSZ_S12_bEUlT_E_NS1_11comp_targetILNS1_3genE3ELNS1_11target_archE908ELNS1_3gpuE7ELNS1_3repE0EEENS1_30default_config_static_selectorELNS0_4arch9wavefront6targetE0EEEvSW_,comdat
.Lfunc_end256:
	.size	_ZN7rocprim17ROCPRIM_400000_NS6detail17trampoline_kernelINS0_14default_configENS1_29binary_search_config_selectorIfiEEZNS1_14transform_implILb0ES3_S5_N6thrust23THRUST_200600_302600_NS6detail15normal_iteratorINS8_7pointerIfNS8_11hip_rocprim5par_tENS8_11use_defaultESE_EEEENSA_INSB_IiSD_SE_SE_EEEEZNS1_13binary_searchIS3_S5_PfSG_SI_NS1_16binary_search_opENS9_16wrapped_functionINS8_6system6detail7generic6detail18binary_search_lessEbEEEE10hipError_tPvRmT1_T2_T3_mmT4_T5_P12ihipStream_tbEUlRKfE_EEST_SX_SY_mSZ_S12_bEUlT_E_NS1_11comp_targetILNS1_3genE3ELNS1_11target_archE908ELNS1_3gpuE7ELNS1_3repE0EEENS1_30default_config_static_selectorELNS0_4arch9wavefront6targetE0EEEvSW_, .Lfunc_end256-_ZN7rocprim17ROCPRIM_400000_NS6detail17trampoline_kernelINS0_14default_configENS1_29binary_search_config_selectorIfiEEZNS1_14transform_implILb0ES3_S5_N6thrust23THRUST_200600_302600_NS6detail15normal_iteratorINS8_7pointerIfNS8_11hip_rocprim5par_tENS8_11use_defaultESE_EEEENSA_INSB_IiSD_SE_SE_EEEEZNS1_13binary_searchIS3_S5_PfSG_SI_NS1_16binary_search_opENS9_16wrapped_functionINS8_6system6detail7generic6detail18binary_search_lessEbEEEE10hipError_tPvRmT1_T2_T3_mmT4_T5_P12ihipStream_tbEUlRKfE_EEST_SX_SY_mSZ_S12_bEUlT_E_NS1_11comp_targetILNS1_3genE3ELNS1_11target_archE908ELNS1_3gpuE7ELNS1_3repE0EEENS1_30default_config_static_selectorELNS0_4arch9wavefront6targetE0EEEvSW_
                                        ; -- End function
	.set _ZN7rocprim17ROCPRIM_400000_NS6detail17trampoline_kernelINS0_14default_configENS1_29binary_search_config_selectorIfiEEZNS1_14transform_implILb0ES3_S5_N6thrust23THRUST_200600_302600_NS6detail15normal_iteratorINS8_7pointerIfNS8_11hip_rocprim5par_tENS8_11use_defaultESE_EEEENSA_INSB_IiSD_SE_SE_EEEEZNS1_13binary_searchIS3_S5_PfSG_SI_NS1_16binary_search_opENS9_16wrapped_functionINS8_6system6detail7generic6detail18binary_search_lessEbEEEE10hipError_tPvRmT1_T2_T3_mmT4_T5_P12ihipStream_tbEUlRKfE_EEST_SX_SY_mSZ_S12_bEUlT_E_NS1_11comp_targetILNS1_3genE3ELNS1_11target_archE908ELNS1_3gpuE7ELNS1_3repE0EEENS1_30default_config_static_selectorELNS0_4arch9wavefront6targetE0EEEvSW_.num_vgpr, 0
	.set _ZN7rocprim17ROCPRIM_400000_NS6detail17trampoline_kernelINS0_14default_configENS1_29binary_search_config_selectorIfiEEZNS1_14transform_implILb0ES3_S5_N6thrust23THRUST_200600_302600_NS6detail15normal_iteratorINS8_7pointerIfNS8_11hip_rocprim5par_tENS8_11use_defaultESE_EEEENSA_INSB_IiSD_SE_SE_EEEEZNS1_13binary_searchIS3_S5_PfSG_SI_NS1_16binary_search_opENS9_16wrapped_functionINS8_6system6detail7generic6detail18binary_search_lessEbEEEE10hipError_tPvRmT1_T2_T3_mmT4_T5_P12ihipStream_tbEUlRKfE_EEST_SX_SY_mSZ_S12_bEUlT_E_NS1_11comp_targetILNS1_3genE3ELNS1_11target_archE908ELNS1_3gpuE7ELNS1_3repE0EEENS1_30default_config_static_selectorELNS0_4arch9wavefront6targetE0EEEvSW_.num_agpr, 0
	.set _ZN7rocprim17ROCPRIM_400000_NS6detail17trampoline_kernelINS0_14default_configENS1_29binary_search_config_selectorIfiEEZNS1_14transform_implILb0ES3_S5_N6thrust23THRUST_200600_302600_NS6detail15normal_iteratorINS8_7pointerIfNS8_11hip_rocprim5par_tENS8_11use_defaultESE_EEEENSA_INSB_IiSD_SE_SE_EEEEZNS1_13binary_searchIS3_S5_PfSG_SI_NS1_16binary_search_opENS9_16wrapped_functionINS8_6system6detail7generic6detail18binary_search_lessEbEEEE10hipError_tPvRmT1_T2_T3_mmT4_T5_P12ihipStream_tbEUlRKfE_EEST_SX_SY_mSZ_S12_bEUlT_E_NS1_11comp_targetILNS1_3genE3ELNS1_11target_archE908ELNS1_3gpuE7ELNS1_3repE0EEENS1_30default_config_static_selectorELNS0_4arch9wavefront6targetE0EEEvSW_.numbered_sgpr, 0
	.set _ZN7rocprim17ROCPRIM_400000_NS6detail17trampoline_kernelINS0_14default_configENS1_29binary_search_config_selectorIfiEEZNS1_14transform_implILb0ES3_S5_N6thrust23THRUST_200600_302600_NS6detail15normal_iteratorINS8_7pointerIfNS8_11hip_rocprim5par_tENS8_11use_defaultESE_EEEENSA_INSB_IiSD_SE_SE_EEEEZNS1_13binary_searchIS3_S5_PfSG_SI_NS1_16binary_search_opENS9_16wrapped_functionINS8_6system6detail7generic6detail18binary_search_lessEbEEEE10hipError_tPvRmT1_T2_T3_mmT4_T5_P12ihipStream_tbEUlRKfE_EEST_SX_SY_mSZ_S12_bEUlT_E_NS1_11comp_targetILNS1_3genE3ELNS1_11target_archE908ELNS1_3gpuE7ELNS1_3repE0EEENS1_30default_config_static_selectorELNS0_4arch9wavefront6targetE0EEEvSW_.num_named_barrier, 0
	.set _ZN7rocprim17ROCPRIM_400000_NS6detail17trampoline_kernelINS0_14default_configENS1_29binary_search_config_selectorIfiEEZNS1_14transform_implILb0ES3_S5_N6thrust23THRUST_200600_302600_NS6detail15normal_iteratorINS8_7pointerIfNS8_11hip_rocprim5par_tENS8_11use_defaultESE_EEEENSA_INSB_IiSD_SE_SE_EEEEZNS1_13binary_searchIS3_S5_PfSG_SI_NS1_16binary_search_opENS9_16wrapped_functionINS8_6system6detail7generic6detail18binary_search_lessEbEEEE10hipError_tPvRmT1_T2_T3_mmT4_T5_P12ihipStream_tbEUlRKfE_EEST_SX_SY_mSZ_S12_bEUlT_E_NS1_11comp_targetILNS1_3genE3ELNS1_11target_archE908ELNS1_3gpuE7ELNS1_3repE0EEENS1_30default_config_static_selectorELNS0_4arch9wavefront6targetE0EEEvSW_.private_seg_size, 0
	.set _ZN7rocprim17ROCPRIM_400000_NS6detail17trampoline_kernelINS0_14default_configENS1_29binary_search_config_selectorIfiEEZNS1_14transform_implILb0ES3_S5_N6thrust23THRUST_200600_302600_NS6detail15normal_iteratorINS8_7pointerIfNS8_11hip_rocprim5par_tENS8_11use_defaultESE_EEEENSA_INSB_IiSD_SE_SE_EEEEZNS1_13binary_searchIS3_S5_PfSG_SI_NS1_16binary_search_opENS9_16wrapped_functionINS8_6system6detail7generic6detail18binary_search_lessEbEEEE10hipError_tPvRmT1_T2_T3_mmT4_T5_P12ihipStream_tbEUlRKfE_EEST_SX_SY_mSZ_S12_bEUlT_E_NS1_11comp_targetILNS1_3genE3ELNS1_11target_archE908ELNS1_3gpuE7ELNS1_3repE0EEENS1_30default_config_static_selectorELNS0_4arch9wavefront6targetE0EEEvSW_.uses_vcc, 0
	.set _ZN7rocprim17ROCPRIM_400000_NS6detail17trampoline_kernelINS0_14default_configENS1_29binary_search_config_selectorIfiEEZNS1_14transform_implILb0ES3_S5_N6thrust23THRUST_200600_302600_NS6detail15normal_iteratorINS8_7pointerIfNS8_11hip_rocprim5par_tENS8_11use_defaultESE_EEEENSA_INSB_IiSD_SE_SE_EEEEZNS1_13binary_searchIS3_S5_PfSG_SI_NS1_16binary_search_opENS9_16wrapped_functionINS8_6system6detail7generic6detail18binary_search_lessEbEEEE10hipError_tPvRmT1_T2_T3_mmT4_T5_P12ihipStream_tbEUlRKfE_EEST_SX_SY_mSZ_S12_bEUlT_E_NS1_11comp_targetILNS1_3genE3ELNS1_11target_archE908ELNS1_3gpuE7ELNS1_3repE0EEENS1_30default_config_static_selectorELNS0_4arch9wavefront6targetE0EEEvSW_.uses_flat_scratch, 0
	.set _ZN7rocprim17ROCPRIM_400000_NS6detail17trampoline_kernelINS0_14default_configENS1_29binary_search_config_selectorIfiEEZNS1_14transform_implILb0ES3_S5_N6thrust23THRUST_200600_302600_NS6detail15normal_iteratorINS8_7pointerIfNS8_11hip_rocprim5par_tENS8_11use_defaultESE_EEEENSA_INSB_IiSD_SE_SE_EEEEZNS1_13binary_searchIS3_S5_PfSG_SI_NS1_16binary_search_opENS9_16wrapped_functionINS8_6system6detail7generic6detail18binary_search_lessEbEEEE10hipError_tPvRmT1_T2_T3_mmT4_T5_P12ihipStream_tbEUlRKfE_EEST_SX_SY_mSZ_S12_bEUlT_E_NS1_11comp_targetILNS1_3genE3ELNS1_11target_archE908ELNS1_3gpuE7ELNS1_3repE0EEENS1_30default_config_static_selectorELNS0_4arch9wavefront6targetE0EEEvSW_.has_dyn_sized_stack, 0
	.set _ZN7rocprim17ROCPRIM_400000_NS6detail17trampoline_kernelINS0_14default_configENS1_29binary_search_config_selectorIfiEEZNS1_14transform_implILb0ES3_S5_N6thrust23THRUST_200600_302600_NS6detail15normal_iteratorINS8_7pointerIfNS8_11hip_rocprim5par_tENS8_11use_defaultESE_EEEENSA_INSB_IiSD_SE_SE_EEEEZNS1_13binary_searchIS3_S5_PfSG_SI_NS1_16binary_search_opENS9_16wrapped_functionINS8_6system6detail7generic6detail18binary_search_lessEbEEEE10hipError_tPvRmT1_T2_T3_mmT4_T5_P12ihipStream_tbEUlRKfE_EEST_SX_SY_mSZ_S12_bEUlT_E_NS1_11comp_targetILNS1_3genE3ELNS1_11target_archE908ELNS1_3gpuE7ELNS1_3repE0EEENS1_30default_config_static_selectorELNS0_4arch9wavefront6targetE0EEEvSW_.has_recursion, 0
	.set _ZN7rocprim17ROCPRIM_400000_NS6detail17trampoline_kernelINS0_14default_configENS1_29binary_search_config_selectorIfiEEZNS1_14transform_implILb0ES3_S5_N6thrust23THRUST_200600_302600_NS6detail15normal_iteratorINS8_7pointerIfNS8_11hip_rocprim5par_tENS8_11use_defaultESE_EEEENSA_INSB_IiSD_SE_SE_EEEEZNS1_13binary_searchIS3_S5_PfSG_SI_NS1_16binary_search_opENS9_16wrapped_functionINS8_6system6detail7generic6detail18binary_search_lessEbEEEE10hipError_tPvRmT1_T2_T3_mmT4_T5_P12ihipStream_tbEUlRKfE_EEST_SX_SY_mSZ_S12_bEUlT_E_NS1_11comp_targetILNS1_3genE3ELNS1_11target_archE908ELNS1_3gpuE7ELNS1_3repE0EEENS1_30default_config_static_selectorELNS0_4arch9wavefront6targetE0EEEvSW_.has_indirect_call, 0
	.section	.AMDGPU.csdata,"",@progbits
; Kernel info:
; codeLenInByte = 0
; TotalNumSgprs: 0
; NumVgprs: 0
; ScratchSize: 0
; MemoryBound: 0
; FloatMode: 240
; IeeeMode: 1
; LDSByteSize: 0 bytes/workgroup (compile time only)
; SGPRBlocks: 0
; VGPRBlocks: 0
; NumSGPRsForWavesPerEU: 1
; NumVGPRsForWavesPerEU: 1
; Occupancy: 16
; WaveLimiterHint : 0
; COMPUTE_PGM_RSRC2:SCRATCH_EN: 0
; COMPUTE_PGM_RSRC2:USER_SGPR: 6
; COMPUTE_PGM_RSRC2:TRAP_HANDLER: 0
; COMPUTE_PGM_RSRC2:TGID_X_EN: 1
; COMPUTE_PGM_RSRC2:TGID_Y_EN: 0
; COMPUTE_PGM_RSRC2:TGID_Z_EN: 0
; COMPUTE_PGM_RSRC2:TIDIG_COMP_CNT: 0
	.section	.text._ZN7rocprim17ROCPRIM_400000_NS6detail17trampoline_kernelINS0_14default_configENS1_29binary_search_config_selectorIfiEEZNS1_14transform_implILb0ES3_S5_N6thrust23THRUST_200600_302600_NS6detail15normal_iteratorINS8_7pointerIfNS8_11hip_rocprim5par_tENS8_11use_defaultESE_EEEENSA_INSB_IiSD_SE_SE_EEEEZNS1_13binary_searchIS3_S5_PfSG_SI_NS1_16binary_search_opENS9_16wrapped_functionINS8_6system6detail7generic6detail18binary_search_lessEbEEEE10hipError_tPvRmT1_T2_T3_mmT4_T5_P12ihipStream_tbEUlRKfE_EEST_SX_SY_mSZ_S12_bEUlT_E_NS1_11comp_targetILNS1_3genE2ELNS1_11target_archE906ELNS1_3gpuE6ELNS1_3repE0EEENS1_30default_config_static_selectorELNS0_4arch9wavefront6targetE0EEEvSW_,"axG",@progbits,_ZN7rocprim17ROCPRIM_400000_NS6detail17trampoline_kernelINS0_14default_configENS1_29binary_search_config_selectorIfiEEZNS1_14transform_implILb0ES3_S5_N6thrust23THRUST_200600_302600_NS6detail15normal_iteratorINS8_7pointerIfNS8_11hip_rocprim5par_tENS8_11use_defaultESE_EEEENSA_INSB_IiSD_SE_SE_EEEEZNS1_13binary_searchIS3_S5_PfSG_SI_NS1_16binary_search_opENS9_16wrapped_functionINS8_6system6detail7generic6detail18binary_search_lessEbEEEE10hipError_tPvRmT1_T2_T3_mmT4_T5_P12ihipStream_tbEUlRKfE_EEST_SX_SY_mSZ_S12_bEUlT_E_NS1_11comp_targetILNS1_3genE2ELNS1_11target_archE906ELNS1_3gpuE6ELNS1_3repE0EEENS1_30default_config_static_selectorELNS0_4arch9wavefront6targetE0EEEvSW_,comdat
	.protected	_ZN7rocprim17ROCPRIM_400000_NS6detail17trampoline_kernelINS0_14default_configENS1_29binary_search_config_selectorIfiEEZNS1_14transform_implILb0ES3_S5_N6thrust23THRUST_200600_302600_NS6detail15normal_iteratorINS8_7pointerIfNS8_11hip_rocprim5par_tENS8_11use_defaultESE_EEEENSA_INSB_IiSD_SE_SE_EEEEZNS1_13binary_searchIS3_S5_PfSG_SI_NS1_16binary_search_opENS9_16wrapped_functionINS8_6system6detail7generic6detail18binary_search_lessEbEEEE10hipError_tPvRmT1_T2_T3_mmT4_T5_P12ihipStream_tbEUlRKfE_EEST_SX_SY_mSZ_S12_bEUlT_E_NS1_11comp_targetILNS1_3genE2ELNS1_11target_archE906ELNS1_3gpuE6ELNS1_3repE0EEENS1_30default_config_static_selectorELNS0_4arch9wavefront6targetE0EEEvSW_ ; -- Begin function _ZN7rocprim17ROCPRIM_400000_NS6detail17trampoline_kernelINS0_14default_configENS1_29binary_search_config_selectorIfiEEZNS1_14transform_implILb0ES3_S5_N6thrust23THRUST_200600_302600_NS6detail15normal_iteratorINS8_7pointerIfNS8_11hip_rocprim5par_tENS8_11use_defaultESE_EEEENSA_INSB_IiSD_SE_SE_EEEEZNS1_13binary_searchIS3_S5_PfSG_SI_NS1_16binary_search_opENS9_16wrapped_functionINS8_6system6detail7generic6detail18binary_search_lessEbEEEE10hipError_tPvRmT1_T2_T3_mmT4_T5_P12ihipStream_tbEUlRKfE_EEST_SX_SY_mSZ_S12_bEUlT_E_NS1_11comp_targetILNS1_3genE2ELNS1_11target_archE906ELNS1_3gpuE6ELNS1_3repE0EEENS1_30default_config_static_selectorELNS0_4arch9wavefront6targetE0EEEvSW_
	.globl	_ZN7rocprim17ROCPRIM_400000_NS6detail17trampoline_kernelINS0_14default_configENS1_29binary_search_config_selectorIfiEEZNS1_14transform_implILb0ES3_S5_N6thrust23THRUST_200600_302600_NS6detail15normal_iteratorINS8_7pointerIfNS8_11hip_rocprim5par_tENS8_11use_defaultESE_EEEENSA_INSB_IiSD_SE_SE_EEEEZNS1_13binary_searchIS3_S5_PfSG_SI_NS1_16binary_search_opENS9_16wrapped_functionINS8_6system6detail7generic6detail18binary_search_lessEbEEEE10hipError_tPvRmT1_T2_T3_mmT4_T5_P12ihipStream_tbEUlRKfE_EEST_SX_SY_mSZ_S12_bEUlT_E_NS1_11comp_targetILNS1_3genE2ELNS1_11target_archE906ELNS1_3gpuE6ELNS1_3repE0EEENS1_30default_config_static_selectorELNS0_4arch9wavefront6targetE0EEEvSW_
	.p2align	8
	.type	_ZN7rocprim17ROCPRIM_400000_NS6detail17trampoline_kernelINS0_14default_configENS1_29binary_search_config_selectorIfiEEZNS1_14transform_implILb0ES3_S5_N6thrust23THRUST_200600_302600_NS6detail15normal_iteratorINS8_7pointerIfNS8_11hip_rocprim5par_tENS8_11use_defaultESE_EEEENSA_INSB_IiSD_SE_SE_EEEEZNS1_13binary_searchIS3_S5_PfSG_SI_NS1_16binary_search_opENS9_16wrapped_functionINS8_6system6detail7generic6detail18binary_search_lessEbEEEE10hipError_tPvRmT1_T2_T3_mmT4_T5_P12ihipStream_tbEUlRKfE_EEST_SX_SY_mSZ_S12_bEUlT_E_NS1_11comp_targetILNS1_3genE2ELNS1_11target_archE906ELNS1_3gpuE6ELNS1_3repE0EEENS1_30default_config_static_selectorELNS0_4arch9wavefront6targetE0EEEvSW_,@function
_ZN7rocprim17ROCPRIM_400000_NS6detail17trampoline_kernelINS0_14default_configENS1_29binary_search_config_selectorIfiEEZNS1_14transform_implILb0ES3_S5_N6thrust23THRUST_200600_302600_NS6detail15normal_iteratorINS8_7pointerIfNS8_11hip_rocprim5par_tENS8_11use_defaultESE_EEEENSA_INSB_IiSD_SE_SE_EEEEZNS1_13binary_searchIS3_S5_PfSG_SI_NS1_16binary_search_opENS9_16wrapped_functionINS8_6system6detail7generic6detail18binary_search_lessEbEEEE10hipError_tPvRmT1_T2_T3_mmT4_T5_P12ihipStream_tbEUlRKfE_EEST_SX_SY_mSZ_S12_bEUlT_E_NS1_11comp_targetILNS1_3genE2ELNS1_11target_archE906ELNS1_3gpuE6ELNS1_3repE0EEENS1_30default_config_static_selectorELNS0_4arch9wavefront6targetE0EEEvSW_: ; @_ZN7rocprim17ROCPRIM_400000_NS6detail17trampoline_kernelINS0_14default_configENS1_29binary_search_config_selectorIfiEEZNS1_14transform_implILb0ES3_S5_N6thrust23THRUST_200600_302600_NS6detail15normal_iteratorINS8_7pointerIfNS8_11hip_rocprim5par_tENS8_11use_defaultESE_EEEENSA_INSB_IiSD_SE_SE_EEEEZNS1_13binary_searchIS3_S5_PfSG_SI_NS1_16binary_search_opENS9_16wrapped_functionINS8_6system6detail7generic6detail18binary_search_lessEbEEEE10hipError_tPvRmT1_T2_T3_mmT4_T5_P12ihipStream_tbEUlRKfE_EEST_SX_SY_mSZ_S12_bEUlT_E_NS1_11comp_targetILNS1_3genE2ELNS1_11target_archE906ELNS1_3gpuE6ELNS1_3repE0EEENS1_30default_config_static_selectorELNS0_4arch9wavefront6targetE0EEEvSW_
; %bb.0:
	.section	.rodata,"a",@progbits
	.p2align	6, 0x0
	.amdhsa_kernel _ZN7rocprim17ROCPRIM_400000_NS6detail17trampoline_kernelINS0_14default_configENS1_29binary_search_config_selectorIfiEEZNS1_14transform_implILb0ES3_S5_N6thrust23THRUST_200600_302600_NS6detail15normal_iteratorINS8_7pointerIfNS8_11hip_rocprim5par_tENS8_11use_defaultESE_EEEENSA_INSB_IiSD_SE_SE_EEEEZNS1_13binary_searchIS3_S5_PfSG_SI_NS1_16binary_search_opENS9_16wrapped_functionINS8_6system6detail7generic6detail18binary_search_lessEbEEEE10hipError_tPvRmT1_T2_T3_mmT4_T5_P12ihipStream_tbEUlRKfE_EEST_SX_SY_mSZ_S12_bEUlT_E_NS1_11comp_targetILNS1_3genE2ELNS1_11target_archE906ELNS1_3gpuE6ELNS1_3repE0EEENS1_30default_config_static_selectorELNS0_4arch9wavefront6targetE0EEEvSW_
		.amdhsa_group_segment_fixed_size 0
		.amdhsa_private_segment_fixed_size 0
		.amdhsa_kernarg_size 56
		.amdhsa_user_sgpr_count 6
		.amdhsa_user_sgpr_private_segment_buffer 1
		.amdhsa_user_sgpr_dispatch_ptr 0
		.amdhsa_user_sgpr_queue_ptr 0
		.amdhsa_user_sgpr_kernarg_segment_ptr 1
		.amdhsa_user_sgpr_dispatch_id 0
		.amdhsa_user_sgpr_flat_scratch_init 0
		.amdhsa_user_sgpr_private_segment_size 0
		.amdhsa_wavefront_size32 1
		.amdhsa_uses_dynamic_stack 0
		.amdhsa_system_sgpr_private_segment_wavefront_offset 0
		.amdhsa_system_sgpr_workgroup_id_x 1
		.amdhsa_system_sgpr_workgroup_id_y 0
		.amdhsa_system_sgpr_workgroup_id_z 0
		.amdhsa_system_sgpr_workgroup_info 0
		.amdhsa_system_vgpr_workitem_id 0
		.amdhsa_next_free_vgpr 1
		.amdhsa_next_free_sgpr 1
		.amdhsa_reserve_vcc 0
		.amdhsa_reserve_flat_scratch 0
		.amdhsa_float_round_mode_32 0
		.amdhsa_float_round_mode_16_64 0
		.amdhsa_float_denorm_mode_32 3
		.amdhsa_float_denorm_mode_16_64 3
		.amdhsa_dx10_clamp 1
		.amdhsa_ieee_mode 1
		.amdhsa_fp16_overflow 0
		.amdhsa_workgroup_processor_mode 1
		.amdhsa_memory_ordered 1
		.amdhsa_forward_progress 1
		.amdhsa_shared_vgpr_count 0
		.amdhsa_exception_fp_ieee_invalid_op 0
		.amdhsa_exception_fp_denorm_src 0
		.amdhsa_exception_fp_ieee_div_zero 0
		.amdhsa_exception_fp_ieee_overflow 0
		.amdhsa_exception_fp_ieee_underflow 0
		.amdhsa_exception_fp_ieee_inexact 0
		.amdhsa_exception_int_div_zero 0
	.end_amdhsa_kernel
	.section	.text._ZN7rocprim17ROCPRIM_400000_NS6detail17trampoline_kernelINS0_14default_configENS1_29binary_search_config_selectorIfiEEZNS1_14transform_implILb0ES3_S5_N6thrust23THRUST_200600_302600_NS6detail15normal_iteratorINS8_7pointerIfNS8_11hip_rocprim5par_tENS8_11use_defaultESE_EEEENSA_INSB_IiSD_SE_SE_EEEEZNS1_13binary_searchIS3_S5_PfSG_SI_NS1_16binary_search_opENS9_16wrapped_functionINS8_6system6detail7generic6detail18binary_search_lessEbEEEE10hipError_tPvRmT1_T2_T3_mmT4_T5_P12ihipStream_tbEUlRKfE_EEST_SX_SY_mSZ_S12_bEUlT_E_NS1_11comp_targetILNS1_3genE2ELNS1_11target_archE906ELNS1_3gpuE6ELNS1_3repE0EEENS1_30default_config_static_selectorELNS0_4arch9wavefront6targetE0EEEvSW_,"axG",@progbits,_ZN7rocprim17ROCPRIM_400000_NS6detail17trampoline_kernelINS0_14default_configENS1_29binary_search_config_selectorIfiEEZNS1_14transform_implILb0ES3_S5_N6thrust23THRUST_200600_302600_NS6detail15normal_iteratorINS8_7pointerIfNS8_11hip_rocprim5par_tENS8_11use_defaultESE_EEEENSA_INSB_IiSD_SE_SE_EEEEZNS1_13binary_searchIS3_S5_PfSG_SI_NS1_16binary_search_opENS9_16wrapped_functionINS8_6system6detail7generic6detail18binary_search_lessEbEEEE10hipError_tPvRmT1_T2_T3_mmT4_T5_P12ihipStream_tbEUlRKfE_EEST_SX_SY_mSZ_S12_bEUlT_E_NS1_11comp_targetILNS1_3genE2ELNS1_11target_archE906ELNS1_3gpuE6ELNS1_3repE0EEENS1_30default_config_static_selectorELNS0_4arch9wavefront6targetE0EEEvSW_,comdat
.Lfunc_end257:
	.size	_ZN7rocprim17ROCPRIM_400000_NS6detail17trampoline_kernelINS0_14default_configENS1_29binary_search_config_selectorIfiEEZNS1_14transform_implILb0ES3_S5_N6thrust23THRUST_200600_302600_NS6detail15normal_iteratorINS8_7pointerIfNS8_11hip_rocprim5par_tENS8_11use_defaultESE_EEEENSA_INSB_IiSD_SE_SE_EEEEZNS1_13binary_searchIS3_S5_PfSG_SI_NS1_16binary_search_opENS9_16wrapped_functionINS8_6system6detail7generic6detail18binary_search_lessEbEEEE10hipError_tPvRmT1_T2_T3_mmT4_T5_P12ihipStream_tbEUlRKfE_EEST_SX_SY_mSZ_S12_bEUlT_E_NS1_11comp_targetILNS1_3genE2ELNS1_11target_archE906ELNS1_3gpuE6ELNS1_3repE0EEENS1_30default_config_static_selectorELNS0_4arch9wavefront6targetE0EEEvSW_, .Lfunc_end257-_ZN7rocprim17ROCPRIM_400000_NS6detail17trampoline_kernelINS0_14default_configENS1_29binary_search_config_selectorIfiEEZNS1_14transform_implILb0ES3_S5_N6thrust23THRUST_200600_302600_NS6detail15normal_iteratorINS8_7pointerIfNS8_11hip_rocprim5par_tENS8_11use_defaultESE_EEEENSA_INSB_IiSD_SE_SE_EEEEZNS1_13binary_searchIS3_S5_PfSG_SI_NS1_16binary_search_opENS9_16wrapped_functionINS8_6system6detail7generic6detail18binary_search_lessEbEEEE10hipError_tPvRmT1_T2_T3_mmT4_T5_P12ihipStream_tbEUlRKfE_EEST_SX_SY_mSZ_S12_bEUlT_E_NS1_11comp_targetILNS1_3genE2ELNS1_11target_archE906ELNS1_3gpuE6ELNS1_3repE0EEENS1_30default_config_static_selectorELNS0_4arch9wavefront6targetE0EEEvSW_
                                        ; -- End function
	.set _ZN7rocprim17ROCPRIM_400000_NS6detail17trampoline_kernelINS0_14default_configENS1_29binary_search_config_selectorIfiEEZNS1_14transform_implILb0ES3_S5_N6thrust23THRUST_200600_302600_NS6detail15normal_iteratorINS8_7pointerIfNS8_11hip_rocprim5par_tENS8_11use_defaultESE_EEEENSA_INSB_IiSD_SE_SE_EEEEZNS1_13binary_searchIS3_S5_PfSG_SI_NS1_16binary_search_opENS9_16wrapped_functionINS8_6system6detail7generic6detail18binary_search_lessEbEEEE10hipError_tPvRmT1_T2_T3_mmT4_T5_P12ihipStream_tbEUlRKfE_EEST_SX_SY_mSZ_S12_bEUlT_E_NS1_11comp_targetILNS1_3genE2ELNS1_11target_archE906ELNS1_3gpuE6ELNS1_3repE0EEENS1_30default_config_static_selectorELNS0_4arch9wavefront6targetE0EEEvSW_.num_vgpr, 0
	.set _ZN7rocprim17ROCPRIM_400000_NS6detail17trampoline_kernelINS0_14default_configENS1_29binary_search_config_selectorIfiEEZNS1_14transform_implILb0ES3_S5_N6thrust23THRUST_200600_302600_NS6detail15normal_iteratorINS8_7pointerIfNS8_11hip_rocprim5par_tENS8_11use_defaultESE_EEEENSA_INSB_IiSD_SE_SE_EEEEZNS1_13binary_searchIS3_S5_PfSG_SI_NS1_16binary_search_opENS9_16wrapped_functionINS8_6system6detail7generic6detail18binary_search_lessEbEEEE10hipError_tPvRmT1_T2_T3_mmT4_T5_P12ihipStream_tbEUlRKfE_EEST_SX_SY_mSZ_S12_bEUlT_E_NS1_11comp_targetILNS1_3genE2ELNS1_11target_archE906ELNS1_3gpuE6ELNS1_3repE0EEENS1_30default_config_static_selectorELNS0_4arch9wavefront6targetE0EEEvSW_.num_agpr, 0
	.set _ZN7rocprim17ROCPRIM_400000_NS6detail17trampoline_kernelINS0_14default_configENS1_29binary_search_config_selectorIfiEEZNS1_14transform_implILb0ES3_S5_N6thrust23THRUST_200600_302600_NS6detail15normal_iteratorINS8_7pointerIfNS8_11hip_rocprim5par_tENS8_11use_defaultESE_EEEENSA_INSB_IiSD_SE_SE_EEEEZNS1_13binary_searchIS3_S5_PfSG_SI_NS1_16binary_search_opENS9_16wrapped_functionINS8_6system6detail7generic6detail18binary_search_lessEbEEEE10hipError_tPvRmT1_T2_T3_mmT4_T5_P12ihipStream_tbEUlRKfE_EEST_SX_SY_mSZ_S12_bEUlT_E_NS1_11comp_targetILNS1_3genE2ELNS1_11target_archE906ELNS1_3gpuE6ELNS1_3repE0EEENS1_30default_config_static_selectorELNS0_4arch9wavefront6targetE0EEEvSW_.numbered_sgpr, 0
	.set _ZN7rocprim17ROCPRIM_400000_NS6detail17trampoline_kernelINS0_14default_configENS1_29binary_search_config_selectorIfiEEZNS1_14transform_implILb0ES3_S5_N6thrust23THRUST_200600_302600_NS6detail15normal_iteratorINS8_7pointerIfNS8_11hip_rocprim5par_tENS8_11use_defaultESE_EEEENSA_INSB_IiSD_SE_SE_EEEEZNS1_13binary_searchIS3_S5_PfSG_SI_NS1_16binary_search_opENS9_16wrapped_functionINS8_6system6detail7generic6detail18binary_search_lessEbEEEE10hipError_tPvRmT1_T2_T3_mmT4_T5_P12ihipStream_tbEUlRKfE_EEST_SX_SY_mSZ_S12_bEUlT_E_NS1_11comp_targetILNS1_3genE2ELNS1_11target_archE906ELNS1_3gpuE6ELNS1_3repE0EEENS1_30default_config_static_selectorELNS0_4arch9wavefront6targetE0EEEvSW_.num_named_barrier, 0
	.set _ZN7rocprim17ROCPRIM_400000_NS6detail17trampoline_kernelINS0_14default_configENS1_29binary_search_config_selectorIfiEEZNS1_14transform_implILb0ES3_S5_N6thrust23THRUST_200600_302600_NS6detail15normal_iteratorINS8_7pointerIfNS8_11hip_rocprim5par_tENS8_11use_defaultESE_EEEENSA_INSB_IiSD_SE_SE_EEEEZNS1_13binary_searchIS3_S5_PfSG_SI_NS1_16binary_search_opENS9_16wrapped_functionINS8_6system6detail7generic6detail18binary_search_lessEbEEEE10hipError_tPvRmT1_T2_T3_mmT4_T5_P12ihipStream_tbEUlRKfE_EEST_SX_SY_mSZ_S12_bEUlT_E_NS1_11comp_targetILNS1_3genE2ELNS1_11target_archE906ELNS1_3gpuE6ELNS1_3repE0EEENS1_30default_config_static_selectorELNS0_4arch9wavefront6targetE0EEEvSW_.private_seg_size, 0
	.set _ZN7rocprim17ROCPRIM_400000_NS6detail17trampoline_kernelINS0_14default_configENS1_29binary_search_config_selectorIfiEEZNS1_14transform_implILb0ES3_S5_N6thrust23THRUST_200600_302600_NS6detail15normal_iteratorINS8_7pointerIfNS8_11hip_rocprim5par_tENS8_11use_defaultESE_EEEENSA_INSB_IiSD_SE_SE_EEEEZNS1_13binary_searchIS3_S5_PfSG_SI_NS1_16binary_search_opENS9_16wrapped_functionINS8_6system6detail7generic6detail18binary_search_lessEbEEEE10hipError_tPvRmT1_T2_T3_mmT4_T5_P12ihipStream_tbEUlRKfE_EEST_SX_SY_mSZ_S12_bEUlT_E_NS1_11comp_targetILNS1_3genE2ELNS1_11target_archE906ELNS1_3gpuE6ELNS1_3repE0EEENS1_30default_config_static_selectorELNS0_4arch9wavefront6targetE0EEEvSW_.uses_vcc, 0
	.set _ZN7rocprim17ROCPRIM_400000_NS6detail17trampoline_kernelINS0_14default_configENS1_29binary_search_config_selectorIfiEEZNS1_14transform_implILb0ES3_S5_N6thrust23THRUST_200600_302600_NS6detail15normal_iteratorINS8_7pointerIfNS8_11hip_rocprim5par_tENS8_11use_defaultESE_EEEENSA_INSB_IiSD_SE_SE_EEEEZNS1_13binary_searchIS3_S5_PfSG_SI_NS1_16binary_search_opENS9_16wrapped_functionINS8_6system6detail7generic6detail18binary_search_lessEbEEEE10hipError_tPvRmT1_T2_T3_mmT4_T5_P12ihipStream_tbEUlRKfE_EEST_SX_SY_mSZ_S12_bEUlT_E_NS1_11comp_targetILNS1_3genE2ELNS1_11target_archE906ELNS1_3gpuE6ELNS1_3repE0EEENS1_30default_config_static_selectorELNS0_4arch9wavefront6targetE0EEEvSW_.uses_flat_scratch, 0
	.set _ZN7rocprim17ROCPRIM_400000_NS6detail17trampoline_kernelINS0_14default_configENS1_29binary_search_config_selectorIfiEEZNS1_14transform_implILb0ES3_S5_N6thrust23THRUST_200600_302600_NS6detail15normal_iteratorINS8_7pointerIfNS8_11hip_rocprim5par_tENS8_11use_defaultESE_EEEENSA_INSB_IiSD_SE_SE_EEEEZNS1_13binary_searchIS3_S5_PfSG_SI_NS1_16binary_search_opENS9_16wrapped_functionINS8_6system6detail7generic6detail18binary_search_lessEbEEEE10hipError_tPvRmT1_T2_T3_mmT4_T5_P12ihipStream_tbEUlRKfE_EEST_SX_SY_mSZ_S12_bEUlT_E_NS1_11comp_targetILNS1_3genE2ELNS1_11target_archE906ELNS1_3gpuE6ELNS1_3repE0EEENS1_30default_config_static_selectorELNS0_4arch9wavefront6targetE0EEEvSW_.has_dyn_sized_stack, 0
	.set _ZN7rocprim17ROCPRIM_400000_NS6detail17trampoline_kernelINS0_14default_configENS1_29binary_search_config_selectorIfiEEZNS1_14transform_implILb0ES3_S5_N6thrust23THRUST_200600_302600_NS6detail15normal_iteratorINS8_7pointerIfNS8_11hip_rocprim5par_tENS8_11use_defaultESE_EEEENSA_INSB_IiSD_SE_SE_EEEEZNS1_13binary_searchIS3_S5_PfSG_SI_NS1_16binary_search_opENS9_16wrapped_functionINS8_6system6detail7generic6detail18binary_search_lessEbEEEE10hipError_tPvRmT1_T2_T3_mmT4_T5_P12ihipStream_tbEUlRKfE_EEST_SX_SY_mSZ_S12_bEUlT_E_NS1_11comp_targetILNS1_3genE2ELNS1_11target_archE906ELNS1_3gpuE6ELNS1_3repE0EEENS1_30default_config_static_selectorELNS0_4arch9wavefront6targetE0EEEvSW_.has_recursion, 0
	.set _ZN7rocprim17ROCPRIM_400000_NS6detail17trampoline_kernelINS0_14default_configENS1_29binary_search_config_selectorIfiEEZNS1_14transform_implILb0ES3_S5_N6thrust23THRUST_200600_302600_NS6detail15normal_iteratorINS8_7pointerIfNS8_11hip_rocprim5par_tENS8_11use_defaultESE_EEEENSA_INSB_IiSD_SE_SE_EEEEZNS1_13binary_searchIS3_S5_PfSG_SI_NS1_16binary_search_opENS9_16wrapped_functionINS8_6system6detail7generic6detail18binary_search_lessEbEEEE10hipError_tPvRmT1_T2_T3_mmT4_T5_P12ihipStream_tbEUlRKfE_EEST_SX_SY_mSZ_S12_bEUlT_E_NS1_11comp_targetILNS1_3genE2ELNS1_11target_archE906ELNS1_3gpuE6ELNS1_3repE0EEENS1_30default_config_static_selectorELNS0_4arch9wavefront6targetE0EEEvSW_.has_indirect_call, 0
	.section	.AMDGPU.csdata,"",@progbits
; Kernel info:
; codeLenInByte = 0
; TotalNumSgprs: 0
; NumVgprs: 0
; ScratchSize: 0
; MemoryBound: 0
; FloatMode: 240
; IeeeMode: 1
; LDSByteSize: 0 bytes/workgroup (compile time only)
; SGPRBlocks: 0
; VGPRBlocks: 0
; NumSGPRsForWavesPerEU: 1
; NumVGPRsForWavesPerEU: 1
; Occupancy: 16
; WaveLimiterHint : 0
; COMPUTE_PGM_RSRC2:SCRATCH_EN: 0
; COMPUTE_PGM_RSRC2:USER_SGPR: 6
; COMPUTE_PGM_RSRC2:TRAP_HANDLER: 0
; COMPUTE_PGM_RSRC2:TGID_X_EN: 1
; COMPUTE_PGM_RSRC2:TGID_Y_EN: 0
; COMPUTE_PGM_RSRC2:TGID_Z_EN: 0
; COMPUTE_PGM_RSRC2:TIDIG_COMP_CNT: 0
	.section	.text._ZN7rocprim17ROCPRIM_400000_NS6detail17trampoline_kernelINS0_14default_configENS1_29binary_search_config_selectorIfiEEZNS1_14transform_implILb0ES3_S5_N6thrust23THRUST_200600_302600_NS6detail15normal_iteratorINS8_7pointerIfNS8_11hip_rocprim5par_tENS8_11use_defaultESE_EEEENSA_INSB_IiSD_SE_SE_EEEEZNS1_13binary_searchIS3_S5_PfSG_SI_NS1_16binary_search_opENS9_16wrapped_functionINS8_6system6detail7generic6detail18binary_search_lessEbEEEE10hipError_tPvRmT1_T2_T3_mmT4_T5_P12ihipStream_tbEUlRKfE_EEST_SX_SY_mSZ_S12_bEUlT_E_NS1_11comp_targetILNS1_3genE10ELNS1_11target_archE1201ELNS1_3gpuE5ELNS1_3repE0EEENS1_30default_config_static_selectorELNS0_4arch9wavefront6targetE0EEEvSW_,"axG",@progbits,_ZN7rocprim17ROCPRIM_400000_NS6detail17trampoline_kernelINS0_14default_configENS1_29binary_search_config_selectorIfiEEZNS1_14transform_implILb0ES3_S5_N6thrust23THRUST_200600_302600_NS6detail15normal_iteratorINS8_7pointerIfNS8_11hip_rocprim5par_tENS8_11use_defaultESE_EEEENSA_INSB_IiSD_SE_SE_EEEEZNS1_13binary_searchIS3_S5_PfSG_SI_NS1_16binary_search_opENS9_16wrapped_functionINS8_6system6detail7generic6detail18binary_search_lessEbEEEE10hipError_tPvRmT1_T2_T3_mmT4_T5_P12ihipStream_tbEUlRKfE_EEST_SX_SY_mSZ_S12_bEUlT_E_NS1_11comp_targetILNS1_3genE10ELNS1_11target_archE1201ELNS1_3gpuE5ELNS1_3repE0EEENS1_30default_config_static_selectorELNS0_4arch9wavefront6targetE0EEEvSW_,comdat
	.protected	_ZN7rocprim17ROCPRIM_400000_NS6detail17trampoline_kernelINS0_14default_configENS1_29binary_search_config_selectorIfiEEZNS1_14transform_implILb0ES3_S5_N6thrust23THRUST_200600_302600_NS6detail15normal_iteratorINS8_7pointerIfNS8_11hip_rocprim5par_tENS8_11use_defaultESE_EEEENSA_INSB_IiSD_SE_SE_EEEEZNS1_13binary_searchIS3_S5_PfSG_SI_NS1_16binary_search_opENS9_16wrapped_functionINS8_6system6detail7generic6detail18binary_search_lessEbEEEE10hipError_tPvRmT1_T2_T3_mmT4_T5_P12ihipStream_tbEUlRKfE_EEST_SX_SY_mSZ_S12_bEUlT_E_NS1_11comp_targetILNS1_3genE10ELNS1_11target_archE1201ELNS1_3gpuE5ELNS1_3repE0EEENS1_30default_config_static_selectorELNS0_4arch9wavefront6targetE0EEEvSW_ ; -- Begin function _ZN7rocprim17ROCPRIM_400000_NS6detail17trampoline_kernelINS0_14default_configENS1_29binary_search_config_selectorIfiEEZNS1_14transform_implILb0ES3_S5_N6thrust23THRUST_200600_302600_NS6detail15normal_iteratorINS8_7pointerIfNS8_11hip_rocprim5par_tENS8_11use_defaultESE_EEEENSA_INSB_IiSD_SE_SE_EEEEZNS1_13binary_searchIS3_S5_PfSG_SI_NS1_16binary_search_opENS9_16wrapped_functionINS8_6system6detail7generic6detail18binary_search_lessEbEEEE10hipError_tPvRmT1_T2_T3_mmT4_T5_P12ihipStream_tbEUlRKfE_EEST_SX_SY_mSZ_S12_bEUlT_E_NS1_11comp_targetILNS1_3genE10ELNS1_11target_archE1201ELNS1_3gpuE5ELNS1_3repE0EEENS1_30default_config_static_selectorELNS0_4arch9wavefront6targetE0EEEvSW_
	.globl	_ZN7rocprim17ROCPRIM_400000_NS6detail17trampoline_kernelINS0_14default_configENS1_29binary_search_config_selectorIfiEEZNS1_14transform_implILb0ES3_S5_N6thrust23THRUST_200600_302600_NS6detail15normal_iteratorINS8_7pointerIfNS8_11hip_rocprim5par_tENS8_11use_defaultESE_EEEENSA_INSB_IiSD_SE_SE_EEEEZNS1_13binary_searchIS3_S5_PfSG_SI_NS1_16binary_search_opENS9_16wrapped_functionINS8_6system6detail7generic6detail18binary_search_lessEbEEEE10hipError_tPvRmT1_T2_T3_mmT4_T5_P12ihipStream_tbEUlRKfE_EEST_SX_SY_mSZ_S12_bEUlT_E_NS1_11comp_targetILNS1_3genE10ELNS1_11target_archE1201ELNS1_3gpuE5ELNS1_3repE0EEENS1_30default_config_static_selectorELNS0_4arch9wavefront6targetE0EEEvSW_
	.p2align	8
	.type	_ZN7rocprim17ROCPRIM_400000_NS6detail17trampoline_kernelINS0_14default_configENS1_29binary_search_config_selectorIfiEEZNS1_14transform_implILb0ES3_S5_N6thrust23THRUST_200600_302600_NS6detail15normal_iteratorINS8_7pointerIfNS8_11hip_rocprim5par_tENS8_11use_defaultESE_EEEENSA_INSB_IiSD_SE_SE_EEEEZNS1_13binary_searchIS3_S5_PfSG_SI_NS1_16binary_search_opENS9_16wrapped_functionINS8_6system6detail7generic6detail18binary_search_lessEbEEEE10hipError_tPvRmT1_T2_T3_mmT4_T5_P12ihipStream_tbEUlRKfE_EEST_SX_SY_mSZ_S12_bEUlT_E_NS1_11comp_targetILNS1_3genE10ELNS1_11target_archE1201ELNS1_3gpuE5ELNS1_3repE0EEENS1_30default_config_static_selectorELNS0_4arch9wavefront6targetE0EEEvSW_,@function
_ZN7rocprim17ROCPRIM_400000_NS6detail17trampoline_kernelINS0_14default_configENS1_29binary_search_config_selectorIfiEEZNS1_14transform_implILb0ES3_S5_N6thrust23THRUST_200600_302600_NS6detail15normal_iteratorINS8_7pointerIfNS8_11hip_rocprim5par_tENS8_11use_defaultESE_EEEENSA_INSB_IiSD_SE_SE_EEEEZNS1_13binary_searchIS3_S5_PfSG_SI_NS1_16binary_search_opENS9_16wrapped_functionINS8_6system6detail7generic6detail18binary_search_lessEbEEEE10hipError_tPvRmT1_T2_T3_mmT4_T5_P12ihipStream_tbEUlRKfE_EEST_SX_SY_mSZ_S12_bEUlT_E_NS1_11comp_targetILNS1_3genE10ELNS1_11target_archE1201ELNS1_3gpuE5ELNS1_3repE0EEENS1_30default_config_static_selectorELNS0_4arch9wavefront6targetE0EEEvSW_: ; @_ZN7rocprim17ROCPRIM_400000_NS6detail17trampoline_kernelINS0_14default_configENS1_29binary_search_config_selectorIfiEEZNS1_14transform_implILb0ES3_S5_N6thrust23THRUST_200600_302600_NS6detail15normal_iteratorINS8_7pointerIfNS8_11hip_rocprim5par_tENS8_11use_defaultESE_EEEENSA_INSB_IiSD_SE_SE_EEEEZNS1_13binary_searchIS3_S5_PfSG_SI_NS1_16binary_search_opENS9_16wrapped_functionINS8_6system6detail7generic6detail18binary_search_lessEbEEEE10hipError_tPvRmT1_T2_T3_mmT4_T5_P12ihipStream_tbEUlRKfE_EEST_SX_SY_mSZ_S12_bEUlT_E_NS1_11comp_targetILNS1_3genE10ELNS1_11target_archE1201ELNS1_3gpuE5ELNS1_3repE0EEENS1_30default_config_static_selectorELNS0_4arch9wavefront6targetE0EEEvSW_
; %bb.0:
	.section	.rodata,"a",@progbits
	.p2align	6, 0x0
	.amdhsa_kernel _ZN7rocprim17ROCPRIM_400000_NS6detail17trampoline_kernelINS0_14default_configENS1_29binary_search_config_selectorIfiEEZNS1_14transform_implILb0ES3_S5_N6thrust23THRUST_200600_302600_NS6detail15normal_iteratorINS8_7pointerIfNS8_11hip_rocprim5par_tENS8_11use_defaultESE_EEEENSA_INSB_IiSD_SE_SE_EEEEZNS1_13binary_searchIS3_S5_PfSG_SI_NS1_16binary_search_opENS9_16wrapped_functionINS8_6system6detail7generic6detail18binary_search_lessEbEEEE10hipError_tPvRmT1_T2_T3_mmT4_T5_P12ihipStream_tbEUlRKfE_EEST_SX_SY_mSZ_S12_bEUlT_E_NS1_11comp_targetILNS1_3genE10ELNS1_11target_archE1201ELNS1_3gpuE5ELNS1_3repE0EEENS1_30default_config_static_selectorELNS0_4arch9wavefront6targetE0EEEvSW_
		.amdhsa_group_segment_fixed_size 0
		.amdhsa_private_segment_fixed_size 0
		.amdhsa_kernarg_size 56
		.amdhsa_user_sgpr_count 6
		.amdhsa_user_sgpr_private_segment_buffer 1
		.amdhsa_user_sgpr_dispatch_ptr 0
		.amdhsa_user_sgpr_queue_ptr 0
		.amdhsa_user_sgpr_kernarg_segment_ptr 1
		.amdhsa_user_sgpr_dispatch_id 0
		.amdhsa_user_sgpr_flat_scratch_init 0
		.amdhsa_user_sgpr_private_segment_size 0
		.amdhsa_wavefront_size32 1
		.amdhsa_uses_dynamic_stack 0
		.amdhsa_system_sgpr_private_segment_wavefront_offset 0
		.amdhsa_system_sgpr_workgroup_id_x 1
		.amdhsa_system_sgpr_workgroup_id_y 0
		.amdhsa_system_sgpr_workgroup_id_z 0
		.amdhsa_system_sgpr_workgroup_info 0
		.amdhsa_system_vgpr_workitem_id 0
		.amdhsa_next_free_vgpr 1
		.amdhsa_next_free_sgpr 1
		.amdhsa_reserve_vcc 0
		.amdhsa_reserve_flat_scratch 0
		.amdhsa_float_round_mode_32 0
		.amdhsa_float_round_mode_16_64 0
		.amdhsa_float_denorm_mode_32 3
		.amdhsa_float_denorm_mode_16_64 3
		.amdhsa_dx10_clamp 1
		.amdhsa_ieee_mode 1
		.amdhsa_fp16_overflow 0
		.amdhsa_workgroup_processor_mode 1
		.amdhsa_memory_ordered 1
		.amdhsa_forward_progress 1
		.amdhsa_shared_vgpr_count 0
		.amdhsa_exception_fp_ieee_invalid_op 0
		.amdhsa_exception_fp_denorm_src 0
		.amdhsa_exception_fp_ieee_div_zero 0
		.amdhsa_exception_fp_ieee_overflow 0
		.amdhsa_exception_fp_ieee_underflow 0
		.amdhsa_exception_fp_ieee_inexact 0
		.amdhsa_exception_int_div_zero 0
	.end_amdhsa_kernel
	.section	.text._ZN7rocprim17ROCPRIM_400000_NS6detail17trampoline_kernelINS0_14default_configENS1_29binary_search_config_selectorIfiEEZNS1_14transform_implILb0ES3_S5_N6thrust23THRUST_200600_302600_NS6detail15normal_iteratorINS8_7pointerIfNS8_11hip_rocprim5par_tENS8_11use_defaultESE_EEEENSA_INSB_IiSD_SE_SE_EEEEZNS1_13binary_searchIS3_S5_PfSG_SI_NS1_16binary_search_opENS9_16wrapped_functionINS8_6system6detail7generic6detail18binary_search_lessEbEEEE10hipError_tPvRmT1_T2_T3_mmT4_T5_P12ihipStream_tbEUlRKfE_EEST_SX_SY_mSZ_S12_bEUlT_E_NS1_11comp_targetILNS1_3genE10ELNS1_11target_archE1201ELNS1_3gpuE5ELNS1_3repE0EEENS1_30default_config_static_selectorELNS0_4arch9wavefront6targetE0EEEvSW_,"axG",@progbits,_ZN7rocprim17ROCPRIM_400000_NS6detail17trampoline_kernelINS0_14default_configENS1_29binary_search_config_selectorIfiEEZNS1_14transform_implILb0ES3_S5_N6thrust23THRUST_200600_302600_NS6detail15normal_iteratorINS8_7pointerIfNS8_11hip_rocprim5par_tENS8_11use_defaultESE_EEEENSA_INSB_IiSD_SE_SE_EEEEZNS1_13binary_searchIS3_S5_PfSG_SI_NS1_16binary_search_opENS9_16wrapped_functionINS8_6system6detail7generic6detail18binary_search_lessEbEEEE10hipError_tPvRmT1_T2_T3_mmT4_T5_P12ihipStream_tbEUlRKfE_EEST_SX_SY_mSZ_S12_bEUlT_E_NS1_11comp_targetILNS1_3genE10ELNS1_11target_archE1201ELNS1_3gpuE5ELNS1_3repE0EEENS1_30default_config_static_selectorELNS0_4arch9wavefront6targetE0EEEvSW_,comdat
.Lfunc_end258:
	.size	_ZN7rocprim17ROCPRIM_400000_NS6detail17trampoline_kernelINS0_14default_configENS1_29binary_search_config_selectorIfiEEZNS1_14transform_implILb0ES3_S5_N6thrust23THRUST_200600_302600_NS6detail15normal_iteratorINS8_7pointerIfNS8_11hip_rocprim5par_tENS8_11use_defaultESE_EEEENSA_INSB_IiSD_SE_SE_EEEEZNS1_13binary_searchIS3_S5_PfSG_SI_NS1_16binary_search_opENS9_16wrapped_functionINS8_6system6detail7generic6detail18binary_search_lessEbEEEE10hipError_tPvRmT1_T2_T3_mmT4_T5_P12ihipStream_tbEUlRKfE_EEST_SX_SY_mSZ_S12_bEUlT_E_NS1_11comp_targetILNS1_3genE10ELNS1_11target_archE1201ELNS1_3gpuE5ELNS1_3repE0EEENS1_30default_config_static_selectorELNS0_4arch9wavefront6targetE0EEEvSW_, .Lfunc_end258-_ZN7rocprim17ROCPRIM_400000_NS6detail17trampoline_kernelINS0_14default_configENS1_29binary_search_config_selectorIfiEEZNS1_14transform_implILb0ES3_S5_N6thrust23THRUST_200600_302600_NS6detail15normal_iteratorINS8_7pointerIfNS8_11hip_rocprim5par_tENS8_11use_defaultESE_EEEENSA_INSB_IiSD_SE_SE_EEEEZNS1_13binary_searchIS3_S5_PfSG_SI_NS1_16binary_search_opENS9_16wrapped_functionINS8_6system6detail7generic6detail18binary_search_lessEbEEEE10hipError_tPvRmT1_T2_T3_mmT4_T5_P12ihipStream_tbEUlRKfE_EEST_SX_SY_mSZ_S12_bEUlT_E_NS1_11comp_targetILNS1_3genE10ELNS1_11target_archE1201ELNS1_3gpuE5ELNS1_3repE0EEENS1_30default_config_static_selectorELNS0_4arch9wavefront6targetE0EEEvSW_
                                        ; -- End function
	.set _ZN7rocprim17ROCPRIM_400000_NS6detail17trampoline_kernelINS0_14default_configENS1_29binary_search_config_selectorIfiEEZNS1_14transform_implILb0ES3_S5_N6thrust23THRUST_200600_302600_NS6detail15normal_iteratorINS8_7pointerIfNS8_11hip_rocprim5par_tENS8_11use_defaultESE_EEEENSA_INSB_IiSD_SE_SE_EEEEZNS1_13binary_searchIS3_S5_PfSG_SI_NS1_16binary_search_opENS9_16wrapped_functionINS8_6system6detail7generic6detail18binary_search_lessEbEEEE10hipError_tPvRmT1_T2_T3_mmT4_T5_P12ihipStream_tbEUlRKfE_EEST_SX_SY_mSZ_S12_bEUlT_E_NS1_11comp_targetILNS1_3genE10ELNS1_11target_archE1201ELNS1_3gpuE5ELNS1_3repE0EEENS1_30default_config_static_selectorELNS0_4arch9wavefront6targetE0EEEvSW_.num_vgpr, 0
	.set _ZN7rocprim17ROCPRIM_400000_NS6detail17trampoline_kernelINS0_14default_configENS1_29binary_search_config_selectorIfiEEZNS1_14transform_implILb0ES3_S5_N6thrust23THRUST_200600_302600_NS6detail15normal_iteratorINS8_7pointerIfNS8_11hip_rocprim5par_tENS8_11use_defaultESE_EEEENSA_INSB_IiSD_SE_SE_EEEEZNS1_13binary_searchIS3_S5_PfSG_SI_NS1_16binary_search_opENS9_16wrapped_functionINS8_6system6detail7generic6detail18binary_search_lessEbEEEE10hipError_tPvRmT1_T2_T3_mmT4_T5_P12ihipStream_tbEUlRKfE_EEST_SX_SY_mSZ_S12_bEUlT_E_NS1_11comp_targetILNS1_3genE10ELNS1_11target_archE1201ELNS1_3gpuE5ELNS1_3repE0EEENS1_30default_config_static_selectorELNS0_4arch9wavefront6targetE0EEEvSW_.num_agpr, 0
	.set _ZN7rocprim17ROCPRIM_400000_NS6detail17trampoline_kernelINS0_14default_configENS1_29binary_search_config_selectorIfiEEZNS1_14transform_implILb0ES3_S5_N6thrust23THRUST_200600_302600_NS6detail15normal_iteratorINS8_7pointerIfNS8_11hip_rocprim5par_tENS8_11use_defaultESE_EEEENSA_INSB_IiSD_SE_SE_EEEEZNS1_13binary_searchIS3_S5_PfSG_SI_NS1_16binary_search_opENS9_16wrapped_functionINS8_6system6detail7generic6detail18binary_search_lessEbEEEE10hipError_tPvRmT1_T2_T3_mmT4_T5_P12ihipStream_tbEUlRKfE_EEST_SX_SY_mSZ_S12_bEUlT_E_NS1_11comp_targetILNS1_3genE10ELNS1_11target_archE1201ELNS1_3gpuE5ELNS1_3repE0EEENS1_30default_config_static_selectorELNS0_4arch9wavefront6targetE0EEEvSW_.numbered_sgpr, 0
	.set _ZN7rocprim17ROCPRIM_400000_NS6detail17trampoline_kernelINS0_14default_configENS1_29binary_search_config_selectorIfiEEZNS1_14transform_implILb0ES3_S5_N6thrust23THRUST_200600_302600_NS6detail15normal_iteratorINS8_7pointerIfNS8_11hip_rocprim5par_tENS8_11use_defaultESE_EEEENSA_INSB_IiSD_SE_SE_EEEEZNS1_13binary_searchIS3_S5_PfSG_SI_NS1_16binary_search_opENS9_16wrapped_functionINS8_6system6detail7generic6detail18binary_search_lessEbEEEE10hipError_tPvRmT1_T2_T3_mmT4_T5_P12ihipStream_tbEUlRKfE_EEST_SX_SY_mSZ_S12_bEUlT_E_NS1_11comp_targetILNS1_3genE10ELNS1_11target_archE1201ELNS1_3gpuE5ELNS1_3repE0EEENS1_30default_config_static_selectorELNS0_4arch9wavefront6targetE0EEEvSW_.num_named_barrier, 0
	.set _ZN7rocprim17ROCPRIM_400000_NS6detail17trampoline_kernelINS0_14default_configENS1_29binary_search_config_selectorIfiEEZNS1_14transform_implILb0ES3_S5_N6thrust23THRUST_200600_302600_NS6detail15normal_iteratorINS8_7pointerIfNS8_11hip_rocprim5par_tENS8_11use_defaultESE_EEEENSA_INSB_IiSD_SE_SE_EEEEZNS1_13binary_searchIS3_S5_PfSG_SI_NS1_16binary_search_opENS9_16wrapped_functionINS8_6system6detail7generic6detail18binary_search_lessEbEEEE10hipError_tPvRmT1_T2_T3_mmT4_T5_P12ihipStream_tbEUlRKfE_EEST_SX_SY_mSZ_S12_bEUlT_E_NS1_11comp_targetILNS1_3genE10ELNS1_11target_archE1201ELNS1_3gpuE5ELNS1_3repE0EEENS1_30default_config_static_selectorELNS0_4arch9wavefront6targetE0EEEvSW_.private_seg_size, 0
	.set _ZN7rocprim17ROCPRIM_400000_NS6detail17trampoline_kernelINS0_14default_configENS1_29binary_search_config_selectorIfiEEZNS1_14transform_implILb0ES3_S5_N6thrust23THRUST_200600_302600_NS6detail15normal_iteratorINS8_7pointerIfNS8_11hip_rocprim5par_tENS8_11use_defaultESE_EEEENSA_INSB_IiSD_SE_SE_EEEEZNS1_13binary_searchIS3_S5_PfSG_SI_NS1_16binary_search_opENS9_16wrapped_functionINS8_6system6detail7generic6detail18binary_search_lessEbEEEE10hipError_tPvRmT1_T2_T3_mmT4_T5_P12ihipStream_tbEUlRKfE_EEST_SX_SY_mSZ_S12_bEUlT_E_NS1_11comp_targetILNS1_3genE10ELNS1_11target_archE1201ELNS1_3gpuE5ELNS1_3repE0EEENS1_30default_config_static_selectorELNS0_4arch9wavefront6targetE0EEEvSW_.uses_vcc, 0
	.set _ZN7rocprim17ROCPRIM_400000_NS6detail17trampoline_kernelINS0_14default_configENS1_29binary_search_config_selectorIfiEEZNS1_14transform_implILb0ES3_S5_N6thrust23THRUST_200600_302600_NS6detail15normal_iteratorINS8_7pointerIfNS8_11hip_rocprim5par_tENS8_11use_defaultESE_EEEENSA_INSB_IiSD_SE_SE_EEEEZNS1_13binary_searchIS3_S5_PfSG_SI_NS1_16binary_search_opENS9_16wrapped_functionINS8_6system6detail7generic6detail18binary_search_lessEbEEEE10hipError_tPvRmT1_T2_T3_mmT4_T5_P12ihipStream_tbEUlRKfE_EEST_SX_SY_mSZ_S12_bEUlT_E_NS1_11comp_targetILNS1_3genE10ELNS1_11target_archE1201ELNS1_3gpuE5ELNS1_3repE0EEENS1_30default_config_static_selectorELNS0_4arch9wavefront6targetE0EEEvSW_.uses_flat_scratch, 0
	.set _ZN7rocprim17ROCPRIM_400000_NS6detail17trampoline_kernelINS0_14default_configENS1_29binary_search_config_selectorIfiEEZNS1_14transform_implILb0ES3_S5_N6thrust23THRUST_200600_302600_NS6detail15normal_iteratorINS8_7pointerIfNS8_11hip_rocprim5par_tENS8_11use_defaultESE_EEEENSA_INSB_IiSD_SE_SE_EEEEZNS1_13binary_searchIS3_S5_PfSG_SI_NS1_16binary_search_opENS9_16wrapped_functionINS8_6system6detail7generic6detail18binary_search_lessEbEEEE10hipError_tPvRmT1_T2_T3_mmT4_T5_P12ihipStream_tbEUlRKfE_EEST_SX_SY_mSZ_S12_bEUlT_E_NS1_11comp_targetILNS1_3genE10ELNS1_11target_archE1201ELNS1_3gpuE5ELNS1_3repE0EEENS1_30default_config_static_selectorELNS0_4arch9wavefront6targetE0EEEvSW_.has_dyn_sized_stack, 0
	.set _ZN7rocprim17ROCPRIM_400000_NS6detail17trampoline_kernelINS0_14default_configENS1_29binary_search_config_selectorIfiEEZNS1_14transform_implILb0ES3_S5_N6thrust23THRUST_200600_302600_NS6detail15normal_iteratorINS8_7pointerIfNS8_11hip_rocprim5par_tENS8_11use_defaultESE_EEEENSA_INSB_IiSD_SE_SE_EEEEZNS1_13binary_searchIS3_S5_PfSG_SI_NS1_16binary_search_opENS9_16wrapped_functionINS8_6system6detail7generic6detail18binary_search_lessEbEEEE10hipError_tPvRmT1_T2_T3_mmT4_T5_P12ihipStream_tbEUlRKfE_EEST_SX_SY_mSZ_S12_bEUlT_E_NS1_11comp_targetILNS1_3genE10ELNS1_11target_archE1201ELNS1_3gpuE5ELNS1_3repE0EEENS1_30default_config_static_selectorELNS0_4arch9wavefront6targetE0EEEvSW_.has_recursion, 0
	.set _ZN7rocprim17ROCPRIM_400000_NS6detail17trampoline_kernelINS0_14default_configENS1_29binary_search_config_selectorIfiEEZNS1_14transform_implILb0ES3_S5_N6thrust23THRUST_200600_302600_NS6detail15normal_iteratorINS8_7pointerIfNS8_11hip_rocprim5par_tENS8_11use_defaultESE_EEEENSA_INSB_IiSD_SE_SE_EEEEZNS1_13binary_searchIS3_S5_PfSG_SI_NS1_16binary_search_opENS9_16wrapped_functionINS8_6system6detail7generic6detail18binary_search_lessEbEEEE10hipError_tPvRmT1_T2_T3_mmT4_T5_P12ihipStream_tbEUlRKfE_EEST_SX_SY_mSZ_S12_bEUlT_E_NS1_11comp_targetILNS1_3genE10ELNS1_11target_archE1201ELNS1_3gpuE5ELNS1_3repE0EEENS1_30default_config_static_selectorELNS0_4arch9wavefront6targetE0EEEvSW_.has_indirect_call, 0
	.section	.AMDGPU.csdata,"",@progbits
; Kernel info:
; codeLenInByte = 0
; TotalNumSgprs: 0
; NumVgprs: 0
; ScratchSize: 0
; MemoryBound: 0
; FloatMode: 240
; IeeeMode: 1
; LDSByteSize: 0 bytes/workgroup (compile time only)
; SGPRBlocks: 0
; VGPRBlocks: 0
; NumSGPRsForWavesPerEU: 1
; NumVGPRsForWavesPerEU: 1
; Occupancy: 16
; WaveLimiterHint : 0
; COMPUTE_PGM_RSRC2:SCRATCH_EN: 0
; COMPUTE_PGM_RSRC2:USER_SGPR: 6
; COMPUTE_PGM_RSRC2:TRAP_HANDLER: 0
; COMPUTE_PGM_RSRC2:TGID_X_EN: 1
; COMPUTE_PGM_RSRC2:TGID_Y_EN: 0
; COMPUTE_PGM_RSRC2:TGID_Z_EN: 0
; COMPUTE_PGM_RSRC2:TIDIG_COMP_CNT: 0
	.section	.text._ZN7rocprim17ROCPRIM_400000_NS6detail17trampoline_kernelINS0_14default_configENS1_29binary_search_config_selectorIfiEEZNS1_14transform_implILb0ES3_S5_N6thrust23THRUST_200600_302600_NS6detail15normal_iteratorINS8_7pointerIfNS8_11hip_rocprim5par_tENS8_11use_defaultESE_EEEENSA_INSB_IiSD_SE_SE_EEEEZNS1_13binary_searchIS3_S5_PfSG_SI_NS1_16binary_search_opENS9_16wrapped_functionINS8_6system6detail7generic6detail18binary_search_lessEbEEEE10hipError_tPvRmT1_T2_T3_mmT4_T5_P12ihipStream_tbEUlRKfE_EEST_SX_SY_mSZ_S12_bEUlT_E_NS1_11comp_targetILNS1_3genE10ELNS1_11target_archE1200ELNS1_3gpuE4ELNS1_3repE0EEENS1_30default_config_static_selectorELNS0_4arch9wavefront6targetE0EEEvSW_,"axG",@progbits,_ZN7rocprim17ROCPRIM_400000_NS6detail17trampoline_kernelINS0_14default_configENS1_29binary_search_config_selectorIfiEEZNS1_14transform_implILb0ES3_S5_N6thrust23THRUST_200600_302600_NS6detail15normal_iteratorINS8_7pointerIfNS8_11hip_rocprim5par_tENS8_11use_defaultESE_EEEENSA_INSB_IiSD_SE_SE_EEEEZNS1_13binary_searchIS3_S5_PfSG_SI_NS1_16binary_search_opENS9_16wrapped_functionINS8_6system6detail7generic6detail18binary_search_lessEbEEEE10hipError_tPvRmT1_T2_T3_mmT4_T5_P12ihipStream_tbEUlRKfE_EEST_SX_SY_mSZ_S12_bEUlT_E_NS1_11comp_targetILNS1_3genE10ELNS1_11target_archE1200ELNS1_3gpuE4ELNS1_3repE0EEENS1_30default_config_static_selectorELNS0_4arch9wavefront6targetE0EEEvSW_,comdat
	.protected	_ZN7rocprim17ROCPRIM_400000_NS6detail17trampoline_kernelINS0_14default_configENS1_29binary_search_config_selectorIfiEEZNS1_14transform_implILb0ES3_S5_N6thrust23THRUST_200600_302600_NS6detail15normal_iteratorINS8_7pointerIfNS8_11hip_rocprim5par_tENS8_11use_defaultESE_EEEENSA_INSB_IiSD_SE_SE_EEEEZNS1_13binary_searchIS3_S5_PfSG_SI_NS1_16binary_search_opENS9_16wrapped_functionINS8_6system6detail7generic6detail18binary_search_lessEbEEEE10hipError_tPvRmT1_T2_T3_mmT4_T5_P12ihipStream_tbEUlRKfE_EEST_SX_SY_mSZ_S12_bEUlT_E_NS1_11comp_targetILNS1_3genE10ELNS1_11target_archE1200ELNS1_3gpuE4ELNS1_3repE0EEENS1_30default_config_static_selectorELNS0_4arch9wavefront6targetE0EEEvSW_ ; -- Begin function _ZN7rocprim17ROCPRIM_400000_NS6detail17trampoline_kernelINS0_14default_configENS1_29binary_search_config_selectorIfiEEZNS1_14transform_implILb0ES3_S5_N6thrust23THRUST_200600_302600_NS6detail15normal_iteratorINS8_7pointerIfNS8_11hip_rocprim5par_tENS8_11use_defaultESE_EEEENSA_INSB_IiSD_SE_SE_EEEEZNS1_13binary_searchIS3_S5_PfSG_SI_NS1_16binary_search_opENS9_16wrapped_functionINS8_6system6detail7generic6detail18binary_search_lessEbEEEE10hipError_tPvRmT1_T2_T3_mmT4_T5_P12ihipStream_tbEUlRKfE_EEST_SX_SY_mSZ_S12_bEUlT_E_NS1_11comp_targetILNS1_3genE10ELNS1_11target_archE1200ELNS1_3gpuE4ELNS1_3repE0EEENS1_30default_config_static_selectorELNS0_4arch9wavefront6targetE0EEEvSW_
	.globl	_ZN7rocprim17ROCPRIM_400000_NS6detail17trampoline_kernelINS0_14default_configENS1_29binary_search_config_selectorIfiEEZNS1_14transform_implILb0ES3_S5_N6thrust23THRUST_200600_302600_NS6detail15normal_iteratorINS8_7pointerIfNS8_11hip_rocprim5par_tENS8_11use_defaultESE_EEEENSA_INSB_IiSD_SE_SE_EEEEZNS1_13binary_searchIS3_S5_PfSG_SI_NS1_16binary_search_opENS9_16wrapped_functionINS8_6system6detail7generic6detail18binary_search_lessEbEEEE10hipError_tPvRmT1_T2_T3_mmT4_T5_P12ihipStream_tbEUlRKfE_EEST_SX_SY_mSZ_S12_bEUlT_E_NS1_11comp_targetILNS1_3genE10ELNS1_11target_archE1200ELNS1_3gpuE4ELNS1_3repE0EEENS1_30default_config_static_selectorELNS0_4arch9wavefront6targetE0EEEvSW_
	.p2align	8
	.type	_ZN7rocprim17ROCPRIM_400000_NS6detail17trampoline_kernelINS0_14default_configENS1_29binary_search_config_selectorIfiEEZNS1_14transform_implILb0ES3_S5_N6thrust23THRUST_200600_302600_NS6detail15normal_iteratorINS8_7pointerIfNS8_11hip_rocprim5par_tENS8_11use_defaultESE_EEEENSA_INSB_IiSD_SE_SE_EEEEZNS1_13binary_searchIS3_S5_PfSG_SI_NS1_16binary_search_opENS9_16wrapped_functionINS8_6system6detail7generic6detail18binary_search_lessEbEEEE10hipError_tPvRmT1_T2_T3_mmT4_T5_P12ihipStream_tbEUlRKfE_EEST_SX_SY_mSZ_S12_bEUlT_E_NS1_11comp_targetILNS1_3genE10ELNS1_11target_archE1200ELNS1_3gpuE4ELNS1_3repE0EEENS1_30default_config_static_selectorELNS0_4arch9wavefront6targetE0EEEvSW_,@function
_ZN7rocprim17ROCPRIM_400000_NS6detail17trampoline_kernelINS0_14default_configENS1_29binary_search_config_selectorIfiEEZNS1_14transform_implILb0ES3_S5_N6thrust23THRUST_200600_302600_NS6detail15normal_iteratorINS8_7pointerIfNS8_11hip_rocprim5par_tENS8_11use_defaultESE_EEEENSA_INSB_IiSD_SE_SE_EEEEZNS1_13binary_searchIS3_S5_PfSG_SI_NS1_16binary_search_opENS9_16wrapped_functionINS8_6system6detail7generic6detail18binary_search_lessEbEEEE10hipError_tPvRmT1_T2_T3_mmT4_T5_P12ihipStream_tbEUlRKfE_EEST_SX_SY_mSZ_S12_bEUlT_E_NS1_11comp_targetILNS1_3genE10ELNS1_11target_archE1200ELNS1_3gpuE4ELNS1_3repE0EEENS1_30default_config_static_selectorELNS0_4arch9wavefront6targetE0EEEvSW_: ; @_ZN7rocprim17ROCPRIM_400000_NS6detail17trampoline_kernelINS0_14default_configENS1_29binary_search_config_selectorIfiEEZNS1_14transform_implILb0ES3_S5_N6thrust23THRUST_200600_302600_NS6detail15normal_iteratorINS8_7pointerIfNS8_11hip_rocprim5par_tENS8_11use_defaultESE_EEEENSA_INSB_IiSD_SE_SE_EEEEZNS1_13binary_searchIS3_S5_PfSG_SI_NS1_16binary_search_opENS9_16wrapped_functionINS8_6system6detail7generic6detail18binary_search_lessEbEEEE10hipError_tPvRmT1_T2_T3_mmT4_T5_P12ihipStream_tbEUlRKfE_EEST_SX_SY_mSZ_S12_bEUlT_E_NS1_11comp_targetILNS1_3genE10ELNS1_11target_archE1200ELNS1_3gpuE4ELNS1_3repE0EEENS1_30default_config_static_selectorELNS0_4arch9wavefront6targetE0EEEvSW_
; %bb.0:
	.section	.rodata,"a",@progbits
	.p2align	6, 0x0
	.amdhsa_kernel _ZN7rocprim17ROCPRIM_400000_NS6detail17trampoline_kernelINS0_14default_configENS1_29binary_search_config_selectorIfiEEZNS1_14transform_implILb0ES3_S5_N6thrust23THRUST_200600_302600_NS6detail15normal_iteratorINS8_7pointerIfNS8_11hip_rocprim5par_tENS8_11use_defaultESE_EEEENSA_INSB_IiSD_SE_SE_EEEEZNS1_13binary_searchIS3_S5_PfSG_SI_NS1_16binary_search_opENS9_16wrapped_functionINS8_6system6detail7generic6detail18binary_search_lessEbEEEE10hipError_tPvRmT1_T2_T3_mmT4_T5_P12ihipStream_tbEUlRKfE_EEST_SX_SY_mSZ_S12_bEUlT_E_NS1_11comp_targetILNS1_3genE10ELNS1_11target_archE1200ELNS1_3gpuE4ELNS1_3repE0EEENS1_30default_config_static_selectorELNS0_4arch9wavefront6targetE0EEEvSW_
		.amdhsa_group_segment_fixed_size 0
		.amdhsa_private_segment_fixed_size 0
		.amdhsa_kernarg_size 56
		.amdhsa_user_sgpr_count 6
		.amdhsa_user_sgpr_private_segment_buffer 1
		.amdhsa_user_sgpr_dispatch_ptr 0
		.amdhsa_user_sgpr_queue_ptr 0
		.amdhsa_user_sgpr_kernarg_segment_ptr 1
		.amdhsa_user_sgpr_dispatch_id 0
		.amdhsa_user_sgpr_flat_scratch_init 0
		.amdhsa_user_sgpr_private_segment_size 0
		.amdhsa_wavefront_size32 1
		.amdhsa_uses_dynamic_stack 0
		.amdhsa_system_sgpr_private_segment_wavefront_offset 0
		.amdhsa_system_sgpr_workgroup_id_x 1
		.amdhsa_system_sgpr_workgroup_id_y 0
		.amdhsa_system_sgpr_workgroup_id_z 0
		.amdhsa_system_sgpr_workgroup_info 0
		.amdhsa_system_vgpr_workitem_id 0
		.amdhsa_next_free_vgpr 1
		.amdhsa_next_free_sgpr 1
		.amdhsa_reserve_vcc 0
		.amdhsa_reserve_flat_scratch 0
		.amdhsa_float_round_mode_32 0
		.amdhsa_float_round_mode_16_64 0
		.amdhsa_float_denorm_mode_32 3
		.amdhsa_float_denorm_mode_16_64 3
		.amdhsa_dx10_clamp 1
		.amdhsa_ieee_mode 1
		.amdhsa_fp16_overflow 0
		.amdhsa_workgroup_processor_mode 1
		.amdhsa_memory_ordered 1
		.amdhsa_forward_progress 1
		.amdhsa_shared_vgpr_count 0
		.amdhsa_exception_fp_ieee_invalid_op 0
		.amdhsa_exception_fp_denorm_src 0
		.amdhsa_exception_fp_ieee_div_zero 0
		.amdhsa_exception_fp_ieee_overflow 0
		.amdhsa_exception_fp_ieee_underflow 0
		.amdhsa_exception_fp_ieee_inexact 0
		.amdhsa_exception_int_div_zero 0
	.end_amdhsa_kernel
	.section	.text._ZN7rocprim17ROCPRIM_400000_NS6detail17trampoline_kernelINS0_14default_configENS1_29binary_search_config_selectorIfiEEZNS1_14transform_implILb0ES3_S5_N6thrust23THRUST_200600_302600_NS6detail15normal_iteratorINS8_7pointerIfNS8_11hip_rocprim5par_tENS8_11use_defaultESE_EEEENSA_INSB_IiSD_SE_SE_EEEEZNS1_13binary_searchIS3_S5_PfSG_SI_NS1_16binary_search_opENS9_16wrapped_functionINS8_6system6detail7generic6detail18binary_search_lessEbEEEE10hipError_tPvRmT1_T2_T3_mmT4_T5_P12ihipStream_tbEUlRKfE_EEST_SX_SY_mSZ_S12_bEUlT_E_NS1_11comp_targetILNS1_3genE10ELNS1_11target_archE1200ELNS1_3gpuE4ELNS1_3repE0EEENS1_30default_config_static_selectorELNS0_4arch9wavefront6targetE0EEEvSW_,"axG",@progbits,_ZN7rocprim17ROCPRIM_400000_NS6detail17trampoline_kernelINS0_14default_configENS1_29binary_search_config_selectorIfiEEZNS1_14transform_implILb0ES3_S5_N6thrust23THRUST_200600_302600_NS6detail15normal_iteratorINS8_7pointerIfNS8_11hip_rocprim5par_tENS8_11use_defaultESE_EEEENSA_INSB_IiSD_SE_SE_EEEEZNS1_13binary_searchIS3_S5_PfSG_SI_NS1_16binary_search_opENS9_16wrapped_functionINS8_6system6detail7generic6detail18binary_search_lessEbEEEE10hipError_tPvRmT1_T2_T3_mmT4_T5_P12ihipStream_tbEUlRKfE_EEST_SX_SY_mSZ_S12_bEUlT_E_NS1_11comp_targetILNS1_3genE10ELNS1_11target_archE1200ELNS1_3gpuE4ELNS1_3repE0EEENS1_30default_config_static_selectorELNS0_4arch9wavefront6targetE0EEEvSW_,comdat
.Lfunc_end259:
	.size	_ZN7rocprim17ROCPRIM_400000_NS6detail17trampoline_kernelINS0_14default_configENS1_29binary_search_config_selectorIfiEEZNS1_14transform_implILb0ES3_S5_N6thrust23THRUST_200600_302600_NS6detail15normal_iteratorINS8_7pointerIfNS8_11hip_rocprim5par_tENS8_11use_defaultESE_EEEENSA_INSB_IiSD_SE_SE_EEEEZNS1_13binary_searchIS3_S5_PfSG_SI_NS1_16binary_search_opENS9_16wrapped_functionINS8_6system6detail7generic6detail18binary_search_lessEbEEEE10hipError_tPvRmT1_T2_T3_mmT4_T5_P12ihipStream_tbEUlRKfE_EEST_SX_SY_mSZ_S12_bEUlT_E_NS1_11comp_targetILNS1_3genE10ELNS1_11target_archE1200ELNS1_3gpuE4ELNS1_3repE0EEENS1_30default_config_static_selectorELNS0_4arch9wavefront6targetE0EEEvSW_, .Lfunc_end259-_ZN7rocprim17ROCPRIM_400000_NS6detail17trampoline_kernelINS0_14default_configENS1_29binary_search_config_selectorIfiEEZNS1_14transform_implILb0ES3_S5_N6thrust23THRUST_200600_302600_NS6detail15normal_iteratorINS8_7pointerIfNS8_11hip_rocprim5par_tENS8_11use_defaultESE_EEEENSA_INSB_IiSD_SE_SE_EEEEZNS1_13binary_searchIS3_S5_PfSG_SI_NS1_16binary_search_opENS9_16wrapped_functionINS8_6system6detail7generic6detail18binary_search_lessEbEEEE10hipError_tPvRmT1_T2_T3_mmT4_T5_P12ihipStream_tbEUlRKfE_EEST_SX_SY_mSZ_S12_bEUlT_E_NS1_11comp_targetILNS1_3genE10ELNS1_11target_archE1200ELNS1_3gpuE4ELNS1_3repE0EEENS1_30default_config_static_selectorELNS0_4arch9wavefront6targetE0EEEvSW_
                                        ; -- End function
	.set _ZN7rocprim17ROCPRIM_400000_NS6detail17trampoline_kernelINS0_14default_configENS1_29binary_search_config_selectorIfiEEZNS1_14transform_implILb0ES3_S5_N6thrust23THRUST_200600_302600_NS6detail15normal_iteratorINS8_7pointerIfNS8_11hip_rocprim5par_tENS8_11use_defaultESE_EEEENSA_INSB_IiSD_SE_SE_EEEEZNS1_13binary_searchIS3_S5_PfSG_SI_NS1_16binary_search_opENS9_16wrapped_functionINS8_6system6detail7generic6detail18binary_search_lessEbEEEE10hipError_tPvRmT1_T2_T3_mmT4_T5_P12ihipStream_tbEUlRKfE_EEST_SX_SY_mSZ_S12_bEUlT_E_NS1_11comp_targetILNS1_3genE10ELNS1_11target_archE1200ELNS1_3gpuE4ELNS1_3repE0EEENS1_30default_config_static_selectorELNS0_4arch9wavefront6targetE0EEEvSW_.num_vgpr, 0
	.set _ZN7rocprim17ROCPRIM_400000_NS6detail17trampoline_kernelINS0_14default_configENS1_29binary_search_config_selectorIfiEEZNS1_14transform_implILb0ES3_S5_N6thrust23THRUST_200600_302600_NS6detail15normal_iteratorINS8_7pointerIfNS8_11hip_rocprim5par_tENS8_11use_defaultESE_EEEENSA_INSB_IiSD_SE_SE_EEEEZNS1_13binary_searchIS3_S5_PfSG_SI_NS1_16binary_search_opENS9_16wrapped_functionINS8_6system6detail7generic6detail18binary_search_lessEbEEEE10hipError_tPvRmT1_T2_T3_mmT4_T5_P12ihipStream_tbEUlRKfE_EEST_SX_SY_mSZ_S12_bEUlT_E_NS1_11comp_targetILNS1_3genE10ELNS1_11target_archE1200ELNS1_3gpuE4ELNS1_3repE0EEENS1_30default_config_static_selectorELNS0_4arch9wavefront6targetE0EEEvSW_.num_agpr, 0
	.set _ZN7rocprim17ROCPRIM_400000_NS6detail17trampoline_kernelINS0_14default_configENS1_29binary_search_config_selectorIfiEEZNS1_14transform_implILb0ES3_S5_N6thrust23THRUST_200600_302600_NS6detail15normal_iteratorINS8_7pointerIfNS8_11hip_rocprim5par_tENS8_11use_defaultESE_EEEENSA_INSB_IiSD_SE_SE_EEEEZNS1_13binary_searchIS3_S5_PfSG_SI_NS1_16binary_search_opENS9_16wrapped_functionINS8_6system6detail7generic6detail18binary_search_lessEbEEEE10hipError_tPvRmT1_T2_T3_mmT4_T5_P12ihipStream_tbEUlRKfE_EEST_SX_SY_mSZ_S12_bEUlT_E_NS1_11comp_targetILNS1_3genE10ELNS1_11target_archE1200ELNS1_3gpuE4ELNS1_3repE0EEENS1_30default_config_static_selectorELNS0_4arch9wavefront6targetE0EEEvSW_.numbered_sgpr, 0
	.set _ZN7rocprim17ROCPRIM_400000_NS6detail17trampoline_kernelINS0_14default_configENS1_29binary_search_config_selectorIfiEEZNS1_14transform_implILb0ES3_S5_N6thrust23THRUST_200600_302600_NS6detail15normal_iteratorINS8_7pointerIfNS8_11hip_rocprim5par_tENS8_11use_defaultESE_EEEENSA_INSB_IiSD_SE_SE_EEEEZNS1_13binary_searchIS3_S5_PfSG_SI_NS1_16binary_search_opENS9_16wrapped_functionINS8_6system6detail7generic6detail18binary_search_lessEbEEEE10hipError_tPvRmT1_T2_T3_mmT4_T5_P12ihipStream_tbEUlRKfE_EEST_SX_SY_mSZ_S12_bEUlT_E_NS1_11comp_targetILNS1_3genE10ELNS1_11target_archE1200ELNS1_3gpuE4ELNS1_3repE0EEENS1_30default_config_static_selectorELNS0_4arch9wavefront6targetE0EEEvSW_.num_named_barrier, 0
	.set _ZN7rocprim17ROCPRIM_400000_NS6detail17trampoline_kernelINS0_14default_configENS1_29binary_search_config_selectorIfiEEZNS1_14transform_implILb0ES3_S5_N6thrust23THRUST_200600_302600_NS6detail15normal_iteratorINS8_7pointerIfNS8_11hip_rocprim5par_tENS8_11use_defaultESE_EEEENSA_INSB_IiSD_SE_SE_EEEEZNS1_13binary_searchIS3_S5_PfSG_SI_NS1_16binary_search_opENS9_16wrapped_functionINS8_6system6detail7generic6detail18binary_search_lessEbEEEE10hipError_tPvRmT1_T2_T3_mmT4_T5_P12ihipStream_tbEUlRKfE_EEST_SX_SY_mSZ_S12_bEUlT_E_NS1_11comp_targetILNS1_3genE10ELNS1_11target_archE1200ELNS1_3gpuE4ELNS1_3repE0EEENS1_30default_config_static_selectorELNS0_4arch9wavefront6targetE0EEEvSW_.private_seg_size, 0
	.set _ZN7rocprim17ROCPRIM_400000_NS6detail17trampoline_kernelINS0_14default_configENS1_29binary_search_config_selectorIfiEEZNS1_14transform_implILb0ES3_S5_N6thrust23THRUST_200600_302600_NS6detail15normal_iteratorINS8_7pointerIfNS8_11hip_rocprim5par_tENS8_11use_defaultESE_EEEENSA_INSB_IiSD_SE_SE_EEEEZNS1_13binary_searchIS3_S5_PfSG_SI_NS1_16binary_search_opENS9_16wrapped_functionINS8_6system6detail7generic6detail18binary_search_lessEbEEEE10hipError_tPvRmT1_T2_T3_mmT4_T5_P12ihipStream_tbEUlRKfE_EEST_SX_SY_mSZ_S12_bEUlT_E_NS1_11comp_targetILNS1_3genE10ELNS1_11target_archE1200ELNS1_3gpuE4ELNS1_3repE0EEENS1_30default_config_static_selectorELNS0_4arch9wavefront6targetE0EEEvSW_.uses_vcc, 0
	.set _ZN7rocprim17ROCPRIM_400000_NS6detail17trampoline_kernelINS0_14default_configENS1_29binary_search_config_selectorIfiEEZNS1_14transform_implILb0ES3_S5_N6thrust23THRUST_200600_302600_NS6detail15normal_iteratorINS8_7pointerIfNS8_11hip_rocprim5par_tENS8_11use_defaultESE_EEEENSA_INSB_IiSD_SE_SE_EEEEZNS1_13binary_searchIS3_S5_PfSG_SI_NS1_16binary_search_opENS9_16wrapped_functionINS8_6system6detail7generic6detail18binary_search_lessEbEEEE10hipError_tPvRmT1_T2_T3_mmT4_T5_P12ihipStream_tbEUlRKfE_EEST_SX_SY_mSZ_S12_bEUlT_E_NS1_11comp_targetILNS1_3genE10ELNS1_11target_archE1200ELNS1_3gpuE4ELNS1_3repE0EEENS1_30default_config_static_selectorELNS0_4arch9wavefront6targetE0EEEvSW_.uses_flat_scratch, 0
	.set _ZN7rocprim17ROCPRIM_400000_NS6detail17trampoline_kernelINS0_14default_configENS1_29binary_search_config_selectorIfiEEZNS1_14transform_implILb0ES3_S5_N6thrust23THRUST_200600_302600_NS6detail15normal_iteratorINS8_7pointerIfNS8_11hip_rocprim5par_tENS8_11use_defaultESE_EEEENSA_INSB_IiSD_SE_SE_EEEEZNS1_13binary_searchIS3_S5_PfSG_SI_NS1_16binary_search_opENS9_16wrapped_functionINS8_6system6detail7generic6detail18binary_search_lessEbEEEE10hipError_tPvRmT1_T2_T3_mmT4_T5_P12ihipStream_tbEUlRKfE_EEST_SX_SY_mSZ_S12_bEUlT_E_NS1_11comp_targetILNS1_3genE10ELNS1_11target_archE1200ELNS1_3gpuE4ELNS1_3repE0EEENS1_30default_config_static_selectorELNS0_4arch9wavefront6targetE0EEEvSW_.has_dyn_sized_stack, 0
	.set _ZN7rocprim17ROCPRIM_400000_NS6detail17trampoline_kernelINS0_14default_configENS1_29binary_search_config_selectorIfiEEZNS1_14transform_implILb0ES3_S5_N6thrust23THRUST_200600_302600_NS6detail15normal_iteratorINS8_7pointerIfNS8_11hip_rocprim5par_tENS8_11use_defaultESE_EEEENSA_INSB_IiSD_SE_SE_EEEEZNS1_13binary_searchIS3_S5_PfSG_SI_NS1_16binary_search_opENS9_16wrapped_functionINS8_6system6detail7generic6detail18binary_search_lessEbEEEE10hipError_tPvRmT1_T2_T3_mmT4_T5_P12ihipStream_tbEUlRKfE_EEST_SX_SY_mSZ_S12_bEUlT_E_NS1_11comp_targetILNS1_3genE10ELNS1_11target_archE1200ELNS1_3gpuE4ELNS1_3repE0EEENS1_30default_config_static_selectorELNS0_4arch9wavefront6targetE0EEEvSW_.has_recursion, 0
	.set _ZN7rocprim17ROCPRIM_400000_NS6detail17trampoline_kernelINS0_14default_configENS1_29binary_search_config_selectorIfiEEZNS1_14transform_implILb0ES3_S5_N6thrust23THRUST_200600_302600_NS6detail15normal_iteratorINS8_7pointerIfNS8_11hip_rocprim5par_tENS8_11use_defaultESE_EEEENSA_INSB_IiSD_SE_SE_EEEEZNS1_13binary_searchIS3_S5_PfSG_SI_NS1_16binary_search_opENS9_16wrapped_functionINS8_6system6detail7generic6detail18binary_search_lessEbEEEE10hipError_tPvRmT1_T2_T3_mmT4_T5_P12ihipStream_tbEUlRKfE_EEST_SX_SY_mSZ_S12_bEUlT_E_NS1_11comp_targetILNS1_3genE10ELNS1_11target_archE1200ELNS1_3gpuE4ELNS1_3repE0EEENS1_30default_config_static_selectorELNS0_4arch9wavefront6targetE0EEEvSW_.has_indirect_call, 0
	.section	.AMDGPU.csdata,"",@progbits
; Kernel info:
; codeLenInByte = 0
; TotalNumSgprs: 0
; NumVgprs: 0
; ScratchSize: 0
; MemoryBound: 0
; FloatMode: 240
; IeeeMode: 1
; LDSByteSize: 0 bytes/workgroup (compile time only)
; SGPRBlocks: 0
; VGPRBlocks: 0
; NumSGPRsForWavesPerEU: 1
; NumVGPRsForWavesPerEU: 1
; Occupancy: 16
; WaveLimiterHint : 0
; COMPUTE_PGM_RSRC2:SCRATCH_EN: 0
; COMPUTE_PGM_RSRC2:USER_SGPR: 6
; COMPUTE_PGM_RSRC2:TRAP_HANDLER: 0
; COMPUTE_PGM_RSRC2:TGID_X_EN: 1
; COMPUTE_PGM_RSRC2:TGID_Y_EN: 0
; COMPUTE_PGM_RSRC2:TGID_Z_EN: 0
; COMPUTE_PGM_RSRC2:TIDIG_COMP_CNT: 0
	.section	.text._ZN7rocprim17ROCPRIM_400000_NS6detail17trampoline_kernelINS0_14default_configENS1_29binary_search_config_selectorIfiEEZNS1_14transform_implILb0ES3_S5_N6thrust23THRUST_200600_302600_NS6detail15normal_iteratorINS8_7pointerIfNS8_11hip_rocprim5par_tENS8_11use_defaultESE_EEEENSA_INSB_IiSD_SE_SE_EEEEZNS1_13binary_searchIS3_S5_PfSG_SI_NS1_16binary_search_opENS9_16wrapped_functionINS8_6system6detail7generic6detail18binary_search_lessEbEEEE10hipError_tPvRmT1_T2_T3_mmT4_T5_P12ihipStream_tbEUlRKfE_EEST_SX_SY_mSZ_S12_bEUlT_E_NS1_11comp_targetILNS1_3genE9ELNS1_11target_archE1100ELNS1_3gpuE3ELNS1_3repE0EEENS1_30default_config_static_selectorELNS0_4arch9wavefront6targetE0EEEvSW_,"axG",@progbits,_ZN7rocprim17ROCPRIM_400000_NS6detail17trampoline_kernelINS0_14default_configENS1_29binary_search_config_selectorIfiEEZNS1_14transform_implILb0ES3_S5_N6thrust23THRUST_200600_302600_NS6detail15normal_iteratorINS8_7pointerIfNS8_11hip_rocprim5par_tENS8_11use_defaultESE_EEEENSA_INSB_IiSD_SE_SE_EEEEZNS1_13binary_searchIS3_S5_PfSG_SI_NS1_16binary_search_opENS9_16wrapped_functionINS8_6system6detail7generic6detail18binary_search_lessEbEEEE10hipError_tPvRmT1_T2_T3_mmT4_T5_P12ihipStream_tbEUlRKfE_EEST_SX_SY_mSZ_S12_bEUlT_E_NS1_11comp_targetILNS1_3genE9ELNS1_11target_archE1100ELNS1_3gpuE3ELNS1_3repE0EEENS1_30default_config_static_selectorELNS0_4arch9wavefront6targetE0EEEvSW_,comdat
	.protected	_ZN7rocprim17ROCPRIM_400000_NS6detail17trampoline_kernelINS0_14default_configENS1_29binary_search_config_selectorIfiEEZNS1_14transform_implILb0ES3_S5_N6thrust23THRUST_200600_302600_NS6detail15normal_iteratorINS8_7pointerIfNS8_11hip_rocprim5par_tENS8_11use_defaultESE_EEEENSA_INSB_IiSD_SE_SE_EEEEZNS1_13binary_searchIS3_S5_PfSG_SI_NS1_16binary_search_opENS9_16wrapped_functionINS8_6system6detail7generic6detail18binary_search_lessEbEEEE10hipError_tPvRmT1_T2_T3_mmT4_T5_P12ihipStream_tbEUlRKfE_EEST_SX_SY_mSZ_S12_bEUlT_E_NS1_11comp_targetILNS1_3genE9ELNS1_11target_archE1100ELNS1_3gpuE3ELNS1_3repE0EEENS1_30default_config_static_selectorELNS0_4arch9wavefront6targetE0EEEvSW_ ; -- Begin function _ZN7rocprim17ROCPRIM_400000_NS6detail17trampoline_kernelINS0_14default_configENS1_29binary_search_config_selectorIfiEEZNS1_14transform_implILb0ES3_S5_N6thrust23THRUST_200600_302600_NS6detail15normal_iteratorINS8_7pointerIfNS8_11hip_rocprim5par_tENS8_11use_defaultESE_EEEENSA_INSB_IiSD_SE_SE_EEEEZNS1_13binary_searchIS3_S5_PfSG_SI_NS1_16binary_search_opENS9_16wrapped_functionINS8_6system6detail7generic6detail18binary_search_lessEbEEEE10hipError_tPvRmT1_T2_T3_mmT4_T5_P12ihipStream_tbEUlRKfE_EEST_SX_SY_mSZ_S12_bEUlT_E_NS1_11comp_targetILNS1_3genE9ELNS1_11target_archE1100ELNS1_3gpuE3ELNS1_3repE0EEENS1_30default_config_static_selectorELNS0_4arch9wavefront6targetE0EEEvSW_
	.globl	_ZN7rocprim17ROCPRIM_400000_NS6detail17trampoline_kernelINS0_14default_configENS1_29binary_search_config_selectorIfiEEZNS1_14transform_implILb0ES3_S5_N6thrust23THRUST_200600_302600_NS6detail15normal_iteratorINS8_7pointerIfNS8_11hip_rocprim5par_tENS8_11use_defaultESE_EEEENSA_INSB_IiSD_SE_SE_EEEEZNS1_13binary_searchIS3_S5_PfSG_SI_NS1_16binary_search_opENS9_16wrapped_functionINS8_6system6detail7generic6detail18binary_search_lessEbEEEE10hipError_tPvRmT1_T2_T3_mmT4_T5_P12ihipStream_tbEUlRKfE_EEST_SX_SY_mSZ_S12_bEUlT_E_NS1_11comp_targetILNS1_3genE9ELNS1_11target_archE1100ELNS1_3gpuE3ELNS1_3repE0EEENS1_30default_config_static_selectorELNS0_4arch9wavefront6targetE0EEEvSW_
	.p2align	8
	.type	_ZN7rocprim17ROCPRIM_400000_NS6detail17trampoline_kernelINS0_14default_configENS1_29binary_search_config_selectorIfiEEZNS1_14transform_implILb0ES3_S5_N6thrust23THRUST_200600_302600_NS6detail15normal_iteratorINS8_7pointerIfNS8_11hip_rocprim5par_tENS8_11use_defaultESE_EEEENSA_INSB_IiSD_SE_SE_EEEEZNS1_13binary_searchIS3_S5_PfSG_SI_NS1_16binary_search_opENS9_16wrapped_functionINS8_6system6detail7generic6detail18binary_search_lessEbEEEE10hipError_tPvRmT1_T2_T3_mmT4_T5_P12ihipStream_tbEUlRKfE_EEST_SX_SY_mSZ_S12_bEUlT_E_NS1_11comp_targetILNS1_3genE9ELNS1_11target_archE1100ELNS1_3gpuE3ELNS1_3repE0EEENS1_30default_config_static_selectorELNS0_4arch9wavefront6targetE0EEEvSW_,@function
_ZN7rocprim17ROCPRIM_400000_NS6detail17trampoline_kernelINS0_14default_configENS1_29binary_search_config_selectorIfiEEZNS1_14transform_implILb0ES3_S5_N6thrust23THRUST_200600_302600_NS6detail15normal_iteratorINS8_7pointerIfNS8_11hip_rocprim5par_tENS8_11use_defaultESE_EEEENSA_INSB_IiSD_SE_SE_EEEEZNS1_13binary_searchIS3_S5_PfSG_SI_NS1_16binary_search_opENS9_16wrapped_functionINS8_6system6detail7generic6detail18binary_search_lessEbEEEE10hipError_tPvRmT1_T2_T3_mmT4_T5_P12ihipStream_tbEUlRKfE_EEST_SX_SY_mSZ_S12_bEUlT_E_NS1_11comp_targetILNS1_3genE9ELNS1_11target_archE1100ELNS1_3gpuE3ELNS1_3repE0EEENS1_30default_config_static_selectorELNS0_4arch9wavefront6targetE0EEEvSW_: ; @_ZN7rocprim17ROCPRIM_400000_NS6detail17trampoline_kernelINS0_14default_configENS1_29binary_search_config_selectorIfiEEZNS1_14transform_implILb0ES3_S5_N6thrust23THRUST_200600_302600_NS6detail15normal_iteratorINS8_7pointerIfNS8_11hip_rocprim5par_tENS8_11use_defaultESE_EEEENSA_INSB_IiSD_SE_SE_EEEEZNS1_13binary_searchIS3_S5_PfSG_SI_NS1_16binary_search_opENS9_16wrapped_functionINS8_6system6detail7generic6detail18binary_search_lessEbEEEE10hipError_tPvRmT1_T2_T3_mmT4_T5_P12ihipStream_tbEUlRKfE_EEST_SX_SY_mSZ_S12_bEUlT_E_NS1_11comp_targetILNS1_3genE9ELNS1_11target_archE1100ELNS1_3gpuE3ELNS1_3repE0EEENS1_30default_config_static_selectorELNS0_4arch9wavefront6targetE0EEEvSW_
; %bb.0:
	.section	.rodata,"a",@progbits
	.p2align	6, 0x0
	.amdhsa_kernel _ZN7rocprim17ROCPRIM_400000_NS6detail17trampoline_kernelINS0_14default_configENS1_29binary_search_config_selectorIfiEEZNS1_14transform_implILb0ES3_S5_N6thrust23THRUST_200600_302600_NS6detail15normal_iteratorINS8_7pointerIfNS8_11hip_rocprim5par_tENS8_11use_defaultESE_EEEENSA_INSB_IiSD_SE_SE_EEEEZNS1_13binary_searchIS3_S5_PfSG_SI_NS1_16binary_search_opENS9_16wrapped_functionINS8_6system6detail7generic6detail18binary_search_lessEbEEEE10hipError_tPvRmT1_T2_T3_mmT4_T5_P12ihipStream_tbEUlRKfE_EEST_SX_SY_mSZ_S12_bEUlT_E_NS1_11comp_targetILNS1_3genE9ELNS1_11target_archE1100ELNS1_3gpuE3ELNS1_3repE0EEENS1_30default_config_static_selectorELNS0_4arch9wavefront6targetE0EEEvSW_
		.amdhsa_group_segment_fixed_size 0
		.amdhsa_private_segment_fixed_size 0
		.amdhsa_kernarg_size 56
		.amdhsa_user_sgpr_count 6
		.amdhsa_user_sgpr_private_segment_buffer 1
		.amdhsa_user_sgpr_dispatch_ptr 0
		.amdhsa_user_sgpr_queue_ptr 0
		.amdhsa_user_sgpr_kernarg_segment_ptr 1
		.amdhsa_user_sgpr_dispatch_id 0
		.amdhsa_user_sgpr_flat_scratch_init 0
		.amdhsa_user_sgpr_private_segment_size 0
		.amdhsa_wavefront_size32 1
		.amdhsa_uses_dynamic_stack 0
		.amdhsa_system_sgpr_private_segment_wavefront_offset 0
		.amdhsa_system_sgpr_workgroup_id_x 1
		.amdhsa_system_sgpr_workgroup_id_y 0
		.amdhsa_system_sgpr_workgroup_id_z 0
		.amdhsa_system_sgpr_workgroup_info 0
		.amdhsa_system_vgpr_workitem_id 0
		.amdhsa_next_free_vgpr 1
		.amdhsa_next_free_sgpr 1
		.amdhsa_reserve_vcc 0
		.amdhsa_reserve_flat_scratch 0
		.amdhsa_float_round_mode_32 0
		.amdhsa_float_round_mode_16_64 0
		.amdhsa_float_denorm_mode_32 3
		.amdhsa_float_denorm_mode_16_64 3
		.amdhsa_dx10_clamp 1
		.amdhsa_ieee_mode 1
		.amdhsa_fp16_overflow 0
		.amdhsa_workgroup_processor_mode 1
		.amdhsa_memory_ordered 1
		.amdhsa_forward_progress 1
		.amdhsa_shared_vgpr_count 0
		.amdhsa_exception_fp_ieee_invalid_op 0
		.amdhsa_exception_fp_denorm_src 0
		.amdhsa_exception_fp_ieee_div_zero 0
		.amdhsa_exception_fp_ieee_overflow 0
		.amdhsa_exception_fp_ieee_underflow 0
		.amdhsa_exception_fp_ieee_inexact 0
		.amdhsa_exception_int_div_zero 0
	.end_amdhsa_kernel
	.section	.text._ZN7rocprim17ROCPRIM_400000_NS6detail17trampoline_kernelINS0_14default_configENS1_29binary_search_config_selectorIfiEEZNS1_14transform_implILb0ES3_S5_N6thrust23THRUST_200600_302600_NS6detail15normal_iteratorINS8_7pointerIfNS8_11hip_rocprim5par_tENS8_11use_defaultESE_EEEENSA_INSB_IiSD_SE_SE_EEEEZNS1_13binary_searchIS3_S5_PfSG_SI_NS1_16binary_search_opENS9_16wrapped_functionINS8_6system6detail7generic6detail18binary_search_lessEbEEEE10hipError_tPvRmT1_T2_T3_mmT4_T5_P12ihipStream_tbEUlRKfE_EEST_SX_SY_mSZ_S12_bEUlT_E_NS1_11comp_targetILNS1_3genE9ELNS1_11target_archE1100ELNS1_3gpuE3ELNS1_3repE0EEENS1_30default_config_static_selectorELNS0_4arch9wavefront6targetE0EEEvSW_,"axG",@progbits,_ZN7rocprim17ROCPRIM_400000_NS6detail17trampoline_kernelINS0_14default_configENS1_29binary_search_config_selectorIfiEEZNS1_14transform_implILb0ES3_S5_N6thrust23THRUST_200600_302600_NS6detail15normal_iteratorINS8_7pointerIfNS8_11hip_rocprim5par_tENS8_11use_defaultESE_EEEENSA_INSB_IiSD_SE_SE_EEEEZNS1_13binary_searchIS3_S5_PfSG_SI_NS1_16binary_search_opENS9_16wrapped_functionINS8_6system6detail7generic6detail18binary_search_lessEbEEEE10hipError_tPvRmT1_T2_T3_mmT4_T5_P12ihipStream_tbEUlRKfE_EEST_SX_SY_mSZ_S12_bEUlT_E_NS1_11comp_targetILNS1_3genE9ELNS1_11target_archE1100ELNS1_3gpuE3ELNS1_3repE0EEENS1_30default_config_static_selectorELNS0_4arch9wavefront6targetE0EEEvSW_,comdat
.Lfunc_end260:
	.size	_ZN7rocprim17ROCPRIM_400000_NS6detail17trampoline_kernelINS0_14default_configENS1_29binary_search_config_selectorIfiEEZNS1_14transform_implILb0ES3_S5_N6thrust23THRUST_200600_302600_NS6detail15normal_iteratorINS8_7pointerIfNS8_11hip_rocprim5par_tENS8_11use_defaultESE_EEEENSA_INSB_IiSD_SE_SE_EEEEZNS1_13binary_searchIS3_S5_PfSG_SI_NS1_16binary_search_opENS9_16wrapped_functionINS8_6system6detail7generic6detail18binary_search_lessEbEEEE10hipError_tPvRmT1_T2_T3_mmT4_T5_P12ihipStream_tbEUlRKfE_EEST_SX_SY_mSZ_S12_bEUlT_E_NS1_11comp_targetILNS1_3genE9ELNS1_11target_archE1100ELNS1_3gpuE3ELNS1_3repE0EEENS1_30default_config_static_selectorELNS0_4arch9wavefront6targetE0EEEvSW_, .Lfunc_end260-_ZN7rocprim17ROCPRIM_400000_NS6detail17trampoline_kernelINS0_14default_configENS1_29binary_search_config_selectorIfiEEZNS1_14transform_implILb0ES3_S5_N6thrust23THRUST_200600_302600_NS6detail15normal_iteratorINS8_7pointerIfNS8_11hip_rocprim5par_tENS8_11use_defaultESE_EEEENSA_INSB_IiSD_SE_SE_EEEEZNS1_13binary_searchIS3_S5_PfSG_SI_NS1_16binary_search_opENS9_16wrapped_functionINS8_6system6detail7generic6detail18binary_search_lessEbEEEE10hipError_tPvRmT1_T2_T3_mmT4_T5_P12ihipStream_tbEUlRKfE_EEST_SX_SY_mSZ_S12_bEUlT_E_NS1_11comp_targetILNS1_3genE9ELNS1_11target_archE1100ELNS1_3gpuE3ELNS1_3repE0EEENS1_30default_config_static_selectorELNS0_4arch9wavefront6targetE0EEEvSW_
                                        ; -- End function
	.set _ZN7rocprim17ROCPRIM_400000_NS6detail17trampoline_kernelINS0_14default_configENS1_29binary_search_config_selectorIfiEEZNS1_14transform_implILb0ES3_S5_N6thrust23THRUST_200600_302600_NS6detail15normal_iteratorINS8_7pointerIfNS8_11hip_rocprim5par_tENS8_11use_defaultESE_EEEENSA_INSB_IiSD_SE_SE_EEEEZNS1_13binary_searchIS3_S5_PfSG_SI_NS1_16binary_search_opENS9_16wrapped_functionINS8_6system6detail7generic6detail18binary_search_lessEbEEEE10hipError_tPvRmT1_T2_T3_mmT4_T5_P12ihipStream_tbEUlRKfE_EEST_SX_SY_mSZ_S12_bEUlT_E_NS1_11comp_targetILNS1_3genE9ELNS1_11target_archE1100ELNS1_3gpuE3ELNS1_3repE0EEENS1_30default_config_static_selectorELNS0_4arch9wavefront6targetE0EEEvSW_.num_vgpr, 0
	.set _ZN7rocprim17ROCPRIM_400000_NS6detail17trampoline_kernelINS0_14default_configENS1_29binary_search_config_selectorIfiEEZNS1_14transform_implILb0ES3_S5_N6thrust23THRUST_200600_302600_NS6detail15normal_iteratorINS8_7pointerIfNS8_11hip_rocprim5par_tENS8_11use_defaultESE_EEEENSA_INSB_IiSD_SE_SE_EEEEZNS1_13binary_searchIS3_S5_PfSG_SI_NS1_16binary_search_opENS9_16wrapped_functionINS8_6system6detail7generic6detail18binary_search_lessEbEEEE10hipError_tPvRmT1_T2_T3_mmT4_T5_P12ihipStream_tbEUlRKfE_EEST_SX_SY_mSZ_S12_bEUlT_E_NS1_11comp_targetILNS1_3genE9ELNS1_11target_archE1100ELNS1_3gpuE3ELNS1_3repE0EEENS1_30default_config_static_selectorELNS0_4arch9wavefront6targetE0EEEvSW_.num_agpr, 0
	.set _ZN7rocprim17ROCPRIM_400000_NS6detail17trampoline_kernelINS0_14default_configENS1_29binary_search_config_selectorIfiEEZNS1_14transform_implILb0ES3_S5_N6thrust23THRUST_200600_302600_NS6detail15normal_iteratorINS8_7pointerIfNS8_11hip_rocprim5par_tENS8_11use_defaultESE_EEEENSA_INSB_IiSD_SE_SE_EEEEZNS1_13binary_searchIS3_S5_PfSG_SI_NS1_16binary_search_opENS9_16wrapped_functionINS8_6system6detail7generic6detail18binary_search_lessEbEEEE10hipError_tPvRmT1_T2_T3_mmT4_T5_P12ihipStream_tbEUlRKfE_EEST_SX_SY_mSZ_S12_bEUlT_E_NS1_11comp_targetILNS1_3genE9ELNS1_11target_archE1100ELNS1_3gpuE3ELNS1_3repE0EEENS1_30default_config_static_selectorELNS0_4arch9wavefront6targetE0EEEvSW_.numbered_sgpr, 0
	.set _ZN7rocprim17ROCPRIM_400000_NS6detail17trampoline_kernelINS0_14default_configENS1_29binary_search_config_selectorIfiEEZNS1_14transform_implILb0ES3_S5_N6thrust23THRUST_200600_302600_NS6detail15normal_iteratorINS8_7pointerIfNS8_11hip_rocprim5par_tENS8_11use_defaultESE_EEEENSA_INSB_IiSD_SE_SE_EEEEZNS1_13binary_searchIS3_S5_PfSG_SI_NS1_16binary_search_opENS9_16wrapped_functionINS8_6system6detail7generic6detail18binary_search_lessEbEEEE10hipError_tPvRmT1_T2_T3_mmT4_T5_P12ihipStream_tbEUlRKfE_EEST_SX_SY_mSZ_S12_bEUlT_E_NS1_11comp_targetILNS1_3genE9ELNS1_11target_archE1100ELNS1_3gpuE3ELNS1_3repE0EEENS1_30default_config_static_selectorELNS0_4arch9wavefront6targetE0EEEvSW_.num_named_barrier, 0
	.set _ZN7rocprim17ROCPRIM_400000_NS6detail17trampoline_kernelINS0_14default_configENS1_29binary_search_config_selectorIfiEEZNS1_14transform_implILb0ES3_S5_N6thrust23THRUST_200600_302600_NS6detail15normal_iteratorINS8_7pointerIfNS8_11hip_rocprim5par_tENS8_11use_defaultESE_EEEENSA_INSB_IiSD_SE_SE_EEEEZNS1_13binary_searchIS3_S5_PfSG_SI_NS1_16binary_search_opENS9_16wrapped_functionINS8_6system6detail7generic6detail18binary_search_lessEbEEEE10hipError_tPvRmT1_T2_T3_mmT4_T5_P12ihipStream_tbEUlRKfE_EEST_SX_SY_mSZ_S12_bEUlT_E_NS1_11comp_targetILNS1_3genE9ELNS1_11target_archE1100ELNS1_3gpuE3ELNS1_3repE0EEENS1_30default_config_static_selectorELNS0_4arch9wavefront6targetE0EEEvSW_.private_seg_size, 0
	.set _ZN7rocprim17ROCPRIM_400000_NS6detail17trampoline_kernelINS0_14default_configENS1_29binary_search_config_selectorIfiEEZNS1_14transform_implILb0ES3_S5_N6thrust23THRUST_200600_302600_NS6detail15normal_iteratorINS8_7pointerIfNS8_11hip_rocprim5par_tENS8_11use_defaultESE_EEEENSA_INSB_IiSD_SE_SE_EEEEZNS1_13binary_searchIS3_S5_PfSG_SI_NS1_16binary_search_opENS9_16wrapped_functionINS8_6system6detail7generic6detail18binary_search_lessEbEEEE10hipError_tPvRmT1_T2_T3_mmT4_T5_P12ihipStream_tbEUlRKfE_EEST_SX_SY_mSZ_S12_bEUlT_E_NS1_11comp_targetILNS1_3genE9ELNS1_11target_archE1100ELNS1_3gpuE3ELNS1_3repE0EEENS1_30default_config_static_selectorELNS0_4arch9wavefront6targetE0EEEvSW_.uses_vcc, 0
	.set _ZN7rocprim17ROCPRIM_400000_NS6detail17trampoline_kernelINS0_14default_configENS1_29binary_search_config_selectorIfiEEZNS1_14transform_implILb0ES3_S5_N6thrust23THRUST_200600_302600_NS6detail15normal_iteratorINS8_7pointerIfNS8_11hip_rocprim5par_tENS8_11use_defaultESE_EEEENSA_INSB_IiSD_SE_SE_EEEEZNS1_13binary_searchIS3_S5_PfSG_SI_NS1_16binary_search_opENS9_16wrapped_functionINS8_6system6detail7generic6detail18binary_search_lessEbEEEE10hipError_tPvRmT1_T2_T3_mmT4_T5_P12ihipStream_tbEUlRKfE_EEST_SX_SY_mSZ_S12_bEUlT_E_NS1_11comp_targetILNS1_3genE9ELNS1_11target_archE1100ELNS1_3gpuE3ELNS1_3repE0EEENS1_30default_config_static_selectorELNS0_4arch9wavefront6targetE0EEEvSW_.uses_flat_scratch, 0
	.set _ZN7rocprim17ROCPRIM_400000_NS6detail17trampoline_kernelINS0_14default_configENS1_29binary_search_config_selectorIfiEEZNS1_14transform_implILb0ES3_S5_N6thrust23THRUST_200600_302600_NS6detail15normal_iteratorINS8_7pointerIfNS8_11hip_rocprim5par_tENS8_11use_defaultESE_EEEENSA_INSB_IiSD_SE_SE_EEEEZNS1_13binary_searchIS3_S5_PfSG_SI_NS1_16binary_search_opENS9_16wrapped_functionINS8_6system6detail7generic6detail18binary_search_lessEbEEEE10hipError_tPvRmT1_T2_T3_mmT4_T5_P12ihipStream_tbEUlRKfE_EEST_SX_SY_mSZ_S12_bEUlT_E_NS1_11comp_targetILNS1_3genE9ELNS1_11target_archE1100ELNS1_3gpuE3ELNS1_3repE0EEENS1_30default_config_static_selectorELNS0_4arch9wavefront6targetE0EEEvSW_.has_dyn_sized_stack, 0
	.set _ZN7rocprim17ROCPRIM_400000_NS6detail17trampoline_kernelINS0_14default_configENS1_29binary_search_config_selectorIfiEEZNS1_14transform_implILb0ES3_S5_N6thrust23THRUST_200600_302600_NS6detail15normal_iteratorINS8_7pointerIfNS8_11hip_rocprim5par_tENS8_11use_defaultESE_EEEENSA_INSB_IiSD_SE_SE_EEEEZNS1_13binary_searchIS3_S5_PfSG_SI_NS1_16binary_search_opENS9_16wrapped_functionINS8_6system6detail7generic6detail18binary_search_lessEbEEEE10hipError_tPvRmT1_T2_T3_mmT4_T5_P12ihipStream_tbEUlRKfE_EEST_SX_SY_mSZ_S12_bEUlT_E_NS1_11comp_targetILNS1_3genE9ELNS1_11target_archE1100ELNS1_3gpuE3ELNS1_3repE0EEENS1_30default_config_static_selectorELNS0_4arch9wavefront6targetE0EEEvSW_.has_recursion, 0
	.set _ZN7rocprim17ROCPRIM_400000_NS6detail17trampoline_kernelINS0_14default_configENS1_29binary_search_config_selectorIfiEEZNS1_14transform_implILb0ES3_S5_N6thrust23THRUST_200600_302600_NS6detail15normal_iteratorINS8_7pointerIfNS8_11hip_rocprim5par_tENS8_11use_defaultESE_EEEENSA_INSB_IiSD_SE_SE_EEEEZNS1_13binary_searchIS3_S5_PfSG_SI_NS1_16binary_search_opENS9_16wrapped_functionINS8_6system6detail7generic6detail18binary_search_lessEbEEEE10hipError_tPvRmT1_T2_T3_mmT4_T5_P12ihipStream_tbEUlRKfE_EEST_SX_SY_mSZ_S12_bEUlT_E_NS1_11comp_targetILNS1_3genE9ELNS1_11target_archE1100ELNS1_3gpuE3ELNS1_3repE0EEENS1_30default_config_static_selectorELNS0_4arch9wavefront6targetE0EEEvSW_.has_indirect_call, 0
	.section	.AMDGPU.csdata,"",@progbits
; Kernel info:
; codeLenInByte = 0
; TotalNumSgprs: 0
; NumVgprs: 0
; ScratchSize: 0
; MemoryBound: 0
; FloatMode: 240
; IeeeMode: 1
; LDSByteSize: 0 bytes/workgroup (compile time only)
; SGPRBlocks: 0
; VGPRBlocks: 0
; NumSGPRsForWavesPerEU: 1
; NumVGPRsForWavesPerEU: 1
; Occupancy: 16
; WaveLimiterHint : 0
; COMPUTE_PGM_RSRC2:SCRATCH_EN: 0
; COMPUTE_PGM_RSRC2:USER_SGPR: 6
; COMPUTE_PGM_RSRC2:TRAP_HANDLER: 0
; COMPUTE_PGM_RSRC2:TGID_X_EN: 1
; COMPUTE_PGM_RSRC2:TGID_Y_EN: 0
; COMPUTE_PGM_RSRC2:TGID_Z_EN: 0
; COMPUTE_PGM_RSRC2:TIDIG_COMP_CNT: 0
	.section	.text._ZN7rocprim17ROCPRIM_400000_NS6detail17trampoline_kernelINS0_14default_configENS1_29binary_search_config_selectorIfiEEZNS1_14transform_implILb0ES3_S5_N6thrust23THRUST_200600_302600_NS6detail15normal_iteratorINS8_7pointerIfNS8_11hip_rocprim5par_tENS8_11use_defaultESE_EEEENSA_INSB_IiSD_SE_SE_EEEEZNS1_13binary_searchIS3_S5_PfSG_SI_NS1_16binary_search_opENS9_16wrapped_functionINS8_6system6detail7generic6detail18binary_search_lessEbEEEE10hipError_tPvRmT1_T2_T3_mmT4_T5_P12ihipStream_tbEUlRKfE_EEST_SX_SY_mSZ_S12_bEUlT_E_NS1_11comp_targetILNS1_3genE8ELNS1_11target_archE1030ELNS1_3gpuE2ELNS1_3repE0EEENS1_30default_config_static_selectorELNS0_4arch9wavefront6targetE0EEEvSW_,"axG",@progbits,_ZN7rocprim17ROCPRIM_400000_NS6detail17trampoline_kernelINS0_14default_configENS1_29binary_search_config_selectorIfiEEZNS1_14transform_implILb0ES3_S5_N6thrust23THRUST_200600_302600_NS6detail15normal_iteratorINS8_7pointerIfNS8_11hip_rocprim5par_tENS8_11use_defaultESE_EEEENSA_INSB_IiSD_SE_SE_EEEEZNS1_13binary_searchIS3_S5_PfSG_SI_NS1_16binary_search_opENS9_16wrapped_functionINS8_6system6detail7generic6detail18binary_search_lessEbEEEE10hipError_tPvRmT1_T2_T3_mmT4_T5_P12ihipStream_tbEUlRKfE_EEST_SX_SY_mSZ_S12_bEUlT_E_NS1_11comp_targetILNS1_3genE8ELNS1_11target_archE1030ELNS1_3gpuE2ELNS1_3repE0EEENS1_30default_config_static_selectorELNS0_4arch9wavefront6targetE0EEEvSW_,comdat
	.protected	_ZN7rocprim17ROCPRIM_400000_NS6detail17trampoline_kernelINS0_14default_configENS1_29binary_search_config_selectorIfiEEZNS1_14transform_implILb0ES3_S5_N6thrust23THRUST_200600_302600_NS6detail15normal_iteratorINS8_7pointerIfNS8_11hip_rocprim5par_tENS8_11use_defaultESE_EEEENSA_INSB_IiSD_SE_SE_EEEEZNS1_13binary_searchIS3_S5_PfSG_SI_NS1_16binary_search_opENS9_16wrapped_functionINS8_6system6detail7generic6detail18binary_search_lessEbEEEE10hipError_tPvRmT1_T2_T3_mmT4_T5_P12ihipStream_tbEUlRKfE_EEST_SX_SY_mSZ_S12_bEUlT_E_NS1_11comp_targetILNS1_3genE8ELNS1_11target_archE1030ELNS1_3gpuE2ELNS1_3repE0EEENS1_30default_config_static_selectorELNS0_4arch9wavefront6targetE0EEEvSW_ ; -- Begin function _ZN7rocprim17ROCPRIM_400000_NS6detail17trampoline_kernelINS0_14default_configENS1_29binary_search_config_selectorIfiEEZNS1_14transform_implILb0ES3_S5_N6thrust23THRUST_200600_302600_NS6detail15normal_iteratorINS8_7pointerIfNS8_11hip_rocprim5par_tENS8_11use_defaultESE_EEEENSA_INSB_IiSD_SE_SE_EEEEZNS1_13binary_searchIS3_S5_PfSG_SI_NS1_16binary_search_opENS9_16wrapped_functionINS8_6system6detail7generic6detail18binary_search_lessEbEEEE10hipError_tPvRmT1_T2_T3_mmT4_T5_P12ihipStream_tbEUlRKfE_EEST_SX_SY_mSZ_S12_bEUlT_E_NS1_11comp_targetILNS1_3genE8ELNS1_11target_archE1030ELNS1_3gpuE2ELNS1_3repE0EEENS1_30default_config_static_selectorELNS0_4arch9wavefront6targetE0EEEvSW_
	.globl	_ZN7rocprim17ROCPRIM_400000_NS6detail17trampoline_kernelINS0_14default_configENS1_29binary_search_config_selectorIfiEEZNS1_14transform_implILb0ES3_S5_N6thrust23THRUST_200600_302600_NS6detail15normal_iteratorINS8_7pointerIfNS8_11hip_rocprim5par_tENS8_11use_defaultESE_EEEENSA_INSB_IiSD_SE_SE_EEEEZNS1_13binary_searchIS3_S5_PfSG_SI_NS1_16binary_search_opENS9_16wrapped_functionINS8_6system6detail7generic6detail18binary_search_lessEbEEEE10hipError_tPvRmT1_T2_T3_mmT4_T5_P12ihipStream_tbEUlRKfE_EEST_SX_SY_mSZ_S12_bEUlT_E_NS1_11comp_targetILNS1_3genE8ELNS1_11target_archE1030ELNS1_3gpuE2ELNS1_3repE0EEENS1_30default_config_static_selectorELNS0_4arch9wavefront6targetE0EEEvSW_
	.p2align	8
	.type	_ZN7rocprim17ROCPRIM_400000_NS6detail17trampoline_kernelINS0_14default_configENS1_29binary_search_config_selectorIfiEEZNS1_14transform_implILb0ES3_S5_N6thrust23THRUST_200600_302600_NS6detail15normal_iteratorINS8_7pointerIfNS8_11hip_rocprim5par_tENS8_11use_defaultESE_EEEENSA_INSB_IiSD_SE_SE_EEEEZNS1_13binary_searchIS3_S5_PfSG_SI_NS1_16binary_search_opENS9_16wrapped_functionINS8_6system6detail7generic6detail18binary_search_lessEbEEEE10hipError_tPvRmT1_T2_T3_mmT4_T5_P12ihipStream_tbEUlRKfE_EEST_SX_SY_mSZ_S12_bEUlT_E_NS1_11comp_targetILNS1_3genE8ELNS1_11target_archE1030ELNS1_3gpuE2ELNS1_3repE0EEENS1_30default_config_static_selectorELNS0_4arch9wavefront6targetE0EEEvSW_,@function
_ZN7rocprim17ROCPRIM_400000_NS6detail17trampoline_kernelINS0_14default_configENS1_29binary_search_config_selectorIfiEEZNS1_14transform_implILb0ES3_S5_N6thrust23THRUST_200600_302600_NS6detail15normal_iteratorINS8_7pointerIfNS8_11hip_rocprim5par_tENS8_11use_defaultESE_EEEENSA_INSB_IiSD_SE_SE_EEEEZNS1_13binary_searchIS3_S5_PfSG_SI_NS1_16binary_search_opENS9_16wrapped_functionINS8_6system6detail7generic6detail18binary_search_lessEbEEEE10hipError_tPvRmT1_T2_T3_mmT4_T5_P12ihipStream_tbEUlRKfE_EEST_SX_SY_mSZ_S12_bEUlT_E_NS1_11comp_targetILNS1_3genE8ELNS1_11target_archE1030ELNS1_3gpuE2ELNS1_3repE0EEENS1_30default_config_static_selectorELNS0_4arch9wavefront6targetE0EEEvSW_: ; @_ZN7rocprim17ROCPRIM_400000_NS6detail17trampoline_kernelINS0_14default_configENS1_29binary_search_config_selectorIfiEEZNS1_14transform_implILb0ES3_S5_N6thrust23THRUST_200600_302600_NS6detail15normal_iteratorINS8_7pointerIfNS8_11hip_rocprim5par_tENS8_11use_defaultESE_EEEENSA_INSB_IiSD_SE_SE_EEEEZNS1_13binary_searchIS3_S5_PfSG_SI_NS1_16binary_search_opENS9_16wrapped_functionINS8_6system6detail7generic6detail18binary_search_lessEbEEEE10hipError_tPvRmT1_T2_T3_mmT4_T5_P12ihipStream_tbEUlRKfE_EEST_SX_SY_mSZ_S12_bEUlT_E_NS1_11comp_targetILNS1_3genE8ELNS1_11target_archE1030ELNS1_3gpuE2ELNS1_3repE0EEENS1_30default_config_static_selectorELNS0_4arch9wavefront6targetE0EEEvSW_
; %bb.0:
	s_clause 0x3
	s_load_dwordx4 s[16:19], s[4:5], 0x0
	s_load_dword s3, s[4:5], 0x38
	s_load_dwordx2 s[0:1], s[4:5], 0x28
	s_load_dwordx4 s[8:11], s[4:5], 0x18
	s_waitcnt lgkmcnt(0)
	s_lshl_b64 s[12:13], s[18:19], 2
	s_add_u32 s14, s16, s12
	s_addc_u32 s15, s17, s13
	s_add_i32 s7, s3, -1
	s_lshl_b32 s2, s6, 8
	s_mov_b32 s3, 0
	s_cmp_lg_u32 s6, s7
	s_mov_b32 s16, -1
	s_cbranch_scc0 .LBB261_6
; %bb.1:
	v_lshlrev_b32_e32 v1, 2, v0
	s_lshl_b64 s[6:7], s[2:3], 2
	s_add_u32 s6, s14, s6
	s_addc_u32 s7, s15, s7
	v_add_co_u32 v1, s6, s6, v1
	v_add_co_ci_u32_e64 v2, null, s7, 0, s6
	s_cmp_eq_u64 s[0:1], 0
	flat_load_dword v6, v[1:2]
	v_mov_b32_e32 v2, 0
	v_mov_b32_e32 v1, 0
	;; [unrolled: 1-line block ×3, first 2 shown]
	s_cbranch_scc1 .LBB261_5
; %bb.2:
	v_mov_b32_e32 v5, s1
	v_mov_b32_e32 v4, s0
	s_mov_b32 s6, 0
	s_inst_prefetch 0x1
	.p2align	6
.LBB261_3:                              ; =>This Inner Loop Header: Depth=1
	v_sub_co_u32 v7, vcc_lo, v4, v2
	v_sub_co_ci_u32_e64 v8, null, v5, v3, vcc_lo
	v_lshrrev_b64 v[9:10], 1, v[7:8]
	v_lshrrev_b64 v[7:8], 6, v[7:8]
	v_add_co_u32 v9, vcc_lo, v9, v2
	v_add_co_ci_u32_e64 v10, null, v10, v3, vcc_lo
	v_add_co_u32 v7, vcc_lo, v9, v7
	v_add_co_ci_u32_e64 v8, null, v10, v8, vcc_lo
	v_lshlrev_b64 v[9:10], 2, v[7:8]
	v_add_co_u32 v9, vcc_lo, s10, v9
	v_add_co_ci_u32_e64 v10, null, s11, v10, vcc_lo
	global_load_dword v9, v[9:10], off
	v_add_co_u32 v10, vcc_lo, v7, 1
	v_add_co_ci_u32_e64 v11, null, 0, v8, vcc_lo
	s_waitcnt vmcnt(0) lgkmcnt(0)
	v_cmp_lt_f32_e32 vcc_lo, v9, v6
	v_cndmask_b32_e32 v5, v8, v5, vcc_lo
	v_cndmask_b32_e32 v4, v7, v4, vcc_lo
	;; [unrolled: 1-line block ×4, first 2 shown]
	v_cmp_ge_u64_e32 vcc_lo, v[2:3], v[4:5]
	s_or_b32 s6, vcc_lo, s6
	s_andn2_b32 exec_lo, exec_lo, s6
	s_cbranch_execnz .LBB261_3
; %bb.4:
	s_inst_prefetch 0x2
	s_or_b32 exec_lo, exec_lo, s6
.LBB261_5:
	v_cmp_eq_u64_e64 s6, s[0:1], v[2:3]
	v_cmp_ne_u64_e64 s7, s[0:1], v[2:3]
	s_branch .LBB261_14
.LBB261_6:
	s_mov_b32 s7, s3
	s_mov_b32 s6, s3
                                        ; implicit-def: $vgpr6
                                        ; implicit-def: $vgpr2_vgpr3
	s_and_b32 vcc_lo, exec_lo, s16
	s_cbranch_vccz .LBB261_14
; %bb.7:
	s_load_dword s4, s[4:5], 0x10
                                        ; implicit-def: $vgpr6
                                        ; implicit-def: $vgpr2_vgpr3
	s_waitcnt lgkmcnt(0)
	s_sub_i32 s4, s4, s2
	v_cmp_gt_u32_e32 vcc_lo, s4, v0
	s_and_saveexec_b32 s4, vcc_lo
	s_cbranch_execz .LBB261_13
; %bb.8:
	v_lshlrev_b32_e32 v1, 2, v0
	s_lshl_b64 s[16:17], s[2:3], 2
	s_add_u32 s5, s14, s16
	s_addc_u32 s14, s15, s17
	v_add_co_u32 v1, s5, s5, v1
	v_add_co_ci_u32_e64 v2, null, s14, 0, s5
	s_cmp_eq_u64 s[0:1], 0
	s_waitcnt vmcnt(0)
	flat_load_dword v6, v[1:2]
	v_mov_b32_e32 v2, 0
	v_mov_b32_e32 v1, 0
	;; [unrolled: 1-line block ×3, first 2 shown]
	s_cbranch_scc1 .LBB261_12
; %bb.9:
	v_mov_b32_e32 v5, s1
	v_mov_b32_e32 v4, s0
	s_mov_b32 s5, 0
	s_inst_prefetch 0x1
	.p2align	6
.LBB261_10:                             ; =>This Inner Loop Header: Depth=1
	v_sub_co_u32 v7, vcc_lo, v4, v2
	v_sub_co_ci_u32_e64 v8, null, v5, v3, vcc_lo
	v_lshrrev_b64 v[9:10], 1, v[7:8]
	v_lshrrev_b64 v[7:8], 6, v[7:8]
	v_add_co_u32 v9, vcc_lo, v9, v2
	v_add_co_ci_u32_e64 v10, null, v10, v3, vcc_lo
	v_add_co_u32 v7, vcc_lo, v9, v7
	v_add_co_ci_u32_e64 v8, null, v10, v8, vcc_lo
	v_lshlrev_b64 v[9:10], 2, v[7:8]
	v_add_co_u32 v9, vcc_lo, s10, v9
	v_add_co_ci_u32_e64 v10, null, s11, v10, vcc_lo
	global_load_dword v9, v[9:10], off
	v_add_co_u32 v10, vcc_lo, v7, 1
	v_add_co_ci_u32_e64 v11, null, 0, v8, vcc_lo
	s_waitcnt vmcnt(0) lgkmcnt(0)
	v_cmp_lt_f32_e32 vcc_lo, v9, v6
	v_cndmask_b32_e32 v5, v8, v5, vcc_lo
	v_cndmask_b32_e32 v4, v7, v4, vcc_lo
	;; [unrolled: 1-line block ×4, first 2 shown]
	v_cmp_ge_u64_e32 vcc_lo, v[2:3], v[4:5]
	s_or_b32 s5, vcc_lo, s5
	s_andn2_b32 exec_lo, exec_lo, s5
	s_cbranch_execnz .LBB261_10
; %bb.11:
	s_inst_prefetch 0x2
	s_or_b32 exec_lo, exec_lo, s5
.LBB261_12:
	v_cmp_eq_u64_e32 vcc_lo, s[0:1], v[2:3]
	v_cmp_ne_u64_e64 s0, s[0:1], v[2:3]
	s_andn2_b32 s1, s6, exec_lo
	s_andn2_b32 s5, s7, exec_lo
	s_and_b32 s6, vcc_lo, exec_lo
	s_and_b32 s0, s0, exec_lo
	s_or_b32 s6, s1, s6
	s_or_b32 s7, s5, s0
.LBB261_13:
	s_or_b32 exec_lo, exec_lo, s4
.LBB261_14:
	v_mov_b32_e32 v4, 0
	s_and_saveexec_b32 s0, s7
	s_cbranch_execnz .LBB261_17
; %bb.15:
	s_or_b32 exec_lo, exec_lo, s0
	s_and_saveexec_b32 s0, s6
	s_cbranch_execnz .LBB261_18
.LBB261_16:
	s_endpgm
.LBB261_17:
	v_lshlrev_b64 v[2:3], 2, v[2:3]
	s_or_b32 s6, s6, exec_lo
	v_add_co_u32 v2, vcc_lo, s10, v2
	v_add_co_ci_u32_e64 v3, null, s11, v3, vcc_lo
	global_load_dword v2, v[2:3], off
	s_waitcnt vmcnt(0) lgkmcnt(0)
	v_cmp_nlt_f32_e32 vcc_lo, v6, v2
	v_cndmask_b32_e64 v4, 0, 1, vcc_lo
	s_or_b32 exec_lo, exec_lo, s0
	s_and_saveexec_b32 s0, s6
	s_cbranch_execz .LBB261_16
.LBB261_18:
	v_lshlrev_b64 v[0:1], 2, v[0:1]
	s_add_u32 s4, s8, s12
	s_addc_u32 s5, s9, s13
	s_lshl_b64 s[0:1], s[2:3], 2
	s_add_u32 s0, s4, s0
	s_addc_u32 s1, s5, s1
	v_add_co_u32 v0, vcc_lo, s0, v0
	v_add_co_ci_u32_e64 v1, null, s1, v1, vcc_lo
	flat_store_dword v[0:1], v4
	s_endpgm
	.section	.rodata,"a",@progbits
	.p2align	6, 0x0
	.amdhsa_kernel _ZN7rocprim17ROCPRIM_400000_NS6detail17trampoline_kernelINS0_14default_configENS1_29binary_search_config_selectorIfiEEZNS1_14transform_implILb0ES3_S5_N6thrust23THRUST_200600_302600_NS6detail15normal_iteratorINS8_7pointerIfNS8_11hip_rocprim5par_tENS8_11use_defaultESE_EEEENSA_INSB_IiSD_SE_SE_EEEEZNS1_13binary_searchIS3_S5_PfSG_SI_NS1_16binary_search_opENS9_16wrapped_functionINS8_6system6detail7generic6detail18binary_search_lessEbEEEE10hipError_tPvRmT1_T2_T3_mmT4_T5_P12ihipStream_tbEUlRKfE_EEST_SX_SY_mSZ_S12_bEUlT_E_NS1_11comp_targetILNS1_3genE8ELNS1_11target_archE1030ELNS1_3gpuE2ELNS1_3repE0EEENS1_30default_config_static_selectorELNS0_4arch9wavefront6targetE0EEEvSW_
		.amdhsa_group_segment_fixed_size 0
		.amdhsa_private_segment_fixed_size 0
		.amdhsa_kernarg_size 312
		.amdhsa_user_sgpr_count 6
		.amdhsa_user_sgpr_private_segment_buffer 1
		.amdhsa_user_sgpr_dispatch_ptr 0
		.amdhsa_user_sgpr_queue_ptr 0
		.amdhsa_user_sgpr_kernarg_segment_ptr 1
		.amdhsa_user_sgpr_dispatch_id 0
		.amdhsa_user_sgpr_flat_scratch_init 0
		.amdhsa_user_sgpr_private_segment_size 0
		.amdhsa_wavefront_size32 1
		.amdhsa_uses_dynamic_stack 0
		.amdhsa_system_sgpr_private_segment_wavefront_offset 0
		.amdhsa_system_sgpr_workgroup_id_x 1
		.amdhsa_system_sgpr_workgroup_id_y 0
		.amdhsa_system_sgpr_workgroup_id_z 0
		.amdhsa_system_sgpr_workgroup_info 0
		.amdhsa_system_vgpr_workitem_id 0
		.amdhsa_next_free_vgpr 12
		.amdhsa_next_free_sgpr 20
		.amdhsa_reserve_vcc 1
		.amdhsa_reserve_flat_scratch 0
		.amdhsa_float_round_mode_32 0
		.amdhsa_float_round_mode_16_64 0
		.amdhsa_float_denorm_mode_32 3
		.amdhsa_float_denorm_mode_16_64 3
		.amdhsa_dx10_clamp 1
		.amdhsa_ieee_mode 1
		.amdhsa_fp16_overflow 0
		.amdhsa_workgroup_processor_mode 1
		.amdhsa_memory_ordered 1
		.amdhsa_forward_progress 1
		.amdhsa_shared_vgpr_count 0
		.amdhsa_exception_fp_ieee_invalid_op 0
		.amdhsa_exception_fp_denorm_src 0
		.amdhsa_exception_fp_ieee_div_zero 0
		.amdhsa_exception_fp_ieee_overflow 0
		.amdhsa_exception_fp_ieee_underflow 0
		.amdhsa_exception_fp_ieee_inexact 0
		.amdhsa_exception_int_div_zero 0
	.end_amdhsa_kernel
	.section	.text._ZN7rocprim17ROCPRIM_400000_NS6detail17trampoline_kernelINS0_14default_configENS1_29binary_search_config_selectorIfiEEZNS1_14transform_implILb0ES3_S5_N6thrust23THRUST_200600_302600_NS6detail15normal_iteratorINS8_7pointerIfNS8_11hip_rocprim5par_tENS8_11use_defaultESE_EEEENSA_INSB_IiSD_SE_SE_EEEEZNS1_13binary_searchIS3_S5_PfSG_SI_NS1_16binary_search_opENS9_16wrapped_functionINS8_6system6detail7generic6detail18binary_search_lessEbEEEE10hipError_tPvRmT1_T2_T3_mmT4_T5_P12ihipStream_tbEUlRKfE_EEST_SX_SY_mSZ_S12_bEUlT_E_NS1_11comp_targetILNS1_3genE8ELNS1_11target_archE1030ELNS1_3gpuE2ELNS1_3repE0EEENS1_30default_config_static_selectorELNS0_4arch9wavefront6targetE0EEEvSW_,"axG",@progbits,_ZN7rocprim17ROCPRIM_400000_NS6detail17trampoline_kernelINS0_14default_configENS1_29binary_search_config_selectorIfiEEZNS1_14transform_implILb0ES3_S5_N6thrust23THRUST_200600_302600_NS6detail15normal_iteratorINS8_7pointerIfNS8_11hip_rocprim5par_tENS8_11use_defaultESE_EEEENSA_INSB_IiSD_SE_SE_EEEEZNS1_13binary_searchIS3_S5_PfSG_SI_NS1_16binary_search_opENS9_16wrapped_functionINS8_6system6detail7generic6detail18binary_search_lessEbEEEE10hipError_tPvRmT1_T2_T3_mmT4_T5_P12ihipStream_tbEUlRKfE_EEST_SX_SY_mSZ_S12_bEUlT_E_NS1_11comp_targetILNS1_3genE8ELNS1_11target_archE1030ELNS1_3gpuE2ELNS1_3repE0EEENS1_30default_config_static_selectorELNS0_4arch9wavefront6targetE0EEEvSW_,comdat
.Lfunc_end261:
	.size	_ZN7rocprim17ROCPRIM_400000_NS6detail17trampoline_kernelINS0_14default_configENS1_29binary_search_config_selectorIfiEEZNS1_14transform_implILb0ES3_S5_N6thrust23THRUST_200600_302600_NS6detail15normal_iteratorINS8_7pointerIfNS8_11hip_rocprim5par_tENS8_11use_defaultESE_EEEENSA_INSB_IiSD_SE_SE_EEEEZNS1_13binary_searchIS3_S5_PfSG_SI_NS1_16binary_search_opENS9_16wrapped_functionINS8_6system6detail7generic6detail18binary_search_lessEbEEEE10hipError_tPvRmT1_T2_T3_mmT4_T5_P12ihipStream_tbEUlRKfE_EEST_SX_SY_mSZ_S12_bEUlT_E_NS1_11comp_targetILNS1_3genE8ELNS1_11target_archE1030ELNS1_3gpuE2ELNS1_3repE0EEENS1_30default_config_static_selectorELNS0_4arch9wavefront6targetE0EEEvSW_, .Lfunc_end261-_ZN7rocprim17ROCPRIM_400000_NS6detail17trampoline_kernelINS0_14default_configENS1_29binary_search_config_selectorIfiEEZNS1_14transform_implILb0ES3_S5_N6thrust23THRUST_200600_302600_NS6detail15normal_iteratorINS8_7pointerIfNS8_11hip_rocprim5par_tENS8_11use_defaultESE_EEEENSA_INSB_IiSD_SE_SE_EEEEZNS1_13binary_searchIS3_S5_PfSG_SI_NS1_16binary_search_opENS9_16wrapped_functionINS8_6system6detail7generic6detail18binary_search_lessEbEEEE10hipError_tPvRmT1_T2_T3_mmT4_T5_P12ihipStream_tbEUlRKfE_EEST_SX_SY_mSZ_S12_bEUlT_E_NS1_11comp_targetILNS1_3genE8ELNS1_11target_archE1030ELNS1_3gpuE2ELNS1_3repE0EEENS1_30default_config_static_selectorELNS0_4arch9wavefront6targetE0EEEvSW_
                                        ; -- End function
	.set _ZN7rocprim17ROCPRIM_400000_NS6detail17trampoline_kernelINS0_14default_configENS1_29binary_search_config_selectorIfiEEZNS1_14transform_implILb0ES3_S5_N6thrust23THRUST_200600_302600_NS6detail15normal_iteratorINS8_7pointerIfNS8_11hip_rocprim5par_tENS8_11use_defaultESE_EEEENSA_INSB_IiSD_SE_SE_EEEEZNS1_13binary_searchIS3_S5_PfSG_SI_NS1_16binary_search_opENS9_16wrapped_functionINS8_6system6detail7generic6detail18binary_search_lessEbEEEE10hipError_tPvRmT1_T2_T3_mmT4_T5_P12ihipStream_tbEUlRKfE_EEST_SX_SY_mSZ_S12_bEUlT_E_NS1_11comp_targetILNS1_3genE8ELNS1_11target_archE1030ELNS1_3gpuE2ELNS1_3repE0EEENS1_30default_config_static_selectorELNS0_4arch9wavefront6targetE0EEEvSW_.num_vgpr, 12
	.set _ZN7rocprim17ROCPRIM_400000_NS6detail17trampoline_kernelINS0_14default_configENS1_29binary_search_config_selectorIfiEEZNS1_14transform_implILb0ES3_S5_N6thrust23THRUST_200600_302600_NS6detail15normal_iteratorINS8_7pointerIfNS8_11hip_rocprim5par_tENS8_11use_defaultESE_EEEENSA_INSB_IiSD_SE_SE_EEEEZNS1_13binary_searchIS3_S5_PfSG_SI_NS1_16binary_search_opENS9_16wrapped_functionINS8_6system6detail7generic6detail18binary_search_lessEbEEEE10hipError_tPvRmT1_T2_T3_mmT4_T5_P12ihipStream_tbEUlRKfE_EEST_SX_SY_mSZ_S12_bEUlT_E_NS1_11comp_targetILNS1_3genE8ELNS1_11target_archE1030ELNS1_3gpuE2ELNS1_3repE0EEENS1_30default_config_static_selectorELNS0_4arch9wavefront6targetE0EEEvSW_.num_agpr, 0
	.set _ZN7rocprim17ROCPRIM_400000_NS6detail17trampoline_kernelINS0_14default_configENS1_29binary_search_config_selectorIfiEEZNS1_14transform_implILb0ES3_S5_N6thrust23THRUST_200600_302600_NS6detail15normal_iteratorINS8_7pointerIfNS8_11hip_rocprim5par_tENS8_11use_defaultESE_EEEENSA_INSB_IiSD_SE_SE_EEEEZNS1_13binary_searchIS3_S5_PfSG_SI_NS1_16binary_search_opENS9_16wrapped_functionINS8_6system6detail7generic6detail18binary_search_lessEbEEEE10hipError_tPvRmT1_T2_T3_mmT4_T5_P12ihipStream_tbEUlRKfE_EEST_SX_SY_mSZ_S12_bEUlT_E_NS1_11comp_targetILNS1_3genE8ELNS1_11target_archE1030ELNS1_3gpuE2ELNS1_3repE0EEENS1_30default_config_static_selectorELNS0_4arch9wavefront6targetE0EEEvSW_.numbered_sgpr, 20
	.set _ZN7rocprim17ROCPRIM_400000_NS6detail17trampoline_kernelINS0_14default_configENS1_29binary_search_config_selectorIfiEEZNS1_14transform_implILb0ES3_S5_N6thrust23THRUST_200600_302600_NS6detail15normal_iteratorINS8_7pointerIfNS8_11hip_rocprim5par_tENS8_11use_defaultESE_EEEENSA_INSB_IiSD_SE_SE_EEEEZNS1_13binary_searchIS3_S5_PfSG_SI_NS1_16binary_search_opENS9_16wrapped_functionINS8_6system6detail7generic6detail18binary_search_lessEbEEEE10hipError_tPvRmT1_T2_T3_mmT4_T5_P12ihipStream_tbEUlRKfE_EEST_SX_SY_mSZ_S12_bEUlT_E_NS1_11comp_targetILNS1_3genE8ELNS1_11target_archE1030ELNS1_3gpuE2ELNS1_3repE0EEENS1_30default_config_static_selectorELNS0_4arch9wavefront6targetE0EEEvSW_.num_named_barrier, 0
	.set _ZN7rocprim17ROCPRIM_400000_NS6detail17trampoline_kernelINS0_14default_configENS1_29binary_search_config_selectorIfiEEZNS1_14transform_implILb0ES3_S5_N6thrust23THRUST_200600_302600_NS6detail15normal_iteratorINS8_7pointerIfNS8_11hip_rocprim5par_tENS8_11use_defaultESE_EEEENSA_INSB_IiSD_SE_SE_EEEEZNS1_13binary_searchIS3_S5_PfSG_SI_NS1_16binary_search_opENS9_16wrapped_functionINS8_6system6detail7generic6detail18binary_search_lessEbEEEE10hipError_tPvRmT1_T2_T3_mmT4_T5_P12ihipStream_tbEUlRKfE_EEST_SX_SY_mSZ_S12_bEUlT_E_NS1_11comp_targetILNS1_3genE8ELNS1_11target_archE1030ELNS1_3gpuE2ELNS1_3repE0EEENS1_30default_config_static_selectorELNS0_4arch9wavefront6targetE0EEEvSW_.private_seg_size, 0
	.set _ZN7rocprim17ROCPRIM_400000_NS6detail17trampoline_kernelINS0_14default_configENS1_29binary_search_config_selectorIfiEEZNS1_14transform_implILb0ES3_S5_N6thrust23THRUST_200600_302600_NS6detail15normal_iteratorINS8_7pointerIfNS8_11hip_rocprim5par_tENS8_11use_defaultESE_EEEENSA_INSB_IiSD_SE_SE_EEEEZNS1_13binary_searchIS3_S5_PfSG_SI_NS1_16binary_search_opENS9_16wrapped_functionINS8_6system6detail7generic6detail18binary_search_lessEbEEEE10hipError_tPvRmT1_T2_T3_mmT4_T5_P12ihipStream_tbEUlRKfE_EEST_SX_SY_mSZ_S12_bEUlT_E_NS1_11comp_targetILNS1_3genE8ELNS1_11target_archE1030ELNS1_3gpuE2ELNS1_3repE0EEENS1_30default_config_static_selectorELNS0_4arch9wavefront6targetE0EEEvSW_.uses_vcc, 1
	.set _ZN7rocprim17ROCPRIM_400000_NS6detail17trampoline_kernelINS0_14default_configENS1_29binary_search_config_selectorIfiEEZNS1_14transform_implILb0ES3_S5_N6thrust23THRUST_200600_302600_NS6detail15normal_iteratorINS8_7pointerIfNS8_11hip_rocprim5par_tENS8_11use_defaultESE_EEEENSA_INSB_IiSD_SE_SE_EEEEZNS1_13binary_searchIS3_S5_PfSG_SI_NS1_16binary_search_opENS9_16wrapped_functionINS8_6system6detail7generic6detail18binary_search_lessEbEEEE10hipError_tPvRmT1_T2_T3_mmT4_T5_P12ihipStream_tbEUlRKfE_EEST_SX_SY_mSZ_S12_bEUlT_E_NS1_11comp_targetILNS1_3genE8ELNS1_11target_archE1030ELNS1_3gpuE2ELNS1_3repE0EEENS1_30default_config_static_selectorELNS0_4arch9wavefront6targetE0EEEvSW_.uses_flat_scratch, 0
	.set _ZN7rocprim17ROCPRIM_400000_NS6detail17trampoline_kernelINS0_14default_configENS1_29binary_search_config_selectorIfiEEZNS1_14transform_implILb0ES3_S5_N6thrust23THRUST_200600_302600_NS6detail15normal_iteratorINS8_7pointerIfNS8_11hip_rocprim5par_tENS8_11use_defaultESE_EEEENSA_INSB_IiSD_SE_SE_EEEEZNS1_13binary_searchIS3_S5_PfSG_SI_NS1_16binary_search_opENS9_16wrapped_functionINS8_6system6detail7generic6detail18binary_search_lessEbEEEE10hipError_tPvRmT1_T2_T3_mmT4_T5_P12ihipStream_tbEUlRKfE_EEST_SX_SY_mSZ_S12_bEUlT_E_NS1_11comp_targetILNS1_3genE8ELNS1_11target_archE1030ELNS1_3gpuE2ELNS1_3repE0EEENS1_30default_config_static_selectorELNS0_4arch9wavefront6targetE0EEEvSW_.has_dyn_sized_stack, 0
	.set _ZN7rocprim17ROCPRIM_400000_NS6detail17trampoline_kernelINS0_14default_configENS1_29binary_search_config_selectorIfiEEZNS1_14transform_implILb0ES3_S5_N6thrust23THRUST_200600_302600_NS6detail15normal_iteratorINS8_7pointerIfNS8_11hip_rocprim5par_tENS8_11use_defaultESE_EEEENSA_INSB_IiSD_SE_SE_EEEEZNS1_13binary_searchIS3_S5_PfSG_SI_NS1_16binary_search_opENS9_16wrapped_functionINS8_6system6detail7generic6detail18binary_search_lessEbEEEE10hipError_tPvRmT1_T2_T3_mmT4_T5_P12ihipStream_tbEUlRKfE_EEST_SX_SY_mSZ_S12_bEUlT_E_NS1_11comp_targetILNS1_3genE8ELNS1_11target_archE1030ELNS1_3gpuE2ELNS1_3repE0EEENS1_30default_config_static_selectorELNS0_4arch9wavefront6targetE0EEEvSW_.has_recursion, 0
	.set _ZN7rocprim17ROCPRIM_400000_NS6detail17trampoline_kernelINS0_14default_configENS1_29binary_search_config_selectorIfiEEZNS1_14transform_implILb0ES3_S5_N6thrust23THRUST_200600_302600_NS6detail15normal_iteratorINS8_7pointerIfNS8_11hip_rocprim5par_tENS8_11use_defaultESE_EEEENSA_INSB_IiSD_SE_SE_EEEEZNS1_13binary_searchIS3_S5_PfSG_SI_NS1_16binary_search_opENS9_16wrapped_functionINS8_6system6detail7generic6detail18binary_search_lessEbEEEE10hipError_tPvRmT1_T2_T3_mmT4_T5_P12ihipStream_tbEUlRKfE_EEST_SX_SY_mSZ_S12_bEUlT_E_NS1_11comp_targetILNS1_3genE8ELNS1_11target_archE1030ELNS1_3gpuE2ELNS1_3repE0EEENS1_30default_config_static_selectorELNS0_4arch9wavefront6targetE0EEEvSW_.has_indirect_call, 0
	.section	.AMDGPU.csdata,"",@progbits
; Kernel info:
; codeLenInByte = 860
; TotalNumSgprs: 22
; NumVgprs: 12
; ScratchSize: 0
; MemoryBound: 0
; FloatMode: 240
; IeeeMode: 1
; LDSByteSize: 0 bytes/workgroup (compile time only)
; SGPRBlocks: 0
; VGPRBlocks: 1
; NumSGPRsForWavesPerEU: 22
; NumVGPRsForWavesPerEU: 12
; Occupancy: 16
; WaveLimiterHint : 0
; COMPUTE_PGM_RSRC2:SCRATCH_EN: 0
; COMPUTE_PGM_RSRC2:USER_SGPR: 6
; COMPUTE_PGM_RSRC2:TRAP_HANDLER: 0
; COMPUTE_PGM_RSRC2:TGID_X_EN: 1
; COMPUTE_PGM_RSRC2:TGID_Y_EN: 0
; COMPUTE_PGM_RSRC2:TGID_Z_EN: 0
; COMPUTE_PGM_RSRC2:TIDIG_COMP_CNT: 0
	.section	.text._Z20binary_search_kernelIyEvmPT_Pb,"axG",@progbits,_Z20binary_search_kernelIyEvmPT_Pb,comdat
	.protected	_Z20binary_search_kernelIyEvmPT_Pb ; -- Begin function _Z20binary_search_kernelIyEvmPT_Pb
	.globl	_Z20binary_search_kernelIyEvmPT_Pb
	.p2align	8
	.type	_Z20binary_search_kernelIyEvmPT_Pb,@function
_Z20binary_search_kernelIyEvmPT_Pb:     ; @_Z20binary_search_kernelIyEvmPT_Pb
; %bb.0:
	s_clause 0x1
	s_load_dwordx4 s[0:3], s[4:5], 0x0
	s_load_dwordx2 s[4:5], s[4:5], 0x10
	s_mov_b64 s[10:11], 0
	s_waitcnt lgkmcnt(0)
	s_cmp_eq_u64 s[0:1], 0
	s_cbranch_scc1 .LBB262_2
; %bb.1:
	s_load_dwordx2 s[6:7], s[2:3], 0x0
	s_waitcnt lgkmcnt(0)
	s_cmp_eq_u64 s[6:7], 0
	s_cselect_b32 s12, -1, 0
	s_branch .LBB262_3
.LBB262_2:
	s_mov_b32 s12, 0
.LBB262_3:
	s_lshl_b64 s[6:7], s[0:1], 3
	v_mov_b32_e32 v0, 0
	s_add_u32 s0, s2, s6
	s_addc_u32 s1, s3, s7
	s_sub_u32 s0, s0, s2
	s_subb_u32 s1, s1, s3
	v_cndmask_b32_e64 v1, 0, 1, s12
	s_ashr_i64 s[8:9], s[0:1], 3
	v_cmp_lt_i64_e64 s0, s[8:9], 1
	global_store_byte v0, v1, s[4:5]
	s_and_b32 vcc_lo, exec_lo, s0
	s_cbranch_vccnz .LBB262_7
; %bb.4:
	s_mov_b64 s[0:1], 0
	s_mov_b64 s[10:11], s[8:9]
	.p2align	6
.LBB262_5:                              ; =>This Inner Loop Header: Depth=1
	s_sub_u32 s12, s10, s0
	s_subb_u32 s13, s11, s1
	s_lshr_b64 s[12:13], s[12:13], 1
	s_add_u32 s12, s12, s0
	s_addc_u32 s13, s13, s1
	s_lshl_b64 s[14:15], s[12:13], 3
	s_add_u32 s14, s2, s14
	s_addc_u32 s15, s3, s15
	s_add_u32 s16, s12, 1
	s_load_dwordx2 s[14:15], s[14:15], 0x0
	s_addc_u32 s17, s13, 0
	s_waitcnt lgkmcnt(0)
	s_cmp_eq_u64 s[14:15], 0
	s_cselect_b32 s1, s17, s1
	s_cselect_b32 s0, s16, s0
	;; [unrolled: 1-line block ×4, first 2 shown]
	v_cmp_lt_i64_e64 s12, s[0:1], s[10:11]
	s_and_b32 vcc_lo, exec_lo, s12
	s_cbranch_vccnz .LBB262_5
; %bb.6:
	s_lshl_b64 s[10:11], s[0:1], 3
.LBB262_7:
	v_cmp_gt_i64_e64 s1, s[8:9], 0
	s_cmp_eq_u64 s[10:11], s[6:7]
	s_mov_b32 s12, 0
	s_cbranch_scc1 .LBB262_9
; %bb.8:
	s_add_u32 s10, s2, s10
	s_addc_u32 s11, s3, s11
	s_load_dwordx2 s[10:11], s[10:11], 0x0
	s_waitcnt lgkmcnt(0)
	v_cmp_lt_u64_e64 s12, s[10:11], 2
.LBB262_9:
	v_cndmask_b32_e64 v0, 0, 1, s1
	v_cndmask_b32_e64 v1, 0, 1, s12
	s_andn2_b32 vcc_lo, exec_lo, s1
	s_mov_b64 s[10:11], 0
	v_cmp_ne_u32_e64 s0, 1, v0
	v_mov_b32_e32 v0, 0
	global_store_byte v0, v1, s[4:5] offset:1
	s_cbranch_vccnz .LBB262_13
; %bb.10:
	s_mov_b64 s[12:13], s[8:9]
	.p2align	6
.LBB262_11:                             ; =>This Inner Loop Header: Depth=1
	s_sub_u32 s14, s12, s10
	s_subb_u32 s15, s13, s11
	s_lshr_b64 s[14:15], s[14:15], 1
	s_add_u32 s14, s14, s10
	s_addc_u32 s15, s15, s11
	s_lshl_b64 s[16:17], s[14:15], 3
	s_add_u32 s16, s2, s16
	s_addc_u32 s17, s3, s17
	s_load_dwordx2 s[16:17], s[16:17], 0x0
	s_waitcnt lgkmcnt(0)
	v_cmp_lt_u64_e64 s1, s[16:17], 2
	s_add_u32 s16, s14, 1
	s_addc_u32 s17, s15, 0
	s_and_b32 s1, s1, exec_lo
	s_cselect_b32 s11, s17, s11
	s_cselect_b32 s10, s16, s10
	;; [unrolled: 1-line block ×4, first 2 shown]
	v_cmp_lt_i64_e64 s1, s[10:11], s[12:13]
	s_and_b32 vcc_lo, exec_lo, s1
	s_cbranch_vccnz .LBB262_11
; %bb.12:
	s_lshl_b64 s[10:11], s[10:11], 3
.LBB262_13:
	s_cmp_eq_u64 s[10:11], s[6:7]
	s_mov_b32 s1, 0
	s_cbranch_scc1 .LBB262_15
; %bb.14:
	s_add_u32 s10, s2, s10
	s_addc_u32 s11, s3, s11
	s_load_dwordx2 s[10:11], s[10:11], 0x0
	s_waitcnt lgkmcnt(0)
	v_cmp_lt_u64_e64 s1, s[10:11], 3
.LBB262_15:
	v_mov_b32_e32 v0, 0
	v_cndmask_b32_e64 v1, 0, 1, s1
	s_and_b32 vcc_lo, exec_lo, s0
	s_mov_b64 s[10:11], 0
	global_store_byte v0, v1, s[4:5] offset:2
	s_cbranch_vccnz .LBB262_19
; %bb.16:
	s_mov_b64 s[12:13], s[8:9]
	.p2align	6
.LBB262_17:                             ; =>This Inner Loop Header: Depth=1
	s_sub_u32 s14, s12, s10
	s_subb_u32 s15, s13, s11
	s_lshr_b64 s[14:15], s[14:15], 1
	s_add_u32 s14, s14, s10
	s_addc_u32 s15, s15, s11
	s_lshl_b64 s[16:17], s[14:15], 3
	s_add_u32 s16, s2, s16
	s_addc_u32 s17, s3, s17
	s_load_dwordx2 s[16:17], s[16:17], 0x0
	s_waitcnt lgkmcnt(0)
	v_cmp_lt_u64_e64 s1, s[16:17], 3
	s_add_u32 s16, s14, 1
	s_addc_u32 s17, s15, 0
	s_and_b32 s1, s1, exec_lo
	s_cselect_b32 s11, s17, s11
	s_cselect_b32 s10, s16, s10
	;; [unrolled: 1-line block ×4, first 2 shown]
	v_cmp_lt_i64_e64 s1, s[10:11], s[12:13]
	s_and_b32 vcc_lo, exec_lo, s1
	s_cbranch_vccnz .LBB262_17
; %bb.18:
	s_lshl_b64 s[10:11], s[10:11], 3
.LBB262_19:
	s_cmp_eq_u64 s[10:11], s[6:7]
	s_mov_b32 s1, 0
	s_cbranch_scc1 .LBB262_21
; %bb.20:
	s_add_u32 s10, s2, s10
	s_addc_u32 s11, s3, s11
	s_load_dwordx2 s[10:11], s[10:11], 0x0
	s_waitcnt lgkmcnt(0)
	v_cmp_lt_u64_e64 s1, s[10:11], 4
.LBB262_21:
	v_mov_b32_e32 v0, 0
	v_cndmask_b32_e64 v1, 0, 1, s1
	s_and_b32 vcc_lo, exec_lo, s0
	s_mov_b64 s[10:11], 0
	global_store_byte v0, v1, s[4:5] offset:3
	s_cbranch_vccnz .LBB262_25
; %bb.22:
	s_mov_b64 s[12:13], s[8:9]
	.p2align	6
.LBB262_23:                             ; =>This Inner Loop Header: Depth=1
	s_sub_u32 s14, s12, s10
	s_subb_u32 s15, s13, s11
	s_lshr_b64 s[14:15], s[14:15], 1
	s_add_u32 s14, s14, s10
	s_addc_u32 s15, s15, s11
	s_lshl_b64 s[16:17], s[14:15], 3
	s_add_u32 s16, s2, s16
	s_addc_u32 s17, s3, s17
	s_load_dwordx2 s[16:17], s[16:17], 0x0
	s_waitcnt lgkmcnt(0)
	v_cmp_lt_u64_e64 s1, s[16:17], 4
	s_add_u32 s16, s14, 1
	s_addc_u32 s17, s15, 0
	s_and_b32 s1, s1, exec_lo
	s_cselect_b32 s11, s17, s11
	s_cselect_b32 s10, s16, s10
	;; [unrolled: 1-line block ×4, first 2 shown]
	v_cmp_lt_i64_e64 s1, s[10:11], s[12:13]
	s_and_b32 vcc_lo, exec_lo, s1
	s_cbranch_vccnz .LBB262_23
; %bb.24:
	s_lshl_b64 s[10:11], s[10:11], 3
.LBB262_25:
	s_cmp_eq_u64 s[10:11], s[6:7]
	s_mov_b32 s1, 0
	s_cbranch_scc1 .LBB262_27
; %bb.26:
	s_add_u32 s10, s2, s10
	s_addc_u32 s11, s3, s11
	s_load_dwordx2 s[10:11], s[10:11], 0x0
	s_waitcnt lgkmcnt(0)
	v_cmp_lt_u64_e64 s1, s[10:11], 5
.LBB262_27:
	v_mov_b32_e32 v0, 0
	v_cndmask_b32_e64 v1, 0, 1, s1
	s_and_b32 vcc_lo, exec_lo, s0
	s_mov_b64 s[10:11], 0
	global_store_byte v0, v1, s[4:5] offset:4
	s_cbranch_vccnz .LBB262_31
; %bb.28:
	s_mov_b64 s[12:13], s[8:9]
	.p2align	6
.LBB262_29:                             ; =>This Inner Loop Header: Depth=1
	s_sub_u32 s14, s12, s10
	s_subb_u32 s15, s13, s11
	s_lshr_b64 s[14:15], s[14:15], 1
	s_add_u32 s14, s14, s10
	s_addc_u32 s15, s15, s11
	s_lshl_b64 s[16:17], s[14:15], 3
	s_add_u32 s16, s2, s16
	s_addc_u32 s17, s3, s17
	s_load_dwordx2 s[16:17], s[16:17], 0x0
	s_waitcnt lgkmcnt(0)
	v_cmp_lt_u64_e64 s1, s[16:17], 5
	s_add_u32 s16, s14, 1
	s_addc_u32 s17, s15, 0
	s_and_b32 s1, s1, exec_lo
	s_cselect_b32 s11, s17, s11
	s_cselect_b32 s10, s16, s10
	;; [unrolled: 1-line block ×4, first 2 shown]
	v_cmp_lt_i64_e64 s1, s[10:11], s[12:13]
	s_and_b32 vcc_lo, exec_lo, s1
	s_cbranch_vccnz .LBB262_29
; %bb.30:
	s_lshl_b64 s[10:11], s[10:11], 3
.LBB262_31:
	s_cmp_eq_u64 s[10:11], s[6:7]
	s_mov_b32 s1, 0
	s_cbranch_scc1 .LBB262_33
; %bb.32:
	s_add_u32 s10, s2, s10
	s_addc_u32 s11, s3, s11
	s_load_dwordx2 s[10:11], s[10:11], 0x0
	s_waitcnt lgkmcnt(0)
	v_cmp_lt_u64_e64 s1, s[10:11], 6
.LBB262_33:
	v_mov_b32_e32 v0, 0
	v_cndmask_b32_e64 v1, 0, 1, s1
	s_and_b32 vcc_lo, exec_lo, s0
	s_mov_b64 s[10:11], 0
	global_store_byte v0, v1, s[4:5] offset:5
	s_cbranch_vccnz .LBB262_37
; %bb.34:
	s_mov_b64 s[12:13], s[8:9]
	.p2align	6
.LBB262_35:                             ; =>This Inner Loop Header: Depth=1
	s_sub_u32 s14, s12, s10
	s_subb_u32 s15, s13, s11
	s_lshr_b64 s[14:15], s[14:15], 1
	s_add_u32 s14, s14, s10
	s_addc_u32 s15, s15, s11
	s_lshl_b64 s[16:17], s[14:15], 3
	s_add_u32 s16, s2, s16
	s_addc_u32 s17, s3, s17
	s_load_dwordx2 s[16:17], s[16:17], 0x0
	s_waitcnt lgkmcnt(0)
	v_cmp_lt_u64_e64 s1, s[16:17], 6
	s_add_u32 s16, s14, 1
	s_addc_u32 s17, s15, 0
	s_and_b32 s1, s1, exec_lo
	s_cselect_b32 s11, s17, s11
	s_cselect_b32 s10, s16, s10
	;; [unrolled: 1-line block ×4, first 2 shown]
	v_cmp_lt_i64_e64 s1, s[10:11], s[12:13]
	s_and_b32 vcc_lo, exec_lo, s1
	s_cbranch_vccnz .LBB262_35
; %bb.36:
	s_lshl_b64 s[10:11], s[10:11], 3
.LBB262_37:
	s_cmp_eq_u64 s[10:11], s[6:7]
	s_mov_b32 s1, 0
	s_cbranch_scc1 .LBB262_39
; %bb.38:
	s_add_u32 s10, s2, s10
	s_addc_u32 s11, s3, s11
	s_load_dwordx2 s[10:11], s[10:11], 0x0
	s_waitcnt lgkmcnt(0)
	v_cmp_lt_u64_e64 s1, s[10:11], 7
.LBB262_39:
	v_mov_b32_e32 v0, 0
	v_cndmask_b32_e64 v1, 0, 1, s1
	s_and_b32 vcc_lo, exec_lo, s0
	s_mov_b64 s[10:11], 0
	global_store_byte v0, v1, s[4:5] offset:6
	s_cbranch_vccnz .LBB262_43
; %bb.40:
	s_mov_b64 s[12:13], s[8:9]
	.p2align	6
.LBB262_41:                             ; =>This Inner Loop Header: Depth=1
	s_sub_u32 s14, s12, s10
	s_subb_u32 s15, s13, s11
	s_lshr_b64 s[14:15], s[14:15], 1
	s_add_u32 s14, s14, s10
	s_addc_u32 s15, s15, s11
	s_lshl_b64 s[16:17], s[14:15], 3
	s_add_u32 s16, s2, s16
	s_addc_u32 s17, s3, s17
	s_load_dwordx2 s[16:17], s[16:17], 0x0
	s_waitcnt lgkmcnt(0)
	v_cmp_lt_u64_e64 s1, s[16:17], 7
	s_add_u32 s16, s14, 1
	s_addc_u32 s17, s15, 0
	s_and_b32 s1, s1, exec_lo
	s_cselect_b32 s11, s17, s11
	s_cselect_b32 s10, s16, s10
	;; [unrolled: 1-line block ×4, first 2 shown]
	v_cmp_lt_i64_e64 s1, s[10:11], s[12:13]
	s_and_b32 vcc_lo, exec_lo, s1
	s_cbranch_vccnz .LBB262_41
; %bb.42:
	s_lshl_b64 s[10:11], s[10:11], 3
.LBB262_43:
	s_cmp_eq_u64 s[10:11], s[6:7]
	s_mov_b32 s1, 0
	s_cbranch_scc1 .LBB262_45
; %bb.44:
	s_add_u32 s10, s2, s10
	s_addc_u32 s11, s3, s11
	s_load_dwordx2 s[10:11], s[10:11], 0x0
	s_waitcnt lgkmcnt(0)
	v_cmp_lt_u64_e64 s1, s[10:11], 8
.LBB262_45:
	v_mov_b32_e32 v0, 0
	v_cndmask_b32_e64 v1, 0, 1, s1
	s_and_b32 vcc_lo, exec_lo, s0
	s_mov_b64 s[10:11], 0
	global_store_byte v0, v1, s[4:5] offset:7
	s_cbranch_vccnz .LBB262_49
; %bb.46:
	s_mov_b64 s[12:13], s[8:9]
	.p2align	6
.LBB262_47:                             ; =>This Inner Loop Header: Depth=1
	s_sub_u32 s14, s12, s10
	s_subb_u32 s15, s13, s11
	s_lshr_b64 s[14:15], s[14:15], 1
	s_add_u32 s14, s14, s10
	s_addc_u32 s15, s15, s11
	s_lshl_b64 s[16:17], s[14:15], 3
	s_add_u32 s16, s2, s16
	s_addc_u32 s17, s3, s17
	s_load_dwordx2 s[16:17], s[16:17], 0x0
	s_waitcnt lgkmcnt(0)
	v_cmp_lt_u64_e64 s1, s[16:17], 8
	s_add_u32 s16, s14, 1
	s_addc_u32 s17, s15, 0
	s_and_b32 s1, s1, exec_lo
	s_cselect_b32 s11, s17, s11
	s_cselect_b32 s10, s16, s10
	s_cselect_b32 s13, s13, s15
	s_cselect_b32 s12, s12, s14
	v_cmp_lt_i64_e64 s1, s[10:11], s[12:13]
	s_and_b32 vcc_lo, exec_lo, s1
	s_cbranch_vccnz .LBB262_47
; %bb.48:
	s_lshl_b64 s[10:11], s[10:11], 3
.LBB262_49:
	s_cmp_eq_u64 s[10:11], s[6:7]
	s_mov_b32 s1, 0
	s_cbranch_scc1 .LBB262_51
; %bb.50:
	s_add_u32 s10, s2, s10
	s_addc_u32 s11, s3, s11
	s_load_dwordx2 s[10:11], s[10:11], 0x0
	s_waitcnt lgkmcnt(0)
	v_cmp_lt_u64_e64 s1, s[10:11], 9
.LBB262_51:
	v_mov_b32_e32 v0, 0
	v_cndmask_b32_e64 v1, 0, 1, s1
	s_and_b32 vcc_lo, exec_lo, s0
	s_mov_b64 s[0:1], 0
	global_store_byte v0, v1, s[4:5] offset:8
	s_cbranch_vccnz .LBB262_54
	.p2align	6
.LBB262_52:                             ; =>This Inner Loop Header: Depth=1
	s_sub_u32 s10, s8, s0
	s_subb_u32 s11, s9, s1
	s_lshr_b64 s[10:11], s[10:11], 1
	s_add_u32 s10, s10, s0
	s_addc_u32 s11, s11, s1
	s_lshl_b64 s[12:13], s[10:11], 3
	s_add_u32 s12, s2, s12
	s_addc_u32 s13, s3, s13
	s_load_dwordx2 s[12:13], s[12:13], 0x0
	s_waitcnt lgkmcnt(0)
	v_cmp_lt_u64_e64 s12, s[12:13], 9
	s_add_u32 s13, s10, 1
	s_addc_u32 s14, s11, 0
	s_and_b32 s12, s12, exec_lo
	s_cselect_b32 s1, s14, s1
	s_cselect_b32 s0, s13, s0
	;; [unrolled: 1-line block ×4, first 2 shown]
	v_cmp_lt_i64_e64 s10, s[0:1], s[8:9]
	s_and_b32 vcc_lo, exec_lo, s10
	s_cbranch_vccnz .LBB262_52
; %bb.53:
	s_lshl_b64 s[0:1], s[0:1], 3
.LBB262_54:
	s_cmp_eq_u64 s[0:1], s[6:7]
	s_mov_b32 s6, 0
	s_cbranch_scc1 .LBB262_56
; %bb.55:
	s_add_u32 s0, s2, s0
	s_addc_u32 s1, s3, s1
	s_load_dwordx2 s[0:1], s[0:1], 0x0
	s_waitcnt lgkmcnt(0)
	v_cmp_lt_u64_e64 s6, s[0:1], 10
.LBB262_56:
	v_mov_b32_e32 v0, 0
	v_cndmask_b32_e64 v1, 0, 1, s6
	global_store_byte v0, v1, s[4:5] offset:9
	s_endpgm
	.section	.rodata,"a",@progbits
	.p2align	6, 0x0
	.amdhsa_kernel _Z20binary_search_kernelIyEvmPT_Pb
		.amdhsa_group_segment_fixed_size 0
		.amdhsa_private_segment_fixed_size 0
		.amdhsa_kernarg_size 24
		.amdhsa_user_sgpr_count 6
		.amdhsa_user_sgpr_private_segment_buffer 1
		.amdhsa_user_sgpr_dispatch_ptr 0
		.amdhsa_user_sgpr_queue_ptr 0
		.amdhsa_user_sgpr_kernarg_segment_ptr 1
		.amdhsa_user_sgpr_dispatch_id 0
		.amdhsa_user_sgpr_flat_scratch_init 0
		.amdhsa_user_sgpr_private_segment_size 0
		.amdhsa_wavefront_size32 1
		.amdhsa_uses_dynamic_stack 0
		.amdhsa_system_sgpr_private_segment_wavefront_offset 0
		.amdhsa_system_sgpr_workgroup_id_x 1
		.amdhsa_system_sgpr_workgroup_id_y 0
		.amdhsa_system_sgpr_workgroup_id_z 0
		.amdhsa_system_sgpr_workgroup_info 0
		.amdhsa_system_vgpr_workitem_id 0
		.amdhsa_next_free_vgpr 2
		.amdhsa_next_free_sgpr 18
		.amdhsa_reserve_vcc 1
		.amdhsa_reserve_flat_scratch 0
		.amdhsa_float_round_mode_32 0
		.amdhsa_float_round_mode_16_64 0
		.amdhsa_float_denorm_mode_32 3
		.amdhsa_float_denorm_mode_16_64 3
		.amdhsa_dx10_clamp 1
		.amdhsa_ieee_mode 1
		.amdhsa_fp16_overflow 0
		.amdhsa_workgroup_processor_mode 1
		.amdhsa_memory_ordered 1
		.amdhsa_forward_progress 1
		.amdhsa_shared_vgpr_count 0
		.amdhsa_exception_fp_ieee_invalid_op 0
		.amdhsa_exception_fp_denorm_src 0
		.amdhsa_exception_fp_ieee_div_zero 0
		.amdhsa_exception_fp_ieee_overflow 0
		.amdhsa_exception_fp_ieee_underflow 0
		.amdhsa_exception_fp_ieee_inexact 0
		.amdhsa_exception_int_div_zero 0
	.end_amdhsa_kernel
	.section	.text._Z20binary_search_kernelIyEvmPT_Pb,"axG",@progbits,_Z20binary_search_kernelIyEvmPT_Pb,comdat
.Lfunc_end262:
	.size	_Z20binary_search_kernelIyEvmPT_Pb, .Lfunc_end262-_Z20binary_search_kernelIyEvmPT_Pb
                                        ; -- End function
	.set _Z20binary_search_kernelIyEvmPT_Pb.num_vgpr, 2
	.set _Z20binary_search_kernelIyEvmPT_Pb.num_agpr, 0
	.set _Z20binary_search_kernelIyEvmPT_Pb.numbered_sgpr, 18
	.set _Z20binary_search_kernelIyEvmPT_Pb.num_named_barrier, 0
	.set _Z20binary_search_kernelIyEvmPT_Pb.private_seg_size, 0
	.set _Z20binary_search_kernelIyEvmPT_Pb.uses_vcc, 1
	.set _Z20binary_search_kernelIyEvmPT_Pb.uses_flat_scratch, 0
	.set _Z20binary_search_kernelIyEvmPT_Pb.has_dyn_sized_stack, 0
	.set _Z20binary_search_kernelIyEvmPT_Pb.has_recursion, 0
	.set _Z20binary_search_kernelIyEvmPT_Pb.has_indirect_call, 0
	.section	.AMDGPU.csdata,"",@progbits
; Kernel info:
; codeLenInByte = 1892
; TotalNumSgprs: 20
; NumVgprs: 2
; ScratchSize: 0
; MemoryBound: 1
; FloatMode: 240
; IeeeMode: 1
; LDSByteSize: 0 bytes/workgroup (compile time only)
; SGPRBlocks: 0
; VGPRBlocks: 0
; NumSGPRsForWavesPerEU: 20
; NumVGPRsForWavesPerEU: 2
; Occupancy: 16
; WaveLimiterHint : 0
; COMPUTE_PGM_RSRC2:SCRATCH_EN: 0
; COMPUTE_PGM_RSRC2:USER_SGPR: 6
; COMPUTE_PGM_RSRC2:TRAP_HANDLER: 0
; COMPUTE_PGM_RSRC2:TGID_X_EN: 1
; COMPUTE_PGM_RSRC2:TGID_Y_EN: 0
; COMPUTE_PGM_RSRC2:TGID_Z_EN: 0
; COMPUTE_PGM_RSRC2:TIDIG_COMP_CNT: 0
	.section	.text._ZN7rocprim17ROCPRIM_400000_NS6detail17trampoline_kernelINS0_14default_configENS1_29binary_search_config_selectorIyiEEZNS1_14transform_implILb0ES3_S5_N6thrust23THRUST_200600_302600_NS6detail15normal_iteratorINS8_7pointerIyNS8_11hip_rocprim5par_tENS8_11use_defaultESE_EEEENSA_INSB_IiSD_SE_SE_EEEEZNS1_13binary_searchIS3_S5_PySG_SI_NS1_16binary_search_opENS9_16wrapped_functionINS8_6system6detail7generic6detail18binary_search_lessEbEEEE10hipError_tPvRmT1_T2_T3_mmT4_T5_P12ihipStream_tbEUlRKyE_EEST_SX_SY_mSZ_S12_bEUlT_E_NS1_11comp_targetILNS1_3genE0ELNS1_11target_archE4294967295ELNS1_3gpuE0ELNS1_3repE0EEENS1_30default_config_static_selectorELNS0_4arch9wavefront6targetE0EEEvSW_,"axG",@progbits,_ZN7rocprim17ROCPRIM_400000_NS6detail17trampoline_kernelINS0_14default_configENS1_29binary_search_config_selectorIyiEEZNS1_14transform_implILb0ES3_S5_N6thrust23THRUST_200600_302600_NS6detail15normal_iteratorINS8_7pointerIyNS8_11hip_rocprim5par_tENS8_11use_defaultESE_EEEENSA_INSB_IiSD_SE_SE_EEEEZNS1_13binary_searchIS3_S5_PySG_SI_NS1_16binary_search_opENS9_16wrapped_functionINS8_6system6detail7generic6detail18binary_search_lessEbEEEE10hipError_tPvRmT1_T2_T3_mmT4_T5_P12ihipStream_tbEUlRKyE_EEST_SX_SY_mSZ_S12_bEUlT_E_NS1_11comp_targetILNS1_3genE0ELNS1_11target_archE4294967295ELNS1_3gpuE0ELNS1_3repE0EEENS1_30default_config_static_selectorELNS0_4arch9wavefront6targetE0EEEvSW_,comdat
	.protected	_ZN7rocprim17ROCPRIM_400000_NS6detail17trampoline_kernelINS0_14default_configENS1_29binary_search_config_selectorIyiEEZNS1_14transform_implILb0ES3_S5_N6thrust23THRUST_200600_302600_NS6detail15normal_iteratorINS8_7pointerIyNS8_11hip_rocprim5par_tENS8_11use_defaultESE_EEEENSA_INSB_IiSD_SE_SE_EEEEZNS1_13binary_searchIS3_S5_PySG_SI_NS1_16binary_search_opENS9_16wrapped_functionINS8_6system6detail7generic6detail18binary_search_lessEbEEEE10hipError_tPvRmT1_T2_T3_mmT4_T5_P12ihipStream_tbEUlRKyE_EEST_SX_SY_mSZ_S12_bEUlT_E_NS1_11comp_targetILNS1_3genE0ELNS1_11target_archE4294967295ELNS1_3gpuE0ELNS1_3repE0EEENS1_30default_config_static_selectorELNS0_4arch9wavefront6targetE0EEEvSW_ ; -- Begin function _ZN7rocprim17ROCPRIM_400000_NS6detail17trampoline_kernelINS0_14default_configENS1_29binary_search_config_selectorIyiEEZNS1_14transform_implILb0ES3_S5_N6thrust23THRUST_200600_302600_NS6detail15normal_iteratorINS8_7pointerIyNS8_11hip_rocprim5par_tENS8_11use_defaultESE_EEEENSA_INSB_IiSD_SE_SE_EEEEZNS1_13binary_searchIS3_S5_PySG_SI_NS1_16binary_search_opENS9_16wrapped_functionINS8_6system6detail7generic6detail18binary_search_lessEbEEEE10hipError_tPvRmT1_T2_T3_mmT4_T5_P12ihipStream_tbEUlRKyE_EEST_SX_SY_mSZ_S12_bEUlT_E_NS1_11comp_targetILNS1_3genE0ELNS1_11target_archE4294967295ELNS1_3gpuE0ELNS1_3repE0EEENS1_30default_config_static_selectorELNS0_4arch9wavefront6targetE0EEEvSW_
	.globl	_ZN7rocprim17ROCPRIM_400000_NS6detail17trampoline_kernelINS0_14default_configENS1_29binary_search_config_selectorIyiEEZNS1_14transform_implILb0ES3_S5_N6thrust23THRUST_200600_302600_NS6detail15normal_iteratorINS8_7pointerIyNS8_11hip_rocprim5par_tENS8_11use_defaultESE_EEEENSA_INSB_IiSD_SE_SE_EEEEZNS1_13binary_searchIS3_S5_PySG_SI_NS1_16binary_search_opENS9_16wrapped_functionINS8_6system6detail7generic6detail18binary_search_lessEbEEEE10hipError_tPvRmT1_T2_T3_mmT4_T5_P12ihipStream_tbEUlRKyE_EEST_SX_SY_mSZ_S12_bEUlT_E_NS1_11comp_targetILNS1_3genE0ELNS1_11target_archE4294967295ELNS1_3gpuE0ELNS1_3repE0EEENS1_30default_config_static_selectorELNS0_4arch9wavefront6targetE0EEEvSW_
	.p2align	8
	.type	_ZN7rocprim17ROCPRIM_400000_NS6detail17trampoline_kernelINS0_14default_configENS1_29binary_search_config_selectorIyiEEZNS1_14transform_implILb0ES3_S5_N6thrust23THRUST_200600_302600_NS6detail15normal_iteratorINS8_7pointerIyNS8_11hip_rocprim5par_tENS8_11use_defaultESE_EEEENSA_INSB_IiSD_SE_SE_EEEEZNS1_13binary_searchIS3_S5_PySG_SI_NS1_16binary_search_opENS9_16wrapped_functionINS8_6system6detail7generic6detail18binary_search_lessEbEEEE10hipError_tPvRmT1_T2_T3_mmT4_T5_P12ihipStream_tbEUlRKyE_EEST_SX_SY_mSZ_S12_bEUlT_E_NS1_11comp_targetILNS1_3genE0ELNS1_11target_archE4294967295ELNS1_3gpuE0ELNS1_3repE0EEENS1_30default_config_static_selectorELNS0_4arch9wavefront6targetE0EEEvSW_,@function
_ZN7rocprim17ROCPRIM_400000_NS6detail17trampoline_kernelINS0_14default_configENS1_29binary_search_config_selectorIyiEEZNS1_14transform_implILb0ES3_S5_N6thrust23THRUST_200600_302600_NS6detail15normal_iteratorINS8_7pointerIyNS8_11hip_rocprim5par_tENS8_11use_defaultESE_EEEENSA_INSB_IiSD_SE_SE_EEEEZNS1_13binary_searchIS3_S5_PySG_SI_NS1_16binary_search_opENS9_16wrapped_functionINS8_6system6detail7generic6detail18binary_search_lessEbEEEE10hipError_tPvRmT1_T2_T3_mmT4_T5_P12ihipStream_tbEUlRKyE_EEST_SX_SY_mSZ_S12_bEUlT_E_NS1_11comp_targetILNS1_3genE0ELNS1_11target_archE4294967295ELNS1_3gpuE0ELNS1_3repE0EEENS1_30default_config_static_selectorELNS0_4arch9wavefront6targetE0EEEvSW_: ; @_ZN7rocprim17ROCPRIM_400000_NS6detail17trampoline_kernelINS0_14default_configENS1_29binary_search_config_selectorIyiEEZNS1_14transform_implILb0ES3_S5_N6thrust23THRUST_200600_302600_NS6detail15normal_iteratorINS8_7pointerIyNS8_11hip_rocprim5par_tENS8_11use_defaultESE_EEEENSA_INSB_IiSD_SE_SE_EEEEZNS1_13binary_searchIS3_S5_PySG_SI_NS1_16binary_search_opENS9_16wrapped_functionINS8_6system6detail7generic6detail18binary_search_lessEbEEEE10hipError_tPvRmT1_T2_T3_mmT4_T5_P12ihipStream_tbEUlRKyE_EEST_SX_SY_mSZ_S12_bEUlT_E_NS1_11comp_targetILNS1_3genE0ELNS1_11target_archE4294967295ELNS1_3gpuE0ELNS1_3repE0EEENS1_30default_config_static_selectorELNS0_4arch9wavefront6targetE0EEEvSW_
; %bb.0:
	.section	.rodata,"a",@progbits
	.p2align	6, 0x0
	.amdhsa_kernel _ZN7rocprim17ROCPRIM_400000_NS6detail17trampoline_kernelINS0_14default_configENS1_29binary_search_config_selectorIyiEEZNS1_14transform_implILb0ES3_S5_N6thrust23THRUST_200600_302600_NS6detail15normal_iteratorINS8_7pointerIyNS8_11hip_rocprim5par_tENS8_11use_defaultESE_EEEENSA_INSB_IiSD_SE_SE_EEEEZNS1_13binary_searchIS3_S5_PySG_SI_NS1_16binary_search_opENS9_16wrapped_functionINS8_6system6detail7generic6detail18binary_search_lessEbEEEE10hipError_tPvRmT1_T2_T3_mmT4_T5_P12ihipStream_tbEUlRKyE_EEST_SX_SY_mSZ_S12_bEUlT_E_NS1_11comp_targetILNS1_3genE0ELNS1_11target_archE4294967295ELNS1_3gpuE0ELNS1_3repE0EEENS1_30default_config_static_selectorELNS0_4arch9wavefront6targetE0EEEvSW_
		.amdhsa_group_segment_fixed_size 0
		.amdhsa_private_segment_fixed_size 0
		.amdhsa_kernarg_size 56
		.amdhsa_user_sgpr_count 6
		.amdhsa_user_sgpr_private_segment_buffer 1
		.amdhsa_user_sgpr_dispatch_ptr 0
		.amdhsa_user_sgpr_queue_ptr 0
		.amdhsa_user_sgpr_kernarg_segment_ptr 1
		.amdhsa_user_sgpr_dispatch_id 0
		.amdhsa_user_sgpr_flat_scratch_init 0
		.amdhsa_user_sgpr_private_segment_size 0
		.amdhsa_wavefront_size32 1
		.amdhsa_uses_dynamic_stack 0
		.amdhsa_system_sgpr_private_segment_wavefront_offset 0
		.amdhsa_system_sgpr_workgroup_id_x 1
		.amdhsa_system_sgpr_workgroup_id_y 0
		.amdhsa_system_sgpr_workgroup_id_z 0
		.amdhsa_system_sgpr_workgroup_info 0
		.amdhsa_system_vgpr_workitem_id 0
		.amdhsa_next_free_vgpr 1
		.amdhsa_next_free_sgpr 1
		.amdhsa_reserve_vcc 0
		.amdhsa_reserve_flat_scratch 0
		.amdhsa_float_round_mode_32 0
		.amdhsa_float_round_mode_16_64 0
		.amdhsa_float_denorm_mode_32 3
		.amdhsa_float_denorm_mode_16_64 3
		.amdhsa_dx10_clamp 1
		.amdhsa_ieee_mode 1
		.amdhsa_fp16_overflow 0
		.amdhsa_workgroup_processor_mode 1
		.amdhsa_memory_ordered 1
		.amdhsa_forward_progress 1
		.amdhsa_shared_vgpr_count 0
		.amdhsa_exception_fp_ieee_invalid_op 0
		.amdhsa_exception_fp_denorm_src 0
		.amdhsa_exception_fp_ieee_div_zero 0
		.amdhsa_exception_fp_ieee_overflow 0
		.amdhsa_exception_fp_ieee_underflow 0
		.amdhsa_exception_fp_ieee_inexact 0
		.amdhsa_exception_int_div_zero 0
	.end_amdhsa_kernel
	.section	.text._ZN7rocprim17ROCPRIM_400000_NS6detail17trampoline_kernelINS0_14default_configENS1_29binary_search_config_selectorIyiEEZNS1_14transform_implILb0ES3_S5_N6thrust23THRUST_200600_302600_NS6detail15normal_iteratorINS8_7pointerIyNS8_11hip_rocprim5par_tENS8_11use_defaultESE_EEEENSA_INSB_IiSD_SE_SE_EEEEZNS1_13binary_searchIS3_S5_PySG_SI_NS1_16binary_search_opENS9_16wrapped_functionINS8_6system6detail7generic6detail18binary_search_lessEbEEEE10hipError_tPvRmT1_T2_T3_mmT4_T5_P12ihipStream_tbEUlRKyE_EEST_SX_SY_mSZ_S12_bEUlT_E_NS1_11comp_targetILNS1_3genE0ELNS1_11target_archE4294967295ELNS1_3gpuE0ELNS1_3repE0EEENS1_30default_config_static_selectorELNS0_4arch9wavefront6targetE0EEEvSW_,"axG",@progbits,_ZN7rocprim17ROCPRIM_400000_NS6detail17trampoline_kernelINS0_14default_configENS1_29binary_search_config_selectorIyiEEZNS1_14transform_implILb0ES3_S5_N6thrust23THRUST_200600_302600_NS6detail15normal_iteratorINS8_7pointerIyNS8_11hip_rocprim5par_tENS8_11use_defaultESE_EEEENSA_INSB_IiSD_SE_SE_EEEEZNS1_13binary_searchIS3_S5_PySG_SI_NS1_16binary_search_opENS9_16wrapped_functionINS8_6system6detail7generic6detail18binary_search_lessEbEEEE10hipError_tPvRmT1_T2_T3_mmT4_T5_P12ihipStream_tbEUlRKyE_EEST_SX_SY_mSZ_S12_bEUlT_E_NS1_11comp_targetILNS1_3genE0ELNS1_11target_archE4294967295ELNS1_3gpuE0ELNS1_3repE0EEENS1_30default_config_static_selectorELNS0_4arch9wavefront6targetE0EEEvSW_,comdat
.Lfunc_end263:
	.size	_ZN7rocprim17ROCPRIM_400000_NS6detail17trampoline_kernelINS0_14default_configENS1_29binary_search_config_selectorIyiEEZNS1_14transform_implILb0ES3_S5_N6thrust23THRUST_200600_302600_NS6detail15normal_iteratorINS8_7pointerIyNS8_11hip_rocprim5par_tENS8_11use_defaultESE_EEEENSA_INSB_IiSD_SE_SE_EEEEZNS1_13binary_searchIS3_S5_PySG_SI_NS1_16binary_search_opENS9_16wrapped_functionINS8_6system6detail7generic6detail18binary_search_lessEbEEEE10hipError_tPvRmT1_T2_T3_mmT4_T5_P12ihipStream_tbEUlRKyE_EEST_SX_SY_mSZ_S12_bEUlT_E_NS1_11comp_targetILNS1_3genE0ELNS1_11target_archE4294967295ELNS1_3gpuE0ELNS1_3repE0EEENS1_30default_config_static_selectorELNS0_4arch9wavefront6targetE0EEEvSW_, .Lfunc_end263-_ZN7rocprim17ROCPRIM_400000_NS6detail17trampoline_kernelINS0_14default_configENS1_29binary_search_config_selectorIyiEEZNS1_14transform_implILb0ES3_S5_N6thrust23THRUST_200600_302600_NS6detail15normal_iteratorINS8_7pointerIyNS8_11hip_rocprim5par_tENS8_11use_defaultESE_EEEENSA_INSB_IiSD_SE_SE_EEEEZNS1_13binary_searchIS3_S5_PySG_SI_NS1_16binary_search_opENS9_16wrapped_functionINS8_6system6detail7generic6detail18binary_search_lessEbEEEE10hipError_tPvRmT1_T2_T3_mmT4_T5_P12ihipStream_tbEUlRKyE_EEST_SX_SY_mSZ_S12_bEUlT_E_NS1_11comp_targetILNS1_3genE0ELNS1_11target_archE4294967295ELNS1_3gpuE0ELNS1_3repE0EEENS1_30default_config_static_selectorELNS0_4arch9wavefront6targetE0EEEvSW_
                                        ; -- End function
	.set _ZN7rocprim17ROCPRIM_400000_NS6detail17trampoline_kernelINS0_14default_configENS1_29binary_search_config_selectorIyiEEZNS1_14transform_implILb0ES3_S5_N6thrust23THRUST_200600_302600_NS6detail15normal_iteratorINS8_7pointerIyNS8_11hip_rocprim5par_tENS8_11use_defaultESE_EEEENSA_INSB_IiSD_SE_SE_EEEEZNS1_13binary_searchIS3_S5_PySG_SI_NS1_16binary_search_opENS9_16wrapped_functionINS8_6system6detail7generic6detail18binary_search_lessEbEEEE10hipError_tPvRmT1_T2_T3_mmT4_T5_P12ihipStream_tbEUlRKyE_EEST_SX_SY_mSZ_S12_bEUlT_E_NS1_11comp_targetILNS1_3genE0ELNS1_11target_archE4294967295ELNS1_3gpuE0ELNS1_3repE0EEENS1_30default_config_static_selectorELNS0_4arch9wavefront6targetE0EEEvSW_.num_vgpr, 0
	.set _ZN7rocprim17ROCPRIM_400000_NS6detail17trampoline_kernelINS0_14default_configENS1_29binary_search_config_selectorIyiEEZNS1_14transform_implILb0ES3_S5_N6thrust23THRUST_200600_302600_NS6detail15normal_iteratorINS8_7pointerIyNS8_11hip_rocprim5par_tENS8_11use_defaultESE_EEEENSA_INSB_IiSD_SE_SE_EEEEZNS1_13binary_searchIS3_S5_PySG_SI_NS1_16binary_search_opENS9_16wrapped_functionINS8_6system6detail7generic6detail18binary_search_lessEbEEEE10hipError_tPvRmT1_T2_T3_mmT4_T5_P12ihipStream_tbEUlRKyE_EEST_SX_SY_mSZ_S12_bEUlT_E_NS1_11comp_targetILNS1_3genE0ELNS1_11target_archE4294967295ELNS1_3gpuE0ELNS1_3repE0EEENS1_30default_config_static_selectorELNS0_4arch9wavefront6targetE0EEEvSW_.num_agpr, 0
	.set _ZN7rocprim17ROCPRIM_400000_NS6detail17trampoline_kernelINS0_14default_configENS1_29binary_search_config_selectorIyiEEZNS1_14transform_implILb0ES3_S5_N6thrust23THRUST_200600_302600_NS6detail15normal_iteratorINS8_7pointerIyNS8_11hip_rocprim5par_tENS8_11use_defaultESE_EEEENSA_INSB_IiSD_SE_SE_EEEEZNS1_13binary_searchIS3_S5_PySG_SI_NS1_16binary_search_opENS9_16wrapped_functionINS8_6system6detail7generic6detail18binary_search_lessEbEEEE10hipError_tPvRmT1_T2_T3_mmT4_T5_P12ihipStream_tbEUlRKyE_EEST_SX_SY_mSZ_S12_bEUlT_E_NS1_11comp_targetILNS1_3genE0ELNS1_11target_archE4294967295ELNS1_3gpuE0ELNS1_3repE0EEENS1_30default_config_static_selectorELNS0_4arch9wavefront6targetE0EEEvSW_.numbered_sgpr, 0
	.set _ZN7rocprim17ROCPRIM_400000_NS6detail17trampoline_kernelINS0_14default_configENS1_29binary_search_config_selectorIyiEEZNS1_14transform_implILb0ES3_S5_N6thrust23THRUST_200600_302600_NS6detail15normal_iteratorINS8_7pointerIyNS8_11hip_rocprim5par_tENS8_11use_defaultESE_EEEENSA_INSB_IiSD_SE_SE_EEEEZNS1_13binary_searchIS3_S5_PySG_SI_NS1_16binary_search_opENS9_16wrapped_functionINS8_6system6detail7generic6detail18binary_search_lessEbEEEE10hipError_tPvRmT1_T2_T3_mmT4_T5_P12ihipStream_tbEUlRKyE_EEST_SX_SY_mSZ_S12_bEUlT_E_NS1_11comp_targetILNS1_3genE0ELNS1_11target_archE4294967295ELNS1_3gpuE0ELNS1_3repE0EEENS1_30default_config_static_selectorELNS0_4arch9wavefront6targetE0EEEvSW_.num_named_barrier, 0
	.set _ZN7rocprim17ROCPRIM_400000_NS6detail17trampoline_kernelINS0_14default_configENS1_29binary_search_config_selectorIyiEEZNS1_14transform_implILb0ES3_S5_N6thrust23THRUST_200600_302600_NS6detail15normal_iteratorINS8_7pointerIyNS8_11hip_rocprim5par_tENS8_11use_defaultESE_EEEENSA_INSB_IiSD_SE_SE_EEEEZNS1_13binary_searchIS3_S5_PySG_SI_NS1_16binary_search_opENS9_16wrapped_functionINS8_6system6detail7generic6detail18binary_search_lessEbEEEE10hipError_tPvRmT1_T2_T3_mmT4_T5_P12ihipStream_tbEUlRKyE_EEST_SX_SY_mSZ_S12_bEUlT_E_NS1_11comp_targetILNS1_3genE0ELNS1_11target_archE4294967295ELNS1_3gpuE0ELNS1_3repE0EEENS1_30default_config_static_selectorELNS0_4arch9wavefront6targetE0EEEvSW_.private_seg_size, 0
	.set _ZN7rocprim17ROCPRIM_400000_NS6detail17trampoline_kernelINS0_14default_configENS1_29binary_search_config_selectorIyiEEZNS1_14transform_implILb0ES3_S5_N6thrust23THRUST_200600_302600_NS6detail15normal_iteratorINS8_7pointerIyNS8_11hip_rocprim5par_tENS8_11use_defaultESE_EEEENSA_INSB_IiSD_SE_SE_EEEEZNS1_13binary_searchIS3_S5_PySG_SI_NS1_16binary_search_opENS9_16wrapped_functionINS8_6system6detail7generic6detail18binary_search_lessEbEEEE10hipError_tPvRmT1_T2_T3_mmT4_T5_P12ihipStream_tbEUlRKyE_EEST_SX_SY_mSZ_S12_bEUlT_E_NS1_11comp_targetILNS1_3genE0ELNS1_11target_archE4294967295ELNS1_3gpuE0ELNS1_3repE0EEENS1_30default_config_static_selectorELNS0_4arch9wavefront6targetE0EEEvSW_.uses_vcc, 0
	.set _ZN7rocprim17ROCPRIM_400000_NS6detail17trampoline_kernelINS0_14default_configENS1_29binary_search_config_selectorIyiEEZNS1_14transform_implILb0ES3_S5_N6thrust23THRUST_200600_302600_NS6detail15normal_iteratorINS8_7pointerIyNS8_11hip_rocprim5par_tENS8_11use_defaultESE_EEEENSA_INSB_IiSD_SE_SE_EEEEZNS1_13binary_searchIS3_S5_PySG_SI_NS1_16binary_search_opENS9_16wrapped_functionINS8_6system6detail7generic6detail18binary_search_lessEbEEEE10hipError_tPvRmT1_T2_T3_mmT4_T5_P12ihipStream_tbEUlRKyE_EEST_SX_SY_mSZ_S12_bEUlT_E_NS1_11comp_targetILNS1_3genE0ELNS1_11target_archE4294967295ELNS1_3gpuE0ELNS1_3repE0EEENS1_30default_config_static_selectorELNS0_4arch9wavefront6targetE0EEEvSW_.uses_flat_scratch, 0
	.set _ZN7rocprim17ROCPRIM_400000_NS6detail17trampoline_kernelINS0_14default_configENS1_29binary_search_config_selectorIyiEEZNS1_14transform_implILb0ES3_S5_N6thrust23THRUST_200600_302600_NS6detail15normal_iteratorINS8_7pointerIyNS8_11hip_rocprim5par_tENS8_11use_defaultESE_EEEENSA_INSB_IiSD_SE_SE_EEEEZNS1_13binary_searchIS3_S5_PySG_SI_NS1_16binary_search_opENS9_16wrapped_functionINS8_6system6detail7generic6detail18binary_search_lessEbEEEE10hipError_tPvRmT1_T2_T3_mmT4_T5_P12ihipStream_tbEUlRKyE_EEST_SX_SY_mSZ_S12_bEUlT_E_NS1_11comp_targetILNS1_3genE0ELNS1_11target_archE4294967295ELNS1_3gpuE0ELNS1_3repE0EEENS1_30default_config_static_selectorELNS0_4arch9wavefront6targetE0EEEvSW_.has_dyn_sized_stack, 0
	.set _ZN7rocprim17ROCPRIM_400000_NS6detail17trampoline_kernelINS0_14default_configENS1_29binary_search_config_selectorIyiEEZNS1_14transform_implILb0ES3_S5_N6thrust23THRUST_200600_302600_NS6detail15normal_iteratorINS8_7pointerIyNS8_11hip_rocprim5par_tENS8_11use_defaultESE_EEEENSA_INSB_IiSD_SE_SE_EEEEZNS1_13binary_searchIS3_S5_PySG_SI_NS1_16binary_search_opENS9_16wrapped_functionINS8_6system6detail7generic6detail18binary_search_lessEbEEEE10hipError_tPvRmT1_T2_T3_mmT4_T5_P12ihipStream_tbEUlRKyE_EEST_SX_SY_mSZ_S12_bEUlT_E_NS1_11comp_targetILNS1_3genE0ELNS1_11target_archE4294967295ELNS1_3gpuE0ELNS1_3repE0EEENS1_30default_config_static_selectorELNS0_4arch9wavefront6targetE0EEEvSW_.has_recursion, 0
	.set _ZN7rocprim17ROCPRIM_400000_NS6detail17trampoline_kernelINS0_14default_configENS1_29binary_search_config_selectorIyiEEZNS1_14transform_implILb0ES3_S5_N6thrust23THRUST_200600_302600_NS6detail15normal_iteratorINS8_7pointerIyNS8_11hip_rocprim5par_tENS8_11use_defaultESE_EEEENSA_INSB_IiSD_SE_SE_EEEEZNS1_13binary_searchIS3_S5_PySG_SI_NS1_16binary_search_opENS9_16wrapped_functionINS8_6system6detail7generic6detail18binary_search_lessEbEEEE10hipError_tPvRmT1_T2_T3_mmT4_T5_P12ihipStream_tbEUlRKyE_EEST_SX_SY_mSZ_S12_bEUlT_E_NS1_11comp_targetILNS1_3genE0ELNS1_11target_archE4294967295ELNS1_3gpuE0ELNS1_3repE0EEENS1_30default_config_static_selectorELNS0_4arch9wavefront6targetE0EEEvSW_.has_indirect_call, 0
	.section	.AMDGPU.csdata,"",@progbits
; Kernel info:
; codeLenInByte = 0
; TotalNumSgprs: 0
; NumVgprs: 0
; ScratchSize: 0
; MemoryBound: 0
; FloatMode: 240
; IeeeMode: 1
; LDSByteSize: 0 bytes/workgroup (compile time only)
; SGPRBlocks: 0
; VGPRBlocks: 0
; NumSGPRsForWavesPerEU: 1
; NumVGPRsForWavesPerEU: 1
; Occupancy: 16
; WaveLimiterHint : 0
; COMPUTE_PGM_RSRC2:SCRATCH_EN: 0
; COMPUTE_PGM_RSRC2:USER_SGPR: 6
; COMPUTE_PGM_RSRC2:TRAP_HANDLER: 0
; COMPUTE_PGM_RSRC2:TGID_X_EN: 1
; COMPUTE_PGM_RSRC2:TGID_Y_EN: 0
; COMPUTE_PGM_RSRC2:TGID_Z_EN: 0
; COMPUTE_PGM_RSRC2:TIDIG_COMP_CNT: 0
	.section	.text._ZN7rocprim17ROCPRIM_400000_NS6detail17trampoline_kernelINS0_14default_configENS1_29binary_search_config_selectorIyiEEZNS1_14transform_implILb0ES3_S5_N6thrust23THRUST_200600_302600_NS6detail15normal_iteratorINS8_7pointerIyNS8_11hip_rocprim5par_tENS8_11use_defaultESE_EEEENSA_INSB_IiSD_SE_SE_EEEEZNS1_13binary_searchIS3_S5_PySG_SI_NS1_16binary_search_opENS9_16wrapped_functionINS8_6system6detail7generic6detail18binary_search_lessEbEEEE10hipError_tPvRmT1_T2_T3_mmT4_T5_P12ihipStream_tbEUlRKyE_EEST_SX_SY_mSZ_S12_bEUlT_E_NS1_11comp_targetILNS1_3genE5ELNS1_11target_archE942ELNS1_3gpuE9ELNS1_3repE0EEENS1_30default_config_static_selectorELNS0_4arch9wavefront6targetE0EEEvSW_,"axG",@progbits,_ZN7rocprim17ROCPRIM_400000_NS6detail17trampoline_kernelINS0_14default_configENS1_29binary_search_config_selectorIyiEEZNS1_14transform_implILb0ES3_S5_N6thrust23THRUST_200600_302600_NS6detail15normal_iteratorINS8_7pointerIyNS8_11hip_rocprim5par_tENS8_11use_defaultESE_EEEENSA_INSB_IiSD_SE_SE_EEEEZNS1_13binary_searchIS3_S5_PySG_SI_NS1_16binary_search_opENS9_16wrapped_functionINS8_6system6detail7generic6detail18binary_search_lessEbEEEE10hipError_tPvRmT1_T2_T3_mmT4_T5_P12ihipStream_tbEUlRKyE_EEST_SX_SY_mSZ_S12_bEUlT_E_NS1_11comp_targetILNS1_3genE5ELNS1_11target_archE942ELNS1_3gpuE9ELNS1_3repE0EEENS1_30default_config_static_selectorELNS0_4arch9wavefront6targetE0EEEvSW_,comdat
	.protected	_ZN7rocprim17ROCPRIM_400000_NS6detail17trampoline_kernelINS0_14default_configENS1_29binary_search_config_selectorIyiEEZNS1_14transform_implILb0ES3_S5_N6thrust23THRUST_200600_302600_NS6detail15normal_iteratorINS8_7pointerIyNS8_11hip_rocprim5par_tENS8_11use_defaultESE_EEEENSA_INSB_IiSD_SE_SE_EEEEZNS1_13binary_searchIS3_S5_PySG_SI_NS1_16binary_search_opENS9_16wrapped_functionINS8_6system6detail7generic6detail18binary_search_lessEbEEEE10hipError_tPvRmT1_T2_T3_mmT4_T5_P12ihipStream_tbEUlRKyE_EEST_SX_SY_mSZ_S12_bEUlT_E_NS1_11comp_targetILNS1_3genE5ELNS1_11target_archE942ELNS1_3gpuE9ELNS1_3repE0EEENS1_30default_config_static_selectorELNS0_4arch9wavefront6targetE0EEEvSW_ ; -- Begin function _ZN7rocprim17ROCPRIM_400000_NS6detail17trampoline_kernelINS0_14default_configENS1_29binary_search_config_selectorIyiEEZNS1_14transform_implILb0ES3_S5_N6thrust23THRUST_200600_302600_NS6detail15normal_iteratorINS8_7pointerIyNS8_11hip_rocprim5par_tENS8_11use_defaultESE_EEEENSA_INSB_IiSD_SE_SE_EEEEZNS1_13binary_searchIS3_S5_PySG_SI_NS1_16binary_search_opENS9_16wrapped_functionINS8_6system6detail7generic6detail18binary_search_lessEbEEEE10hipError_tPvRmT1_T2_T3_mmT4_T5_P12ihipStream_tbEUlRKyE_EEST_SX_SY_mSZ_S12_bEUlT_E_NS1_11comp_targetILNS1_3genE5ELNS1_11target_archE942ELNS1_3gpuE9ELNS1_3repE0EEENS1_30default_config_static_selectorELNS0_4arch9wavefront6targetE0EEEvSW_
	.globl	_ZN7rocprim17ROCPRIM_400000_NS6detail17trampoline_kernelINS0_14default_configENS1_29binary_search_config_selectorIyiEEZNS1_14transform_implILb0ES3_S5_N6thrust23THRUST_200600_302600_NS6detail15normal_iteratorINS8_7pointerIyNS8_11hip_rocprim5par_tENS8_11use_defaultESE_EEEENSA_INSB_IiSD_SE_SE_EEEEZNS1_13binary_searchIS3_S5_PySG_SI_NS1_16binary_search_opENS9_16wrapped_functionINS8_6system6detail7generic6detail18binary_search_lessEbEEEE10hipError_tPvRmT1_T2_T3_mmT4_T5_P12ihipStream_tbEUlRKyE_EEST_SX_SY_mSZ_S12_bEUlT_E_NS1_11comp_targetILNS1_3genE5ELNS1_11target_archE942ELNS1_3gpuE9ELNS1_3repE0EEENS1_30default_config_static_selectorELNS0_4arch9wavefront6targetE0EEEvSW_
	.p2align	8
	.type	_ZN7rocprim17ROCPRIM_400000_NS6detail17trampoline_kernelINS0_14default_configENS1_29binary_search_config_selectorIyiEEZNS1_14transform_implILb0ES3_S5_N6thrust23THRUST_200600_302600_NS6detail15normal_iteratorINS8_7pointerIyNS8_11hip_rocprim5par_tENS8_11use_defaultESE_EEEENSA_INSB_IiSD_SE_SE_EEEEZNS1_13binary_searchIS3_S5_PySG_SI_NS1_16binary_search_opENS9_16wrapped_functionINS8_6system6detail7generic6detail18binary_search_lessEbEEEE10hipError_tPvRmT1_T2_T3_mmT4_T5_P12ihipStream_tbEUlRKyE_EEST_SX_SY_mSZ_S12_bEUlT_E_NS1_11comp_targetILNS1_3genE5ELNS1_11target_archE942ELNS1_3gpuE9ELNS1_3repE0EEENS1_30default_config_static_selectorELNS0_4arch9wavefront6targetE0EEEvSW_,@function
_ZN7rocprim17ROCPRIM_400000_NS6detail17trampoline_kernelINS0_14default_configENS1_29binary_search_config_selectorIyiEEZNS1_14transform_implILb0ES3_S5_N6thrust23THRUST_200600_302600_NS6detail15normal_iteratorINS8_7pointerIyNS8_11hip_rocprim5par_tENS8_11use_defaultESE_EEEENSA_INSB_IiSD_SE_SE_EEEEZNS1_13binary_searchIS3_S5_PySG_SI_NS1_16binary_search_opENS9_16wrapped_functionINS8_6system6detail7generic6detail18binary_search_lessEbEEEE10hipError_tPvRmT1_T2_T3_mmT4_T5_P12ihipStream_tbEUlRKyE_EEST_SX_SY_mSZ_S12_bEUlT_E_NS1_11comp_targetILNS1_3genE5ELNS1_11target_archE942ELNS1_3gpuE9ELNS1_3repE0EEENS1_30default_config_static_selectorELNS0_4arch9wavefront6targetE0EEEvSW_: ; @_ZN7rocprim17ROCPRIM_400000_NS6detail17trampoline_kernelINS0_14default_configENS1_29binary_search_config_selectorIyiEEZNS1_14transform_implILb0ES3_S5_N6thrust23THRUST_200600_302600_NS6detail15normal_iteratorINS8_7pointerIyNS8_11hip_rocprim5par_tENS8_11use_defaultESE_EEEENSA_INSB_IiSD_SE_SE_EEEEZNS1_13binary_searchIS3_S5_PySG_SI_NS1_16binary_search_opENS9_16wrapped_functionINS8_6system6detail7generic6detail18binary_search_lessEbEEEE10hipError_tPvRmT1_T2_T3_mmT4_T5_P12ihipStream_tbEUlRKyE_EEST_SX_SY_mSZ_S12_bEUlT_E_NS1_11comp_targetILNS1_3genE5ELNS1_11target_archE942ELNS1_3gpuE9ELNS1_3repE0EEENS1_30default_config_static_selectorELNS0_4arch9wavefront6targetE0EEEvSW_
; %bb.0:
	.section	.rodata,"a",@progbits
	.p2align	6, 0x0
	.amdhsa_kernel _ZN7rocprim17ROCPRIM_400000_NS6detail17trampoline_kernelINS0_14default_configENS1_29binary_search_config_selectorIyiEEZNS1_14transform_implILb0ES3_S5_N6thrust23THRUST_200600_302600_NS6detail15normal_iteratorINS8_7pointerIyNS8_11hip_rocprim5par_tENS8_11use_defaultESE_EEEENSA_INSB_IiSD_SE_SE_EEEEZNS1_13binary_searchIS3_S5_PySG_SI_NS1_16binary_search_opENS9_16wrapped_functionINS8_6system6detail7generic6detail18binary_search_lessEbEEEE10hipError_tPvRmT1_T2_T3_mmT4_T5_P12ihipStream_tbEUlRKyE_EEST_SX_SY_mSZ_S12_bEUlT_E_NS1_11comp_targetILNS1_3genE5ELNS1_11target_archE942ELNS1_3gpuE9ELNS1_3repE0EEENS1_30default_config_static_selectorELNS0_4arch9wavefront6targetE0EEEvSW_
		.amdhsa_group_segment_fixed_size 0
		.amdhsa_private_segment_fixed_size 0
		.amdhsa_kernarg_size 56
		.amdhsa_user_sgpr_count 6
		.amdhsa_user_sgpr_private_segment_buffer 1
		.amdhsa_user_sgpr_dispatch_ptr 0
		.amdhsa_user_sgpr_queue_ptr 0
		.amdhsa_user_sgpr_kernarg_segment_ptr 1
		.amdhsa_user_sgpr_dispatch_id 0
		.amdhsa_user_sgpr_flat_scratch_init 0
		.amdhsa_user_sgpr_private_segment_size 0
		.amdhsa_wavefront_size32 1
		.amdhsa_uses_dynamic_stack 0
		.amdhsa_system_sgpr_private_segment_wavefront_offset 0
		.amdhsa_system_sgpr_workgroup_id_x 1
		.amdhsa_system_sgpr_workgroup_id_y 0
		.amdhsa_system_sgpr_workgroup_id_z 0
		.amdhsa_system_sgpr_workgroup_info 0
		.amdhsa_system_vgpr_workitem_id 0
		.amdhsa_next_free_vgpr 1
		.amdhsa_next_free_sgpr 1
		.amdhsa_reserve_vcc 0
		.amdhsa_reserve_flat_scratch 0
		.amdhsa_float_round_mode_32 0
		.amdhsa_float_round_mode_16_64 0
		.amdhsa_float_denorm_mode_32 3
		.amdhsa_float_denorm_mode_16_64 3
		.amdhsa_dx10_clamp 1
		.amdhsa_ieee_mode 1
		.amdhsa_fp16_overflow 0
		.amdhsa_workgroup_processor_mode 1
		.amdhsa_memory_ordered 1
		.amdhsa_forward_progress 1
		.amdhsa_shared_vgpr_count 0
		.amdhsa_exception_fp_ieee_invalid_op 0
		.amdhsa_exception_fp_denorm_src 0
		.amdhsa_exception_fp_ieee_div_zero 0
		.amdhsa_exception_fp_ieee_overflow 0
		.amdhsa_exception_fp_ieee_underflow 0
		.amdhsa_exception_fp_ieee_inexact 0
		.amdhsa_exception_int_div_zero 0
	.end_amdhsa_kernel
	.section	.text._ZN7rocprim17ROCPRIM_400000_NS6detail17trampoline_kernelINS0_14default_configENS1_29binary_search_config_selectorIyiEEZNS1_14transform_implILb0ES3_S5_N6thrust23THRUST_200600_302600_NS6detail15normal_iteratorINS8_7pointerIyNS8_11hip_rocprim5par_tENS8_11use_defaultESE_EEEENSA_INSB_IiSD_SE_SE_EEEEZNS1_13binary_searchIS3_S5_PySG_SI_NS1_16binary_search_opENS9_16wrapped_functionINS8_6system6detail7generic6detail18binary_search_lessEbEEEE10hipError_tPvRmT1_T2_T3_mmT4_T5_P12ihipStream_tbEUlRKyE_EEST_SX_SY_mSZ_S12_bEUlT_E_NS1_11comp_targetILNS1_3genE5ELNS1_11target_archE942ELNS1_3gpuE9ELNS1_3repE0EEENS1_30default_config_static_selectorELNS0_4arch9wavefront6targetE0EEEvSW_,"axG",@progbits,_ZN7rocprim17ROCPRIM_400000_NS6detail17trampoline_kernelINS0_14default_configENS1_29binary_search_config_selectorIyiEEZNS1_14transform_implILb0ES3_S5_N6thrust23THRUST_200600_302600_NS6detail15normal_iteratorINS8_7pointerIyNS8_11hip_rocprim5par_tENS8_11use_defaultESE_EEEENSA_INSB_IiSD_SE_SE_EEEEZNS1_13binary_searchIS3_S5_PySG_SI_NS1_16binary_search_opENS9_16wrapped_functionINS8_6system6detail7generic6detail18binary_search_lessEbEEEE10hipError_tPvRmT1_T2_T3_mmT4_T5_P12ihipStream_tbEUlRKyE_EEST_SX_SY_mSZ_S12_bEUlT_E_NS1_11comp_targetILNS1_3genE5ELNS1_11target_archE942ELNS1_3gpuE9ELNS1_3repE0EEENS1_30default_config_static_selectorELNS0_4arch9wavefront6targetE0EEEvSW_,comdat
.Lfunc_end264:
	.size	_ZN7rocprim17ROCPRIM_400000_NS6detail17trampoline_kernelINS0_14default_configENS1_29binary_search_config_selectorIyiEEZNS1_14transform_implILb0ES3_S5_N6thrust23THRUST_200600_302600_NS6detail15normal_iteratorINS8_7pointerIyNS8_11hip_rocprim5par_tENS8_11use_defaultESE_EEEENSA_INSB_IiSD_SE_SE_EEEEZNS1_13binary_searchIS3_S5_PySG_SI_NS1_16binary_search_opENS9_16wrapped_functionINS8_6system6detail7generic6detail18binary_search_lessEbEEEE10hipError_tPvRmT1_T2_T3_mmT4_T5_P12ihipStream_tbEUlRKyE_EEST_SX_SY_mSZ_S12_bEUlT_E_NS1_11comp_targetILNS1_3genE5ELNS1_11target_archE942ELNS1_3gpuE9ELNS1_3repE0EEENS1_30default_config_static_selectorELNS0_4arch9wavefront6targetE0EEEvSW_, .Lfunc_end264-_ZN7rocprim17ROCPRIM_400000_NS6detail17trampoline_kernelINS0_14default_configENS1_29binary_search_config_selectorIyiEEZNS1_14transform_implILb0ES3_S5_N6thrust23THRUST_200600_302600_NS6detail15normal_iteratorINS8_7pointerIyNS8_11hip_rocprim5par_tENS8_11use_defaultESE_EEEENSA_INSB_IiSD_SE_SE_EEEEZNS1_13binary_searchIS3_S5_PySG_SI_NS1_16binary_search_opENS9_16wrapped_functionINS8_6system6detail7generic6detail18binary_search_lessEbEEEE10hipError_tPvRmT1_T2_T3_mmT4_T5_P12ihipStream_tbEUlRKyE_EEST_SX_SY_mSZ_S12_bEUlT_E_NS1_11comp_targetILNS1_3genE5ELNS1_11target_archE942ELNS1_3gpuE9ELNS1_3repE0EEENS1_30default_config_static_selectorELNS0_4arch9wavefront6targetE0EEEvSW_
                                        ; -- End function
	.set _ZN7rocprim17ROCPRIM_400000_NS6detail17trampoline_kernelINS0_14default_configENS1_29binary_search_config_selectorIyiEEZNS1_14transform_implILb0ES3_S5_N6thrust23THRUST_200600_302600_NS6detail15normal_iteratorINS8_7pointerIyNS8_11hip_rocprim5par_tENS8_11use_defaultESE_EEEENSA_INSB_IiSD_SE_SE_EEEEZNS1_13binary_searchIS3_S5_PySG_SI_NS1_16binary_search_opENS9_16wrapped_functionINS8_6system6detail7generic6detail18binary_search_lessEbEEEE10hipError_tPvRmT1_T2_T3_mmT4_T5_P12ihipStream_tbEUlRKyE_EEST_SX_SY_mSZ_S12_bEUlT_E_NS1_11comp_targetILNS1_3genE5ELNS1_11target_archE942ELNS1_3gpuE9ELNS1_3repE0EEENS1_30default_config_static_selectorELNS0_4arch9wavefront6targetE0EEEvSW_.num_vgpr, 0
	.set _ZN7rocprim17ROCPRIM_400000_NS6detail17trampoline_kernelINS0_14default_configENS1_29binary_search_config_selectorIyiEEZNS1_14transform_implILb0ES3_S5_N6thrust23THRUST_200600_302600_NS6detail15normal_iteratorINS8_7pointerIyNS8_11hip_rocprim5par_tENS8_11use_defaultESE_EEEENSA_INSB_IiSD_SE_SE_EEEEZNS1_13binary_searchIS3_S5_PySG_SI_NS1_16binary_search_opENS9_16wrapped_functionINS8_6system6detail7generic6detail18binary_search_lessEbEEEE10hipError_tPvRmT1_T2_T3_mmT4_T5_P12ihipStream_tbEUlRKyE_EEST_SX_SY_mSZ_S12_bEUlT_E_NS1_11comp_targetILNS1_3genE5ELNS1_11target_archE942ELNS1_3gpuE9ELNS1_3repE0EEENS1_30default_config_static_selectorELNS0_4arch9wavefront6targetE0EEEvSW_.num_agpr, 0
	.set _ZN7rocprim17ROCPRIM_400000_NS6detail17trampoline_kernelINS0_14default_configENS1_29binary_search_config_selectorIyiEEZNS1_14transform_implILb0ES3_S5_N6thrust23THRUST_200600_302600_NS6detail15normal_iteratorINS8_7pointerIyNS8_11hip_rocprim5par_tENS8_11use_defaultESE_EEEENSA_INSB_IiSD_SE_SE_EEEEZNS1_13binary_searchIS3_S5_PySG_SI_NS1_16binary_search_opENS9_16wrapped_functionINS8_6system6detail7generic6detail18binary_search_lessEbEEEE10hipError_tPvRmT1_T2_T3_mmT4_T5_P12ihipStream_tbEUlRKyE_EEST_SX_SY_mSZ_S12_bEUlT_E_NS1_11comp_targetILNS1_3genE5ELNS1_11target_archE942ELNS1_3gpuE9ELNS1_3repE0EEENS1_30default_config_static_selectorELNS0_4arch9wavefront6targetE0EEEvSW_.numbered_sgpr, 0
	.set _ZN7rocprim17ROCPRIM_400000_NS6detail17trampoline_kernelINS0_14default_configENS1_29binary_search_config_selectorIyiEEZNS1_14transform_implILb0ES3_S5_N6thrust23THRUST_200600_302600_NS6detail15normal_iteratorINS8_7pointerIyNS8_11hip_rocprim5par_tENS8_11use_defaultESE_EEEENSA_INSB_IiSD_SE_SE_EEEEZNS1_13binary_searchIS3_S5_PySG_SI_NS1_16binary_search_opENS9_16wrapped_functionINS8_6system6detail7generic6detail18binary_search_lessEbEEEE10hipError_tPvRmT1_T2_T3_mmT4_T5_P12ihipStream_tbEUlRKyE_EEST_SX_SY_mSZ_S12_bEUlT_E_NS1_11comp_targetILNS1_3genE5ELNS1_11target_archE942ELNS1_3gpuE9ELNS1_3repE0EEENS1_30default_config_static_selectorELNS0_4arch9wavefront6targetE0EEEvSW_.num_named_barrier, 0
	.set _ZN7rocprim17ROCPRIM_400000_NS6detail17trampoline_kernelINS0_14default_configENS1_29binary_search_config_selectorIyiEEZNS1_14transform_implILb0ES3_S5_N6thrust23THRUST_200600_302600_NS6detail15normal_iteratorINS8_7pointerIyNS8_11hip_rocprim5par_tENS8_11use_defaultESE_EEEENSA_INSB_IiSD_SE_SE_EEEEZNS1_13binary_searchIS3_S5_PySG_SI_NS1_16binary_search_opENS9_16wrapped_functionINS8_6system6detail7generic6detail18binary_search_lessEbEEEE10hipError_tPvRmT1_T2_T3_mmT4_T5_P12ihipStream_tbEUlRKyE_EEST_SX_SY_mSZ_S12_bEUlT_E_NS1_11comp_targetILNS1_3genE5ELNS1_11target_archE942ELNS1_3gpuE9ELNS1_3repE0EEENS1_30default_config_static_selectorELNS0_4arch9wavefront6targetE0EEEvSW_.private_seg_size, 0
	.set _ZN7rocprim17ROCPRIM_400000_NS6detail17trampoline_kernelINS0_14default_configENS1_29binary_search_config_selectorIyiEEZNS1_14transform_implILb0ES3_S5_N6thrust23THRUST_200600_302600_NS6detail15normal_iteratorINS8_7pointerIyNS8_11hip_rocprim5par_tENS8_11use_defaultESE_EEEENSA_INSB_IiSD_SE_SE_EEEEZNS1_13binary_searchIS3_S5_PySG_SI_NS1_16binary_search_opENS9_16wrapped_functionINS8_6system6detail7generic6detail18binary_search_lessEbEEEE10hipError_tPvRmT1_T2_T3_mmT4_T5_P12ihipStream_tbEUlRKyE_EEST_SX_SY_mSZ_S12_bEUlT_E_NS1_11comp_targetILNS1_3genE5ELNS1_11target_archE942ELNS1_3gpuE9ELNS1_3repE0EEENS1_30default_config_static_selectorELNS0_4arch9wavefront6targetE0EEEvSW_.uses_vcc, 0
	.set _ZN7rocprim17ROCPRIM_400000_NS6detail17trampoline_kernelINS0_14default_configENS1_29binary_search_config_selectorIyiEEZNS1_14transform_implILb0ES3_S5_N6thrust23THRUST_200600_302600_NS6detail15normal_iteratorINS8_7pointerIyNS8_11hip_rocprim5par_tENS8_11use_defaultESE_EEEENSA_INSB_IiSD_SE_SE_EEEEZNS1_13binary_searchIS3_S5_PySG_SI_NS1_16binary_search_opENS9_16wrapped_functionINS8_6system6detail7generic6detail18binary_search_lessEbEEEE10hipError_tPvRmT1_T2_T3_mmT4_T5_P12ihipStream_tbEUlRKyE_EEST_SX_SY_mSZ_S12_bEUlT_E_NS1_11comp_targetILNS1_3genE5ELNS1_11target_archE942ELNS1_3gpuE9ELNS1_3repE0EEENS1_30default_config_static_selectorELNS0_4arch9wavefront6targetE0EEEvSW_.uses_flat_scratch, 0
	.set _ZN7rocprim17ROCPRIM_400000_NS6detail17trampoline_kernelINS0_14default_configENS1_29binary_search_config_selectorIyiEEZNS1_14transform_implILb0ES3_S5_N6thrust23THRUST_200600_302600_NS6detail15normal_iteratorINS8_7pointerIyNS8_11hip_rocprim5par_tENS8_11use_defaultESE_EEEENSA_INSB_IiSD_SE_SE_EEEEZNS1_13binary_searchIS3_S5_PySG_SI_NS1_16binary_search_opENS9_16wrapped_functionINS8_6system6detail7generic6detail18binary_search_lessEbEEEE10hipError_tPvRmT1_T2_T3_mmT4_T5_P12ihipStream_tbEUlRKyE_EEST_SX_SY_mSZ_S12_bEUlT_E_NS1_11comp_targetILNS1_3genE5ELNS1_11target_archE942ELNS1_3gpuE9ELNS1_3repE0EEENS1_30default_config_static_selectorELNS0_4arch9wavefront6targetE0EEEvSW_.has_dyn_sized_stack, 0
	.set _ZN7rocprim17ROCPRIM_400000_NS6detail17trampoline_kernelINS0_14default_configENS1_29binary_search_config_selectorIyiEEZNS1_14transform_implILb0ES3_S5_N6thrust23THRUST_200600_302600_NS6detail15normal_iteratorINS8_7pointerIyNS8_11hip_rocprim5par_tENS8_11use_defaultESE_EEEENSA_INSB_IiSD_SE_SE_EEEEZNS1_13binary_searchIS3_S5_PySG_SI_NS1_16binary_search_opENS9_16wrapped_functionINS8_6system6detail7generic6detail18binary_search_lessEbEEEE10hipError_tPvRmT1_T2_T3_mmT4_T5_P12ihipStream_tbEUlRKyE_EEST_SX_SY_mSZ_S12_bEUlT_E_NS1_11comp_targetILNS1_3genE5ELNS1_11target_archE942ELNS1_3gpuE9ELNS1_3repE0EEENS1_30default_config_static_selectorELNS0_4arch9wavefront6targetE0EEEvSW_.has_recursion, 0
	.set _ZN7rocprim17ROCPRIM_400000_NS6detail17trampoline_kernelINS0_14default_configENS1_29binary_search_config_selectorIyiEEZNS1_14transform_implILb0ES3_S5_N6thrust23THRUST_200600_302600_NS6detail15normal_iteratorINS8_7pointerIyNS8_11hip_rocprim5par_tENS8_11use_defaultESE_EEEENSA_INSB_IiSD_SE_SE_EEEEZNS1_13binary_searchIS3_S5_PySG_SI_NS1_16binary_search_opENS9_16wrapped_functionINS8_6system6detail7generic6detail18binary_search_lessEbEEEE10hipError_tPvRmT1_T2_T3_mmT4_T5_P12ihipStream_tbEUlRKyE_EEST_SX_SY_mSZ_S12_bEUlT_E_NS1_11comp_targetILNS1_3genE5ELNS1_11target_archE942ELNS1_3gpuE9ELNS1_3repE0EEENS1_30default_config_static_selectorELNS0_4arch9wavefront6targetE0EEEvSW_.has_indirect_call, 0
	.section	.AMDGPU.csdata,"",@progbits
; Kernel info:
; codeLenInByte = 0
; TotalNumSgprs: 0
; NumVgprs: 0
; ScratchSize: 0
; MemoryBound: 0
; FloatMode: 240
; IeeeMode: 1
; LDSByteSize: 0 bytes/workgroup (compile time only)
; SGPRBlocks: 0
; VGPRBlocks: 0
; NumSGPRsForWavesPerEU: 1
; NumVGPRsForWavesPerEU: 1
; Occupancy: 16
; WaveLimiterHint : 0
; COMPUTE_PGM_RSRC2:SCRATCH_EN: 0
; COMPUTE_PGM_RSRC2:USER_SGPR: 6
; COMPUTE_PGM_RSRC2:TRAP_HANDLER: 0
; COMPUTE_PGM_RSRC2:TGID_X_EN: 1
; COMPUTE_PGM_RSRC2:TGID_Y_EN: 0
; COMPUTE_PGM_RSRC2:TGID_Z_EN: 0
; COMPUTE_PGM_RSRC2:TIDIG_COMP_CNT: 0
	.section	.text._ZN7rocprim17ROCPRIM_400000_NS6detail17trampoline_kernelINS0_14default_configENS1_29binary_search_config_selectorIyiEEZNS1_14transform_implILb0ES3_S5_N6thrust23THRUST_200600_302600_NS6detail15normal_iteratorINS8_7pointerIyNS8_11hip_rocprim5par_tENS8_11use_defaultESE_EEEENSA_INSB_IiSD_SE_SE_EEEEZNS1_13binary_searchIS3_S5_PySG_SI_NS1_16binary_search_opENS9_16wrapped_functionINS8_6system6detail7generic6detail18binary_search_lessEbEEEE10hipError_tPvRmT1_T2_T3_mmT4_T5_P12ihipStream_tbEUlRKyE_EEST_SX_SY_mSZ_S12_bEUlT_E_NS1_11comp_targetILNS1_3genE4ELNS1_11target_archE910ELNS1_3gpuE8ELNS1_3repE0EEENS1_30default_config_static_selectorELNS0_4arch9wavefront6targetE0EEEvSW_,"axG",@progbits,_ZN7rocprim17ROCPRIM_400000_NS6detail17trampoline_kernelINS0_14default_configENS1_29binary_search_config_selectorIyiEEZNS1_14transform_implILb0ES3_S5_N6thrust23THRUST_200600_302600_NS6detail15normal_iteratorINS8_7pointerIyNS8_11hip_rocprim5par_tENS8_11use_defaultESE_EEEENSA_INSB_IiSD_SE_SE_EEEEZNS1_13binary_searchIS3_S5_PySG_SI_NS1_16binary_search_opENS9_16wrapped_functionINS8_6system6detail7generic6detail18binary_search_lessEbEEEE10hipError_tPvRmT1_T2_T3_mmT4_T5_P12ihipStream_tbEUlRKyE_EEST_SX_SY_mSZ_S12_bEUlT_E_NS1_11comp_targetILNS1_3genE4ELNS1_11target_archE910ELNS1_3gpuE8ELNS1_3repE0EEENS1_30default_config_static_selectorELNS0_4arch9wavefront6targetE0EEEvSW_,comdat
	.protected	_ZN7rocprim17ROCPRIM_400000_NS6detail17trampoline_kernelINS0_14default_configENS1_29binary_search_config_selectorIyiEEZNS1_14transform_implILb0ES3_S5_N6thrust23THRUST_200600_302600_NS6detail15normal_iteratorINS8_7pointerIyNS8_11hip_rocprim5par_tENS8_11use_defaultESE_EEEENSA_INSB_IiSD_SE_SE_EEEEZNS1_13binary_searchIS3_S5_PySG_SI_NS1_16binary_search_opENS9_16wrapped_functionINS8_6system6detail7generic6detail18binary_search_lessEbEEEE10hipError_tPvRmT1_T2_T3_mmT4_T5_P12ihipStream_tbEUlRKyE_EEST_SX_SY_mSZ_S12_bEUlT_E_NS1_11comp_targetILNS1_3genE4ELNS1_11target_archE910ELNS1_3gpuE8ELNS1_3repE0EEENS1_30default_config_static_selectorELNS0_4arch9wavefront6targetE0EEEvSW_ ; -- Begin function _ZN7rocprim17ROCPRIM_400000_NS6detail17trampoline_kernelINS0_14default_configENS1_29binary_search_config_selectorIyiEEZNS1_14transform_implILb0ES3_S5_N6thrust23THRUST_200600_302600_NS6detail15normal_iteratorINS8_7pointerIyNS8_11hip_rocprim5par_tENS8_11use_defaultESE_EEEENSA_INSB_IiSD_SE_SE_EEEEZNS1_13binary_searchIS3_S5_PySG_SI_NS1_16binary_search_opENS9_16wrapped_functionINS8_6system6detail7generic6detail18binary_search_lessEbEEEE10hipError_tPvRmT1_T2_T3_mmT4_T5_P12ihipStream_tbEUlRKyE_EEST_SX_SY_mSZ_S12_bEUlT_E_NS1_11comp_targetILNS1_3genE4ELNS1_11target_archE910ELNS1_3gpuE8ELNS1_3repE0EEENS1_30default_config_static_selectorELNS0_4arch9wavefront6targetE0EEEvSW_
	.globl	_ZN7rocprim17ROCPRIM_400000_NS6detail17trampoline_kernelINS0_14default_configENS1_29binary_search_config_selectorIyiEEZNS1_14transform_implILb0ES3_S5_N6thrust23THRUST_200600_302600_NS6detail15normal_iteratorINS8_7pointerIyNS8_11hip_rocprim5par_tENS8_11use_defaultESE_EEEENSA_INSB_IiSD_SE_SE_EEEEZNS1_13binary_searchIS3_S5_PySG_SI_NS1_16binary_search_opENS9_16wrapped_functionINS8_6system6detail7generic6detail18binary_search_lessEbEEEE10hipError_tPvRmT1_T2_T3_mmT4_T5_P12ihipStream_tbEUlRKyE_EEST_SX_SY_mSZ_S12_bEUlT_E_NS1_11comp_targetILNS1_3genE4ELNS1_11target_archE910ELNS1_3gpuE8ELNS1_3repE0EEENS1_30default_config_static_selectorELNS0_4arch9wavefront6targetE0EEEvSW_
	.p2align	8
	.type	_ZN7rocprim17ROCPRIM_400000_NS6detail17trampoline_kernelINS0_14default_configENS1_29binary_search_config_selectorIyiEEZNS1_14transform_implILb0ES3_S5_N6thrust23THRUST_200600_302600_NS6detail15normal_iteratorINS8_7pointerIyNS8_11hip_rocprim5par_tENS8_11use_defaultESE_EEEENSA_INSB_IiSD_SE_SE_EEEEZNS1_13binary_searchIS3_S5_PySG_SI_NS1_16binary_search_opENS9_16wrapped_functionINS8_6system6detail7generic6detail18binary_search_lessEbEEEE10hipError_tPvRmT1_T2_T3_mmT4_T5_P12ihipStream_tbEUlRKyE_EEST_SX_SY_mSZ_S12_bEUlT_E_NS1_11comp_targetILNS1_3genE4ELNS1_11target_archE910ELNS1_3gpuE8ELNS1_3repE0EEENS1_30default_config_static_selectorELNS0_4arch9wavefront6targetE0EEEvSW_,@function
_ZN7rocprim17ROCPRIM_400000_NS6detail17trampoline_kernelINS0_14default_configENS1_29binary_search_config_selectorIyiEEZNS1_14transform_implILb0ES3_S5_N6thrust23THRUST_200600_302600_NS6detail15normal_iteratorINS8_7pointerIyNS8_11hip_rocprim5par_tENS8_11use_defaultESE_EEEENSA_INSB_IiSD_SE_SE_EEEEZNS1_13binary_searchIS3_S5_PySG_SI_NS1_16binary_search_opENS9_16wrapped_functionINS8_6system6detail7generic6detail18binary_search_lessEbEEEE10hipError_tPvRmT1_T2_T3_mmT4_T5_P12ihipStream_tbEUlRKyE_EEST_SX_SY_mSZ_S12_bEUlT_E_NS1_11comp_targetILNS1_3genE4ELNS1_11target_archE910ELNS1_3gpuE8ELNS1_3repE0EEENS1_30default_config_static_selectorELNS0_4arch9wavefront6targetE0EEEvSW_: ; @_ZN7rocprim17ROCPRIM_400000_NS6detail17trampoline_kernelINS0_14default_configENS1_29binary_search_config_selectorIyiEEZNS1_14transform_implILb0ES3_S5_N6thrust23THRUST_200600_302600_NS6detail15normal_iteratorINS8_7pointerIyNS8_11hip_rocprim5par_tENS8_11use_defaultESE_EEEENSA_INSB_IiSD_SE_SE_EEEEZNS1_13binary_searchIS3_S5_PySG_SI_NS1_16binary_search_opENS9_16wrapped_functionINS8_6system6detail7generic6detail18binary_search_lessEbEEEE10hipError_tPvRmT1_T2_T3_mmT4_T5_P12ihipStream_tbEUlRKyE_EEST_SX_SY_mSZ_S12_bEUlT_E_NS1_11comp_targetILNS1_3genE4ELNS1_11target_archE910ELNS1_3gpuE8ELNS1_3repE0EEENS1_30default_config_static_selectorELNS0_4arch9wavefront6targetE0EEEvSW_
; %bb.0:
	.section	.rodata,"a",@progbits
	.p2align	6, 0x0
	.amdhsa_kernel _ZN7rocprim17ROCPRIM_400000_NS6detail17trampoline_kernelINS0_14default_configENS1_29binary_search_config_selectorIyiEEZNS1_14transform_implILb0ES3_S5_N6thrust23THRUST_200600_302600_NS6detail15normal_iteratorINS8_7pointerIyNS8_11hip_rocprim5par_tENS8_11use_defaultESE_EEEENSA_INSB_IiSD_SE_SE_EEEEZNS1_13binary_searchIS3_S5_PySG_SI_NS1_16binary_search_opENS9_16wrapped_functionINS8_6system6detail7generic6detail18binary_search_lessEbEEEE10hipError_tPvRmT1_T2_T3_mmT4_T5_P12ihipStream_tbEUlRKyE_EEST_SX_SY_mSZ_S12_bEUlT_E_NS1_11comp_targetILNS1_3genE4ELNS1_11target_archE910ELNS1_3gpuE8ELNS1_3repE0EEENS1_30default_config_static_selectorELNS0_4arch9wavefront6targetE0EEEvSW_
		.amdhsa_group_segment_fixed_size 0
		.amdhsa_private_segment_fixed_size 0
		.amdhsa_kernarg_size 56
		.amdhsa_user_sgpr_count 6
		.amdhsa_user_sgpr_private_segment_buffer 1
		.amdhsa_user_sgpr_dispatch_ptr 0
		.amdhsa_user_sgpr_queue_ptr 0
		.amdhsa_user_sgpr_kernarg_segment_ptr 1
		.amdhsa_user_sgpr_dispatch_id 0
		.amdhsa_user_sgpr_flat_scratch_init 0
		.amdhsa_user_sgpr_private_segment_size 0
		.amdhsa_wavefront_size32 1
		.amdhsa_uses_dynamic_stack 0
		.amdhsa_system_sgpr_private_segment_wavefront_offset 0
		.amdhsa_system_sgpr_workgroup_id_x 1
		.amdhsa_system_sgpr_workgroup_id_y 0
		.amdhsa_system_sgpr_workgroup_id_z 0
		.amdhsa_system_sgpr_workgroup_info 0
		.amdhsa_system_vgpr_workitem_id 0
		.amdhsa_next_free_vgpr 1
		.amdhsa_next_free_sgpr 1
		.amdhsa_reserve_vcc 0
		.amdhsa_reserve_flat_scratch 0
		.amdhsa_float_round_mode_32 0
		.amdhsa_float_round_mode_16_64 0
		.amdhsa_float_denorm_mode_32 3
		.amdhsa_float_denorm_mode_16_64 3
		.amdhsa_dx10_clamp 1
		.amdhsa_ieee_mode 1
		.amdhsa_fp16_overflow 0
		.amdhsa_workgroup_processor_mode 1
		.amdhsa_memory_ordered 1
		.amdhsa_forward_progress 1
		.amdhsa_shared_vgpr_count 0
		.amdhsa_exception_fp_ieee_invalid_op 0
		.amdhsa_exception_fp_denorm_src 0
		.amdhsa_exception_fp_ieee_div_zero 0
		.amdhsa_exception_fp_ieee_overflow 0
		.amdhsa_exception_fp_ieee_underflow 0
		.amdhsa_exception_fp_ieee_inexact 0
		.amdhsa_exception_int_div_zero 0
	.end_amdhsa_kernel
	.section	.text._ZN7rocprim17ROCPRIM_400000_NS6detail17trampoline_kernelINS0_14default_configENS1_29binary_search_config_selectorIyiEEZNS1_14transform_implILb0ES3_S5_N6thrust23THRUST_200600_302600_NS6detail15normal_iteratorINS8_7pointerIyNS8_11hip_rocprim5par_tENS8_11use_defaultESE_EEEENSA_INSB_IiSD_SE_SE_EEEEZNS1_13binary_searchIS3_S5_PySG_SI_NS1_16binary_search_opENS9_16wrapped_functionINS8_6system6detail7generic6detail18binary_search_lessEbEEEE10hipError_tPvRmT1_T2_T3_mmT4_T5_P12ihipStream_tbEUlRKyE_EEST_SX_SY_mSZ_S12_bEUlT_E_NS1_11comp_targetILNS1_3genE4ELNS1_11target_archE910ELNS1_3gpuE8ELNS1_3repE0EEENS1_30default_config_static_selectorELNS0_4arch9wavefront6targetE0EEEvSW_,"axG",@progbits,_ZN7rocprim17ROCPRIM_400000_NS6detail17trampoline_kernelINS0_14default_configENS1_29binary_search_config_selectorIyiEEZNS1_14transform_implILb0ES3_S5_N6thrust23THRUST_200600_302600_NS6detail15normal_iteratorINS8_7pointerIyNS8_11hip_rocprim5par_tENS8_11use_defaultESE_EEEENSA_INSB_IiSD_SE_SE_EEEEZNS1_13binary_searchIS3_S5_PySG_SI_NS1_16binary_search_opENS9_16wrapped_functionINS8_6system6detail7generic6detail18binary_search_lessEbEEEE10hipError_tPvRmT1_T2_T3_mmT4_T5_P12ihipStream_tbEUlRKyE_EEST_SX_SY_mSZ_S12_bEUlT_E_NS1_11comp_targetILNS1_3genE4ELNS1_11target_archE910ELNS1_3gpuE8ELNS1_3repE0EEENS1_30default_config_static_selectorELNS0_4arch9wavefront6targetE0EEEvSW_,comdat
.Lfunc_end265:
	.size	_ZN7rocprim17ROCPRIM_400000_NS6detail17trampoline_kernelINS0_14default_configENS1_29binary_search_config_selectorIyiEEZNS1_14transform_implILb0ES3_S5_N6thrust23THRUST_200600_302600_NS6detail15normal_iteratorINS8_7pointerIyNS8_11hip_rocprim5par_tENS8_11use_defaultESE_EEEENSA_INSB_IiSD_SE_SE_EEEEZNS1_13binary_searchIS3_S5_PySG_SI_NS1_16binary_search_opENS9_16wrapped_functionINS8_6system6detail7generic6detail18binary_search_lessEbEEEE10hipError_tPvRmT1_T2_T3_mmT4_T5_P12ihipStream_tbEUlRKyE_EEST_SX_SY_mSZ_S12_bEUlT_E_NS1_11comp_targetILNS1_3genE4ELNS1_11target_archE910ELNS1_3gpuE8ELNS1_3repE0EEENS1_30default_config_static_selectorELNS0_4arch9wavefront6targetE0EEEvSW_, .Lfunc_end265-_ZN7rocprim17ROCPRIM_400000_NS6detail17trampoline_kernelINS0_14default_configENS1_29binary_search_config_selectorIyiEEZNS1_14transform_implILb0ES3_S5_N6thrust23THRUST_200600_302600_NS6detail15normal_iteratorINS8_7pointerIyNS8_11hip_rocprim5par_tENS8_11use_defaultESE_EEEENSA_INSB_IiSD_SE_SE_EEEEZNS1_13binary_searchIS3_S5_PySG_SI_NS1_16binary_search_opENS9_16wrapped_functionINS8_6system6detail7generic6detail18binary_search_lessEbEEEE10hipError_tPvRmT1_T2_T3_mmT4_T5_P12ihipStream_tbEUlRKyE_EEST_SX_SY_mSZ_S12_bEUlT_E_NS1_11comp_targetILNS1_3genE4ELNS1_11target_archE910ELNS1_3gpuE8ELNS1_3repE0EEENS1_30default_config_static_selectorELNS0_4arch9wavefront6targetE0EEEvSW_
                                        ; -- End function
	.set _ZN7rocprim17ROCPRIM_400000_NS6detail17trampoline_kernelINS0_14default_configENS1_29binary_search_config_selectorIyiEEZNS1_14transform_implILb0ES3_S5_N6thrust23THRUST_200600_302600_NS6detail15normal_iteratorINS8_7pointerIyNS8_11hip_rocprim5par_tENS8_11use_defaultESE_EEEENSA_INSB_IiSD_SE_SE_EEEEZNS1_13binary_searchIS3_S5_PySG_SI_NS1_16binary_search_opENS9_16wrapped_functionINS8_6system6detail7generic6detail18binary_search_lessEbEEEE10hipError_tPvRmT1_T2_T3_mmT4_T5_P12ihipStream_tbEUlRKyE_EEST_SX_SY_mSZ_S12_bEUlT_E_NS1_11comp_targetILNS1_3genE4ELNS1_11target_archE910ELNS1_3gpuE8ELNS1_3repE0EEENS1_30default_config_static_selectorELNS0_4arch9wavefront6targetE0EEEvSW_.num_vgpr, 0
	.set _ZN7rocprim17ROCPRIM_400000_NS6detail17trampoline_kernelINS0_14default_configENS1_29binary_search_config_selectorIyiEEZNS1_14transform_implILb0ES3_S5_N6thrust23THRUST_200600_302600_NS6detail15normal_iteratorINS8_7pointerIyNS8_11hip_rocprim5par_tENS8_11use_defaultESE_EEEENSA_INSB_IiSD_SE_SE_EEEEZNS1_13binary_searchIS3_S5_PySG_SI_NS1_16binary_search_opENS9_16wrapped_functionINS8_6system6detail7generic6detail18binary_search_lessEbEEEE10hipError_tPvRmT1_T2_T3_mmT4_T5_P12ihipStream_tbEUlRKyE_EEST_SX_SY_mSZ_S12_bEUlT_E_NS1_11comp_targetILNS1_3genE4ELNS1_11target_archE910ELNS1_3gpuE8ELNS1_3repE0EEENS1_30default_config_static_selectorELNS0_4arch9wavefront6targetE0EEEvSW_.num_agpr, 0
	.set _ZN7rocprim17ROCPRIM_400000_NS6detail17trampoline_kernelINS0_14default_configENS1_29binary_search_config_selectorIyiEEZNS1_14transform_implILb0ES3_S5_N6thrust23THRUST_200600_302600_NS6detail15normal_iteratorINS8_7pointerIyNS8_11hip_rocprim5par_tENS8_11use_defaultESE_EEEENSA_INSB_IiSD_SE_SE_EEEEZNS1_13binary_searchIS3_S5_PySG_SI_NS1_16binary_search_opENS9_16wrapped_functionINS8_6system6detail7generic6detail18binary_search_lessEbEEEE10hipError_tPvRmT1_T2_T3_mmT4_T5_P12ihipStream_tbEUlRKyE_EEST_SX_SY_mSZ_S12_bEUlT_E_NS1_11comp_targetILNS1_3genE4ELNS1_11target_archE910ELNS1_3gpuE8ELNS1_3repE0EEENS1_30default_config_static_selectorELNS0_4arch9wavefront6targetE0EEEvSW_.numbered_sgpr, 0
	.set _ZN7rocprim17ROCPRIM_400000_NS6detail17trampoline_kernelINS0_14default_configENS1_29binary_search_config_selectorIyiEEZNS1_14transform_implILb0ES3_S5_N6thrust23THRUST_200600_302600_NS6detail15normal_iteratorINS8_7pointerIyNS8_11hip_rocprim5par_tENS8_11use_defaultESE_EEEENSA_INSB_IiSD_SE_SE_EEEEZNS1_13binary_searchIS3_S5_PySG_SI_NS1_16binary_search_opENS9_16wrapped_functionINS8_6system6detail7generic6detail18binary_search_lessEbEEEE10hipError_tPvRmT1_T2_T3_mmT4_T5_P12ihipStream_tbEUlRKyE_EEST_SX_SY_mSZ_S12_bEUlT_E_NS1_11comp_targetILNS1_3genE4ELNS1_11target_archE910ELNS1_3gpuE8ELNS1_3repE0EEENS1_30default_config_static_selectorELNS0_4arch9wavefront6targetE0EEEvSW_.num_named_barrier, 0
	.set _ZN7rocprim17ROCPRIM_400000_NS6detail17trampoline_kernelINS0_14default_configENS1_29binary_search_config_selectorIyiEEZNS1_14transform_implILb0ES3_S5_N6thrust23THRUST_200600_302600_NS6detail15normal_iteratorINS8_7pointerIyNS8_11hip_rocprim5par_tENS8_11use_defaultESE_EEEENSA_INSB_IiSD_SE_SE_EEEEZNS1_13binary_searchIS3_S5_PySG_SI_NS1_16binary_search_opENS9_16wrapped_functionINS8_6system6detail7generic6detail18binary_search_lessEbEEEE10hipError_tPvRmT1_T2_T3_mmT4_T5_P12ihipStream_tbEUlRKyE_EEST_SX_SY_mSZ_S12_bEUlT_E_NS1_11comp_targetILNS1_3genE4ELNS1_11target_archE910ELNS1_3gpuE8ELNS1_3repE0EEENS1_30default_config_static_selectorELNS0_4arch9wavefront6targetE0EEEvSW_.private_seg_size, 0
	.set _ZN7rocprim17ROCPRIM_400000_NS6detail17trampoline_kernelINS0_14default_configENS1_29binary_search_config_selectorIyiEEZNS1_14transform_implILb0ES3_S5_N6thrust23THRUST_200600_302600_NS6detail15normal_iteratorINS8_7pointerIyNS8_11hip_rocprim5par_tENS8_11use_defaultESE_EEEENSA_INSB_IiSD_SE_SE_EEEEZNS1_13binary_searchIS3_S5_PySG_SI_NS1_16binary_search_opENS9_16wrapped_functionINS8_6system6detail7generic6detail18binary_search_lessEbEEEE10hipError_tPvRmT1_T2_T3_mmT4_T5_P12ihipStream_tbEUlRKyE_EEST_SX_SY_mSZ_S12_bEUlT_E_NS1_11comp_targetILNS1_3genE4ELNS1_11target_archE910ELNS1_3gpuE8ELNS1_3repE0EEENS1_30default_config_static_selectorELNS0_4arch9wavefront6targetE0EEEvSW_.uses_vcc, 0
	.set _ZN7rocprim17ROCPRIM_400000_NS6detail17trampoline_kernelINS0_14default_configENS1_29binary_search_config_selectorIyiEEZNS1_14transform_implILb0ES3_S5_N6thrust23THRUST_200600_302600_NS6detail15normal_iteratorINS8_7pointerIyNS8_11hip_rocprim5par_tENS8_11use_defaultESE_EEEENSA_INSB_IiSD_SE_SE_EEEEZNS1_13binary_searchIS3_S5_PySG_SI_NS1_16binary_search_opENS9_16wrapped_functionINS8_6system6detail7generic6detail18binary_search_lessEbEEEE10hipError_tPvRmT1_T2_T3_mmT4_T5_P12ihipStream_tbEUlRKyE_EEST_SX_SY_mSZ_S12_bEUlT_E_NS1_11comp_targetILNS1_3genE4ELNS1_11target_archE910ELNS1_3gpuE8ELNS1_3repE0EEENS1_30default_config_static_selectorELNS0_4arch9wavefront6targetE0EEEvSW_.uses_flat_scratch, 0
	.set _ZN7rocprim17ROCPRIM_400000_NS6detail17trampoline_kernelINS0_14default_configENS1_29binary_search_config_selectorIyiEEZNS1_14transform_implILb0ES3_S5_N6thrust23THRUST_200600_302600_NS6detail15normal_iteratorINS8_7pointerIyNS8_11hip_rocprim5par_tENS8_11use_defaultESE_EEEENSA_INSB_IiSD_SE_SE_EEEEZNS1_13binary_searchIS3_S5_PySG_SI_NS1_16binary_search_opENS9_16wrapped_functionINS8_6system6detail7generic6detail18binary_search_lessEbEEEE10hipError_tPvRmT1_T2_T3_mmT4_T5_P12ihipStream_tbEUlRKyE_EEST_SX_SY_mSZ_S12_bEUlT_E_NS1_11comp_targetILNS1_3genE4ELNS1_11target_archE910ELNS1_3gpuE8ELNS1_3repE0EEENS1_30default_config_static_selectorELNS0_4arch9wavefront6targetE0EEEvSW_.has_dyn_sized_stack, 0
	.set _ZN7rocprim17ROCPRIM_400000_NS6detail17trampoline_kernelINS0_14default_configENS1_29binary_search_config_selectorIyiEEZNS1_14transform_implILb0ES3_S5_N6thrust23THRUST_200600_302600_NS6detail15normal_iteratorINS8_7pointerIyNS8_11hip_rocprim5par_tENS8_11use_defaultESE_EEEENSA_INSB_IiSD_SE_SE_EEEEZNS1_13binary_searchIS3_S5_PySG_SI_NS1_16binary_search_opENS9_16wrapped_functionINS8_6system6detail7generic6detail18binary_search_lessEbEEEE10hipError_tPvRmT1_T2_T3_mmT4_T5_P12ihipStream_tbEUlRKyE_EEST_SX_SY_mSZ_S12_bEUlT_E_NS1_11comp_targetILNS1_3genE4ELNS1_11target_archE910ELNS1_3gpuE8ELNS1_3repE0EEENS1_30default_config_static_selectorELNS0_4arch9wavefront6targetE0EEEvSW_.has_recursion, 0
	.set _ZN7rocprim17ROCPRIM_400000_NS6detail17trampoline_kernelINS0_14default_configENS1_29binary_search_config_selectorIyiEEZNS1_14transform_implILb0ES3_S5_N6thrust23THRUST_200600_302600_NS6detail15normal_iteratorINS8_7pointerIyNS8_11hip_rocprim5par_tENS8_11use_defaultESE_EEEENSA_INSB_IiSD_SE_SE_EEEEZNS1_13binary_searchIS3_S5_PySG_SI_NS1_16binary_search_opENS9_16wrapped_functionINS8_6system6detail7generic6detail18binary_search_lessEbEEEE10hipError_tPvRmT1_T2_T3_mmT4_T5_P12ihipStream_tbEUlRKyE_EEST_SX_SY_mSZ_S12_bEUlT_E_NS1_11comp_targetILNS1_3genE4ELNS1_11target_archE910ELNS1_3gpuE8ELNS1_3repE0EEENS1_30default_config_static_selectorELNS0_4arch9wavefront6targetE0EEEvSW_.has_indirect_call, 0
	.section	.AMDGPU.csdata,"",@progbits
; Kernel info:
; codeLenInByte = 0
; TotalNumSgprs: 0
; NumVgprs: 0
; ScratchSize: 0
; MemoryBound: 0
; FloatMode: 240
; IeeeMode: 1
; LDSByteSize: 0 bytes/workgroup (compile time only)
; SGPRBlocks: 0
; VGPRBlocks: 0
; NumSGPRsForWavesPerEU: 1
; NumVGPRsForWavesPerEU: 1
; Occupancy: 16
; WaveLimiterHint : 0
; COMPUTE_PGM_RSRC2:SCRATCH_EN: 0
; COMPUTE_PGM_RSRC2:USER_SGPR: 6
; COMPUTE_PGM_RSRC2:TRAP_HANDLER: 0
; COMPUTE_PGM_RSRC2:TGID_X_EN: 1
; COMPUTE_PGM_RSRC2:TGID_Y_EN: 0
; COMPUTE_PGM_RSRC2:TGID_Z_EN: 0
; COMPUTE_PGM_RSRC2:TIDIG_COMP_CNT: 0
	.section	.text._ZN7rocprim17ROCPRIM_400000_NS6detail17trampoline_kernelINS0_14default_configENS1_29binary_search_config_selectorIyiEEZNS1_14transform_implILb0ES3_S5_N6thrust23THRUST_200600_302600_NS6detail15normal_iteratorINS8_7pointerIyNS8_11hip_rocprim5par_tENS8_11use_defaultESE_EEEENSA_INSB_IiSD_SE_SE_EEEEZNS1_13binary_searchIS3_S5_PySG_SI_NS1_16binary_search_opENS9_16wrapped_functionINS8_6system6detail7generic6detail18binary_search_lessEbEEEE10hipError_tPvRmT1_T2_T3_mmT4_T5_P12ihipStream_tbEUlRKyE_EEST_SX_SY_mSZ_S12_bEUlT_E_NS1_11comp_targetILNS1_3genE3ELNS1_11target_archE908ELNS1_3gpuE7ELNS1_3repE0EEENS1_30default_config_static_selectorELNS0_4arch9wavefront6targetE0EEEvSW_,"axG",@progbits,_ZN7rocprim17ROCPRIM_400000_NS6detail17trampoline_kernelINS0_14default_configENS1_29binary_search_config_selectorIyiEEZNS1_14transform_implILb0ES3_S5_N6thrust23THRUST_200600_302600_NS6detail15normal_iteratorINS8_7pointerIyNS8_11hip_rocprim5par_tENS8_11use_defaultESE_EEEENSA_INSB_IiSD_SE_SE_EEEEZNS1_13binary_searchIS3_S5_PySG_SI_NS1_16binary_search_opENS9_16wrapped_functionINS8_6system6detail7generic6detail18binary_search_lessEbEEEE10hipError_tPvRmT1_T2_T3_mmT4_T5_P12ihipStream_tbEUlRKyE_EEST_SX_SY_mSZ_S12_bEUlT_E_NS1_11comp_targetILNS1_3genE3ELNS1_11target_archE908ELNS1_3gpuE7ELNS1_3repE0EEENS1_30default_config_static_selectorELNS0_4arch9wavefront6targetE0EEEvSW_,comdat
	.protected	_ZN7rocprim17ROCPRIM_400000_NS6detail17trampoline_kernelINS0_14default_configENS1_29binary_search_config_selectorIyiEEZNS1_14transform_implILb0ES3_S5_N6thrust23THRUST_200600_302600_NS6detail15normal_iteratorINS8_7pointerIyNS8_11hip_rocprim5par_tENS8_11use_defaultESE_EEEENSA_INSB_IiSD_SE_SE_EEEEZNS1_13binary_searchIS3_S5_PySG_SI_NS1_16binary_search_opENS9_16wrapped_functionINS8_6system6detail7generic6detail18binary_search_lessEbEEEE10hipError_tPvRmT1_T2_T3_mmT4_T5_P12ihipStream_tbEUlRKyE_EEST_SX_SY_mSZ_S12_bEUlT_E_NS1_11comp_targetILNS1_3genE3ELNS1_11target_archE908ELNS1_3gpuE7ELNS1_3repE0EEENS1_30default_config_static_selectorELNS0_4arch9wavefront6targetE0EEEvSW_ ; -- Begin function _ZN7rocprim17ROCPRIM_400000_NS6detail17trampoline_kernelINS0_14default_configENS1_29binary_search_config_selectorIyiEEZNS1_14transform_implILb0ES3_S5_N6thrust23THRUST_200600_302600_NS6detail15normal_iteratorINS8_7pointerIyNS8_11hip_rocprim5par_tENS8_11use_defaultESE_EEEENSA_INSB_IiSD_SE_SE_EEEEZNS1_13binary_searchIS3_S5_PySG_SI_NS1_16binary_search_opENS9_16wrapped_functionINS8_6system6detail7generic6detail18binary_search_lessEbEEEE10hipError_tPvRmT1_T2_T3_mmT4_T5_P12ihipStream_tbEUlRKyE_EEST_SX_SY_mSZ_S12_bEUlT_E_NS1_11comp_targetILNS1_3genE3ELNS1_11target_archE908ELNS1_3gpuE7ELNS1_3repE0EEENS1_30default_config_static_selectorELNS0_4arch9wavefront6targetE0EEEvSW_
	.globl	_ZN7rocprim17ROCPRIM_400000_NS6detail17trampoline_kernelINS0_14default_configENS1_29binary_search_config_selectorIyiEEZNS1_14transform_implILb0ES3_S5_N6thrust23THRUST_200600_302600_NS6detail15normal_iteratorINS8_7pointerIyNS8_11hip_rocprim5par_tENS8_11use_defaultESE_EEEENSA_INSB_IiSD_SE_SE_EEEEZNS1_13binary_searchIS3_S5_PySG_SI_NS1_16binary_search_opENS9_16wrapped_functionINS8_6system6detail7generic6detail18binary_search_lessEbEEEE10hipError_tPvRmT1_T2_T3_mmT4_T5_P12ihipStream_tbEUlRKyE_EEST_SX_SY_mSZ_S12_bEUlT_E_NS1_11comp_targetILNS1_3genE3ELNS1_11target_archE908ELNS1_3gpuE7ELNS1_3repE0EEENS1_30default_config_static_selectorELNS0_4arch9wavefront6targetE0EEEvSW_
	.p2align	8
	.type	_ZN7rocprim17ROCPRIM_400000_NS6detail17trampoline_kernelINS0_14default_configENS1_29binary_search_config_selectorIyiEEZNS1_14transform_implILb0ES3_S5_N6thrust23THRUST_200600_302600_NS6detail15normal_iteratorINS8_7pointerIyNS8_11hip_rocprim5par_tENS8_11use_defaultESE_EEEENSA_INSB_IiSD_SE_SE_EEEEZNS1_13binary_searchIS3_S5_PySG_SI_NS1_16binary_search_opENS9_16wrapped_functionINS8_6system6detail7generic6detail18binary_search_lessEbEEEE10hipError_tPvRmT1_T2_T3_mmT4_T5_P12ihipStream_tbEUlRKyE_EEST_SX_SY_mSZ_S12_bEUlT_E_NS1_11comp_targetILNS1_3genE3ELNS1_11target_archE908ELNS1_3gpuE7ELNS1_3repE0EEENS1_30default_config_static_selectorELNS0_4arch9wavefront6targetE0EEEvSW_,@function
_ZN7rocprim17ROCPRIM_400000_NS6detail17trampoline_kernelINS0_14default_configENS1_29binary_search_config_selectorIyiEEZNS1_14transform_implILb0ES3_S5_N6thrust23THRUST_200600_302600_NS6detail15normal_iteratorINS8_7pointerIyNS8_11hip_rocprim5par_tENS8_11use_defaultESE_EEEENSA_INSB_IiSD_SE_SE_EEEEZNS1_13binary_searchIS3_S5_PySG_SI_NS1_16binary_search_opENS9_16wrapped_functionINS8_6system6detail7generic6detail18binary_search_lessEbEEEE10hipError_tPvRmT1_T2_T3_mmT4_T5_P12ihipStream_tbEUlRKyE_EEST_SX_SY_mSZ_S12_bEUlT_E_NS1_11comp_targetILNS1_3genE3ELNS1_11target_archE908ELNS1_3gpuE7ELNS1_3repE0EEENS1_30default_config_static_selectorELNS0_4arch9wavefront6targetE0EEEvSW_: ; @_ZN7rocprim17ROCPRIM_400000_NS6detail17trampoline_kernelINS0_14default_configENS1_29binary_search_config_selectorIyiEEZNS1_14transform_implILb0ES3_S5_N6thrust23THRUST_200600_302600_NS6detail15normal_iteratorINS8_7pointerIyNS8_11hip_rocprim5par_tENS8_11use_defaultESE_EEEENSA_INSB_IiSD_SE_SE_EEEEZNS1_13binary_searchIS3_S5_PySG_SI_NS1_16binary_search_opENS9_16wrapped_functionINS8_6system6detail7generic6detail18binary_search_lessEbEEEE10hipError_tPvRmT1_T2_T3_mmT4_T5_P12ihipStream_tbEUlRKyE_EEST_SX_SY_mSZ_S12_bEUlT_E_NS1_11comp_targetILNS1_3genE3ELNS1_11target_archE908ELNS1_3gpuE7ELNS1_3repE0EEENS1_30default_config_static_selectorELNS0_4arch9wavefront6targetE0EEEvSW_
; %bb.0:
	.section	.rodata,"a",@progbits
	.p2align	6, 0x0
	.amdhsa_kernel _ZN7rocprim17ROCPRIM_400000_NS6detail17trampoline_kernelINS0_14default_configENS1_29binary_search_config_selectorIyiEEZNS1_14transform_implILb0ES3_S5_N6thrust23THRUST_200600_302600_NS6detail15normal_iteratorINS8_7pointerIyNS8_11hip_rocprim5par_tENS8_11use_defaultESE_EEEENSA_INSB_IiSD_SE_SE_EEEEZNS1_13binary_searchIS3_S5_PySG_SI_NS1_16binary_search_opENS9_16wrapped_functionINS8_6system6detail7generic6detail18binary_search_lessEbEEEE10hipError_tPvRmT1_T2_T3_mmT4_T5_P12ihipStream_tbEUlRKyE_EEST_SX_SY_mSZ_S12_bEUlT_E_NS1_11comp_targetILNS1_3genE3ELNS1_11target_archE908ELNS1_3gpuE7ELNS1_3repE0EEENS1_30default_config_static_selectorELNS0_4arch9wavefront6targetE0EEEvSW_
		.amdhsa_group_segment_fixed_size 0
		.amdhsa_private_segment_fixed_size 0
		.amdhsa_kernarg_size 56
		.amdhsa_user_sgpr_count 6
		.amdhsa_user_sgpr_private_segment_buffer 1
		.amdhsa_user_sgpr_dispatch_ptr 0
		.amdhsa_user_sgpr_queue_ptr 0
		.amdhsa_user_sgpr_kernarg_segment_ptr 1
		.amdhsa_user_sgpr_dispatch_id 0
		.amdhsa_user_sgpr_flat_scratch_init 0
		.amdhsa_user_sgpr_private_segment_size 0
		.amdhsa_wavefront_size32 1
		.amdhsa_uses_dynamic_stack 0
		.amdhsa_system_sgpr_private_segment_wavefront_offset 0
		.amdhsa_system_sgpr_workgroup_id_x 1
		.amdhsa_system_sgpr_workgroup_id_y 0
		.amdhsa_system_sgpr_workgroup_id_z 0
		.amdhsa_system_sgpr_workgroup_info 0
		.amdhsa_system_vgpr_workitem_id 0
		.amdhsa_next_free_vgpr 1
		.amdhsa_next_free_sgpr 1
		.amdhsa_reserve_vcc 0
		.amdhsa_reserve_flat_scratch 0
		.amdhsa_float_round_mode_32 0
		.amdhsa_float_round_mode_16_64 0
		.amdhsa_float_denorm_mode_32 3
		.amdhsa_float_denorm_mode_16_64 3
		.amdhsa_dx10_clamp 1
		.amdhsa_ieee_mode 1
		.amdhsa_fp16_overflow 0
		.amdhsa_workgroup_processor_mode 1
		.amdhsa_memory_ordered 1
		.amdhsa_forward_progress 1
		.amdhsa_shared_vgpr_count 0
		.amdhsa_exception_fp_ieee_invalid_op 0
		.amdhsa_exception_fp_denorm_src 0
		.amdhsa_exception_fp_ieee_div_zero 0
		.amdhsa_exception_fp_ieee_overflow 0
		.amdhsa_exception_fp_ieee_underflow 0
		.amdhsa_exception_fp_ieee_inexact 0
		.amdhsa_exception_int_div_zero 0
	.end_amdhsa_kernel
	.section	.text._ZN7rocprim17ROCPRIM_400000_NS6detail17trampoline_kernelINS0_14default_configENS1_29binary_search_config_selectorIyiEEZNS1_14transform_implILb0ES3_S5_N6thrust23THRUST_200600_302600_NS6detail15normal_iteratorINS8_7pointerIyNS8_11hip_rocprim5par_tENS8_11use_defaultESE_EEEENSA_INSB_IiSD_SE_SE_EEEEZNS1_13binary_searchIS3_S5_PySG_SI_NS1_16binary_search_opENS9_16wrapped_functionINS8_6system6detail7generic6detail18binary_search_lessEbEEEE10hipError_tPvRmT1_T2_T3_mmT4_T5_P12ihipStream_tbEUlRKyE_EEST_SX_SY_mSZ_S12_bEUlT_E_NS1_11comp_targetILNS1_3genE3ELNS1_11target_archE908ELNS1_3gpuE7ELNS1_3repE0EEENS1_30default_config_static_selectorELNS0_4arch9wavefront6targetE0EEEvSW_,"axG",@progbits,_ZN7rocprim17ROCPRIM_400000_NS6detail17trampoline_kernelINS0_14default_configENS1_29binary_search_config_selectorIyiEEZNS1_14transform_implILb0ES3_S5_N6thrust23THRUST_200600_302600_NS6detail15normal_iteratorINS8_7pointerIyNS8_11hip_rocprim5par_tENS8_11use_defaultESE_EEEENSA_INSB_IiSD_SE_SE_EEEEZNS1_13binary_searchIS3_S5_PySG_SI_NS1_16binary_search_opENS9_16wrapped_functionINS8_6system6detail7generic6detail18binary_search_lessEbEEEE10hipError_tPvRmT1_T2_T3_mmT4_T5_P12ihipStream_tbEUlRKyE_EEST_SX_SY_mSZ_S12_bEUlT_E_NS1_11comp_targetILNS1_3genE3ELNS1_11target_archE908ELNS1_3gpuE7ELNS1_3repE0EEENS1_30default_config_static_selectorELNS0_4arch9wavefront6targetE0EEEvSW_,comdat
.Lfunc_end266:
	.size	_ZN7rocprim17ROCPRIM_400000_NS6detail17trampoline_kernelINS0_14default_configENS1_29binary_search_config_selectorIyiEEZNS1_14transform_implILb0ES3_S5_N6thrust23THRUST_200600_302600_NS6detail15normal_iteratorINS8_7pointerIyNS8_11hip_rocprim5par_tENS8_11use_defaultESE_EEEENSA_INSB_IiSD_SE_SE_EEEEZNS1_13binary_searchIS3_S5_PySG_SI_NS1_16binary_search_opENS9_16wrapped_functionINS8_6system6detail7generic6detail18binary_search_lessEbEEEE10hipError_tPvRmT1_T2_T3_mmT4_T5_P12ihipStream_tbEUlRKyE_EEST_SX_SY_mSZ_S12_bEUlT_E_NS1_11comp_targetILNS1_3genE3ELNS1_11target_archE908ELNS1_3gpuE7ELNS1_3repE0EEENS1_30default_config_static_selectorELNS0_4arch9wavefront6targetE0EEEvSW_, .Lfunc_end266-_ZN7rocprim17ROCPRIM_400000_NS6detail17trampoline_kernelINS0_14default_configENS1_29binary_search_config_selectorIyiEEZNS1_14transform_implILb0ES3_S5_N6thrust23THRUST_200600_302600_NS6detail15normal_iteratorINS8_7pointerIyNS8_11hip_rocprim5par_tENS8_11use_defaultESE_EEEENSA_INSB_IiSD_SE_SE_EEEEZNS1_13binary_searchIS3_S5_PySG_SI_NS1_16binary_search_opENS9_16wrapped_functionINS8_6system6detail7generic6detail18binary_search_lessEbEEEE10hipError_tPvRmT1_T2_T3_mmT4_T5_P12ihipStream_tbEUlRKyE_EEST_SX_SY_mSZ_S12_bEUlT_E_NS1_11comp_targetILNS1_3genE3ELNS1_11target_archE908ELNS1_3gpuE7ELNS1_3repE0EEENS1_30default_config_static_selectorELNS0_4arch9wavefront6targetE0EEEvSW_
                                        ; -- End function
	.set _ZN7rocprim17ROCPRIM_400000_NS6detail17trampoline_kernelINS0_14default_configENS1_29binary_search_config_selectorIyiEEZNS1_14transform_implILb0ES3_S5_N6thrust23THRUST_200600_302600_NS6detail15normal_iteratorINS8_7pointerIyNS8_11hip_rocprim5par_tENS8_11use_defaultESE_EEEENSA_INSB_IiSD_SE_SE_EEEEZNS1_13binary_searchIS3_S5_PySG_SI_NS1_16binary_search_opENS9_16wrapped_functionINS8_6system6detail7generic6detail18binary_search_lessEbEEEE10hipError_tPvRmT1_T2_T3_mmT4_T5_P12ihipStream_tbEUlRKyE_EEST_SX_SY_mSZ_S12_bEUlT_E_NS1_11comp_targetILNS1_3genE3ELNS1_11target_archE908ELNS1_3gpuE7ELNS1_3repE0EEENS1_30default_config_static_selectorELNS0_4arch9wavefront6targetE0EEEvSW_.num_vgpr, 0
	.set _ZN7rocprim17ROCPRIM_400000_NS6detail17trampoline_kernelINS0_14default_configENS1_29binary_search_config_selectorIyiEEZNS1_14transform_implILb0ES3_S5_N6thrust23THRUST_200600_302600_NS6detail15normal_iteratorINS8_7pointerIyNS8_11hip_rocprim5par_tENS8_11use_defaultESE_EEEENSA_INSB_IiSD_SE_SE_EEEEZNS1_13binary_searchIS3_S5_PySG_SI_NS1_16binary_search_opENS9_16wrapped_functionINS8_6system6detail7generic6detail18binary_search_lessEbEEEE10hipError_tPvRmT1_T2_T3_mmT4_T5_P12ihipStream_tbEUlRKyE_EEST_SX_SY_mSZ_S12_bEUlT_E_NS1_11comp_targetILNS1_3genE3ELNS1_11target_archE908ELNS1_3gpuE7ELNS1_3repE0EEENS1_30default_config_static_selectorELNS0_4arch9wavefront6targetE0EEEvSW_.num_agpr, 0
	.set _ZN7rocprim17ROCPRIM_400000_NS6detail17trampoline_kernelINS0_14default_configENS1_29binary_search_config_selectorIyiEEZNS1_14transform_implILb0ES3_S5_N6thrust23THRUST_200600_302600_NS6detail15normal_iteratorINS8_7pointerIyNS8_11hip_rocprim5par_tENS8_11use_defaultESE_EEEENSA_INSB_IiSD_SE_SE_EEEEZNS1_13binary_searchIS3_S5_PySG_SI_NS1_16binary_search_opENS9_16wrapped_functionINS8_6system6detail7generic6detail18binary_search_lessEbEEEE10hipError_tPvRmT1_T2_T3_mmT4_T5_P12ihipStream_tbEUlRKyE_EEST_SX_SY_mSZ_S12_bEUlT_E_NS1_11comp_targetILNS1_3genE3ELNS1_11target_archE908ELNS1_3gpuE7ELNS1_3repE0EEENS1_30default_config_static_selectorELNS0_4arch9wavefront6targetE0EEEvSW_.numbered_sgpr, 0
	.set _ZN7rocprim17ROCPRIM_400000_NS6detail17trampoline_kernelINS0_14default_configENS1_29binary_search_config_selectorIyiEEZNS1_14transform_implILb0ES3_S5_N6thrust23THRUST_200600_302600_NS6detail15normal_iteratorINS8_7pointerIyNS8_11hip_rocprim5par_tENS8_11use_defaultESE_EEEENSA_INSB_IiSD_SE_SE_EEEEZNS1_13binary_searchIS3_S5_PySG_SI_NS1_16binary_search_opENS9_16wrapped_functionINS8_6system6detail7generic6detail18binary_search_lessEbEEEE10hipError_tPvRmT1_T2_T3_mmT4_T5_P12ihipStream_tbEUlRKyE_EEST_SX_SY_mSZ_S12_bEUlT_E_NS1_11comp_targetILNS1_3genE3ELNS1_11target_archE908ELNS1_3gpuE7ELNS1_3repE0EEENS1_30default_config_static_selectorELNS0_4arch9wavefront6targetE0EEEvSW_.num_named_barrier, 0
	.set _ZN7rocprim17ROCPRIM_400000_NS6detail17trampoline_kernelINS0_14default_configENS1_29binary_search_config_selectorIyiEEZNS1_14transform_implILb0ES3_S5_N6thrust23THRUST_200600_302600_NS6detail15normal_iteratorINS8_7pointerIyNS8_11hip_rocprim5par_tENS8_11use_defaultESE_EEEENSA_INSB_IiSD_SE_SE_EEEEZNS1_13binary_searchIS3_S5_PySG_SI_NS1_16binary_search_opENS9_16wrapped_functionINS8_6system6detail7generic6detail18binary_search_lessEbEEEE10hipError_tPvRmT1_T2_T3_mmT4_T5_P12ihipStream_tbEUlRKyE_EEST_SX_SY_mSZ_S12_bEUlT_E_NS1_11comp_targetILNS1_3genE3ELNS1_11target_archE908ELNS1_3gpuE7ELNS1_3repE0EEENS1_30default_config_static_selectorELNS0_4arch9wavefront6targetE0EEEvSW_.private_seg_size, 0
	.set _ZN7rocprim17ROCPRIM_400000_NS6detail17trampoline_kernelINS0_14default_configENS1_29binary_search_config_selectorIyiEEZNS1_14transform_implILb0ES3_S5_N6thrust23THRUST_200600_302600_NS6detail15normal_iteratorINS8_7pointerIyNS8_11hip_rocprim5par_tENS8_11use_defaultESE_EEEENSA_INSB_IiSD_SE_SE_EEEEZNS1_13binary_searchIS3_S5_PySG_SI_NS1_16binary_search_opENS9_16wrapped_functionINS8_6system6detail7generic6detail18binary_search_lessEbEEEE10hipError_tPvRmT1_T2_T3_mmT4_T5_P12ihipStream_tbEUlRKyE_EEST_SX_SY_mSZ_S12_bEUlT_E_NS1_11comp_targetILNS1_3genE3ELNS1_11target_archE908ELNS1_3gpuE7ELNS1_3repE0EEENS1_30default_config_static_selectorELNS0_4arch9wavefront6targetE0EEEvSW_.uses_vcc, 0
	.set _ZN7rocprim17ROCPRIM_400000_NS6detail17trampoline_kernelINS0_14default_configENS1_29binary_search_config_selectorIyiEEZNS1_14transform_implILb0ES3_S5_N6thrust23THRUST_200600_302600_NS6detail15normal_iteratorINS8_7pointerIyNS8_11hip_rocprim5par_tENS8_11use_defaultESE_EEEENSA_INSB_IiSD_SE_SE_EEEEZNS1_13binary_searchIS3_S5_PySG_SI_NS1_16binary_search_opENS9_16wrapped_functionINS8_6system6detail7generic6detail18binary_search_lessEbEEEE10hipError_tPvRmT1_T2_T3_mmT4_T5_P12ihipStream_tbEUlRKyE_EEST_SX_SY_mSZ_S12_bEUlT_E_NS1_11comp_targetILNS1_3genE3ELNS1_11target_archE908ELNS1_3gpuE7ELNS1_3repE0EEENS1_30default_config_static_selectorELNS0_4arch9wavefront6targetE0EEEvSW_.uses_flat_scratch, 0
	.set _ZN7rocprim17ROCPRIM_400000_NS6detail17trampoline_kernelINS0_14default_configENS1_29binary_search_config_selectorIyiEEZNS1_14transform_implILb0ES3_S5_N6thrust23THRUST_200600_302600_NS6detail15normal_iteratorINS8_7pointerIyNS8_11hip_rocprim5par_tENS8_11use_defaultESE_EEEENSA_INSB_IiSD_SE_SE_EEEEZNS1_13binary_searchIS3_S5_PySG_SI_NS1_16binary_search_opENS9_16wrapped_functionINS8_6system6detail7generic6detail18binary_search_lessEbEEEE10hipError_tPvRmT1_T2_T3_mmT4_T5_P12ihipStream_tbEUlRKyE_EEST_SX_SY_mSZ_S12_bEUlT_E_NS1_11comp_targetILNS1_3genE3ELNS1_11target_archE908ELNS1_3gpuE7ELNS1_3repE0EEENS1_30default_config_static_selectorELNS0_4arch9wavefront6targetE0EEEvSW_.has_dyn_sized_stack, 0
	.set _ZN7rocprim17ROCPRIM_400000_NS6detail17trampoline_kernelINS0_14default_configENS1_29binary_search_config_selectorIyiEEZNS1_14transform_implILb0ES3_S5_N6thrust23THRUST_200600_302600_NS6detail15normal_iteratorINS8_7pointerIyNS8_11hip_rocprim5par_tENS8_11use_defaultESE_EEEENSA_INSB_IiSD_SE_SE_EEEEZNS1_13binary_searchIS3_S5_PySG_SI_NS1_16binary_search_opENS9_16wrapped_functionINS8_6system6detail7generic6detail18binary_search_lessEbEEEE10hipError_tPvRmT1_T2_T3_mmT4_T5_P12ihipStream_tbEUlRKyE_EEST_SX_SY_mSZ_S12_bEUlT_E_NS1_11comp_targetILNS1_3genE3ELNS1_11target_archE908ELNS1_3gpuE7ELNS1_3repE0EEENS1_30default_config_static_selectorELNS0_4arch9wavefront6targetE0EEEvSW_.has_recursion, 0
	.set _ZN7rocprim17ROCPRIM_400000_NS6detail17trampoline_kernelINS0_14default_configENS1_29binary_search_config_selectorIyiEEZNS1_14transform_implILb0ES3_S5_N6thrust23THRUST_200600_302600_NS6detail15normal_iteratorINS8_7pointerIyNS8_11hip_rocprim5par_tENS8_11use_defaultESE_EEEENSA_INSB_IiSD_SE_SE_EEEEZNS1_13binary_searchIS3_S5_PySG_SI_NS1_16binary_search_opENS9_16wrapped_functionINS8_6system6detail7generic6detail18binary_search_lessEbEEEE10hipError_tPvRmT1_T2_T3_mmT4_T5_P12ihipStream_tbEUlRKyE_EEST_SX_SY_mSZ_S12_bEUlT_E_NS1_11comp_targetILNS1_3genE3ELNS1_11target_archE908ELNS1_3gpuE7ELNS1_3repE0EEENS1_30default_config_static_selectorELNS0_4arch9wavefront6targetE0EEEvSW_.has_indirect_call, 0
	.section	.AMDGPU.csdata,"",@progbits
; Kernel info:
; codeLenInByte = 0
; TotalNumSgprs: 0
; NumVgprs: 0
; ScratchSize: 0
; MemoryBound: 0
; FloatMode: 240
; IeeeMode: 1
; LDSByteSize: 0 bytes/workgroup (compile time only)
; SGPRBlocks: 0
; VGPRBlocks: 0
; NumSGPRsForWavesPerEU: 1
; NumVGPRsForWavesPerEU: 1
; Occupancy: 16
; WaveLimiterHint : 0
; COMPUTE_PGM_RSRC2:SCRATCH_EN: 0
; COMPUTE_PGM_RSRC2:USER_SGPR: 6
; COMPUTE_PGM_RSRC2:TRAP_HANDLER: 0
; COMPUTE_PGM_RSRC2:TGID_X_EN: 1
; COMPUTE_PGM_RSRC2:TGID_Y_EN: 0
; COMPUTE_PGM_RSRC2:TGID_Z_EN: 0
; COMPUTE_PGM_RSRC2:TIDIG_COMP_CNT: 0
	.section	.text._ZN7rocprim17ROCPRIM_400000_NS6detail17trampoline_kernelINS0_14default_configENS1_29binary_search_config_selectorIyiEEZNS1_14transform_implILb0ES3_S5_N6thrust23THRUST_200600_302600_NS6detail15normal_iteratorINS8_7pointerIyNS8_11hip_rocprim5par_tENS8_11use_defaultESE_EEEENSA_INSB_IiSD_SE_SE_EEEEZNS1_13binary_searchIS3_S5_PySG_SI_NS1_16binary_search_opENS9_16wrapped_functionINS8_6system6detail7generic6detail18binary_search_lessEbEEEE10hipError_tPvRmT1_T2_T3_mmT4_T5_P12ihipStream_tbEUlRKyE_EEST_SX_SY_mSZ_S12_bEUlT_E_NS1_11comp_targetILNS1_3genE2ELNS1_11target_archE906ELNS1_3gpuE6ELNS1_3repE0EEENS1_30default_config_static_selectorELNS0_4arch9wavefront6targetE0EEEvSW_,"axG",@progbits,_ZN7rocprim17ROCPRIM_400000_NS6detail17trampoline_kernelINS0_14default_configENS1_29binary_search_config_selectorIyiEEZNS1_14transform_implILb0ES3_S5_N6thrust23THRUST_200600_302600_NS6detail15normal_iteratorINS8_7pointerIyNS8_11hip_rocprim5par_tENS8_11use_defaultESE_EEEENSA_INSB_IiSD_SE_SE_EEEEZNS1_13binary_searchIS3_S5_PySG_SI_NS1_16binary_search_opENS9_16wrapped_functionINS8_6system6detail7generic6detail18binary_search_lessEbEEEE10hipError_tPvRmT1_T2_T3_mmT4_T5_P12ihipStream_tbEUlRKyE_EEST_SX_SY_mSZ_S12_bEUlT_E_NS1_11comp_targetILNS1_3genE2ELNS1_11target_archE906ELNS1_3gpuE6ELNS1_3repE0EEENS1_30default_config_static_selectorELNS0_4arch9wavefront6targetE0EEEvSW_,comdat
	.protected	_ZN7rocprim17ROCPRIM_400000_NS6detail17trampoline_kernelINS0_14default_configENS1_29binary_search_config_selectorIyiEEZNS1_14transform_implILb0ES3_S5_N6thrust23THRUST_200600_302600_NS6detail15normal_iteratorINS8_7pointerIyNS8_11hip_rocprim5par_tENS8_11use_defaultESE_EEEENSA_INSB_IiSD_SE_SE_EEEEZNS1_13binary_searchIS3_S5_PySG_SI_NS1_16binary_search_opENS9_16wrapped_functionINS8_6system6detail7generic6detail18binary_search_lessEbEEEE10hipError_tPvRmT1_T2_T3_mmT4_T5_P12ihipStream_tbEUlRKyE_EEST_SX_SY_mSZ_S12_bEUlT_E_NS1_11comp_targetILNS1_3genE2ELNS1_11target_archE906ELNS1_3gpuE6ELNS1_3repE0EEENS1_30default_config_static_selectorELNS0_4arch9wavefront6targetE0EEEvSW_ ; -- Begin function _ZN7rocprim17ROCPRIM_400000_NS6detail17trampoline_kernelINS0_14default_configENS1_29binary_search_config_selectorIyiEEZNS1_14transform_implILb0ES3_S5_N6thrust23THRUST_200600_302600_NS6detail15normal_iteratorINS8_7pointerIyNS8_11hip_rocprim5par_tENS8_11use_defaultESE_EEEENSA_INSB_IiSD_SE_SE_EEEEZNS1_13binary_searchIS3_S5_PySG_SI_NS1_16binary_search_opENS9_16wrapped_functionINS8_6system6detail7generic6detail18binary_search_lessEbEEEE10hipError_tPvRmT1_T2_T3_mmT4_T5_P12ihipStream_tbEUlRKyE_EEST_SX_SY_mSZ_S12_bEUlT_E_NS1_11comp_targetILNS1_3genE2ELNS1_11target_archE906ELNS1_3gpuE6ELNS1_3repE0EEENS1_30default_config_static_selectorELNS0_4arch9wavefront6targetE0EEEvSW_
	.globl	_ZN7rocprim17ROCPRIM_400000_NS6detail17trampoline_kernelINS0_14default_configENS1_29binary_search_config_selectorIyiEEZNS1_14transform_implILb0ES3_S5_N6thrust23THRUST_200600_302600_NS6detail15normal_iteratorINS8_7pointerIyNS8_11hip_rocprim5par_tENS8_11use_defaultESE_EEEENSA_INSB_IiSD_SE_SE_EEEEZNS1_13binary_searchIS3_S5_PySG_SI_NS1_16binary_search_opENS9_16wrapped_functionINS8_6system6detail7generic6detail18binary_search_lessEbEEEE10hipError_tPvRmT1_T2_T3_mmT4_T5_P12ihipStream_tbEUlRKyE_EEST_SX_SY_mSZ_S12_bEUlT_E_NS1_11comp_targetILNS1_3genE2ELNS1_11target_archE906ELNS1_3gpuE6ELNS1_3repE0EEENS1_30default_config_static_selectorELNS0_4arch9wavefront6targetE0EEEvSW_
	.p2align	8
	.type	_ZN7rocprim17ROCPRIM_400000_NS6detail17trampoline_kernelINS0_14default_configENS1_29binary_search_config_selectorIyiEEZNS1_14transform_implILb0ES3_S5_N6thrust23THRUST_200600_302600_NS6detail15normal_iteratorINS8_7pointerIyNS8_11hip_rocprim5par_tENS8_11use_defaultESE_EEEENSA_INSB_IiSD_SE_SE_EEEEZNS1_13binary_searchIS3_S5_PySG_SI_NS1_16binary_search_opENS9_16wrapped_functionINS8_6system6detail7generic6detail18binary_search_lessEbEEEE10hipError_tPvRmT1_T2_T3_mmT4_T5_P12ihipStream_tbEUlRKyE_EEST_SX_SY_mSZ_S12_bEUlT_E_NS1_11comp_targetILNS1_3genE2ELNS1_11target_archE906ELNS1_3gpuE6ELNS1_3repE0EEENS1_30default_config_static_selectorELNS0_4arch9wavefront6targetE0EEEvSW_,@function
_ZN7rocprim17ROCPRIM_400000_NS6detail17trampoline_kernelINS0_14default_configENS1_29binary_search_config_selectorIyiEEZNS1_14transform_implILb0ES3_S5_N6thrust23THRUST_200600_302600_NS6detail15normal_iteratorINS8_7pointerIyNS8_11hip_rocprim5par_tENS8_11use_defaultESE_EEEENSA_INSB_IiSD_SE_SE_EEEEZNS1_13binary_searchIS3_S5_PySG_SI_NS1_16binary_search_opENS9_16wrapped_functionINS8_6system6detail7generic6detail18binary_search_lessEbEEEE10hipError_tPvRmT1_T2_T3_mmT4_T5_P12ihipStream_tbEUlRKyE_EEST_SX_SY_mSZ_S12_bEUlT_E_NS1_11comp_targetILNS1_3genE2ELNS1_11target_archE906ELNS1_3gpuE6ELNS1_3repE0EEENS1_30default_config_static_selectorELNS0_4arch9wavefront6targetE0EEEvSW_: ; @_ZN7rocprim17ROCPRIM_400000_NS6detail17trampoline_kernelINS0_14default_configENS1_29binary_search_config_selectorIyiEEZNS1_14transform_implILb0ES3_S5_N6thrust23THRUST_200600_302600_NS6detail15normal_iteratorINS8_7pointerIyNS8_11hip_rocprim5par_tENS8_11use_defaultESE_EEEENSA_INSB_IiSD_SE_SE_EEEEZNS1_13binary_searchIS3_S5_PySG_SI_NS1_16binary_search_opENS9_16wrapped_functionINS8_6system6detail7generic6detail18binary_search_lessEbEEEE10hipError_tPvRmT1_T2_T3_mmT4_T5_P12ihipStream_tbEUlRKyE_EEST_SX_SY_mSZ_S12_bEUlT_E_NS1_11comp_targetILNS1_3genE2ELNS1_11target_archE906ELNS1_3gpuE6ELNS1_3repE0EEENS1_30default_config_static_selectorELNS0_4arch9wavefront6targetE0EEEvSW_
; %bb.0:
	.section	.rodata,"a",@progbits
	.p2align	6, 0x0
	.amdhsa_kernel _ZN7rocprim17ROCPRIM_400000_NS6detail17trampoline_kernelINS0_14default_configENS1_29binary_search_config_selectorIyiEEZNS1_14transform_implILb0ES3_S5_N6thrust23THRUST_200600_302600_NS6detail15normal_iteratorINS8_7pointerIyNS8_11hip_rocprim5par_tENS8_11use_defaultESE_EEEENSA_INSB_IiSD_SE_SE_EEEEZNS1_13binary_searchIS3_S5_PySG_SI_NS1_16binary_search_opENS9_16wrapped_functionINS8_6system6detail7generic6detail18binary_search_lessEbEEEE10hipError_tPvRmT1_T2_T3_mmT4_T5_P12ihipStream_tbEUlRKyE_EEST_SX_SY_mSZ_S12_bEUlT_E_NS1_11comp_targetILNS1_3genE2ELNS1_11target_archE906ELNS1_3gpuE6ELNS1_3repE0EEENS1_30default_config_static_selectorELNS0_4arch9wavefront6targetE0EEEvSW_
		.amdhsa_group_segment_fixed_size 0
		.amdhsa_private_segment_fixed_size 0
		.amdhsa_kernarg_size 56
		.amdhsa_user_sgpr_count 6
		.amdhsa_user_sgpr_private_segment_buffer 1
		.amdhsa_user_sgpr_dispatch_ptr 0
		.amdhsa_user_sgpr_queue_ptr 0
		.amdhsa_user_sgpr_kernarg_segment_ptr 1
		.amdhsa_user_sgpr_dispatch_id 0
		.amdhsa_user_sgpr_flat_scratch_init 0
		.amdhsa_user_sgpr_private_segment_size 0
		.amdhsa_wavefront_size32 1
		.amdhsa_uses_dynamic_stack 0
		.amdhsa_system_sgpr_private_segment_wavefront_offset 0
		.amdhsa_system_sgpr_workgroup_id_x 1
		.amdhsa_system_sgpr_workgroup_id_y 0
		.amdhsa_system_sgpr_workgroup_id_z 0
		.amdhsa_system_sgpr_workgroup_info 0
		.amdhsa_system_vgpr_workitem_id 0
		.amdhsa_next_free_vgpr 1
		.amdhsa_next_free_sgpr 1
		.amdhsa_reserve_vcc 0
		.amdhsa_reserve_flat_scratch 0
		.amdhsa_float_round_mode_32 0
		.amdhsa_float_round_mode_16_64 0
		.amdhsa_float_denorm_mode_32 3
		.amdhsa_float_denorm_mode_16_64 3
		.amdhsa_dx10_clamp 1
		.amdhsa_ieee_mode 1
		.amdhsa_fp16_overflow 0
		.amdhsa_workgroup_processor_mode 1
		.amdhsa_memory_ordered 1
		.amdhsa_forward_progress 1
		.amdhsa_shared_vgpr_count 0
		.amdhsa_exception_fp_ieee_invalid_op 0
		.amdhsa_exception_fp_denorm_src 0
		.amdhsa_exception_fp_ieee_div_zero 0
		.amdhsa_exception_fp_ieee_overflow 0
		.amdhsa_exception_fp_ieee_underflow 0
		.amdhsa_exception_fp_ieee_inexact 0
		.amdhsa_exception_int_div_zero 0
	.end_amdhsa_kernel
	.section	.text._ZN7rocprim17ROCPRIM_400000_NS6detail17trampoline_kernelINS0_14default_configENS1_29binary_search_config_selectorIyiEEZNS1_14transform_implILb0ES3_S5_N6thrust23THRUST_200600_302600_NS6detail15normal_iteratorINS8_7pointerIyNS8_11hip_rocprim5par_tENS8_11use_defaultESE_EEEENSA_INSB_IiSD_SE_SE_EEEEZNS1_13binary_searchIS3_S5_PySG_SI_NS1_16binary_search_opENS9_16wrapped_functionINS8_6system6detail7generic6detail18binary_search_lessEbEEEE10hipError_tPvRmT1_T2_T3_mmT4_T5_P12ihipStream_tbEUlRKyE_EEST_SX_SY_mSZ_S12_bEUlT_E_NS1_11comp_targetILNS1_3genE2ELNS1_11target_archE906ELNS1_3gpuE6ELNS1_3repE0EEENS1_30default_config_static_selectorELNS0_4arch9wavefront6targetE0EEEvSW_,"axG",@progbits,_ZN7rocprim17ROCPRIM_400000_NS6detail17trampoline_kernelINS0_14default_configENS1_29binary_search_config_selectorIyiEEZNS1_14transform_implILb0ES3_S5_N6thrust23THRUST_200600_302600_NS6detail15normal_iteratorINS8_7pointerIyNS8_11hip_rocprim5par_tENS8_11use_defaultESE_EEEENSA_INSB_IiSD_SE_SE_EEEEZNS1_13binary_searchIS3_S5_PySG_SI_NS1_16binary_search_opENS9_16wrapped_functionINS8_6system6detail7generic6detail18binary_search_lessEbEEEE10hipError_tPvRmT1_T2_T3_mmT4_T5_P12ihipStream_tbEUlRKyE_EEST_SX_SY_mSZ_S12_bEUlT_E_NS1_11comp_targetILNS1_3genE2ELNS1_11target_archE906ELNS1_3gpuE6ELNS1_3repE0EEENS1_30default_config_static_selectorELNS0_4arch9wavefront6targetE0EEEvSW_,comdat
.Lfunc_end267:
	.size	_ZN7rocprim17ROCPRIM_400000_NS6detail17trampoline_kernelINS0_14default_configENS1_29binary_search_config_selectorIyiEEZNS1_14transform_implILb0ES3_S5_N6thrust23THRUST_200600_302600_NS6detail15normal_iteratorINS8_7pointerIyNS8_11hip_rocprim5par_tENS8_11use_defaultESE_EEEENSA_INSB_IiSD_SE_SE_EEEEZNS1_13binary_searchIS3_S5_PySG_SI_NS1_16binary_search_opENS9_16wrapped_functionINS8_6system6detail7generic6detail18binary_search_lessEbEEEE10hipError_tPvRmT1_T2_T3_mmT4_T5_P12ihipStream_tbEUlRKyE_EEST_SX_SY_mSZ_S12_bEUlT_E_NS1_11comp_targetILNS1_3genE2ELNS1_11target_archE906ELNS1_3gpuE6ELNS1_3repE0EEENS1_30default_config_static_selectorELNS0_4arch9wavefront6targetE0EEEvSW_, .Lfunc_end267-_ZN7rocprim17ROCPRIM_400000_NS6detail17trampoline_kernelINS0_14default_configENS1_29binary_search_config_selectorIyiEEZNS1_14transform_implILb0ES3_S5_N6thrust23THRUST_200600_302600_NS6detail15normal_iteratorINS8_7pointerIyNS8_11hip_rocprim5par_tENS8_11use_defaultESE_EEEENSA_INSB_IiSD_SE_SE_EEEEZNS1_13binary_searchIS3_S5_PySG_SI_NS1_16binary_search_opENS9_16wrapped_functionINS8_6system6detail7generic6detail18binary_search_lessEbEEEE10hipError_tPvRmT1_T2_T3_mmT4_T5_P12ihipStream_tbEUlRKyE_EEST_SX_SY_mSZ_S12_bEUlT_E_NS1_11comp_targetILNS1_3genE2ELNS1_11target_archE906ELNS1_3gpuE6ELNS1_3repE0EEENS1_30default_config_static_selectorELNS0_4arch9wavefront6targetE0EEEvSW_
                                        ; -- End function
	.set _ZN7rocprim17ROCPRIM_400000_NS6detail17trampoline_kernelINS0_14default_configENS1_29binary_search_config_selectorIyiEEZNS1_14transform_implILb0ES3_S5_N6thrust23THRUST_200600_302600_NS6detail15normal_iteratorINS8_7pointerIyNS8_11hip_rocprim5par_tENS8_11use_defaultESE_EEEENSA_INSB_IiSD_SE_SE_EEEEZNS1_13binary_searchIS3_S5_PySG_SI_NS1_16binary_search_opENS9_16wrapped_functionINS8_6system6detail7generic6detail18binary_search_lessEbEEEE10hipError_tPvRmT1_T2_T3_mmT4_T5_P12ihipStream_tbEUlRKyE_EEST_SX_SY_mSZ_S12_bEUlT_E_NS1_11comp_targetILNS1_3genE2ELNS1_11target_archE906ELNS1_3gpuE6ELNS1_3repE0EEENS1_30default_config_static_selectorELNS0_4arch9wavefront6targetE0EEEvSW_.num_vgpr, 0
	.set _ZN7rocprim17ROCPRIM_400000_NS6detail17trampoline_kernelINS0_14default_configENS1_29binary_search_config_selectorIyiEEZNS1_14transform_implILb0ES3_S5_N6thrust23THRUST_200600_302600_NS6detail15normal_iteratorINS8_7pointerIyNS8_11hip_rocprim5par_tENS8_11use_defaultESE_EEEENSA_INSB_IiSD_SE_SE_EEEEZNS1_13binary_searchIS3_S5_PySG_SI_NS1_16binary_search_opENS9_16wrapped_functionINS8_6system6detail7generic6detail18binary_search_lessEbEEEE10hipError_tPvRmT1_T2_T3_mmT4_T5_P12ihipStream_tbEUlRKyE_EEST_SX_SY_mSZ_S12_bEUlT_E_NS1_11comp_targetILNS1_3genE2ELNS1_11target_archE906ELNS1_3gpuE6ELNS1_3repE0EEENS1_30default_config_static_selectorELNS0_4arch9wavefront6targetE0EEEvSW_.num_agpr, 0
	.set _ZN7rocprim17ROCPRIM_400000_NS6detail17trampoline_kernelINS0_14default_configENS1_29binary_search_config_selectorIyiEEZNS1_14transform_implILb0ES3_S5_N6thrust23THRUST_200600_302600_NS6detail15normal_iteratorINS8_7pointerIyNS8_11hip_rocprim5par_tENS8_11use_defaultESE_EEEENSA_INSB_IiSD_SE_SE_EEEEZNS1_13binary_searchIS3_S5_PySG_SI_NS1_16binary_search_opENS9_16wrapped_functionINS8_6system6detail7generic6detail18binary_search_lessEbEEEE10hipError_tPvRmT1_T2_T3_mmT4_T5_P12ihipStream_tbEUlRKyE_EEST_SX_SY_mSZ_S12_bEUlT_E_NS1_11comp_targetILNS1_3genE2ELNS1_11target_archE906ELNS1_3gpuE6ELNS1_3repE0EEENS1_30default_config_static_selectorELNS0_4arch9wavefront6targetE0EEEvSW_.numbered_sgpr, 0
	.set _ZN7rocprim17ROCPRIM_400000_NS6detail17trampoline_kernelINS0_14default_configENS1_29binary_search_config_selectorIyiEEZNS1_14transform_implILb0ES3_S5_N6thrust23THRUST_200600_302600_NS6detail15normal_iteratorINS8_7pointerIyNS8_11hip_rocprim5par_tENS8_11use_defaultESE_EEEENSA_INSB_IiSD_SE_SE_EEEEZNS1_13binary_searchIS3_S5_PySG_SI_NS1_16binary_search_opENS9_16wrapped_functionINS8_6system6detail7generic6detail18binary_search_lessEbEEEE10hipError_tPvRmT1_T2_T3_mmT4_T5_P12ihipStream_tbEUlRKyE_EEST_SX_SY_mSZ_S12_bEUlT_E_NS1_11comp_targetILNS1_3genE2ELNS1_11target_archE906ELNS1_3gpuE6ELNS1_3repE0EEENS1_30default_config_static_selectorELNS0_4arch9wavefront6targetE0EEEvSW_.num_named_barrier, 0
	.set _ZN7rocprim17ROCPRIM_400000_NS6detail17trampoline_kernelINS0_14default_configENS1_29binary_search_config_selectorIyiEEZNS1_14transform_implILb0ES3_S5_N6thrust23THRUST_200600_302600_NS6detail15normal_iteratorINS8_7pointerIyNS8_11hip_rocprim5par_tENS8_11use_defaultESE_EEEENSA_INSB_IiSD_SE_SE_EEEEZNS1_13binary_searchIS3_S5_PySG_SI_NS1_16binary_search_opENS9_16wrapped_functionINS8_6system6detail7generic6detail18binary_search_lessEbEEEE10hipError_tPvRmT1_T2_T3_mmT4_T5_P12ihipStream_tbEUlRKyE_EEST_SX_SY_mSZ_S12_bEUlT_E_NS1_11comp_targetILNS1_3genE2ELNS1_11target_archE906ELNS1_3gpuE6ELNS1_3repE0EEENS1_30default_config_static_selectorELNS0_4arch9wavefront6targetE0EEEvSW_.private_seg_size, 0
	.set _ZN7rocprim17ROCPRIM_400000_NS6detail17trampoline_kernelINS0_14default_configENS1_29binary_search_config_selectorIyiEEZNS1_14transform_implILb0ES3_S5_N6thrust23THRUST_200600_302600_NS6detail15normal_iteratorINS8_7pointerIyNS8_11hip_rocprim5par_tENS8_11use_defaultESE_EEEENSA_INSB_IiSD_SE_SE_EEEEZNS1_13binary_searchIS3_S5_PySG_SI_NS1_16binary_search_opENS9_16wrapped_functionINS8_6system6detail7generic6detail18binary_search_lessEbEEEE10hipError_tPvRmT1_T2_T3_mmT4_T5_P12ihipStream_tbEUlRKyE_EEST_SX_SY_mSZ_S12_bEUlT_E_NS1_11comp_targetILNS1_3genE2ELNS1_11target_archE906ELNS1_3gpuE6ELNS1_3repE0EEENS1_30default_config_static_selectorELNS0_4arch9wavefront6targetE0EEEvSW_.uses_vcc, 0
	.set _ZN7rocprim17ROCPRIM_400000_NS6detail17trampoline_kernelINS0_14default_configENS1_29binary_search_config_selectorIyiEEZNS1_14transform_implILb0ES3_S5_N6thrust23THRUST_200600_302600_NS6detail15normal_iteratorINS8_7pointerIyNS8_11hip_rocprim5par_tENS8_11use_defaultESE_EEEENSA_INSB_IiSD_SE_SE_EEEEZNS1_13binary_searchIS3_S5_PySG_SI_NS1_16binary_search_opENS9_16wrapped_functionINS8_6system6detail7generic6detail18binary_search_lessEbEEEE10hipError_tPvRmT1_T2_T3_mmT4_T5_P12ihipStream_tbEUlRKyE_EEST_SX_SY_mSZ_S12_bEUlT_E_NS1_11comp_targetILNS1_3genE2ELNS1_11target_archE906ELNS1_3gpuE6ELNS1_3repE0EEENS1_30default_config_static_selectorELNS0_4arch9wavefront6targetE0EEEvSW_.uses_flat_scratch, 0
	.set _ZN7rocprim17ROCPRIM_400000_NS6detail17trampoline_kernelINS0_14default_configENS1_29binary_search_config_selectorIyiEEZNS1_14transform_implILb0ES3_S5_N6thrust23THRUST_200600_302600_NS6detail15normal_iteratorINS8_7pointerIyNS8_11hip_rocprim5par_tENS8_11use_defaultESE_EEEENSA_INSB_IiSD_SE_SE_EEEEZNS1_13binary_searchIS3_S5_PySG_SI_NS1_16binary_search_opENS9_16wrapped_functionINS8_6system6detail7generic6detail18binary_search_lessEbEEEE10hipError_tPvRmT1_T2_T3_mmT4_T5_P12ihipStream_tbEUlRKyE_EEST_SX_SY_mSZ_S12_bEUlT_E_NS1_11comp_targetILNS1_3genE2ELNS1_11target_archE906ELNS1_3gpuE6ELNS1_3repE0EEENS1_30default_config_static_selectorELNS0_4arch9wavefront6targetE0EEEvSW_.has_dyn_sized_stack, 0
	.set _ZN7rocprim17ROCPRIM_400000_NS6detail17trampoline_kernelINS0_14default_configENS1_29binary_search_config_selectorIyiEEZNS1_14transform_implILb0ES3_S5_N6thrust23THRUST_200600_302600_NS6detail15normal_iteratorINS8_7pointerIyNS8_11hip_rocprim5par_tENS8_11use_defaultESE_EEEENSA_INSB_IiSD_SE_SE_EEEEZNS1_13binary_searchIS3_S5_PySG_SI_NS1_16binary_search_opENS9_16wrapped_functionINS8_6system6detail7generic6detail18binary_search_lessEbEEEE10hipError_tPvRmT1_T2_T3_mmT4_T5_P12ihipStream_tbEUlRKyE_EEST_SX_SY_mSZ_S12_bEUlT_E_NS1_11comp_targetILNS1_3genE2ELNS1_11target_archE906ELNS1_3gpuE6ELNS1_3repE0EEENS1_30default_config_static_selectorELNS0_4arch9wavefront6targetE0EEEvSW_.has_recursion, 0
	.set _ZN7rocprim17ROCPRIM_400000_NS6detail17trampoline_kernelINS0_14default_configENS1_29binary_search_config_selectorIyiEEZNS1_14transform_implILb0ES3_S5_N6thrust23THRUST_200600_302600_NS6detail15normal_iteratorINS8_7pointerIyNS8_11hip_rocprim5par_tENS8_11use_defaultESE_EEEENSA_INSB_IiSD_SE_SE_EEEEZNS1_13binary_searchIS3_S5_PySG_SI_NS1_16binary_search_opENS9_16wrapped_functionINS8_6system6detail7generic6detail18binary_search_lessEbEEEE10hipError_tPvRmT1_T2_T3_mmT4_T5_P12ihipStream_tbEUlRKyE_EEST_SX_SY_mSZ_S12_bEUlT_E_NS1_11comp_targetILNS1_3genE2ELNS1_11target_archE906ELNS1_3gpuE6ELNS1_3repE0EEENS1_30default_config_static_selectorELNS0_4arch9wavefront6targetE0EEEvSW_.has_indirect_call, 0
	.section	.AMDGPU.csdata,"",@progbits
; Kernel info:
; codeLenInByte = 0
; TotalNumSgprs: 0
; NumVgprs: 0
; ScratchSize: 0
; MemoryBound: 0
; FloatMode: 240
; IeeeMode: 1
; LDSByteSize: 0 bytes/workgroup (compile time only)
; SGPRBlocks: 0
; VGPRBlocks: 0
; NumSGPRsForWavesPerEU: 1
; NumVGPRsForWavesPerEU: 1
; Occupancy: 16
; WaveLimiterHint : 0
; COMPUTE_PGM_RSRC2:SCRATCH_EN: 0
; COMPUTE_PGM_RSRC2:USER_SGPR: 6
; COMPUTE_PGM_RSRC2:TRAP_HANDLER: 0
; COMPUTE_PGM_RSRC2:TGID_X_EN: 1
; COMPUTE_PGM_RSRC2:TGID_Y_EN: 0
; COMPUTE_PGM_RSRC2:TGID_Z_EN: 0
; COMPUTE_PGM_RSRC2:TIDIG_COMP_CNT: 0
	.section	.text._ZN7rocprim17ROCPRIM_400000_NS6detail17trampoline_kernelINS0_14default_configENS1_29binary_search_config_selectorIyiEEZNS1_14transform_implILb0ES3_S5_N6thrust23THRUST_200600_302600_NS6detail15normal_iteratorINS8_7pointerIyNS8_11hip_rocprim5par_tENS8_11use_defaultESE_EEEENSA_INSB_IiSD_SE_SE_EEEEZNS1_13binary_searchIS3_S5_PySG_SI_NS1_16binary_search_opENS9_16wrapped_functionINS8_6system6detail7generic6detail18binary_search_lessEbEEEE10hipError_tPvRmT1_T2_T3_mmT4_T5_P12ihipStream_tbEUlRKyE_EEST_SX_SY_mSZ_S12_bEUlT_E_NS1_11comp_targetILNS1_3genE10ELNS1_11target_archE1201ELNS1_3gpuE5ELNS1_3repE0EEENS1_30default_config_static_selectorELNS0_4arch9wavefront6targetE0EEEvSW_,"axG",@progbits,_ZN7rocprim17ROCPRIM_400000_NS6detail17trampoline_kernelINS0_14default_configENS1_29binary_search_config_selectorIyiEEZNS1_14transform_implILb0ES3_S5_N6thrust23THRUST_200600_302600_NS6detail15normal_iteratorINS8_7pointerIyNS8_11hip_rocprim5par_tENS8_11use_defaultESE_EEEENSA_INSB_IiSD_SE_SE_EEEEZNS1_13binary_searchIS3_S5_PySG_SI_NS1_16binary_search_opENS9_16wrapped_functionINS8_6system6detail7generic6detail18binary_search_lessEbEEEE10hipError_tPvRmT1_T2_T3_mmT4_T5_P12ihipStream_tbEUlRKyE_EEST_SX_SY_mSZ_S12_bEUlT_E_NS1_11comp_targetILNS1_3genE10ELNS1_11target_archE1201ELNS1_3gpuE5ELNS1_3repE0EEENS1_30default_config_static_selectorELNS0_4arch9wavefront6targetE0EEEvSW_,comdat
	.protected	_ZN7rocprim17ROCPRIM_400000_NS6detail17trampoline_kernelINS0_14default_configENS1_29binary_search_config_selectorIyiEEZNS1_14transform_implILb0ES3_S5_N6thrust23THRUST_200600_302600_NS6detail15normal_iteratorINS8_7pointerIyNS8_11hip_rocprim5par_tENS8_11use_defaultESE_EEEENSA_INSB_IiSD_SE_SE_EEEEZNS1_13binary_searchIS3_S5_PySG_SI_NS1_16binary_search_opENS9_16wrapped_functionINS8_6system6detail7generic6detail18binary_search_lessEbEEEE10hipError_tPvRmT1_T2_T3_mmT4_T5_P12ihipStream_tbEUlRKyE_EEST_SX_SY_mSZ_S12_bEUlT_E_NS1_11comp_targetILNS1_3genE10ELNS1_11target_archE1201ELNS1_3gpuE5ELNS1_3repE0EEENS1_30default_config_static_selectorELNS0_4arch9wavefront6targetE0EEEvSW_ ; -- Begin function _ZN7rocprim17ROCPRIM_400000_NS6detail17trampoline_kernelINS0_14default_configENS1_29binary_search_config_selectorIyiEEZNS1_14transform_implILb0ES3_S5_N6thrust23THRUST_200600_302600_NS6detail15normal_iteratorINS8_7pointerIyNS8_11hip_rocprim5par_tENS8_11use_defaultESE_EEEENSA_INSB_IiSD_SE_SE_EEEEZNS1_13binary_searchIS3_S5_PySG_SI_NS1_16binary_search_opENS9_16wrapped_functionINS8_6system6detail7generic6detail18binary_search_lessEbEEEE10hipError_tPvRmT1_T2_T3_mmT4_T5_P12ihipStream_tbEUlRKyE_EEST_SX_SY_mSZ_S12_bEUlT_E_NS1_11comp_targetILNS1_3genE10ELNS1_11target_archE1201ELNS1_3gpuE5ELNS1_3repE0EEENS1_30default_config_static_selectorELNS0_4arch9wavefront6targetE0EEEvSW_
	.globl	_ZN7rocprim17ROCPRIM_400000_NS6detail17trampoline_kernelINS0_14default_configENS1_29binary_search_config_selectorIyiEEZNS1_14transform_implILb0ES3_S5_N6thrust23THRUST_200600_302600_NS6detail15normal_iteratorINS8_7pointerIyNS8_11hip_rocprim5par_tENS8_11use_defaultESE_EEEENSA_INSB_IiSD_SE_SE_EEEEZNS1_13binary_searchIS3_S5_PySG_SI_NS1_16binary_search_opENS9_16wrapped_functionINS8_6system6detail7generic6detail18binary_search_lessEbEEEE10hipError_tPvRmT1_T2_T3_mmT4_T5_P12ihipStream_tbEUlRKyE_EEST_SX_SY_mSZ_S12_bEUlT_E_NS1_11comp_targetILNS1_3genE10ELNS1_11target_archE1201ELNS1_3gpuE5ELNS1_3repE0EEENS1_30default_config_static_selectorELNS0_4arch9wavefront6targetE0EEEvSW_
	.p2align	8
	.type	_ZN7rocprim17ROCPRIM_400000_NS6detail17trampoline_kernelINS0_14default_configENS1_29binary_search_config_selectorIyiEEZNS1_14transform_implILb0ES3_S5_N6thrust23THRUST_200600_302600_NS6detail15normal_iteratorINS8_7pointerIyNS8_11hip_rocprim5par_tENS8_11use_defaultESE_EEEENSA_INSB_IiSD_SE_SE_EEEEZNS1_13binary_searchIS3_S5_PySG_SI_NS1_16binary_search_opENS9_16wrapped_functionINS8_6system6detail7generic6detail18binary_search_lessEbEEEE10hipError_tPvRmT1_T2_T3_mmT4_T5_P12ihipStream_tbEUlRKyE_EEST_SX_SY_mSZ_S12_bEUlT_E_NS1_11comp_targetILNS1_3genE10ELNS1_11target_archE1201ELNS1_3gpuE5ELNS1_3repE0EEENS1_30default_config_static_selectorELNS0_4arch9wavefront6targetE0EEEvSW_,@function
_ZN7rocprim17ROCPRIM_400000_NS6detail17trampoline_kernelINS0_14default_configENS1_29binary_search_config_selectorIyiEEZNS1_14transform_implILb0ES3_S5_N6thrust23THRUST_200600_302600_NS6detail15normal_iteratorINS8_7pointerIyNS8_11hip_rocprim5par_tENS8_11use_defaultESE_EEEENSA_INSB_IiSD_SE_SE_EEEEZNS1_13binary_searchIS3_S5_PySG_SI_NS1_16binary_search_opENS9_16wrapped_functionINS8_6system6detail7generic6detail18binary_search_lessEbEEEE10hipError_tPvRmT1_T2_T3_mmT4_T5_P12ihipStream_tbEUlRKyE_EEST_SX_SY_mSZ_S12_bEUlT_E_NS1_11comp_targetILNS1_3genE10ELNS1_11target_archE1201ELNS1_3gpuE5ELNS1_3repE0EEENS1_30default_config_static_selectorELNS0_4arch9wavefront6targetE0EEEvSW_: ; @_ZN7rocprim17ROCPRIM_400000_NS6detail17trampoline_kernelINS0_14default_configENS1_29binary_search_config_selectorIyiEEZNS1_14transform_implILb0ES3_S5_N6thrust23THRUST_200600_302600_NS6detail15normal_iteratorINS8_7pointerIyNS8_11hip_rocprim5par_tENS8_11use_defaultESE_EEEENSA_INSB_IiSD_SE_SE_EEEEZNS1_13binary_searchIS3_S5_PySG_SI_NS1_16binary_search_opENS9_16wrapped_functionINS8_6system6detail7generic6detail18binary_search_lessEbEEEE10hipError_tPvRmT1_T2_T3_mmT4_T5_P12ihipStream_tbEUlRKyE_EEST_SX_SY_mSZ_S12_bEUlT_E_NS1_11comp_targetILNS1_3genE10ELNS1_11target_archE1201ELNS1_3gpuE5ELNS1_3repE0EEENS1_30default_config_static_selectorELNS0_4arch9wavefront6targetE0EEEvSW_
; %bb.0:
	.section	.rodata,"a",@progbits
	.p2align	6, 0x0
	.amdhsa_kernel _ZN7rocprim17ROCPRIM_400000_NS6detail17trampoline_kernelINS0_14default_configENS1_29binary_search_config_selectorIyiEEZNS1_14transform_implILb0ES3_S5_N6thrust23THRUST_200600_302600_NS6detail15normal_iteratorINS8_7pointerIyNS8_11hip_rocprim5par_tENS8_11use_defaultESE_EEEENSA_INSB_IiSD_SE_SE_EEEEZNS1_13binary_searchIS3_S5_PySG_SI_NS1_16binary_search_opENS9_16wrapped_functionINS8_6system6detail7generic6detail18binary_search_lessEbEEEE10hipError_tPvRmT1_T2_T3_mmT4_T5_P12ihipStream_tbEUlRKyE_EEST_SX_SY_mSZ_S12_bEUlT_E_NS1_11comp_targetILNS1_3genE10ELNS1_11target_archE1201ELNS1_3gpuE5ELNS1_3repE0EEENS1_30default_config_static_selectorELNS0_4arch9wavefront6targetE0EEEvSW_
		.amdhsa_group_segment_fixed_size 0
		.amdhsa_private_segment_fixed_size 0
		.amdhsa_kernarg_size 56
		.amdhsa_user_sgpr_count 6
		.amdhsa_user_sgpr_private_segment_buffer 1
		.amdhsa_user_sgpr_dispatch_ptr 0
		.amdhsa_user_sgpr_queue_ptr 0
		.amdhsa_user_sgpr_kernarg_segment_ptr 1
		.amdhsa_user_sgpr_dispatch_id 0
		.amdhsa_user_sgpr_flat_scratch_init 0
		.amdhsa_user_sgpr_private_segment_size 0
		.amdhsa_wavefront_size32 1
		.amdhsa_uses_dynamic_stack 0
		.amdhsa_system_sgpr_private_segment_wavefront_offset 0
		.amdhsa_system_sgpr_workgroup_id_x 1
		.amdhsa_system_sgpr_workgroup_id_y 0
		.amdhsa_system_sgpr_workgroup_id_z 0
		.amdhsa_system_sgpr_workgroup_info 0
		.amdhsa_system_vgpr_workitem_id 0
		.amdhsa_next_free_vgpr 1
		.amdhsa_next_free_sgpr 1
		.amdhsa_reserve_vcc 0
		.amdhsa_reserve_flat_scratch 0
		.amdhsa_float_round_mode_32 0
		.amdhsa_float_round_mode_16_64 0
		.amdhsa_float_denorm_mode_32 3
		.amdhsa_float_denorm_mode_16_64 3
		.amdhsa_dx10_clamp 1
		.amdhsa_ieee_mode 1
		.amdhsa_fp16_overflow 0
		.amdhsa_workgroup_processor_mode 1
		.amdhsa_memory_ordered 1
		.amdhsa_forward_progress 1
		.amdhsa_shared_vgpr_count 0
		.amdhsa_exception_fp_ieee_invalid_op 0
		.amdhsa_exception_fp_denorm_src 0
		.amdhsa_exception_fp_ieee_div_zero 0
		.amdhsa_exception_fp_ieee_overflow 0
		.amdhsa_exception_fp_ieee_underflow 0
		.amdhsa_exception_fp_ieee_inexact 0
		.amdhsa_exception_int_div_zero 0
	.end_amdhsa_kernel
	.section	.text._ZN7rocprim17ROCPRIM_400000_NS6detail17trampoline_kernelINS0_14default_configENS1_29binary_search_config_selectorIyiEEZNS1_14transform_implILb0ES3_S5_N6thrust23THRUST_200600_302600_NS6detail15normal_iteratorINS8_7pointerIyNS8_11hip_rocprim5par_tENS8_11use_defaultESE_EEEENSA_INSB_IiSD_SE_SE_EEEEZNS1_13binary_searchIS3_S5_PySG_SI_NS1_16binary_search_opENS9_16wrapped_functionINS8_6system6detail7generic6detail18binary_search_lessEbEEEE10hipError_tPvRmT1_T2_T3_mmT4_T5_P12ihipStream_tbEUlRKyE_EEST_SX_SY_mSZ_S12_bEUlT_E_NS1_11comp_targetILNS1_3genE10ELNS1_11target_archE1201ELNS1_3gpuE5ELNS1_3repE0EEENS1_30default_config_static_selectorELNS0_4arch9wavefront6targetE0EEEvSW_,"axG",@progbits,_ZN7rocprim17ROCPRIM_400000_NS6detail17trampoline_kernelINS0_14default_configENS1_29binary_search_config_selectorIyiEEZNS1_14transform_implILb0ES3_S5_N6thrust23THRUST_200600_302600_NS6detail15normal_iteratorINS8_7pointerIyNS8_11hip_rocprim5par_tENS8_11use_defaultESE_EEEENSA_INSB_IiSD_SE_SE_EEEEZNS1_13binary_searchIS3_S5_PySG_SI_NS1_16binary_search_opENS9_16wrapped_functionINS8_6system6detail7generic6detail18binary_search_lessEbEEEE10hipError_tPvRmT1_T2_T3_mmT4_T5_P12ihipStream_tbEUlRKyE_EEST_SX_SY_mSZ_S12_bEUlT_E_NS1_11comp_targetILNS1_3genE10ELNS1_11target_archE1201ELNS1_3gpuE5ELNS1_3repE0EEENS1_30default_config_static_selectorELNS0_4arch9wavefront6targetE0EEEvSW_,comdat
.Lfunc_end268:
	.size	_ZN7rocprim17ROCPRIM_400000_NS6detail17trampoline_kernelINS0_14default_configENS1_29binary_search_config_selectorIyiEEZNS1_14transform_implILb0ES3_S5_N6thrust23THRUST_200600_302600_NS6detail15normal_iteratorINS8_7pointerIyNS8_11hip_rocprim5par_tENS8_11use_defaultESE_EEEENSA_INSB_IiSD_SE_SE_EEEEZNS1_13binary_searchIS3_S5_PySG_SI_NS1_16binary_search_opENS9_16wrapped_functionINS8_6system6detail7generic6detail18binary_search_lessEbEEEE10hipError_tPvRmT1_T2_T3_mmT4_T5_P12ihipStream_tbEUlRKyE_EEST_SX_SY_mSZ_S12_bEUlT_E_NS1_11comp_targetILNS1_3genE10ELNS1_11target_archE1201ELNS1_3gpuE5ELNS1_3repE0EEENS1_30default_config_static_selectorELNS0_4arch9wavefront6targetE0EEEvSW_, .Lfunc_end268-_ZN7rocprim17ROCPRIM_400000_NS6detail17trampoline_kernelINS0_14default_configENS1_29binary_search_config_selectorIyiEEZNS1_14transform_implILb0ES3_S5_N6thrust23THRUST_200600_302600_NS6detail15normal_iteratorINS8_7pointerIyNS8_11hip_rocprim5par_tENS8_11use_defaultESE_EEEENSA_INSB_IiSD_SE_SE_EEEEZNS1_13binary_searchIS3_S5_PySG_SI_NS1_16binary_search_opENS9_16wrapped_functionINS8_6system6detail7generic6detail18binary_search_lessEbEEEE10hipError_tPvRmT1_T2_T3_mmT4_T5_P12ihipStream_tbEUlRKyE_EEST_SX_SY_mSZ_S12_bEUlT_E_NS1_11comp_targetILNS1_3genE10ELNS1_11target_archE1201ELNS1_3gpuE5ELNS1_3repE0EEENS1_30default_config_static_selectorELNS0_4arch9wavefront6targetE0EEEvSW_
                                        ; -- End function
	.set _ZN7rocprim17ROCPRIM_400000_NS6detail17trampoline_kernelINS0_14default_configENS1_29binary_search_config_selectorIyiEEZNS1_14transform_implILb0ES3_S5_N6thrust23THRUST_200600_302600_NS6detail15normal_iteratorINS8_7pointerIyNS8_11hip_rocprim5par_tENS8_11use_defaultESE_EEEENSA_INSB_IiSD_SE_SE_EEEEZNS1_13binary_searchIS3_S5_PySG_SI_NS1_16binary_search_opENS9_16wrapped_functionINS8_6system6detail7generic6detail18binary_search_lessEbEEEE10hipError_tPvRmT1_T2_T3_mmT4_T5_P12ihipStream_tbEUlRKyE_EEST_SX_SY_mSZ_S12_bEUlT_E_NS1_11comp_targetILNS1_3genE10ELNS1_11target_archE1201ELNS1_3gpuE5ELNS1_3repE0EEENS1_30default_config_static_selectorELNS0_4arch9wavefront6targetE0EEEvSW_.num_vgpr, 0
	.set _ZN7rocprim17ROCPRIM_400000_NS6detail17trampoline_kernelINS0_14default_configENS1_29binary_search_config_selectorIyiEEZNS1_14transform_implILb0ES3_S5_N6thrust23THRUST_200600_302600_NS6detail15normal_iteratorINS8_7pointerIyNS8_11hip_rocprim5par_tENS8_11use_defaultESE_EEEENSA_INSB_IiSD_SE_SE_EEEEZNS1_13binary_searchIS3_S5_PySG_SI_NS1_16binary_search_opENS9_16wrapped_functionINS8_6system6detail7generic6detail18binary_search_lessEbEEEE10hipError_tPvRmT1_T2_T3_mmT4_T5_P12ihipStream_tbEUlRKyE_EEST_SX_SY_mSZ_S12_bEUlT_E_NS1_11comp_targetILNS1_3genE10ELNS1_11target_archE1201ELNS1_3gpuE5ELNS1_3repE0EEENS1_30default_config_static_selectorELNS0_4arch9wavefront6targetE0EEEvSW_.num_agpr, 0
	.set _ZN7rocprim17ROCPRIM_400000_NS6detail17trampoline_kernelINS0_14default_configENS1_29binary_search_config_selectorIyiEEZNS1_14transform_implILb0ES3_S5_N6thrust23THRUST_200600_302600_NS6detail15normal_iteratorINS8_7pointerIyNS8_11hip_rocprim5par_tENS8_11use_defaultESE_EEEENSA_INSB_IiSD_SE_SE_EEEEZNS1_13binary_searchIS3_S5_PySG_SI_NS1_16binary_search_opENS9_16wrapped_functionINS8_6system6detail7generic6detail18binary_search_lessEbEEEE10hipError_tPvRmT1_T2_T3_mmT4_T5_P12ihipStream_tbEUlRKyE_EEST_SX_SY_mSZ_S12_bEUlT_E_NS1_11comp_targetILNS1_3genE10ELNS1_11target_archE1201ELNS1_3gpuE5ELNS1_3repE0EEENS1_30default_config_static_selectorELNS0_4arch9wavefront6targetE0EEEvSW_.numbered_sgpr, 0
	.set _ZN7rocprim17ROCPRIM_400000_NS6detail17trampoline_kernelINS0_14default_configENS1_29binary_search_config_selectorIyiEEZNS1_14transform_implILb0ES3_S5_N6thrust23THRUST_200600_302600_NS6detail15normal_iteratorINS8_7pointerIyNS8_11hip_rocprim5par_tENS8_11use_defaultESE_EEEENSA_INSB_IiSD_SE_SE_EEEEZNS1_13binary_searchIS3_S5_PySG_SI_NS1_16binary_search_opENS9_16wrapped_functionINS8_6system6detail7generic6detail18binary_search_lessEbEEEE10hipError_tPvRmT1_T2_T3_mmT4_T5_P12ihipStream_tbEUlRKyE_EEST_SX_SY_mSZ_S12_bEUlT_E_NS1_11comp_targetILNS1_3genE10ELNS1_11target_archE1201ELNS1_3gpuE5ELNS1_3repE0EEENS1_30default_config_static_selectorELNS0_4arch9wavefront6targetE0EEEvSW_.num_named_barrier, 0
	.set _ZN7rocprim17ROCPRIM_400000_NS6detail17trampoline_kernelINS0_14default_configENS1_29binary_search_config_selectorIyiEEZNS1_14transform_implILb0ES3_S5_N6thrust23THRUST_200600_302600_NS6detail15normal_iteratorINS8_7pointerIyNS8_11hip_rocprim5par_tENS8_11use_defaultESE_EEEENSA_INSB_IiSD_SE_SE_EEEEZNS1_13binary_searchIS3_S5_PySG_SI_NS1_16binary_search_opENS9_16wrapped_functionINS8_6system6detail7generic6detail18binary_search_lessEbEEEE10hipError_tPvRmT1_T2_T3_mmT4_T5_P12ihipStream_tbEUlRKyE_EEST_SX_SY_mSZ_S12_bEUlT_E_NS1_11comp_targetILNS1_3genE10ELNS1_11target_archE1201ELNS1_3gpuE5ELNS1_3repE0EEENS1_30default_config_static_selectorELNS0_4arch9wavefront6targetE0EEEvSW_.private_seg_size, 0
	.set _ZN7rocprim17ROCPRIM_400000_NS6detail17trampoline_kernelINS0_14default_configENS1_29binary_search_config_selectorIyiEEZNS1_14transform_implILb0ES3_S5_N6thrust23THRUST_200600_302600_NS6detail15normal_iteratorINS8_7pointerIyNS8_11hip_rocprim5par_tENS8_11use_defaultESE_EEEENSA_INSB_IiSD_SE_SE_EEEEZNS1_13binary_searchIS3_S5_PySG_SI_NS1_16binary_search_opENS9_16wrapped_functionINS8_6system6detail7generic6detail18binary_search_lessEbEEEE10hipError_tPvRmT1_T2_T3_mmT4_T5_P12ihipStream_tbEUlRKyE_EEST_SX_SY_mSZ_S12_bEUlT_E_NS1_11comp_targetILNS1_3genE10ELNS1_11target_archE1201ELNS1_3gpuE5ELNS1_3repE0EEENS1_30default_config_static_selectorELNS0_4arch9wavefront6targetE0EEEvSW_.uses_vcc, 0
	.set _ZN7rocprim17ROCPRIM_400000_NS6detail17trampoline_kernelINS0_14default_configENS1_29binary_search_config_selectorIyiEEZNS1_14transform_implILb0ES3_S5_N6thrust23THRUST_200600_302600_NS6detail15normal_iteratorINS8_7pointerIyNS8_11hip_rocprim5par_tENS8_11use_defaultESE_EEEENSA_INSB_IiSD_SE_SE_EEEEZNS1_13binary_searchIS3_S5_PySG_SI_NS1_16binary_search_opENS9_16wrapped_functionINS8_6system6detail7generic6detail18binary_search_lessEbEEEE10hipError_tPvRmT1_T2_T3_mmT4_T5_P12ihipStream_tbEUlRKyE_EEST_SX_SY_mSZ_S12_bEUlT_E_NS1_11comp_targetILNS1_3genE10ELNS1_11target_archE1201ELNS1_3gpuE5ELNS1_3repE0EEENS1_30default_config_static_selectorELNS0_4arch9wavefront6targetE0EEEvSW_.uses_flat_scratch, 0
	.set _ZN7rocprim17ROCPRIM_400000_NS6detail17trampoline_kernelINS0_14default_configENS1_29binary_search_config_selectorIyiEEZNS1_14transform_implILb0ES3_S5_N6thrust23THRUST_200600_302600_NS6detail15normal_iteratorINS8_7pointerIyNS8_11hip_rocprim5par_tENS8_11use_defaultESE_EEEENSA_INSB_IiSD_SE_SE_EEEEZNS1_13binary_searchIS3_S5_PySG_SI_NS1_16binary_search_opENS9_16wrapped_functionINS8_6system6detail7generic6detail18binary_search_lessEbEEEE10hipError_tPvRmT1_T2_T3_mmT4_T5_P12ihipStream_tbEUlRKyE_EEST_SX_SY_mSZ_S12_bEUlT_E_NS1_11comp_targetILNS1_3genE10ELNS1_11target_archE1201ELNS1_3gpuE5ELNS1_3repE0EEENS1_30default_config_static_selectorELNS0_4arch9wavefront6targetE0EEEvSW_.has_dyn_sized_stack, 0
	.set _ZN7rocprim17ROCPRIM_400000_NS6detail17trampoline_kernelINS0_14default_configENS1_29binary_search_config_selectorIyiEEZNS1_14transform_implILb0ES3_S5_N6thrust23THRUST_200600_302600_NS6detail15normal_iteratorINS8_7pointerIyNS8_11hip_rocprim5par_tENS8_11use_defaultESE_EEEENSA_INSB_IiSD_SE_SE_EEEEZNS1_13binary_searchIS3_S5_PySG_SI_NS1_16binary_search_opENS9_16wrapped_functionINS8_6system6detail7generic6detail18binary_search_lessEbEEEE10hipError_tPvRmT1_T2_T3_mmT4_T5_P12ihipStream_tbEUlRKyE_EEST_SX_SY_mSZ_S12_bEUlT_E_NS1_11comp_targetILNS1_3genE10ELNS1_11target_archE1201ELNS1_3gpuE5ELNS1_3repE0EEENS1_30default_config_static_selectorELNS0_4arch9wavefront6targetE0EEEvSW_.has_recursion, 0
	.set _ZN7rocprim17ROCPRIM_400000_NS6detail17trampoline_kernelINS0_14default_configENS1_29binary_search_config_selectorIyiEEZNS1_14transform_implILb0ES3_S5_N6thrust23THRUST_200600_302600_NS6detail15normal_iteratorINS8_7pointerIyNS8_11hip_rocprim5par_tENS8_11use_defaultESE_EEEENSA_INSB_IiSD_SE_SE_EEEEZNS1_13binary_searchIS3_S5_PySG_SI_NS1_16binary_search_opENS9_16wrapped_functionINS8_6system6detail7generic6detail18binary_search_lessEbEEEE10hipError_tPvRmT1_T2_T3_mmT4_T5_P12ihipStream_tbEUlRKyE_EEST_SX_SY_mSZ_S12_bEUlT_E_NS1_11comp_targetILNS1_3genE10ELNS1_11target_archE1201ELNS1_3gpuE5ELNS1_3repE0EEENS1_30default_config_static_selectorELNS0_4arch9wavefront6targetE0EEEvSW_.has_indirect_call, 0
	.section	.AMDGPU.csdata,"",@progbits
; Kernel info:
; codeLenInByte = 0
; TotalNumSgprs: 0
; NumVgprs: 0
; ScratchSize: 0
; MemoryBound: 0
; FloatMode: 240
; IeeeMode: 1
; LDSByteSize: 0 bytes/workgroup (compile time only)
; SGPRBlocks: 0
; VGPRBlocks: 0
; NumSGPRsForWavesPerEU: 1
; NumVGPRsForWavesPerEU: 1
; Occupancy: 16
; WaveLimiterHint : 0
; COMPUTE_PGM_RSRC2:SCRATCH_EN: 0
; COMPUTE_PGM_RSRC2:USER_SGPR: 6
; COMPUTE_PGM_RSRC2:TRAP_HANDLER: 0
; COMPUTE_PGM_RSRC2:TGID_X_EN: 1
; COMPUTE_PGM_RSRC2:TGID_Y_EN: 0
; COMPUTE_PGM_RSRC2:TGID_Z_EN: 0
; COMPUTE_PGM_RSRC2:TIDIG_COMP_CNT: 0
	.section	.text._ZN7rocprim17ROCPRIM_400000_NS6detail17trampoline_kernelINS0_14default_configENS1_29binary_search_config_selectorIyiEEZNS1_14transform_implILb0ES3_S5_N6thrust23THRUST_200600_302600_NS6detail15normal_iteratorINS8_7pointerIyNS8_11hip_rocprim5par_tENS8_11use_defaultESE_EEEENSA_INSB_IiSD_SE_SE_EEEEZNS1_13binary_searchIS3_S5_PySG_SI_NS1_16binary_search_opENS9_16wrapped_functionINS8_6system6detail7generic6detail18binary_search_lessEbEEEE10hipError_tPvRmT1_T2_T3_mmT4_T5_P12ihipStream_tbEUlRKyE_EEST_SX_SY_mSZ_S12_bEUlT_E_NS1_11comp_targetILNS1_3genE10ELNS1_11target_archE1200ELNS1_3gpuE4ELNS1_3repE0EEENS1_30default_config_static_selectorELNS0_4arch9wavefront6targetE0EEEvSW_,"axG",@progbits,_ZN7rocprim17ROCPRIM_400000_NS6detail17trampoline_kernelINS0_14default_configENS1_29binary_search_config_selectorIyiEEZNS1_14transform_implILb0ES3_S5_N6thrust23THRUST_200600_302600_NS6detail15normal_iteratorINS8_7pointerIyNS8_11hip_rocprim5par_tENS8_11use_defaultESE_EEEENSA_INSB_IiSD_SE_SE_EEEEZNS1_13binary_searchIS3_S5_PySG_SI_NS1_16binary_search_opENS9_16wrapped_functionINS8_6system6detail7generic6detail18binary_search_lessEbEEEE10hipError_tPvRmT1_T2_T3_mmT4_T5_P12ihipStream_tbEUlRKyE_EEST_SX_SY_mSZ_S12_bEUlT_E_NS1_11comp_targetILNS1_3genE10ELNS1_11target_archE1200ELNS1_3gpuE4ELNS1_3repE0EEENS1_30default_config_static_selectorELNS0_4arch9wavefront6targetE0EEEvSW_,comdat
	.protected	_ZN7rocprim17ROCPRIM_400000_NS6detail17trampoline_kernelINS0_14default_configENS1_29binary_search_config_selectorIyiEEZNS1_14transform_implILb0ES3_S5_N6thrust23THRUST_200600_302600_NS6detail15normal_iteratorINS8_7pointerIyNS8_11hip_rocprim5par_tENS8_11use_defaultESE_EEEENSA_INSB_IiSD_SE_SE_EEEEZNS1_13binary_searchIS3_S5_PySG_SI_NS1_16binary_search_opENS9_16wrapped_functionINS8_6system6detail7generic6detail18binary_search_lessEbEEEE10hipError_tPvRmT1_T2_T3_mmT4_T5_P12ihipStream_tbEUlRKyE_EEST_SX_SY_mSZ_S12_bEUlT_E_NS1_11comp_targetILNS1_3genE10ELNS1_11target_archE1200ELNS1_3gpuE4ELNS1_3repE0EEENS1_30default_config_static_selectorELNS0_4arch9wavefront6targetE0EEEvSW_ ; -- Begin function _ZN7rocprim17ROCPRIM_400000_NS6detail17trampoline_kernelINS0_14default_configENS1_29binary_search_config_selectorIyiEEZNS1_14transform_implILb0ES3_S5_N6thrust23THRUST_200600_302600_NS6detail15normal_iteratorINS8_7pointerIyNS8_11hip_rocprim5par_tENS8_11use_defaultESE_EEEENSA_INSB_IiSD_SE_SE_EEEEZNS1_13binary_searchIS3_S5_PySG_SI_NS1_16binary_search_opENS9_16wrapped_functionINS8_6system6detail7generic6detail18binary_search_lessEbEEEE10hipError_tPvRmT1_T2_T3_mmT4_T5_P12ihipStream_tbEUlRKyE_EEST_SX_SY_mSZ_S12_bEUlT_E_NS1_11comp_targetILNS1_3genE10ELNS1_11target_archE1200ELNS1_3gpuE4ELNS1_3repE0EEENS1_30default_config_static_selectorELNS0_4arch9wavefront6targetE0EEEvSW_
	.globl	_ZN7rocprim17ROCPRIM_400000_NS6detail17trampoline_kernelINS0_14default_configENS1_29binary_search_config_selectorIyiEEZNS1_14transform_implILb0ES3_S5_N6thrust23THRUST_200600_302600_NS6detail15normal_iteratorINS8_7pointerIyNS8_11hip_rocprim5par_tENS8_11use_defaultESE_EEEENSA_INSB_IiSD_SE_SE_EEEEZNS1_13binary_searchIS3_S5_PySG_SI_NS1_16binary_search_opENS9_16wrapped_functionINS8_6system6detail7generic6detail18binary_search_lessEbEEEE10hipError_tPvRmT1_T2_T3_mmT4_T5_P12ihipStream_tbEUlRKyE_EEST_SX_SY_mSZ_S12_bEUlT_E_NS1_11comp_targetILNS1_3genE10ELNS1_11target_archE1200ELNS1_3gpuE4ELNS1_3repE0EEENS1_30default_config_static_selectorELNS0_4arch9wavefront6targetE0EEEvSW_
	.p2align	8
	.type	_ZN7rocprim17ROCPRIM_400000_NS6detail17trampoline_kernelINS0_14default_configENS1_29binary_search_config_selectorIyiEEZNS1_14transform_implILb0ES3_S5_N6thrust23THRUST_200600_302600_NS6detail15normal_iteratorINS8_7pointerIyNS8_11hip_rocprim5par_tENS8_11use_defaultESE_EEEENSA_INSB_IiSD_SE_SE_EEEEZNS1_13binary_searchIS3_S5_PySG_SI_NS1_16binary_search_opENS9_16wrapped_functionINS8_6system6detail7generic6detail18binary_search_lessEbEEEE10hipError_tPvRmT1_T2_T3_mmT4_T5_P12ihipStream_tbEUlRKyE_EEST_SX_SY_mSZ_S12_bEUlT_E_NS1_11comp_targetILNS1_3genE10ELNS1_11target_archE1200ELNS1_3gpuE4ELNS1_3repE0EEENS1_30default_config_static_selectorELNS0_4arch9wavefront6targetE0EEEvSW_,@function
_ZN7rocprim17ROCPRIM_400000_NS6detail17trampoline_kernelINS0_14default_configENS1_29binary_search_config_selectorIyiEEZNS1_14transform_implILb0ES3_S5_N6thrust23THRUST_200600_302600_NS6detail15normal_iteratorINS8_7pointerIyNS8_11hip_rocprim5par_tENS8_11use_defaultESE_EEEENSA_INSB_IiSD_SE_SE_EEEEZNS1_13binary_searchIS3_S5_PySG_SI_NS1_16binary_search_opENS9_16wrapped_functionINS8_6system6detail7generic6detail18binary_search_lessEbEEEE10hipError_tPvRmT1_T2_T3_mmT4_T5_P12ihipStream_tbEUlRKyE_EEST_SX_SY_mSZ_S12_bEUlT_E_NS1_11comp_targetILNS1_3genE10ELNS1_11target_archE1200ELNS1_3gpuE4ELNS1_3repE0EEENS1_30default_config_static_selectorELNS0_4arch9wavefront6targetE0EEEvSW_: ; @_ZN7rocprim17ROCPRIM_400000_NS6detail17trampoline_kernelINS0_14default_configENS1_29binary_search_config_selectorIyiEEZNS1_14transform_implILb0ES3_S5_N6thrust23THRUST_200600_302600_NS6detail15normal_iteratorINS8_7pointerIyNS8_11hip_rocprim5par_tENS8_11use_defaultESE_EEEENSA_INSB_IiSD_SE_SE_EEEEZNS1_13binary_searchIS3_S5_PySG_SI_NS1_16binary_search_opENS9_16wrapped_functionINS8_6system6detail7generic6detail18binary_search_lessEbEEEE10hipError_tPvRmT1_T2_T3_mmT4_T5_P12ihipStream_tbEUlRKyE_EEST_SX_SY_mSZ_S12_bEUlT_E_NS1_11comp_targetILNS1_3genE10ELNS1_11target_archE1200ELNS1_3gpuE4ELNS1_3repE0EEENS1_30default_config_static_selectorELNS0_4arch9wavefront6targetE0EEEvSW_
; %bb.0:
	.section	.rodata,"a",@progbits
	.p2align	6, 0x0
	.amdhsa_kernel _ZN7rocprim17ROCPRIM_400000_NS6detail17trampoline_kernelINS0_14default_configENS1_29binary_search_config_selectorIyiEEZNS1_14transform_implILb0ES3_S5_N6thrust23THRUST_200600_302600_NS6detail15normal_iteratorINS8_7pointerIyNS8_11hip_rocprim5par_tENS8_11use_defaultESE_EEEENSA_INSB_IiSD_SE_SE_EEEEZNS1_13binary_searchIS3_S5_PySG_SI_NS1_16binary_search_opENS9_16wrapped_functionINS8_6system6detail7generic6detail18binary_search_lessEbEEEE10hipError_tPvRmT1_T2_T3_mmT4_T5_P12ihipStream_tbEUlRKyE_EEST_SX_SY_mSZ_S12_bEUlT_E_NS1_11comp_targetILNS1_3genE10ELNS1_11target_archE1200ELNS1_3gpuE4ELNS1_3repE0EEENS1_30default_config_static_selectorELNS0_4arch9wavefront6targetE0EEEvSW_
		.amdhsa_group_segment_fixed_size 0
		.amdhsa_private_segment_fixed_size 0
		.amdhsa_kernarg_size 56
		.amdhsa_user_sgpr_count 6
		.amdhsa_user_sgpr_private_segment_buffer 1
		.amdhsa_user_sgpr_dispatch_ptr 0
		.amdhsa_user_sgpr_queue_ptr 0
		.amdhsa_user_sgpr_kernarg_segment_ptr 1
		.amdhsa_user_sgpr_dispatch_id 0
		.amdhsa_user_sgpr_flat_scratch_init 0
		.amdhsa_user_sgpr_private_segment_size 0
		.amdhsa_wavefront_size32 1
		.amdhsa_uses_dynamic_stack 0
		.amdhsa_system_sgpr_private_segment_wavefront_offset 0
		.amdhsa_system_sgpr_workgroup_id_x 1
		.amdhsa_system_sgpr_workgroup_id_y 0
		.amdhsa_system_sgpr_workgroup_id_z 0
		.amdhsa_system_sgpr_workgroup_info 0
		.amdhsa_system_vgpr_workitem_id 0
		.amdhsa_next_free_vgpr 1
		.amdhsa_next_free_sgpr 1
		.amdhsa_reserve_vcc 0
		.amdhsa_reserve_flat_scratch 0
		.amdhsa_float_round_mode_32 0
		.amdhsa_float_round_mode_16_64 0
		.amdhsa_float_denorm_mode_32 3
		.amdhsa_float_denorm_mode_16_64 3
		.amdhsa_dx10_clamp 1
		.amdhsa_ieee_mode 1
		.amdhsa_fp16_overflow 0
		.amdhsa_workgroup_processor_mode 1
		.amdhsa_memory_ordered 1
		.amdhsa_forward_progress 1
		.amdhsa_shared_vgpr_count 0
		.amdhsa_exception_fp_ieee_invalid_op 0
		.amdhsa_exception_fp_denorm_src 0
		.amdhsa_exception_fp_ieee_div_zero 0
		.amdhsa_exception_fp_ieee_overflow 0
		.amdhsa_exception_fp_ieee_underflow 0
		.amdhsa_exception_fp_ieee_inexact 0
		.amdhsa_exception_int_div_zero 0
	.end_amdhsa_kernel
	.section	.text._ZN7rocprim17ROCPRIM_400000_NS6detail17trampoline_kernelINS0_14default_configENS1_29binary_search_config_selectorIyiEEZNS1_14transform_implILb0ES3_S5_N6thrust23THRUST_200600_302600_NS6detail15normal_iteratorINS8_7pointerIyNS8_11hip_rocprim5par_tENS8_11use_defaultESE_EEEENSA_INSB_IiSD_SE_SE_EEEEZNS1_13binary_searchIS3_S5_PySG_SI_NS1_16binary_search_opENS9_16wrapped_functionINS8_6system6detail7generic6detail18binary_search_lessEbEEEE10hipError_tPvRmT1_T2_T3_mmT4_T5_P12ihipStream_tbEUlRKyE_EEST_SX_SY_mSZ_S12_bEUlT_E_NS1_11comp_targetILNS1_3genE10ELNS1_11target_archE1200ELNS1_3gpuE4ELNS1_3repE0EEENS1_30default_config_static_selectorELNS0_4arch9wavefront6targetE0EEEvSW_,"axG",@progbits,_ZN7rocprim17ROCPRIM_400000_NS6detail17trampoline_kernelINS0_14default_configENS1_29binary_search_config_selectorIyiEEZNS1_14transform_implILb0ES3_S5_N6thrust23THRUST_200600_302600_NS6detail15normal_iteratorINS8_7pointerIyNS8_11hip_rocprim5par_tENS8_11use_defaultESE_EEEENSA_INSB_IiSD_SE_SE_EEEEZNS1_13binary_searchIS3_S5_PySG_SI_NS1_16binary_search_opENS9_16wrapped_functionINS8_6system6detail7generic6detail18binary_search_lessEbEEEE10hipError_tPvRmT1_T2_T3_mmT4_T5_P12ihipStream_tbEUlRKyE_EEST_SX_SY_mSZ_S12_bEUlT_E_NS1_11comp_targetILNS1_3genE10ELNS1_11target_archE1200ELNS1_3gpuE4ELNS1_3repE0EEENS1_30default_config_static_selectorELNS0_4arch9wavefront6targetE0EEEvSW_,comdat
.Lfunc_end269:
	.size	_ZN7rocprim17ROCPRIM_400000_NS6detail17trampoline_kernelINS0_14default_configENS1_29binary_search_config_selectorIyiEEZNS1_14transform_implILb0ES3_S5_N6thrust23THRUST_200600_302600_NS6detail15normal_iteratorINS8_7pointerIyNS8_11hip_rocprim5par_tENS8_11use_defaultESE_EEEENSA_INSB_IiSD_SE_SE_EEEEZNS1_13binary_searchIS3_S5_PySG_SI_NS1_16binary_search_opENS9_16wrapped_functionINS8_6system6detail7generic6detail18binary_search_lessEbEEEE10hipError_tPvRmT1_T2_T3_mmT4_T5_P12ihipStream_tbEUlRKyE_EEST_SX_SY_mSZ_S12_bEUlT_E_NS1_11comp_targetILNS1_3genE10ELNS1_11target_archE1200ELNS1_3gpuE4ELNS1_3repE0EEENS1_30default_config_static_selectorELNS0_4arch9wavefront6targetE0EEEvSW_, .Lfunc_end269-_ZN7rocprim17ROCPRIM_400000_NS6detail17trampoline_kernelINS0_14default_configENS1_29binary_search_config_selectorIyiEEZNS1_14transform_implILb0ES3_S5_N6thrust23THRUST_200600_302600_NS6detail15normal_iteratorINS8_7pointerIyNS8_11hip_rocprim5par_tENS8_11use_defaultESE_EEEENSA_INSB_IiSD_SE_SE_EEEEZNS1_13binary_searchIS3_S5_PySG_SI_NS1_16binary_search_opENS9_16wrapped_functionINS8_6system6detail7generic6detail18binary_search_lessEbEEEE10hipError_tPvRmT1_T2_T3_mmT4_T5_P12ihipStream_tbEUlRKyE_EEST_SX_SY_mSZ_S12_bEUlT_E_NS1_11comp_targetILNS1_3genE10ELNS1_11target_archE1200ELNS1_3gpuE4ELNS1_3repE0EEENS1_30default_config_static_selectorELNS0_4arch9wavefront6targetE0EEEvSW_
                                        ; -- End function
	.set _ZN7rocprim17ROCPRIM_400000_NS6detail17trampoline_kernelINS0_14default_configENS1_29binary_search_config_selectorIyiEEZNS1_14transform_implILb0ES3_S5_N6thrust23THRUST_200600_302600_NS6detail15normal_iteratorINS8_7pointerIyNS8_11hip_rocprim5par_tENS8_11use_defaultESE_EEEENSA_INSB_IiSD_SE_SE_EEEEZNS1_13binary_searchIS3_S5_PySG_SI_NS1_16binary_search_opENS9_16wrapped_functionINS8_6system6detail7generic6detail18binary_search_lessEbEEEE10hipError_tPvRmT1_T2_T3_mmT4_T5_P12ihipStream_tbEUlRKyE_EEST_SX_SY_mSZ_S12_bEUlT_E_NS1_11comp_targetILNS1_3genE10ELNS1_11target_archE1200ELNS1_3gpuE4ELNS1_3repE0EEENS1_30default_config_static_selectorELNS0_4arch9wavefront6targetE0EEEvSW_.num_vgpr, 0
	.set _ZN7rocprim17ROCPRIM_400000_NS6detail17trampoline_kernelINS0_14default_configENS1_29binary_search_config_selectorIyiEEZNS1_14transform_implILb0ES3_S5_N6thrust23THRUST_200600_302600_NS6detail15normal_iteratorINS8_7pointerIyNS8_11hip_rocprim5par_tENS8_11use_defaultESE_EEEENSA_INSB_IiSD_SE_SE_EEEEZNS1_13binary_searchIS3_S5_PySG_SI_NS1_16binary_search_opENS9_16wrapped_functionINS8_6system6detail7generic6detail18binary_search_lessEbEEEE10hipError_tPvRmT1_T2_T3_mmT4_T5_P12ihipStream_tbEUlRKyE_EEST_SX_SY_mSZ_S12_bEUlT_E_NS1_11comp_targetILNS1_3genE10ELNS1_11target_archE1200ELNS1_3gpuE4ELNS1_3repE0EEENS1_30default_config_static_selectorELNS0_4arch9wavefront6targetE0EEEvSW_.num_agpr, 0
	.set _ZN7rocprim17ROCPRIM_400000_NS6detail17trampoline_kernelINS0_14default_configENS1_29binary_search_config_selectorIyiEEZNS1_14transform_implILb0ES3_S5_N6thrust23THRUST_200600_302600_NS6detail15normal_iteratorINS8_7pointerIyNS8_11hip_rocprim5par_tENS8_11use_defaultESE_EEEENSA_INSB_IiSD_SE_SE_EEEEZNS1_13binary_searchIS3_S5_PySG_SI_NS1_16binary_search_opENS9_16wrapped_functionINS8_6system6detail7generic6detail18binary_search_lessEbEEEE10hipError_tPvRmT1_T2_T3_mmT4_T5_P12ihipStream_tbEUlRKyE_EEST_SX_SY_mSZ_S12_bEUlT_E_NS1_11comp_targetILNS1_3genE10ELNS1_11target_archE1200ELNS1_3gpuE4ELNS1_3repE0EEENS1_30default_config_static_selectorELNS0_4arch9wavefront6targetE0EEEvSW_.numbered_sgpr, 0
	.set _ZN7rocprim17ROCPRIM_400000_NS6detail17trampoline_kernelINS0_14default_configENS1_29binary_search_config_selectorIyiEEZNS1_14transform_implILb0ES3_S5_N6thrust23THRUST_200600_302600_NS6detail15normal_iteratorINS8_7pointerIyNS8_11hip_rocprim5par_tENS8_11use_defaultESE_EEEENSA_INSB_IiSD_SE_SE_EEEEZNS1_13binary_searchIS3_S5_PySG_SI_NS1_16binary_search_opENS9_16wrapped_functionINS8_6system6detail7generic6detail18binary_search_lessEbEEEE10hipError_tPvRmT1_T2_T3_mmT4_T5_P12ihipStream_tbEUlRKyE_EEST_SX_SY_mSZ_S12_bEUlT_E_NS1_11comp_targetILNS1_3genE10ELNS1_11target_archE1200ELNS1_3gpuE4ELNS1_3repE0EEENS1_30default_config_static_selectorELNS0_4arch9wavefront6targetE0EEEvSW_.num_named_barrier, 0
	.set _ZN7rocprim17ROCPRIM_400000_NS6detail17trampoline_kernelINS0_14default_configENS1_29binary_search_config_selectorIyiEEZNS1_14transform_implILb0ES3_S5_N6thrust23THRUST_200600_302600_NS6detail15normal_iteratorINS8_7pointerIyNS8_11hip_rocprim5par_tENS8_11use_defaultESE_EEEENSA_INSB_IiSD_SE_SE_EEEEZNS1_13binary_searchIS3_S5_PySG_SI_NS1_16binary_search_opENS9_16wrapped_functionINS8_6system6detail7generic6detail18binary_search_lessEbEEEE10hipError_tPvRmT1_T2_T3_mmT4_T5_P12ihipStream_tbEUlRKyE_EEST_SX_SY_mSZ_S12_bEUlT_E_NS1_11comp_targetILNS1_3genE10ELNS1_11target_archE1200ELNS1_3gpuE4ELNS1_3repE0EEENS1_30default_config_static_selectorELNS0_4arch9wavefront6targetE0EEEvSW_.private_seg_size, 0
	.set _ZN7rocprim17ROCPRIM_400000_NS6detail17trampoline_kernelINS0_14default_configENS1_29binary_search_config_selectorIyiEEZNS1_14transform_implILb0ES3_S5_N6thrust23THRUST_200600_302600_NS6detail15normal_iteratorINS8_7pointerIyNS8_11hip_rocprim5par_tENS8_11use_defaultESE_EEEENSA_INSB_IiSD_SE_SE_EEEEZNS1_13binary_searchIS3_S5_PySG_SI_NS1_16binary_search_opENS9_16wrapped_functionINS8_6system6detail7generic6detail18binary_search_lessEbEEEE10hipError_tPvRmT1_T2_T3_mmT4_T5_P12ihipStream_tbEUlRKyE_EEST_SX_SY_mSZ_S12_bEUlT_E_NS1_11comp_targetILNS1_3genE10ELNS1_11target_archE1200ELNS1_3gpuE4ELNS1_3repE0EEENS1_30default_config_static_selectorELNS0_4arch9wavefront6targetE0EEEvSW_.uses_vcc, 0
	.set _ZN7rocprim17ROCPRIM_400000_NS6detail17trampoline_kernelINS0_14default_configENS1_29binary_search_config_selectorIyiEEZNS1_14transform_implILb0ES3_S5_N6thrust23THRUST_200600_302600_NS6detail15normal_iteratorINS8_7pointerIyNS8_11hip_rocprim5par_tENS8_11use_defaultESE_EEEENSA_INSB_IiSD_SE_SE_EEEEZNS1_13binary_searchIS3_S5_PySG_SI_NS1_16binary_search_opENS9_16wrapped_functionINS8_6system6detail7generic6detail18binary_search_lessEbEEEE10hipError_tPvRmT1_T2_T3_mmT4_T5_P12ihipStream_tbEUlRKyE_EEST_SX_SY_mSZ_S12_bEUlT_E_NS1_11comp_targetILNS1_3genE10ELNS1_11target_archE1200ELNS1_3gpuE4ELNS1_3repE0EEENS1_30default_config_static_selectorELNS0_4arch9wavefront6targetE0EEEvSW_.uses_flat_scratch, 0
	.set _ZN7rocprim17ROCPRIM_400000_NS6detail17trampoline_kernelINS0_14default_configENS1_29binary_search_config_selectorIyiEEZNS1_14transform_implILb0ES3_S5_N6thrust23THRUST_200600_302600_NS6detail15normal_iteratorINS8_7pointerIyNS8_11hip_rocprim5par_tENS8_11use_defaultESE_EEEENSA_INSB_IiSD_SE_SE_EEEEZNS1_13binary_searchIS3_S5_PySG_SI_NS1_16binary_search_opENS9_16wrapped_functionINS8_6system6detail7generic6detail18binary_search_lessEbEEEE10hipError_tPvRmT1_T2_T3_mmT4_T5_P12ihipStream_tbEUlRKyE_EEST_SX_SY_mSZ_S12_bEUlT_E_NS1_11comp_targetILNS1_3genE10ELNS1_11target_archE1200ELNS1_3gpuE4ELNS1_3repE0EEENS1_30default_config_static_selectorELNS0_4arch9wavefront6targetE0EEEvSW_.has_dyn_sized_stack, 0
	.set _ZN7rocprim17ROCPRIM_400000_NS6detail17trampoline_kernelINS0_14default_configENS1_29binary_search_config_selectorIyiEEZNS1_14transform_implILb0ES3_S5_N6thrust23THRUST_200600_302600_NS6detail15normal_iteratorINS8_7pointerIyNS8_11hip_rocprim5par_tENS8_11use_defaultESE_EEEENSA_INSB_IiSD_SE_SE_EEEEZNS1_13binary_searchIS3_S5_PySG_SI_NS1_16binary_search_opENS9_16wrapped_functionINS8_6system6detail7generic6detail18binary_search_lessEbEEEE10hipError_tPvRmT1_T2_T3_mmT4_T5_P12ihipStream_tbEUlRKyE_EEST_SX_SY_mSZ_S12_bEUlT_E_NS1_11comp_targetILNS1_3genE10ELNS1_11target_archE1200ELNS1_3gpuE4ELNS1_3repE0EEENS1_30default_config_static_selectorELNS0_4arch9wavefront6targetE0EEEvSW_.has_recursion, 0
	.set _ZN7rocprim17ROCPRIM_400000_NS6detail17trampoline_kernelINS0_14default_configENS1_29binary_search_config_selectorIyiEEZNS1_14transform_implILb0ES3_S5_N6thrust23THRUST_200600_302600_NS6detail15normal_iteratorINS8_7pointerIyNS8_11hip_rocprim5par_tENS8_11use_defaultESE_EEEENSA_INSB_IiSD_SE_SE_EEEEZNS1_13binary_searchIS3_S5_PySG_SI_NS1_16binary_search_opENS9_16wrapped_functionINS8_6system6detail7generic6detail18binary_search_lessEbEEEE10hipError_tPvRmT1_T2_T3_mmT4_T5_P12ihipStream_tbEUlRKyE_EEST_SX_SY_mSZ_S12_bEUlT_E_NS1_11comp_targetILNS1_3genE10ELNS1_11target_archE1200ELNS1_3gpuE4ELNS1_3repE0EEENS1_30default_config_static_selectorELNS0_4arch9wavefront6targetE0EEEvSW_.has_indirect_call, 0
	.section	.AMDGPU.csdata,"",@progbits
; Kernel info:
; codeLenInByte = 0
; TotalNumSgprs: 0
; NumVgprs: 0
; ScratchSize: 0
; MemoryBound: 0
; FloatMode: 240
; IeeeMode: 1
; LDSByteSize: 0 bytes/workgroup (compile time only)
; SGPRBlocks: 0
; VGPRBlocks: 0
; NumSGPRsForWavesPerEU: 1
; NumVGPRsForWavesPerEU: 1
; Occupancy: 16
; WaveLimiterHint : 0
; COMPUTE_PGM_RSRC2:SCRATCH_EN: 0
; COMPUTE_PGM_RSRC2:USER_SGPR: 6
; COMPUTE_PGM_RSRC2:TRAP_HANDLER: 0
; COMPUTE_PGM_RSRC2:TGID_X_EN: 1
; COMPUTE_PGM_RSRC2:TGID_Y_EN: 0
; COMPUTE_PGM_RSRC2:TGID_Z_EN: 0
; COMPUTE_PGM_RSRC2:TIDIG_COMP_CNT: 0
	.section	.text._ZN7rocprim17ROCPRIM_400000_NS6detail17trampoline_kernelINS0_14default_configENS1_29binary_search_config_selectorIyiEEZNS1_14transform_implILb0ES3_S5_N6thrust23THRUST_200600_302600_NS6detail15normal_iteratorINS8_7pointerIyNS8_11hip_rocprim5par_tENS8_11use_defaultESE_EEEENSA_INSB_IiSD_SE_SE_EEEEZNS1_13binary_searchIS3_S5_PySG_SI_NS1_16binary_search_opENS9_16wrapped_functionINS8_6system6detail7generic6detail18binary_search_lessEbEEEE10hipError_tPvRmT1_T2_T3_mmT4_T5_P12ihipStream_tbEUlRKyE_EEST_SX_SY_mSZ_S12_bEUlT_E_NS1_11comp_targetILNS1_3genE9ELNS1_11target_archE1100ELNS1_3gpuE3ELNS1_3repE0EEENS1_30default_config_static_selectorELNS0_4arch9wavefront6targetE0EEEvSW_,"axG",@progbits,_ZN7rocprim17ROCPRIM_400000_NS6detail17trampoline_kernelINS0_14default_configENS1_29binary_search_config_selectorIyiEEZNS1_14transform_implILb0ES3_S5_N6thrust23THRUST_200600_302600_NS6detail15normal_iteratorINS8_7pointerIyNS8_11hip_rocprim5par_tENS8_11use_defaultESE_EEEENSA_INSB_IiSD_SE_SE_EEEEZNS1_13binary_searchIS3_S5_PySG_SI_NS1_16binary_search_opENS9_16wrapped_functionINS8_6system6detail7generic6detail18binary_search_lessEbEEEE10hipError_tPvRmT1_T2_T3_mmT4_T5_P12ihipStream_tbEUlRKyE_EEST_SX_SY_mSZ_S12_bEUlT_E_NS1_11comp_targetILNS1_3genE9ELNS1_11target_archE1100ELNS1_3gpuE3ELNS1_3repE0EEENS1_30default_config_static_selectorELNS0_4arch9wavefront6targetE0EEEvSW_,comdat
	.protected	_ZN7rocprim17ROCPRIM_400000_NS6detail17trampoline_kernelINS0_14default_configENS1_29binary_search_config_selectorIyiEEZNS1_14transform_implILb0ES3_S5_N6thrust23THRUST_200600_302600_NS6detail15normal_iteratorINS8_7pointerIyNS8_11hip_rocprim5par_tENS8_11use_defaultESE_EEEENSA_INSB_IiSD_SE_SE_EEEEZNS1_13binary_searchIS3_S5_PySG_SI_NS1_16binary_search_opENS9_16wrapped_functionINS8_6system6detail7generic6detail18binary_search_lessEbEEEE10hipError_tPvRmT1_T2_T3_mmT4_T5_P12ihipStream_tbEUlRKyE_EEST_SX_SY_mSZ_S12_bEUlT_E_NS1_11comp_targetILNS1_3genE9ELNS1_11target_archE1100ELNS1_3gpuE3ELNS1_3repE0EEENS1_30default_config_static_selectorELNS0_4arch9wavefront6targetE0EEEvSW_ ; -- Begin function _ZN7rocprim17ROCPRIM_400000_NS6detail17trampoline_kernelINS0_14default_configENS1_29binary_search_config_selectorIyiEEZNS1_14transform_implILb0ES3_S5_N6thrust23THRUST_200600_302600_NS6detail15normal_iteratorINS8_7pointerIyNS8_11hip_rocprim5par_tENS8_11use_defaultESE_EEEENSA_INSB_IiSD_SE_SE_EEEEZNS1_13binary_searchIS3_S5_PySG_SI_NS1_16binary_search_opENS9_16wrapped_functionINS8_6system6detail7generic6detail18binary_search_lessEbEEEE10hipError_tPvRmT1_T2_T3_mmT4_T5_P12ihipStream_tbEUlRKyE_EEST_SX_SY_mSZ_S12_bEUlT_E_NS1_11comp_targetILNS1_3genE9ELNS1_11target_archE1100ELNS1_3gpuE3ELNS1_3repE0EEENS1_30default_config_static_selectorELNS0_4arch9wavefront6targetE0EEEvSW_
	.globl	_ZN7rocprim17ROCPRIM_400000_NS6detail17trampoline_kernelINS0_14default_configENS1_29binary_search_config_selectorIyiEEZNS1_14transform_implILb0ES3_S5_N6thrust23THRUST_200600_302600_NS6detail15normal_iteratorINS8_7pointerIyNS8_11hip_rocprim5par_tENS8_11use_defaultESE_EEEENSA_INSB_IiSD_SE_SE_EEEEZNS1_13binary_searchIS3_S5_PySG_SI_NS1_16binary_search_opENS9_16wrapped_functionINS8_6system6detail7generic6detail18binary_search_lessEbEEEE10hipError_tPvRmT1_T2_T3_mmT4_T5_P12ihipStream_tbEUlRKyE_EEST_SX_SY_mSZ_S12_bEUlT_E_NS1_11comp_targetILNS1_3genE9ELNS1_11target_archE1100ELNS1_3gpuE3ELNS1_3repE0EEENS1_30default_config_static_selectorELNS0_4arch9wavefront6targetE0EEEvSW_
	.p2align	8
	.type	_ZN7rocprim17ROCPRIM_400000_NS6detail17trampoline_kernelINS0_14default_configENS1_29binary_search_config_selectorIyiEEZNS1_14transform_implILb0ES3_S5_N6thrust23THRUST_200600_302600_NS6detail15normal_iteratorINS8_7pointerIyNS8_11hip_rocprim5par_tENS8_11use_defaultESE_EEEENSA_INSB_IiSD_SE_SE_EEEEZNS1_13binary_searchIS3_S5_PySG_SI_NS1_16binary_search_opENS9_16wrapped_functionINS8_6system6detail7generic6detail18binary_search_lessEbEEEE10hipError_tPvRmT1_T2_T3_mmT4_T5_P12ihipStream_tbEUlRKyE_EEST_SX_SY_mSZ_S12_bEUlT_E_NS1_11comp_targetILNS1_3genE9ELNS1_11target_archE1100ELNS1_3gpuE3ELNS1_3repE0EEENS1_30default_config_static_selectorELNS0_4arch9wavefront6targetE0EEEvSW_,@function
_ZN7rocprim17ROCPRIM_400000_NS6detail17trampoline_kernelINS0_14default_configENS1_29binary_search_config_selectorIyiEEZNS1_14transform_implILb0ES3_S5_N6thrust23THRUST_200600_302600_NS6detail15normal_iteratorINS8_7pointerIyNS8_11hip_rocprim5par_tENS8_11use_defaultESE_EEEENSA_INSB_IiSD_SE_SE_EEEEZNS1_13binary_searchIS3_S5_PySG_SI_NS1_16binary_search_opENS9_16wrapped_functionINS8_6system6detail7generic6detail18binary_search_lessEbEEEE10hipError_tPvRmT1_T2_T3_mmT4_T5_P12ihipStream_tbEUlRKyE_EEST_SX_SY_mSZ_S12_bEUlT_E_NS1_11comp_targetILNS1_3genE9ELNS1_11target_archE1100ELNS1_3gpuE3ELNS1_3repE0EEENS1_30default_config_static_selectorELNS0_4arch9wavefront6targetE0EEEvSW_: ; @_ZN7rocprim17ROCPRIM_400000_NS6detail17trampoline_kernelINS0_14default_configENS1_29binary_search_config_selectorIyiEEZNS1_14transform_implILb0ES3_S5_N6thrust23THRUST_200600_302600_NS6detail15normal_iteratorINS8_7pointerIyNS8_11hip_rocprim5par_tENS8_11use_defaultESE_EEEENSA_INSB_IiSD_SE_SE_EEEEZNS1_13binary_searchIS3_S5_PySG_SI_NS1_16binary_search_opENS9_16wrapped_functionINS8_6system6detail7generic6detail18binary_search_lessEbEEEE10hipError_tPvRmT1_T2_T3_mmT4_T5_P12ihipStream_tbEUlRKyE_EEST_SX_SY_mSZ_S12_bEUlT_E_NS1_11comp_targetILNS1_3genE9ELNS1_11target_archE1100ELNS1_3gpuE3ELNS1_3repE0EEENS1_30default_config_static_selectorELNS0_4arch9wavefront6targetE0EEEvSW_
; %bb.0:
	.section	.rodata,"a",@progbits
	.p2align	6, 0x0
	.amdhsa_kernel _ZN7rocprim17ROCPRIM_400000_NS6detail17trampoline_kernelINS0_14default_configENS1_29binary_search_config_selectorIyiEEZNS1_14transform_implILb0ES3_S5_N6thrust23THRUST_200600_302600_NS6detail15normal_iteratorINS8_7pointerIyNS8_11hip_rocprim5par_tENS8_11use_defaultESE_EEEENSA_INSB_IiSD_SE_SE_EEEEZNS1_13binary_searchIS3_S5_PySG_SI_NS1_16binary_search_opENS9_16wrapped_functionINS8_6system6detail7generic6detail18binary_search_lessEbEEEE10hipError_tPvRmT1_T2_T3_mmT4_T5_P12ihipStream_tbEUlRKyE_EEST_SX_SY_mSZ_S12_bEUlT_E_NS1_11comp_targetILNS1_3genE9ELNS1_11target_archE1100ELNS1_3gpuE3ELNS1_3repE0EEENS1_30default_config_static_selectorELNS0_4arch9wavefront6targetE0EEEvSW_
		.amdhsa_group_segment_fixed_size 0
		.amdhsa_private_segment_fixed_size 0
		.amdhsa_kernarg_size 56
		.amdhsa_user_sgpr_count 6
		.amdhsa_user_sgpr_private_segment_buffer 1
		.amdhsa_user_sgpr_dispatch_ptr 0
		.amdhsa_user_sgpr_queue_ptr 0
		.amdhsa_user_sgpr_kernarg_segment_ptr 1
		.amdhsa_user_sgpr_dispatch_id 0
		.amdhsa_user_sgpr_flat_scratch_init 0
		.amdhsa_user_sgpr_private_segment_size 0
		.amdhsa_wavefront_size32 1
		.amdhsa_uses_dynamic_stack 0
		.amdhsa_system_sgpr_private_segment_wavefront_offset 0
		.amdhsa_system_sgpr_workgroup_id_x 1
		.amdhsa_system_sgpr_workgroup_id_y 0
		.amdhsa_system_sgpr_workgroup_id_z 0
		.amdhsa_system_sgpr_workgroup_info 0
		.amdhsa_system_vgpr_workitem_id 0
		.amdhsa_next_free_vgpr 1
		.amdhsa_next_free_sgpr 1
		.amdhsa_reserve_vcc 0
		.amdhsa_reserve_flat_scratch 0
		.amdhsa_float_round_mode_32 0
		.amdhsa_float_round_mode_16_64 0
		.amdhsa_float_denorm_mode_32 3
		.amdhsa_float_denorm_mode_16_64 3
		.amdhsa_dx10_clamp 1
		.amdhsa_ieee_mode 1
		.amdhsa_fp16_overflow 0
		.amdhsa_workgroup_processor_mode 1
		.amdhsa_memory_ordered 1
		.amdhsa_forward_progress 1
		.amdhsa_shared_vgpr_count 0
		.amdhsa_exception_fp_ieee_invalid_op 0
		.amdhsa_exception_fp_denorm_src 0
		.amdhsa_exception_fp_ieee_div_zero 0
		.amdhsa_exception_fp_ieee_overflow 0
		.amdhsa_exception_fp_ieee_underflow 0
		.amdhsa_exception_fp_ieee_inexact 0
		.amdhsa_exception_int_div_zero 0
	.end_amdhsa_kernel
	.section	.text._ZN7rocprim17ROCPRIM_400000_NS6detail17trampoline_kernelINS0_14default_configENS1_29binary_search_config_selectorIyiEEZNS1_14transform_implILb0ES3_S5_N6thrust23THRUST_200600_302600_NS6detail15normal_iteratorINS8_7pointerIyNS8_11hip_rocprim5par_tENS8_11use_defaultESE_EEEENSA_INSB_IiSD_SE_SE_EEEEZNS1_13binary_searchIS3_S5_PySG_SI_NS1_16binary_search_opENS9_16wrapped_functionINS8_6system6detail7generic6detail18binary_search_lessEbEEEE10hipError_tPvRmT1_T2_T3_mmT4_T5_P12ihipStream_tbEUlRKyE_EEST_SX_SY_mSZ_S12_bEUlT_E_NS1_11comp_targetILNS1_3genE9ELNS1_11target_archE1100ELNS1_3gpuE3ELNS1_3repE0EEENS1_30default_config_static_selectorELNS0_4arch9wavefront6targetE0EEEvSW_,"axG",@progbits,_ZN7rocprim17ROCPRIM_400000_NS6detail17trampoline_kernelINS0_14default_configENS1_29binary_search_config_selectorIyiEEZNS1_14transform_implILb0ES3_S5_N6thrust23THRUST_200600_302600_NS6detail15normal_iteratorINS8_7pointerIyNS8_11hip_rocprim5par_tENS8_11use_defaultESE_EEEENSA_INSB_IiSD_SE_SE_EEEEZNS1_13binary_searchIS3_S5_PySG_SI_NS1_16binary_search_opENS9_16wrapped_functionINS8_6system6detail7generic6detail18binary_search_lessEbEEEE10hipError_tPvRmT1_T2_T3_mmT4_T5_P12ihipStream_tbEUlRKyE_EEST_SX_SY_mSZ_S12_bEUlT_E_NS1_11comp_targetILNS1_3genE9ELNS1_11target_archE1100ELNS1_3gpuE3ELNS1_3repE0EEENS1_30default_config_static_selectorELNS0_4arch9wavefront6targetE0EEEvSW_,comdat
.Lfunc_end270:
	.size	_ZN7rocprim17ROCPRIM_400000_NS6detail17trampoline_kernelINS0_14default_configENS1_29binary_search_config_selectorIyiEEZNS1_14transform_implILb0ES3_S5_N6thrust23THRUST_200600_302600_NS6detail15normal_iteratorINS8_7pointerIyNS8_11hip_rocprim5par_tENS8_11use_defaultESE_EEEENSA_INSB_IiSD_SE_SE_EEEEZNS1_13binary_searchIS3_S5_PySG_SI_NS1_16binary_search_opENS9_16wrapped_functionINS8_6system6detail7generic6detail18binary_search_lessEbEEEE10hipError_tPvRmT1_T2_T3_mmT4_T5_P12ihipStream_tbEUlRKyE_EEST_SX_SY_mSZ_S12_bEUlT_E_NS1_11comp_targetILNS1_3genE9ELNS1_11target_archE1100ELNS1_3gpuE3ELNS1_3repE0EEENS1_30default_config_static_selectorELNS0_4arch9wavefront6targetE0EEEvSW_, .Lfunc_end270-_ZN7rocprim17ROCPRIM_400000_NS6detail17trampoline_kernelINS0_14default_configENS1_29binary_search_config_selectorIyiEEZNS1_14transform_implILb0ES3_S5_N6thrust23THRUST_200600_302600_NS6detail15normal_iteratorINS8_7pointerIyNS8_11hip_rocprim5par_tENS8_11use_defaultESE_EEEENSA_INSB_IiSD_SE_SE_EEEEZNS1_13binary_searchIS3_S5_PySG_SI_NS1_16binary_search_opENS9_16wrapped_functionINS8_6system6detail7generic6detail18binary_search_lessEbEEEE10hipError_tPvRmT1_T2_T3_mmT4_T5_P12ihipStream_tbEUlRKyE_EEST_SX_SY_mSZ_S12_bEUlT_E_NS1_11comp_targetILNS1_3genE9ELNS1_11target_archE1100ELNS1_3gpuE3ELNS1_3repE0EEENS1_30default_config_static_selectorELNS0_4arch9wavefront6targetE0EEEvSW_
                                        ; -- End function
	.set _ZN7rocprim17ROCPRIM_400000_NS6detail17trampoline_kernelINS0_14default_configENS1_29binary_search_config_selectorIyiEEZNS1_14transform_implILb0ES3_S5_N6thrust23THRUST_200600_302600_NS6detail15normal_iteratorINS8_7pointerIyNS8_11hip_rocprim5par_tENS8_11use_defaultESE_EEEENSA_INSB_IiSD_SE_SE_EEEEZNS1_13binary_searchIS3_S5_PySG_SI_NS1_16binary_search_opENS9_16wrapped_functionINS8_6system6detail7generic6detail18binary_search_lessEbEEEE10hipError_tPvRmT1_T2_T3_mmT4_T5_P12ihipStream_tbEUlRKyE_EEST_SX_SY_mSZ_S12_bEUlT_E_NS1_11comp_targetILNS1_3genE9ELNS1_11target_archE1100ELNS1_3gpuE3ELNS1_3repE0EEENS1_30default_config_static_selectorELNS0_4arch9wavefront6targetE0EEEvSW_.num_vgpr, 0
	.set _ZN7rocprim17ROCPRIM_400000_NS6detail17trampoline_kernelINS0_14default_configENS1_29binary_search_config_selectorIyiEEZNS1_14transform_implILb0ES3_S5_N6thrust23THRUST_200600_302600_NS6detail15normal_iteratorINS8_7pointerIyNS8_11hip_rocprim5par_tENS8_11use_defaultESE_EEEENSA_INSB_IiSD_SE_SE_EEEEZNS1_13binary_searchIS3_S5_PySG_SI_NS1_16binary_search_opENS9_16wrapped_functionINS8_6system6detail7generic6detail18binary_search_lessEbEEEE10hipError_tPvRmT1_T2_T3_mmT4_T5_P12ihipStream_tbEUlRKyE_EEST_SX_SY_mSZ_S12_bEUlT_E_NS1_11comp_targetILNS1_3genE9ELNS1_11target_archE1100ELNS1_3gpuE3ELNS1_3repE0EEENS1_30default_config_static_selectorELNS0_4arch9wavefront6targetE0EEEvSW_.num_agpr, 0
	.set _ZN7rocprim17ROCPRIM_400000_NS6detail17trampoline_kernelINS0_14default_configENS1_29binary_search_config_selectorIyiEEZNS1_14transform_implILb0ES3_S5_N6thrust23THRUST_200600_302600_NS6detail15normal_iteratorINS8_7pointerIyNS8_11hip_rocprim5par_tENS8_11use_defaultESE_EEEENSA_INSB_IiSD_SE_SE_EEEEZNS1_13binary_searchIS3_S5_PySG_SI_NS1_16binary_search_opENS9_16wrapped_functionINS8_6system6detail7generic6detail18binary_search_lessEbEEEE10hipError_tPvRmT1_T2_T3_mmT4_T5_P12ihipStream_tbEUlRKyE_EEST_SX_SY_mSZ_S12_bEUlT_E_NS1_11comp_targetILNS1_3genE9ELNS1_11target_archE1100ELNS1_3gpuE3ELNS1_3repE0EEENS1_30default_config_static_selectorELNS0_4arch9wavefront6targetE0EEEvSW_.numbered_sgpr, 0
	.set _ZN7rocprim17ROCPRIM_400000_NS6detail17trampoline_kernelINS0_14default_configENS1_29binary_search_config_selectorIyiEEZNS1_14transform_implILb0ES3_S5_N6thrust23THRUST_200600_302600_NS6detail15normal_iteratorINS8_7pointerIyNS8_11hip_rocprim5par_tENS8_11use_defaultESE_EEEENSA_INSB_IiSD_SE_SE_EEEEZNS1_13binary_searchIS3_S5_PySG_SI_NS1_16binary_search_opENS9_16wrapped_functionINS8_6system6detail7generic6detail18binary_search_lessEbEEEE10hipError_tPvRmT1_T2_T3_mmT4_T5_P12ihipStream_tbEUlRKyE_EEST_SX_SY_mSZ_S12_bEUlT_E_NS1_11comp_targetILNS1_3genE9ELNS1_11target_archE1100ELNS1_3gpuE3ELNS1_3repE0EEENS1_30default_config_static_selectorELNS0_4arch9wavefront6targetE0EEEvSW_.num_named_barrier, 0
	.set _ZN7rocprim17ROCPRIM_400000_NS6detail17trampoline_kernelINS0_14default_configENS1_29binary_search_config_selectorIyiEEZNS1_14transform_implILb0ES3_S5_N6thrust23THRUST_200600_302600_NS6detail15normal_iteratorINS8_7pointerIyNS8_11hip_rocprim5par_tENS8_11use_defaultESE_EEEENSA_INSB_IiSD_SE_SE_EEEEZNS1_13binary_searchIS3_S5_PySG_SI_NS1_16binary_search_opENS9_16wrapped_functionINS8_6system6detail7generic6detail18binary_search_lessEbEEEE10hipError_tPvRmT1_T2_T3_mmT4_T5_P12ihipStream_tbEUlRKyE_EEST_SX_SY_mSZ_S12_bEUlT_E_NS1_11comp_targetILNS1_3genE9ELNS1_11target_archE1100ELNS1_3gpuE3ELNS1_3repE0EEENS1_30default_config_static_selectorELNS0_4arch9wavefront6targetE0EEEvSW_.private_seg_size, 0
	.set _ZN7rocprim17ROCPRIM_400000_NS6detail17trampoline_kernelINS0_14default_configENS1_29binary_search_config_selectorIyiEEZNS1_14transform_implILb0ES3_S5_N6thrust23THRUST_200600_302600_NS6detail15normal_iteratorINS8_7pointerIyNS8_11hip_rocprim5par_tENS8_11use_defaultESE_EEEENSA_INSB_IiSD_SE_SE_EEEEZNS1_13binary_searchIS3_S5_PySG_SI_NS1_16binary_search_opENS9_16wrapped_functionINS8_6system6detail7generic6detail18binary_search_lessEbEEEE10hipError_tPvRmT1_T2_T3_mmT4_T5_P12ihipStream_tbEUlRKyE_EEST_SX_SY_mSZ_S12_bEUlT_E_NS1_11comp_targetILNS1_3genE9ELNS1_11target_archE1100ELNS1_3gpuE3ELNS1_3repE0EEENS1_30default_config_static_selectorELNS0_4arch9wavefront6targetE0EEEvSW_.uses_vcc, 0
	.set _ZN7rocprim17ROCPRIM_400000_NS6detail17trampoline_kernelINS0_14default_configENS1_29binary_search_config_selectorIyiEEZNS1_14transform_implILb0ES3_S5_N6thrust23THRUST_200600_302600_NS6detail15normal_iteratorINS8_7pointerIyNS8_11hip_rocprim5par_tENS8_11use_defaultESE_EEEENSA_INSB_IiSD_SE_SE_EEEEZNS1_13binary_searchIS3_S5_PySG_SI_NS1_16binary_search_opENS9_16wrapped_functionINS8_6system6detail7generic6detail18binary_search_lessEbEEEE10hipError_tPvRmT1_T2_T3_mmT4_T5_P12ihipStream_tbEUlRKyE_EEST_SX_SY_mSZ_S12_bEUlT_E_NS1_11comp_targetILNS1_3genE9ELNS1_11target_archE1100ELNS1_3gpuE3ELNS1_3repE0EEENS1_30default_config_static_selectorELNS0_4arch9wavefront6targetE0EEEvSW_.uses_flat_scratch, 0
	.set _ZN7rocprim17ROCPRIM_400000_NS6detail17trampoline_kernelINS0_14default_configENS1_29binary_search_config_selectorIyiEEZNS1_14transform_implILb0ES3_S5_N6thrust23THRUST_200600_302600_NS6detail15normal_iteratorINS8_7pointerIyNS8_11hip_rocprim5par_tENS8_11use_defaultESE_EEEENSA_INSB_IiSD_SE_SE_EEEEZNS1_13binary_searchIS3_S5_PySG_SI_NS1_16binary_search_opENS9_16wrapped_functionINS8_6system6detail7generic6detail18binary_search_lessEbEEEE10hipError_tPvRmT1_T2_T3_mmT4_T5_P12ihipStream_tbEUlRKyE_EEST_SX_SY_mSZ_S12_bEUlT_E_NS1_11comp_targetILNS1_3genE9ELNS1_11target_archE1100ELNS1_3gpuE3ELNS1_3repE0EEENS1_30default_config_static_selectorELNS0_4arch9wavefront6targetE0EEEvSW_.has_dyn_sized_stack, 0
	.set _ZN7rocprim17ROCPRIM_400000_NS6detail17trampoline_kernelINS0_14default_configENS1_29binary_search_config_selectorIyiEEZNS1_14transform_implILb0ES3_S5_N6thrust23THRUST_200600_302600_NS6detail15normal_iteratorINS8_7pointerIyNS8_11hip_rocprim5par_tENS8_11use_defaultESE_EEEENSA_INSB_IiSD_SE_SE_EEEEZNS1_13binary_searchIS3_S5_PySG_SI_NS1_16binary_search_opENS9_16wrapped_functionINS8_6system6detail7generic6detail18binary_search_lessEbEEEE10hipError_tPvRmT1_T2_T3_mmT4_T5_P12ihipStream_tbEUlRKyE_EEST_SX_SY_mSZ_S12_bEUlT_E_NS1_11comp_targetILNS1_3genE9ELNS1_11target_archE1100ELNS1_3gpuE3ELNS1_3repE0EEENS1_30default_config_static_selectorELNS0_4arch9wavefront6targetE0EEEvSW_.has_recursion, 0
	.set _ZN7rocprim17ROCPRIM_400000_NS6detail17trampoline_kernelINS0_14default_configENS1_29binary_search_config_selectorIyiEEZNS1_14transform_implILb0ES3_S5_N6thrust23THRUST_200600_302600_NS6detail15normal_iteratorINS8_7pointerIyNS8_11hip_rocprim5par_tENS8_11use_defaultESE_EEEENSA_INSB_IiSD_SE_SE_EEEEZNS1_13binary_searchIS3_S5_PySG_SI_NS1_16binary_search_opENS9_16wrapped_functionINS8_6system6detail7generic6detail18binary_search_lessEbEEEE10hipError_tPvRmT1_T2_T3_mmT4_T5_P12ihipStream_tbEUlRKyE_EEST_SX_SY_mSZ_S12_bEUlT_E_NS1_11comp_targetILNS1_3genE9ELNS1_11target_archE1100ELNS1_3gpuE3ELNS1_3repE0EEENS1_30default_config_static_selectorELNS0_4arch9wavefront6targetE0EEEvSW_.has_indirect_call, 0
	.section	.AMDGPU.csdata,"",@progbits
; Kernel info:
; codeLenInByte = 0
; TotalNumSgprs: 0
; NumVgprs: 0
; ScratchSize: 0
; MemoryBound: 0
; FloatMode: 240
; IeeeMode: 1
; LDSByteSize: 0 bytes/workgroup (compile time only)
; SGPRBlocks: 0
; VGPRBlocks: 0
; NumSGPRsForWavesPerEU: 1
; NumVGPRsForWavesPerEU: 1
; Occupancy: 16
; WaveLimiterHint : 0
; COMPUTE_PGM_RSRC2:SCRATCH_EN: 0
; COMPUTE_PGM_RSRC2:USER_SGPR: 6
; COMPUTE_PGM_RSRC2:TRAP_HANDLER: 0
; COMPUTE_PGM_RSRC2:TGID_X_EN: 1
; COMPUTE_PGM_RSRC2:TGID_Y_EN: 0
; COMPUTE_PGM_RSRC2:TGID_Z_EN: 0
; COMPUTE_PGM_RSRC2:TIDIG_COMP_CNT: 0
	.section	.text._ZN7rocprim17ROCPRIM_400000_NS6detail17trampoline_kernelINS0_14default_configENS1_29binary_search_config_selectorIyiEEZNS1_14transform_implILb0ES3_S5_N6thrust23THRUST_200600_302600_NS6detail15normal_iteratorINS8_7pointerIyNS8_11hip_rocprim5par_tENS8_11use_defaultESE_EEEENSA_INSB_IiSD_SE_SE_EEEEZNS1_13binary_searchIS3_S5_PySG_SI_NS1_16binary_search_opENS9_16wrapped_functionINS8_6system6detail7generic6detail18binary_search_lessEbEEEE10hipError_tPvRmT1_T2_T3_mmT4_T5_P12ihipStream_tbEUlRKyE_EEST_SX_SY_mSZ_S12_bEUlT_E_NS1_11comp_targetILNS1_3genE8ELNS1_11target_archE1030ELNS1_3gpuE2ELNS1_3repE0EEENS1_30default_config_static_selectorELNS0_4arch9wavefront6targetE0EEEvSW_,"axG",@progbits,_ZN7rocprim17ROCPRIM_400000_NS6detail17trampoline_kernelINS0_14default_configENS1_29binary_search_config_selectorIyiEEZNS1_14transform_implILb0ES3_S5_N6thrust23THRUST_200600_302600_NS6detail15normal_iteratorINS8_7pointerIyNS8_11hip_rocprim5par_tENS8_11use_defaultESE_EEEENSA_INSB_IiSD_SE_SE_EEEEZNS1_13binary_searchIS3_S5_PySG_SI_NS1_16binary_search_opENS9_16wrapped_functionINS8_6system6detail7generic6detail18binary_search_lessEbEEEE10hipError_tPvRmT1_T2_T3_mmT4_T5_P12ihipStream_tbEUlRKyE_EEST_SX_SY_mSZ_S12_bEUlT_E_NS1_11comp_targetILNS1_3genE8ELNS1_11target_archE1030ELNS1_3gpuE2ELNS1_3repE0EEENS1_30default_config_static_selectorELNS0_4arch9wavefront6targetE0EEEvSW_,comdat
	.protected	_ZN7rocprim17ROCPRIM_400000_NS6detail17trampoline_kernelINS0_14default_configENS1_29binary_search_config_selectorIyiEEZNS1_14transform_implILb0ES3_S5_N6thrust23THRUST_200600_302600_NS6detail15normal_iteratorINS8_7pointerIyNS8_11hip_rocprim5par_tENS8_11use_defaultESE_EEEENSA_INSB_IiSD_SE_SE_EEEEZNS1_13binary_searchIS3_S5_PySG_SI_NS1_16binary_search_opENS9_16wrapped_functionINS8_6system6detail7generic6detail18binary_search_lessEbEEEE10hipError_tPvRmT1_T2_T3_mmT4_T5_P12ihipStream_tbEUlRKyE_EEST_SX_SY_mSZ_S12_bEUlT_E_NS1_11comp_targetILNS1_3genE8ELNS1_11target_archE1030ELNS1_3gpuE2ELNS1_3repE0EEENS1_30default_config_static_selectorELNS0_4arch9wavefront6targetE0EEEvSW_ ; -- Begin function _ZN7rocprim17ROCPRIM_400000_NS6detail17trampoline_kernelINS0_14default_configENS1_29binary_search_config_selectorIyiEEZNS1_14transform_implILb0ES3_S5_N6thrust23THRUST_200600_302600_NS6detail15normal_iteratorINS8_7pointerIyNS8_11hip_rocprim5par_tENS8_11use_defaultESE_EEEENSA_INSB_IiSD_SE_SE_EEEEZNS1_13binary_searchIS3_S5_PySG_SI_NS1_16binary_search_opENS9_16wrapped_functionINS8_6system6detail7generic6detail18binary_search_lessEbEEEE10hipError_tPvRmT1_T2_T3_mmT4_T5_P12ihipStream_tbEUlRKyE_EEST_SX_SY_mSZ_S12_bEUlT_E_NS1_11comp_targetILNS1_3genE8ELNS1_11target_archE1030ELNS1_3gpuE2ELNS1_3repE0EEENS1_30default_config_static_selectorELNS0_4arch9wavefront6targetE0EEEvSW_
	.globl	_ZN7rocprim17ROCPRIM_400000_NS6detail17trampoline_kernelINS0_14default_configENS1_29binary_search_config_selectorIyiEEZNS1_14transform_implILb0ES3_S5_N6thrust23THRUST_200600_302600_NS6detail15normal_iteratorINS8_7pointerIyNS8_11hip_rocprim5par_tENS8_11use_defaultESE_EEEENSA_INSB_IiSD_SE_SE_EEEEZNS1_13binary_searchIS3_S5_PySG_SI_NS1_16binary_search_opENS9_16wrapped_functionINS8_6system6detail7generic6detail18binary_search_lessEbEEEE10hipError_tPvRmT1_T2_T3_mmT4_T5_P12ihipStream_tbEUlRKyE_EEST_SX_SY_mSZ_S12_bEUlT_E_NS1_11comp_targetILNS1_3genE8ELNS1_11target_archE1030ELNS1_3gpuE2ELNS1_3repE0EEENS1_30default_config_static_selectorELNS0_4arch9wavefront6targetE0EEEvSW_
	.p2align	8
	.type	_ZN7rocprim17ROCPRIM_400000_NS6detail17trampoline_kernelINS0_14default_configENS1_29binary_search_config_selectorIyiEEZNS1_14transform_implILb0ES3_S5_N6thrust23THRUST_200600_302600_NS6detail15normal_iteratorINS8_7pointerIyNS8_11hip_rocprim5par_tENS8_11use_defaultESE_EEEENSA_INSB_IiSD_SE_SE_EEEEZNS1_13binary_searchIS3_S5_PySG_SI_NS1_16binary_search_opENS9_16wrapped_functionINS8_6system6detail7generic6detail18binary_search_lessEbEEEE10hipError_tPvRmT1_T2_T3_mmT4_T5_P12ihipStream_tbEUlRKyE_EEST_SX_SY_mSZ_S12_bEUlT_E_NS1_11comp_targetILNS1_3genE8ELNS1_11target_archE1030ELNS1_3gpuE2ELNS1_3repE0EEENS1_30default_config_static_selectorELNS0_4arch9wavefront6targetE0EEEvSW_,@function
_ZN7rocprim17ROCPRIM_400000_NS6detail17trampoline_kernelINS0_14default_configENS1_29binary_search_config_selectorIyiEEZNS1_14transform_implILb0ES3_S5_N6thrust23THRUST_200600_302600_NS6detail15normal_iteratorINS8_7pointerIyNS8_11hip_rocprim5par_tENS8_11use_defaultESE_EEEENSA_INSB_IiSD_SE_SE_EEEEZNS1_13binary_searchIS3_S5_PySG_SI_NS1_16binary_search_opENS9_16wrapped_functionINS8_6system6detail7generic6detail18binary_search_lessEbEEEE10hipError_tPvRmT1_T2_T3_mmT4_T5_P12ihipStream_tbEUlRKyE_EEST_SX_SY_mSZ_S12_bEUlT_E_NS1_11comp_targetILNS1_3genE8ELNS1_11target_archE1030ELNS1_3gpuE2ELNS1_3repE0EEENS1_30default_config_static_selectorELNS0_4arch9wavefront6targetE0EEEvSW_: ; @_ZN7rocprim17ROCPRIM_400000_NS6detail17trampoline_kernelINS0_14default_configENS1_29binary_search_config_selectorIyiEEZNS1_14transform_implILb0ES3_S5_N6thrust23THRUST_200600_302600_NS6detail15normal_iteratorINS8_7pointerIyNS8_11hip_rocprim5par_tENS8_11use_defaultESE_EEEENSA_INSB_IiSD_SE_SE_EEEEZNS1_13binary_searchIS3_S5_PySG_SI_NS1_16binary_search_opENS9_16wrapped_functionINS8_6system6detail7generic6detail18binary_search_lessEbEEEE10hipError_tPvRmT1_T2_T3_mmT4_T5_P12ihipStream_tbEUlRKyE_EEST_SX_SY_mSZ_S12_bEUlT_E_NS1_11comp_targetILNS1_3genE8ELNS1_11target_archE1030ELNS1_3gpuE2ELNS1_3repE0EEENS1_30default_config_static_selectorELNS0_4arch9wavefront6targetE0EEEvSW_
; %bb.0:
	s_clause 0x3
	s_load_dwordx4 s[0:3], s[4:5], 0x0
	s_load_dword s12, s[4:5], 0x38
	s_load_dwordx2 s[14:15], s[4:5], 0x28
	s_load_dwordx4 s[8:11], s[4:5], 0x18
	s_mov_b32 s13, 0
	s_mov_b32 s17, -1
                                        ; kill: def $vgpr0 killed $vgpr0 def $vgpr1
                                        ; implicit-def: $vgpr2_vgpr3
                                        ; implicit-def: $vgpr4_vgpr5
	s_waitcnt lgkmcnt(0)
	s_lshl_b64 s[18:19], s[2:3], 3
	s_add_u32 s7, s0, s18
	s_addc_u32 s16, s1, s19
	s_add_i32 s0, s12, -1
	s_lshl_b32 s12, s6, 8
	s_cmp_lg_u32 s6, s0
	s_mov_b32 s6, s13
	s_mov_b32 s1, s13
	s_cbranch_scc1 .LBB271_5
; %bb.1:
	s_and_b32 vcc_lo, exec_lo, s17
	s_cbranch_vccnz .LBB271_10
.LBB271_2:
	v_mov_b32_e32 v6, 0
	s_and_saveexec_b32 s0, s6
	s_cbranch_execnz .LBB271_17
.LBB271_3:
	s_or_b32 exec_lo, exec_lo, s0
	s_and_saveexec_b32 s0, s1
	s_cbranch_execnz .LBB271_18
.LBB271_4:
	s_endpgm
.LBB271_5:
	v_lshlrev_b32_e32 v1, 3, v0
	s_lshl_b64 s[0:1], s[12:13], 3
	v_mov_b32_e32 v4, 0
	s_add_u32 s0, s7, s0
	s_addc_u32 s1, s16, s1
	v_add_co_u32 v1, s0, s0, v1
	v_add_co_ci_u32_e64 v2, null, s1, 0, s0
	v_mov_b32_e32 v5, 0
	s_cmp_eq_u64 s[14:15], 0
	flat_load_dwordx2 v[2:3], v[1:2]
	v_mov_b32_e32 v1, 0
	s_cbranch_scc1 .LBB271_9
; %bb.6:
	v_mov_b32_e32 v6, s14
	v_mov_b32_e32 v7, s15
	s_mov_b32 s1, 0
	s_inst_prefetch 0x1
	.p2align	6
.LBB271_7:                              ; =>This Inner Loop Header: Depth=1
	v_sub_co_u32 v8, vcc_lo, v6, v4
	v_sub_co_ci_u32_e64 v9, null, v7, v5, vcc_lo
	v_lshrrev_b64 v[10:11], 1, v[8:9]
	v_lshrrev_b64 v[8:9], 6, v[8:9]
	v_add_co_u32 v10, vcc_lo, v10, v4
	v_add_co_ci_u32_e64 v11, null, v11, v5, vcc_lo
	v_add_co_u32 v8, vcc_lo, v10, v8
	v_add_co_ci_u32_e64 v9, null, v11, v9, vcc_lo
	v_lshlrev_b64 v[10:11], 3, v[8:9]
	v_add_co_u32 v10, vcc_lo, s10, v10
	v_add_co_ci_u32_e64 v11, null, s11, v11, vcc_lo
	v_add_co_u32 v12, vcc_lo, v8, 1
	global_load_dwordx2 v[10:11], v[10:11], off
	s_waitcnt vmcnt(0) lgkmcnt(0)
	v_cmp_lt_u64_e64 s0, v[10:11], v[2:3]
	v_add_co_ci_u32_e64 v10, null, 0, v9, vcc_lo
	v_cndmask_b32_e64 v7, v9, v7, s0
	v_cndmask_b32_e64 v6, v8, v6, s0
	;; [unrolled: 1-line block ×4, first 2 shown]
	v_cmp_ge_u64_e32 vcc_lo, v[4:5], v[6:7]
	s_or_b32 s1, vcc_lo, s1
	s_andn2_b32 exec_lo, exec_lo, s1
	s_cbranch_execnz .LBB271_7
; %bb.8:
	s_inst_prefetch 0x2
	s_or_b32 exec_lo, exec_lo, s1
.LBB271_9:
	v_cmp_eq_u64_e64 s1, s[14:15], v[4:5]
	v_cmp_ne_u64_e64 s6, s[14:15], v[4:5]
	s_branch .LBB271_2
.LBB271_10:
	s_load_dword s0, s[4:5], 0x10
	s_mov_b32 s4, exec_lo
                                        ; implicit-def: $vgpr2_vgpr3
                                        ; implicit-def: $vgpr4_vgpr5
	s_waitcnt lgkmcnt(0)
	s_sub_i32 s0, s0, s12
	v_cmpx_gt_u32_e64 s0, v0
	s_cbranch_execz .LBB271_16
; %bb.11:
	v_lshlrev_b32_e32 v1, 3, v0
	s_lshl_b64 s[18:19], s[12:13], 3
	v_mov_b32_e32 v4, 0
	s_add_u32 s0, s7, s18
	s_addc_u32 s5, s16, s19
	v_add_co_u32 v1, s0, s0, v1
	s_waitcnt vmcnt(0)
	v_add_co_ci_u32_e64 v2, null, s5, 0, s0
	v_mov_b32_e32 v5, 0
	s_cmp_eq_u64 s[14:15], 0
	flat_load_dwordx2 v[2:3], v[1:2]
	v_mov_b32_e32 v1, 0
	s_cbranch_scc1 .LBB271_15
; %bb.12:
	v_mov_b32_e32 v6, s14
	v_mov_b32_e32 v7, s15
	s_mov_b32 s5, 0
	s_inst_prefetch 0x1
	.p2align	6
.LBB271_13:                             ; =>This Inner Loop Header: Depth=1
	v_sub_co_u32 v8, vcc_lo, v6, v4
	v_sub_co_ci_u32_e64 v9, null, v7, v5, vcc_lo
	v_lshrrev_b64 v[10:11], 1, v[8:9]
	v_lshrrev_b64 v[8:9], 6, v[8:9]
	v_add_co_u32 v10, vcc_lo, v10, v4
	v_add_co_ci_u32_e64 v11, null, v11, v5, vcc_lo
	v_add_co_u32 v8, vcc_lo, v10, v8
	v_add_co_ci_u32_e64 v9, null, v11, v9, vcc_lo
	v_lshlrev_b64 v[10:11], 3, v[8:9]
	v_add_co_u32 v10, vcc_lo, s10, v10
	v_add_co_ci_u32_e64 v11, null, s11, v11, vcc_lo
	v_add_co_u32 v12, vcc_lo, v8, 1
	global_load_dwordx2 v[10:11], v[10:11], off
	s_waitcnt vmcnt(0) lgkmcnt(0)
	v_cmp_lt_u64_e64 s0, v[10:11], v[2:3]
	v_add_co_ci_u32_e64 v10, null, 0, v9, vcc_lo
	v_cndmask_b32_e64 v7, v9, v7, s0
	v_cndmask_b32_e64 v6, v8, v6, s0
	;; [unrolled: 1-line block ×4, first 2 shown]
	v_cmp_ge_u64_e32 vcc_lo, v[4:5], v[6:7]
	s_or_b32 s5, vcc_lo, s5
	s_andn2_b32 exec_lo, exec_lo, s5
	s_cbranch_execnz .LBB271_13
; %bb.14:
	s_inst_prefetch 0x2
	s_or_b32 exec_lo, exec_lo, s5
.LBB271_15:
	v_cmp_eq_u64_e32 vcc_lo, s[14:15], v[4:5]
	v_cmp_ne_u64_e64 s0, s[14:15], v[4:5]
	s_andn2_b32 s1, s1, exec_lo
	s_andn2_b32 s5, s6, exec_lo
	s_and_b32 s6, vcc_lo, exec_lo
	s_and_b32 s0, s0, exec_lo
	s_or_b32 s1, s1, s6
	s_or_b32 s6, s5, s0
.LBB271_16:
	s_or_b32 exec_lo, exec_lo, s4
	v_mov_b32_e32 v6, 0
	s_and_saveexec_b32 s0, s6
	s_cbranch_execz .LBB271_3
.LBB271_17:
	v_lshlrev_b64 v[4:5], 3, v[4:5]
	s_or_b32 s1, s1, exec_lo
	v_add_co_u32 v4, vcc_lo, s10, v4
	v_add_co_ci_u32_e64 v5, null, s11, v5, vcc_lo
	global_load_dwordx2 v[4:5], v[4:5], off
	s_waitcnt vmcnt(0) lgkmcnt(0)
	v_cmp_ge_u64_e32 vcc_lo, v[2:3], v[4:5]
	v_cndmask_b32_e64 v6, 0, 1, vcc_lo
	s_or_b32 exec_lo, exec_lo, s0
	s_and_saveexec_b32 s0, s1
	s_cbranch_execz .LBB271_4
.LBB271_18:
	s_lshl_b64 s[0:1], s[2:3], 2
	v_lshlrev_b64 v[0:1], 2, v[0:1]
	s_add_u32 s2, s8, s0
	s_addc_u32 s3, s9, s1
	s_lshl_b64 s[0:1], s[12:13], 2
	s_add_u32 s0, s2, s0
	s_addc_u32 s1, s3, s1
	v_add_co_u32 v0, vcc_lo, s0, v0
	v_add_co_ci_u32_e64 v1, null, s1, v1, vcc_lo
	flat_store_dword v[0:1], v6
	s_endpgm
	.section	.rodata,"a",@progbits
	.p2align	6, 0x0
	.amdhsa_kernel _ZN7rocprim17ROCPRIM_400000_NS6detail17trampoline_kernelINS0_14default_configENS1_29binary_search_config_selectorIyiEEZNS1_14transform_implILb0ES3_S5_N6thrust23THRUST_200600_302600_NS6detail15normal_iteratorINS8_7pointerIyNS8_11hip_rocprim5par_tENS8_11use_defaultESE_EEEENSA_INSB_IiSD_SE_SE_EEEEZNS1_13binary_searchIS3_S5_PySG_SI_NS1_16binary_search_opENS9_16wrapped_functionINS8_6system6detail7generic6detail18binary_search_lessEbEEEE10hipError_tPvRmT1_T2_T3_mmT4_T5_P12ihipStream_tbEUlRKyE_EEST_SX_SY_mSZ_S12_bEUlT_E_NS1_11comp_targetILNS1_3genE8ELNS1_11target_archE1030ELNS1_3gpuE2ELNS1_3repE0EEENS1_30default_config_static_selectorELNS0_4arch9wavefront6targetE0EEEvSW_
		.amdhsa_group_segment_fixed_size 0
		.amdhsa_private_segment_fixed_size 0
		.amdhsa_kernarg_size 312
		.amdhsa_user_sgpr_count 6
		.amdhsa_user_sgpr_private_segment_buffer 1
		.amdhsa_user_sgpr_dispatch_ptr 0
		.amdhsa_user_sgpr_queue_ptr 0
		.amdhsa_user_sgpr_kernarg_segment_ptr 1
		.amdhsa_user_sgpr_dispatch_id 0
		.amdhsa_user_sgpr_flat_scratch_init 0
		.amdhsa_user_sgpr_private_segment_size 0
		.amdhsa_wavefront_size32 1
		.amdhsa_uses_dynamic_stack 0
		.amdhsa_system_sgpr_private_segment_wavefront_offset 0
		.amdhsa_system_sgpr_workgroup_id_x 1
		.amdhsa_system_sgpr_workgroup_id_y 0
		.amdhsa_system_sgpr_workgroup_id_z 0
		.amdhsa_system_sgpr_workgroup_info 0
		.amdhsa_system_vgpr_workitem_id 0
		.amdhsa_next_free_vgpr 13
		.amdhsa_next_free_sgpr 20
		.amdhsa_reserve_vcc 1
		.amdhsa_reserve_flat_scratch 0
		.amdhsa_float_round_mode_32 0
		.amdhsa_float_round_mode_16_64 0
		.amdhsa_float_denorm_mode_32 3
		.amdhsa_float_denorm_mode_16_64 3
		.amdhsa_dx10_clamp 1
		.amdhsa_ieee_mode 1
		.amdhsa_fp16_overflow 0
		.amdhsa_workgroup_processor_mode 1
		.amdhsa_memory_ordered 1
		.amdhsa_forward_progress 1
		.amdhsa_shared_vgpr_count 0
		.amdhsa_exception_fp_ieee_invalid_op 0
		.amdhsa_exception_fp_denorm_src 0
		.amdhsa_exception_fp_ieee_div_zero 0
		.amdhsa_exception_fp_ieee_overflow 0
		.amdhsa_exception_fp_ieee_underflow 0
		.amdhsa_exception_fp_ieee_inexact 0
		.amdhsa_exception_int_div_zero 0
	.end_amdhsa_kernel
	.section	.text._ZN7rocprim17ROCPRIM_400000_NS6detail17trampoline_kernelINS0_14default_configENS1_29binary_search_config_selectorIyiEEZNS1_14transform_implILb0ES3_S5_N6thrust23THRUST_200600_302600_NS6detail15normal_iteratorINS8_7pointerIyNS8_11hip_rocprim5par_tENS8_11use_defaultESE_EEEENSA_INSB_IiSD_SE_SE_EEEEZNS1_13binary_searchIS3_S5_PySG_SI_NS1_16binary_search_opENS9_16wrapped_functionINS8_6system6detail7generic6detail18binary_search_lessEbEEEE10hipError_tPvRmT1_T2_T3_mmT4_T5_P12ihipStream_tbEUlRKyE_EEST_SX_SY_mSZ_S12_bEUlT_E_NS1_11comp_targetILNS1_3genE8ELNS1_11target_archE1030ELNS1_3gpuE2ELNS1_3repE0EEENS1_30default_config_static_selectorELNS0_4arch9wavefront6targetE0EEEvSW_,"axG",@progbits,_ZN7rocprim17ROCPRIM_400000_NS6detail17trampoline_kernelINS0_14default_configENS1_29binary_search_config_selectorIyiEEZNS1_14transform_implILb0ES3_S5_N6thrust23THRUST_200600_302600_NS6detail15normal_iteratorINS8_7pointerIyNS8_11hip_rocprim5par_tENS8_11use_defaultESE_EEEENSA_INSB_IiSD_SE_SE_EEEEZNS1_13binary_searchIS3_S5_PySG_SI_NS1_16binary_search_opENS9_16wrapped_functionINS8_6system6detail7generic6detail18binary_search_lessEbEEEE10hipError_tPvRmT1_T2_T3_mmT4_T5_P12ihipStream_tbEUlRKyE_EEST_SX_SY_mSZ_S12_bEUlT_E_NS1_11comp_targetILNS1_3genE8ELNS1_11target_archE1030ELNS1_3gpuE2ELNS1_3repE0EEENS1_30default_config_static_selectorELNS0_4arch9wavefront6targetE0EEEvSW_,comdat
.Lfunc_end271:
	.size	_ZN7rocprim17ROCPRIM_400000_NS6detail17trampoline_kernelINS0_14default_configENS1_29binary_search_config_selectorIyiEEZNS1_14transform_implILb0ES3_S5_N6thrust23THRUST_200600_302600_NS6detail15normal_iteratorINS8_7pointerIyNS8_11hip_rocprim5par_tENS8_11use_defaultESE_EEEENSA_INSB_IiSD_SE_SE_EEEEZNS1_13binary_searchIS3_S5_PySG_SI_NS1_16binary_search_opENS9_16wrapped_functionINS8_6system6detail7generic6detail18binary_search_lessEbEEEE10hipError_tPvRmT1_T2_T3_mmT4_T5_P12ihipStream_tbEUlRKyE_EEST_SX_SY_mSZ_S12_bEUlT_E_NS1_11comp_targetILNS1_3genE8ELNS1_11target_archE1030ELNS1_3gpuE2ELNS1_3repE0EEENS1_30default_config_static_selectorELNS0_4arch9wavefront6targetE0EEEvSW_, .Lfunc_end271-_ZN7rocprim17ROCPRIM_400000_NS6detail17trampoline_kernelINS0_14default_configENS1_29binary_search_config_selectorIyiEEZNS1_14transform_implILb0ES3_S5_N6thrust23THRUST_200600_302600_NS6detail15normal_iteratorINS8_7pointerIyNS8_11hip_rocprim5par_tENS8_11use_defaultESE_EEEENSA_INSB_IiSD_SE_SE_EEEEZNS1_13binary_searchIS3_S5_PySG_SI_NS1_16binary_search_opENS9_16wrapped_functionINS8_6system6detail7generic6detail18binary_search_lessEbEEEE10hipError_tPvRmT1_T2_T3_mmT4_T5_P12ihipStream_tbEUlRKyE_EEST_SX_SY_mSZ_S12_bEUlT_E_NS1_11comp_targetILNS1_3genE8ELNS1_11target_archE1030ELNS1_3gpuE2ELNS1_3repE0EEENS1_30default_config_static_selectorELNS0_4arch9wavefront6targetE0EEEvSW_
                                        ; -- End function
	.set _ZN7rocprim17ROCPRIM_400000_NS6detail17trampoline_kernelINS0_14default_configENS1_29binary_search_config_selectorIyiEEZNS1_14transform_implILb0ES3_S5_N6thrust23THRUST_200600_302600_NS6detail15normal_iteratorINS8_7pointerIyNS8_11hip_rocprim5par_tENS8_11use_defaultESE_EEEENSA_INSB_IiSD_SE_SE_EEEEZNS1_13binary_searchIS3_S5_PySG_SI_NS1_16binary_search_opENS9_16wrapped_functionINS8_6system6detail7generic6detail18binary_search_lessEbEEEE10hipError_tPvRmT1_T2_T3_mmT4_T5_P12ihipStream_tbEUlRKyE_EEST_SX_SY_mSZ_S12_bEUlT_E_NS1_11comp_targetILNS1_3genE8ELNS1_11target_archE1030ELNS1_3gpuE2ELNS1_3repE0EEENS1_30default_config_static_selectorELNS0_4arch9wavefront6targetE0EEEvSW_.num_vgpr, 13
	.set _ZN7rocprim17ROCPRIM_400000_NS6detail17trampoline_kernelINS0_14default_configENS1_29binary_search_config_selectorIyiEEZNS1_14transform_implILb0ES3_S5_N6thrust23THRUST_200600_302600_NS6detail15normal_iteratorINS8_7pointerIyNS8_11hip_rocprim5par_tENS8_11use_defaultESE_EEEENSA_INSB_IiSD_SE_SE_EEEEZNS1_13binary_searchIS3_S5_PySG_SI_NS1_16binary_search_opENS9_16wrapped_functionINS8_6system6detail7generic6detail18binary_search_lessEbEEEE10hipError_tPvRmT1_T2_T3_mmT4_T5_P12ihipStream_tbEUlRKyE_EEST_SX_SY_mSZ_S12_bEUlT_E_NS1_11comp_targetILNS1_3genE8ELNS1_11target_archE1030ELNS1_3gpuE2ELNS1_3repE0EEENS1_30default_config_static_selectorELNS0_4arch9wavefront6targetE0EEEvSW_.num_agpr, 0
	.set _ZN7rocprim17ROCPRIM_400000_NS6detail17trampoline_kernelINS0_14default_configENS1_29binary_search_config_selectorIyiEEZNS1_14transform_implILb0ES3_S5_N6thrust23THRUST_200600_302600_NS6detail15normal_iteratorINS8_7pointerIyNS8_11hip_rocprim5par_tENS8_11use_defaultESE_EEEENSA_INSB_IiSD_SE_SE_EEEEZNS1_13binary_searchIS3_S5_PySG_SI_NS1_16binary_search_opENS9_16wrapped_functionINS8_6system6detail7generic6detail18binary_search_lessEbEEEE10hipError_tPvRmT1_T2_T3_mmT4_T5_P12ihipStream_tbEUlRKyE_EEST_SX_SY_mSZ_S12_bEUlT_E_NS1_11comp_targetILNS1_3genE8ELNS1_11target_archE1030ELNS1_3gpuE2ELNS1_3repE0EEENS1_30default_config_static_selectorELNS0_4arch9wavefront6targetE0EEEvSW_.numbered_sgpr, 20
	.set _ZN7rocprim17ROCPRIM_400000_NS6detail17trampoline_kernelINS0_14default_configENS1_29binary_search_config_selectorIyiEEZNS1_14transform_implILb0ES3_S5_N6thrust23THRUST_200600_302600_NS6detail15normal_iteratorINS8_7pointerIyNS8_11hip_rocprim5par_tENS8_11use_defaultESE_EEEENSA_INSB_IiSD_SE_SE_EEEEZNS1_13binary_searchIS3_S5_PySG_SI_NS1_16binary_search_opENS9_16wrapped_functionINS8_6system6detail7generic6detail18binary_search_lessEbEEEE10hipError_tPvRmT1_T2_T3_mmT4_T5_P12ihipStream_tbEUlRKyE_EEST_SX_SY_mSZ_S12_bEUlT_E_NS1_11comp_targetILNS1_3genE8ELNS1_11target_archE1030ELNS1_3gpuE2ELNS1_3repE0EEENS1_30default_config_static_selectorELNS0_4arch9wavefront6targetE0EEEvSW_.num_named_barrier, 0
	.set _ZN7rocprim17ROCPRIM_400000_NS6detail17trampoline_kernelINS0_14default_configENS1_29binary_search_config_selectorIyiEEZNS1_14transform_implILb0ES3_S5_N6thrust23THRUST_200600_302600_NS6detail15normal_iteratorINS8_7pointerIyNS8_11hip_rocprim5par_tENS8_11use_defaultESE_EEEENSA_INSB_IiSD_SE_SE_EEEEZNS1_13binary_searchIS3_S5_PySG_SI_NS1_16binary_search_opENS9_16wrapped_functionINS8_6system6detail7generic6detail18binary_search_lessEbEEEE10hipError_tPvRmT1_T2_T3_mmT4_T5_P12ihipStream_tbEUlRKyE_EEST_SX_SY_mSZ_S12_bEUlT_E_NS1_11comp_targetILNS1_3genE8ELNS1_11target_archE1030ELNS1_3gpuE2ELNS1_3repE0EEENS1_30default_config_static_selectorELNS0_4arch9wavefront6targetE0EEEvSW_.private_seg_size, 0
	.set _ZN7rocprim17ROCPRIM_400000_NS6detail17trampoline_kernelINS0_14default_configENS1_29binary_search_config_selectorIyiEEZNS1_14transform_implILb0ES3_S5_N6thrust23THRUST_200600_302600_NS6detail15normal_iteratorINS8_7pointerIyNS8_11hip_rocprim5par_tENS8_11use_defaultESE_EEEENSA_INSB_IiSD_SE_SE_EEEEZNS1_13binary_searchIS3_S5_PySG_SI_NS1_16binary_search_opENS9_16wrapped_functionINS8_6system6detail7generic6detail18binary_search_lessEbEEEE10hipError_tPvRmT1_T2_T3_mmT4_T5_P12ihipStream_tbEUlRKyE_EEST_SX_SY_mSZ_S12_bEUlT_E_NS1_11comp_targetILNS1_3genE8ELNS1_11target_archE1030ELNS1_3gpuE2ELNS1_3repE0EEENS1_30default_config_static_selectorELNS0_4arch9wavefront6targetE0EEEvSW_.uses_vcc, 1
	.set _ZN7rocprim17ROCPRIM_400000_NS6detail17trampoline_kernelINS0_14default_configENS1_29binary_search_config_selectorIyiEEZNS1_14transform_implILb0ES3_S5_N6thrust23THRUST_200600_302600_NS6detail15normal_iteratorINS8_7pointerIyNS8_11hip_rocprim5par_tENS8_11use_defaultESE_EEEENSA_INSB_IiSD_SE_SE_EEEEZNS1_13binary_searchIS3_S5_PySG_SI_NS1_16binary_search_opENS9_16wrapped_functionINS8_6system6detail7generic6detail18binary_search_lessEbEEEE10hipError_tPvRmT1_T2_T3_mmT4_T5_P12ihipStream_tbEUlRKyE_EEST_SX_SY_mSZ_S12_bEUlT_E_NS1_11comp_targetILNS1_3genE8ELNS1_11target_archE1030ELNS1_3gpuE2ELNS1_3repE0EEENS1_30default_config_static_selectorELNS0_4arch9wavefront6targetE0EEEvSW_.uses_flat_scratch, 0
	.set _ZN7rocprim17ROCPRIM_400000_NS6detail17trampoline_kernelINS0_14default_configENS1_29binary_search_config_selectorIyiEEZNS1_14transform_implILb0ES3_S5_N6thrust23THRUST_200600_302600_NS6detail15normal_iteratorINS8_7pointerIyNS8_11hip_rocprim5par_tENS8_11use_defaultESE_EEEENSA_INSB_IiSD_SE_SE_EEEEZNS1_13binary_searchIS3_S5_PySG_SI_NS1_16binary_search_opENS9_16wrapped_functionINS8_6system6detail7generic6detail18binary_search_lessEbEEEE10hipError_tPvRmT1_T2_T3_mmT4_T5_P12ihipStream_tbEUlRKyE_EEST_SX_SY_mSZ_S12_bEUlT_E_NS1_11comp_targetILNS1_3genE8ELNS1_11target_archE1030ELNS1_3gpuE2ELNS1_3repE0EEENS1_30default_config_static_selectorELNS0_4arch9wavefront6targetE0EEEvSW_.has_dyn_sized_stack, 0
	.set _ZN7rocprim17ROCPRIM_400000_NS6detail17trampoline_kernelINS0_14default_configENS1_29binary_search_config_selectorIyiEEZNS1_14transform_implILb0ES3_S5_N6thrust23THRUST_200600_302600_NS6detail15normal_iteratorINS8_7pointerIyNS8_11hip_rocprim5par_tENS8_11use_defaultESE_EEEENSA_INSB_IiSD_SE_SE_EEEEZNS1_13binary_searchIS3_S5_PySG_SI_NS1_16binary_search_opENS9_16wrapped_functionINS8_6system6detail7generic6detail18binary_search_lessEbEEEE10hipError_tPvRmT1_T2_T3_mmT4_T5_P12ihipStream_tbEUlRKyE_EEST_SX_SY_mSZ_S12_bEUlT_E_NS1_11comp_targetILNS1_3genE8ELNS1_11target_archE1030ELNS1_3gpuE2ELNS1_3repE0EEENS1_30default_config_static_selectorELNS0_4arch9wavefront6targetE0EEEvSW_.has_recursion, 0
	.set _ZN7rocprim17ROCPRIM_400000_NS6detail17trampoline_kernelINS0_14default_configENS1_29binary_search_config_selectorIyiEEZNS1_14transform_implILb0ES3_S5_N6thrust23THRUST_200600_302600_NS6detail15normal_iteratorINS8_7pointerIyNS8_11hip_rocprim5par_tENS8_11use_defaultESE_EEEENSA_INSB_IiSD_SE_SE_EEEEZNS1_13binary_searchIS3_S5_PySG_SI_NS1_16binary_search_opENS9_16wrapped_functionINS8_6system6detail7generic6detail18binary_search_lessEbEEEE10hipError_tPvRmT1_T2_T3_mmT4_T5_P12ihipStream_tbEUlRKyE_EEST_SX_SY_mSZ_S12_bEUlT_E_NS1_11comp_targetILNS1_3genE8ELNS1_11target_archE1030ELNS1_3gpuE2ELNS1_3repE0EEENS1_30default_config_static_selectorELNS0_4arch9wavefront6targetE0EEEvSW_.has_indirect_call, 0
	.section	.AMDGPU.csdata,"",@progbits
; Kernel info:
; codeLenInByte = 932
; TotalNumSgprs: 22
; NumVgprs: 13
; ScratchSize: 0
; MemoryBound: 0
; FloatMode: 240
; IeeeMode: 1
; LDSByteSize: 0 bytes/workgroup (compile time only)
; SGPRBlocks: 0
; VGPRBlocks: 1
; NumSGPRsForWavesPerEU: 22
; NumVGPRsForWavesPerEU: 13
; Occupancy: 16
; WaveLimiterHint : 0
; COMPUTE_PGM_RSRC2:SCRATCH_EN: 0
; COMPUTE_PGM_RSRC2:USER_SGPR: 6
; COMPUTE_PGM_RSRC2:TRAP_HANDLER: 0
; COMPUTE_PGM_RSRC2:TGID_X_EN: 1
; COMPUTE_PGM_RSRC2:TGID_Y_EN: 0
; COMPUTE_PGM_RSRC2:TGID_Z_EN: 0
; COMPUTE_PGM_RSRC2:TIDIG_COMP_CNT: 0
	.section	.text._Z20binary_search_kernelIjEvmPT_Pb,"axG",@progbits,_Z20binary_search_kernelIjEvmPT_Pb,comdat
	.protected	_Z20binary_search_kernelIjEvmPT_Pb ; -- Begin function _Z20binary_search_kernelIjEvmPT_Pb
	.globl	_Z20binary_search_kernelIjEvmPT_Pb
	.p2align	8
	.type	_Z20binary_search_kernelIjEvmPT_Pb,@function
_Z20binary_search_kernelIjEvmPT_Pb:     ; @_Z20binary_search_kernelIjEvmPT_Pb
; %bb.0:
	s_clause 0x1
	s_load_dwordx4 s[0:3], s[4:5], 0x0
	s_load_dwordx2 s[4:5], s[4:5], 0x10
	s_mov_b64 s[10:11], 0
	s_waitcnt lgkmcnt(0)
	s_cmp_eq_u64 s[0:1], 0
	s_cbranch_scc1 .LBB272_2
; %bb.1:
	s_load_dword s6, s[2:3], 0x0
	s_waitcnt lgkmcnt(0)
	s_cmp_eq_u32 s6, 0
	s_cselect_b32 s12, -1, 0
	s_branch .LBB272_3
.LBB272_2:
	s_mov_b32 s12, 0
.LBB272_3:
	s_lshl_b64 s[6:7], s[0:1], 2
	v_mov_b32_e32 v0, 0
	s_add_u32 s0, s2, s6
	s_addc_u32 s1, s3, s7
	s_sub_u32 s0, s0, s2
	s_subb_u32 s1, s1, s3
	v_cndmask_b32_e64 v1, 0, 1, s12
	s_ashr_i64 s[8:9], s[0:1], 2
	v_cmp_lt_i64_e64 s0, s[8:9], 1
	global_store_byte v0, v1, s[4:5]
	s_and_b32 vcc_lo, exec_lo, s0
	s_cbranch_vccnz .LBB272_7
; %bb.4:
	s_mov_b64 s[0:1], 0
	s_mov_b64 s[10:11], s[8:9]
	.p2align	6
.LBB272_5:                              ; =>This Inner Loop Header: Depth=1
	s_sub_u32 s12, s10, s0
	s_subb_u32 s13, s11, s1
	s_lshr_b64 s[12:13], s[12:13], 1
	s_add_u32 s12, s12, s0
	s_addc_u32 s13, s13, s1
	s_lshl_b64 s[14:15], s[12:13], 2
	s_add_u32 s14, s2, s14
	s_addc_u32 s15, s3, s15
	s_load_dword s14, s[14:15], 0x0
	s_add_u32 s15, s12, 1
	s_addc_u32 s16, s13, 0
	s_waitcnt lgkmcnt(0)
	s_cmp_eq_u32 s14, 0
	s_cselect_b32 s1, s16, s1
	s_cselect_b32 s0, s15, s0
	;; [unrolled: 1-line block ×4, first 2 shown]
	v_cmp_lt_i64_e64 s12, s[0:1], s[10:11]
	s_and_b32 vcc_lo, exec_lo, s12
	s_cbranch_vccnz .LBB272_5
; %bb.6:
	s_lshl_b64 s[10:11], s[0:1], 2
.LBB272_7:
	v_cmp_gt_i64_e64 s1, s[8:9], 0
	s_cmp_eq_u64 s[10:11], s[6:7]
	s_mov_b32 s12, 0
	s_cbranch_scc1 .LBB272_9
; %bb.8:
	s_add_u32 s10, s2, s10
	s_addc_u32 s11, s3, s11
	s_load_dword s0, s[10:11], 0x0
	s_waitcnt lgkmcnt(0)
	s_cmp_lt_u32 s0, 2
	s_cselect_b32 s12, -1, 0
.LBB272_9:
	v_cndmask_b32_e64 v0, 0, 1, s1
	v_cndmask_b32_e64 v1, 0, 1, s12
	s_andn2_b32 vcc_lo, exec_lo, s1
	s_mov_b64 s[10:11], 0
	v_cmp_ne_u32_e64 s0, 1, v0
	v_mov_b32_e32 v0, 0
	global_store_byte v0, v1, s[4:5] offset:1
	s_cbranch_vccnz .LBB272_13
; %bb.10:
	s_mov_b64 s[12:13], s[8:9]
	.p2align	6
.LBB272_11:                             ; =>This Inner Loop Header: Depth=1
	s_sub_u32 s14, s12, s10
	s_subb_u32 s15, s13, s11
	s_lshr_b64 s[14:15], s[14:15], 1
	s_add_u32 s14, s14, s10
	s_addc_u32 s15, s15, s11
	s_lshl_b64 s[16:17], s[14:15], 2
	s_add_u32 s16, s2, s16
	s_addc_u32 s17, s3, s17
	s_load_dword s1, s[16:17], 0x0
	s_add_u32 s16, s14, 1
	s_addc_u32 s17, s15, 0
	s_waitcnt lgkmcnt(0)
	s_cmp_lt_u32 s1, 2
	s_cselect_b32 s11, s17, s11
	s_cselect_b32 s10, s16, s10
	;; [unrolled: 1-line block ×4, first 2 shown]
	v_cmp_lt_i64_e64 s1, s[10:11], s[12:13]
	s_and_b32 vcc_lo, exec_lo, s1
	s_cbranch_vccnz .LBB272_11
; %bb.12:
	s_lshl_b64 s[10:11], s[10:11], 2
.LBB272_13:
	s_cmp_eq_u64 s[10:11], s[6:7]
	s_mov_b32 s1, 0
	s_cbranch_scc1 .LBB272_15
; %bb.14:
	s_add_u32 s10, s2, s10
	s_addc_u32 s11, s3, s11
	s_load_dword s1, s[10:11], 0x0
	s_waitcnt lgkmcnt(0)
	s_cmp_lt_u32 s1, 3
	s_cselect_b32 s1, -1, 0
.LBB272_15:
	v_mov_b32_e32 v0, 0
	v_cndmask_b32_e64 v1, 0, 1, s1
	s_and_b32 vcc_lo, exec_lo, s0
	s_mov_b64 s[10:11], 0
	global_store_byte v0, v1, s[4:5] offset:2
	s_cbranch_vccnz .LBB272_19
; %bb.16:
	s_mov_b64 s[12:13], s[8:9]
	.p2align	6
.LBB272_17:                             ; =>This Inner Loop Header: Depth=1
	s_sub_u32 s14, s12, s10
	s_subb_u32 s15, s13, s11
	s_lshr_b64 s[14:15], s[14:15], 1
	s_add_u32 s14, s14, s10
	s_addc_u32 s15, s15, s11
	s_lshl_b64 s[16:17], s[14:15], 2
	s_add_u32 s16, s2, s16
	s_addc_u32 s17, s3, s17
	s_load_dword s1, s[16:17], 0x0
	s_add_u32 s16, s14, 1
	s_addc_u32 s17, s15, 0
	s_waitcnt lgkmcnt(0)
	s_cmp_lt_u32 s1, 3
	s_cselect_b32 s11, s17, s11
	s_cselect_b32 s10, s16, s10
	;; [unrolled: 1-line block ×4, first 2 shown]
	v_cmp_lt_i64_e64 s1, s[10:11], s[12:13]
	s_and_b32 vcc_lo, exec_lo, s1
	s_cbranch_vccnz .LBB272_17
; %bb.18:
	s_lshl_b64 s[10:11], s[10:11], 2
.LBB272_19:
	s_cmp_eq_u64 s[10:11], s[6:7]
	s_mov_b32 s1, 0
	s_cbranch_scc1 .LBB272_21
; %bb.20:
	s_add_u32 s10, s2, s10
	s_addc_u32 s11, s3, s11
	s_load_dword s1, s[10:11], 0x0
	s_waitcnt lgkmcnt(0)
	s_cmp_lt_u32 s1, 4
	s_cselect_b32 s1, -1, 0
.LBB272_21:
	v_mov_b32_e32 v0, 0
	v_cndmask_b32_e64 v1, 0, 1, s1
	s_and_b32 vcc_lo, exec_lo, s0
	s_mov_b64 s[10:11], 0
	global_store_byte v0, v1, s[4:5] offset:3
	s_cbranch_vccnz .LBB272_25
; %bb.22:
	s_mov_b64 s[12:13], s[8:9]
	.p2align	6
.LBB272_23:                             ; =>This Inner Loop Header: Depth=1
	s_sub_u32 s14, s12, s10
	s_subb_u32 s15, s13, s11
	s_lshr_b64 s[14:15], s[14:15], 1
	s_add_u32 s14, s14, s10
	s_addc_u32 s15, s15, s11
	s_lshl_b64 s[16:17], s[14:15], 2
	s_add_u32 s16, s2, s16
	s_addc_u32 s17, s3, s17
	s_load_dword s1, s[16:17], 0x0
	s_add_u32 s16, s14, 1
	s_addc_u32 s17, s15, 0
	s_waitcnt lgkmcnt(0)
	s_cmp_lt_u32 s1, 4
	s_cselect_b32 s11, s17, s11
	s_cselect_b32 s10, s16, s10
	;; [unrolled: 1-line block ×4, first 2 shown]
	v_cmp_lt_i64_e64 s1, s[10:11], s[12:13]
	s_and_b32 vcc_lo, exec_lo, s1
	s_cbranch_vccnz .LBB272_23
; %bb.24:
	s_lshl_b64 s[10:11], s[10:11], 2
.LBB272_25:
	s_cmp_eq_u64 s[10:11], s[6:7]
	s_mov_b32 s1, 0
	s_cbranch_scc1 .LBB272_27
; %bb.26:
	s_add_u32 s10, s2, s10
	s_addc_u32 s11, s3, s11
	s_load_dword s1, s[10:11], 0x0
	s_waitcnt lgkmcnt(0)
	s_cmp_lt_u32 s1, 5
	s_cselect_b32 s1, -1, 0
.LBB272_27:
	v_mov_b32_e32 v0, 0
	v_cndmask_b32_e64 v1, 0, 1, s1
	s_and_b32 vcc_lo, exec_lo, s0
	s_mov_b64 s[10:11], 0
	global_store_byte v0, v1, s[4:5] offset:4
	s_cbranch_vccnz .LBB272_31
; %bb.28:
	s_mov_b64 s[12:13], s[8:9]
	.p2align	6
.LBB272_29:                             ; =>This Inner Loop Header: Depth=1
	s_sub_u32 s14, s12, s10
	s_subb_u32 s15, s13, s11
	s_lshr_b64 s[14:15], s[14:15], 1
	s_add_u32 s14, s14, s10
	s_addc_u32 s15, s15, s11
	s_lshl_b64 s[16:17], s[14:15], 2
	s_add_u32 s16, s2, s16
	s_addc_u32 s17, s3, s17
	s_load_dword s1, s[16:17], 0x0
	s_add_u32 s16, s14, 1
	s_addc_u32 s17, s15, 0
	s_waitcnt lgkmcnt(0)
	s_cmp_lt_u32 s1, 5
	s_cselect_b32 s11, s17, s11
	s_cselect_b32 s10, s16, s10
	;; [unrolled: 1-line block ×4, first 2 shown]
	v_cmp_lt_i64_e64 s1, s[10:11], s[12:13]
	s_and_b32 vcc_lo, exec_lo, s1
	s_cbranch_vccnz .LBB272_29
; %bb.30:
	s_lshl_b64 s[10:11], s[10:11], 2
.LBB272_31:
	s_cmp_eq_u64 s[10:11], s[6:7]
	s_mov_b32 s1, 0
	s_cbranch_scc1 .LBB272_33
; %bb.32:
	s_add_u32 s10, s2, s10
	s_addc_u32 s11, s3, s11
	s_load_dword s1, s[10:11], 0x0
	s_waitcnt lgkmcnt(0)
	s_cmp_lt_u32 s1, 6
	s_cselect_b32 s1, -1, 0
.LBB272_33:
	v_mov_b32_e32 v0, 0
	v_cndmask_b32_e64 v1, 0, 1, s1
	s_and_b32 vcc_lo, exec_lo, s0
	s_mov_b64 s[10:11], 0
	global_store_byte v0, v1, s[4:5] offset:5
	s_cbranch_vccnz .LBB272_37
; %bb.34:
	s_mov_b64 s[12:13], s[8:9]
	.p2align	6
.LBB272_35:                             ; =>This Inner Loop Header: Depth=1
	s_sub_u32 s14, s12, s10
	s_subb_u32 s15, s13, s11
	s_lshr_b64 s[14:15], s[14:15], 1
	s_add_u32 s14, s14, s10
	s_addc_u32 s15, s15, s11
	s_lshl_b64 s[16:17], s[14:15], 2
	s_add_u32 s16, s2, s16
	s_addc_u32 s17, s3, s17
	s_load_dword s1, s[16:17], 0x0
	s_add_u32 s16, s14, 1
	s_addc_u32 s17, s15, 0
	s_waitcnt lgkmcnt(0)
	s_cmp_lt_u32 s1, 6
	s_cselect_b32 s11, s17, s11
	s_cselect_b32 s10, s16, s10
	;; [unrolled: 1-line block ×4, first 2 shown]
	v_cmp_lt_i64_e64 s1, s[10:11], s[12:13]
	s_and_b32 vcc_lo, exec_lo, s1
	s_cbranch_vccnz .LBB272_35
; %bb.36:
	s_lshl_b64 s[10:11], s[10:11], 2
.LBB272_37:
	s_cmp_eq_u64 s[10:11], s[6:7]
	s_mov_b32 s1, 0
	s_cbranch_scc1 .LBB272_39
; %bb.38:
	s_add_u32 s10, s2, s10
	s_addc_u32 s11, s3, s11
	s_load_dword s1, s[10:11], 0x0
	s_waitcnt lgkmcnt(0)
	s_cmp_lt_u32 s1, 7
	s_cselect_b32 s1, -1, 0
.LBB272_39:
	v_mov_b32_e32 v0, 0
	v_cndmask_b32_e64 v1, 0, 1, s1
	s_and_b32 vcc_lo, exec_lo, s0
	s_mov_b64 s[10:11], 0
	global_store_byte v0, v1, s[4:5] offset:6
	s_cbranch_vccnz .LBB272_43
; %bb.40:
	s_mov_b64 s[12:13], s[8:9]
	.p2align	6
.LBB272_41:                             ; =>This Inner Loop Header: Depth=1
	s_sub_u32 s14, s12, s10
	s_subb_u32 s15, s13, s11
	s_lshr_b64 s[14:15], s[14:15], 1
	s_add_u32 s14, s14, s10
	s_addc_u32 s15, s15, s11
	s_lshl_b64 s[16:17], s[14:15], 2
	s_add_u32 s16, s2, s16
	s_addc_u32 s17, s3, s17
	s_load_dword s1, s[16:17], 0x0
	s_add_u32 s16, s14, 1
	s_addc_u32 s17, s15, 0
	s_waitcnt lgkmcnt(0)
	s_cmp_lt_u32 s1, 7
	s_cselect_b32 s11, s17, s11
	s_cselect_b32 s10, s16, s10
	;; [unrolled: 1-line block ×4, first 2 shown]
	v_cmp_lt_i64_e64 s1, s[10:11], s[12:13]
	s_and_b32 vcc_lo, exec_lo, s1
	s_cbranch_vccnz .LBB272_41
; %bb.42:
	s_lshl_b64 s[10:11], s[10:11], 2
.LBB272_43:
	s_cmp_eq_u64 s[10:11], s[6:7]
	s_mov_b32 s1, 0
	s_cbranch_scc1 .LBB272_45
; %bb.44:
	s_add_u32 s10, s2, s10
	s_addc_u32 s11, s3, s11
	s_load_dword s1, s[10:11], 0x0
	s_waitcnt lgkmcnt(0)
	s_cmp_lt_u32 s1, 8
	s_cselect_b32 s1, -1, 0
.LBB272_45:
	v_mov_b32_e32 v0, 0
	v_cndmask_b32_e64 v1, 0, 1, s1
	s_and_b32 vcc_lo, exec_lo, s0
	s_mov_b64 s[10:11], 0
	global_store_byte v0, v1, s[4:5] offset:7
	s_cbranch_vccnz .LBB272_49
; %bb.46:
	s_mov_b64 s[12:13], s[8:9]
	.p2align	6
.LBB272_47:                             ; =>This Inner Loop Header: Depth=1
	s_sub_u32 s14, s12, s10
	s_subb_u32 s15, s13, s11
	s_lshr_b64 s[14:15], s[14:15], 1
	s_add_u32 s14, s14, s10
	s_addc_u32 s15, s15, s11
	s_lshl_b64 s[16:17], s[14:15], 2
	s_add_u32 s16, s2, s16
	s_addc_u32 s17, s3, s17
	s_load_dword s1, s[16:17], 0x0
	s_add_u32 s16, s14, 1
	s_addc_u32 s17, s15, 0
	s_waitcnt lgkmcnt(0)
	s_cmp_lt_u32 s1, 8
	s_cselect_b32 s11, s17, s11
	s_cselect_b32 s10, s16, s10
	;; [unrolled: 1-line block ×4, first 2 shown]
	v_cmp_lt_i64_e64 s1, s[10:11], s[12:13]
	s_and_b32 vcc_lo, exec_lo, s1
	s_cbranch_vccnz .LBB272_47
; %bb.48:
	s_lshl_b64 s[10:11], s[10:11], 2
.LBB272_49:
	s_cmp_eq_u64 s[10:11], s[6:7]
	s_mov_b32 s1, 0
	s_cbranch_scc1 .LBB272_51
; %bb.50:
	s_add_u32 s10, s2, s10
	s_addc_u32 s11, s3, s11
	s_load_dword s1, s[10:11], 0x0
	s_waitcnt lgkmcnt(0)
	s_cmp_lt_u32 s1, 9
	s_cselect_b32 s1, -1, 0
.LBB272_51:
	v_mov_b32_e32 v0, 0
	v_cndmask_b32_e64 v1, 0, 1, s1
	s_and_b32 vcc_lo, exec_lo, s0
	s_mov_b64 s[0:1], 0
	global_store_byte v0, v1, s[4:5] offset:8
	s_cbranch_vccnz .LBB272_54
	.p2align	6
.LBB272_52:                             ; =>This Inner Loop Header: Depth=1
	s_sub_u32 s10, s8, s0
	s_subb_u32 s11, s9, s1
	s_lshr_b64 s[10:11], s[10:11], 1
	s_add_u32 s10, s10, s0
	s_addc_u32 s11, s11, s1
	s_lshl_b64 s[12:13], s[10:11], 2
	s_add_u32 s12, s2, s12
	s_addc_u32 s13, s3, s13
	s_load_dword s12, s[12:13], 0x0
	s_add_u32 s13, s10, 1
	s_addc_u32 s14, s11, 0
	s_waitcnt lgkmcnt(0)
	s_cmp_lt_u32 s12, 9
	s_cselect_b32 s1, s14, s1
	s_cselect_b32 s0, s13, s0
	;; [unrolled: 1-line block ×4, first 2 shown]
	v_cmp_lt_i64_e64 s10, s[0:1], s[8:9]
	s_and_b32 vcc_lo, exec_lo, s10
	s_cbranch_vccnz .LBB272_52
; %bb.53:
	s_lshl_b64 s[0:1], s[0:1], 2
.LBB272_54:
	s_cmp_eq_u64 s[0:1], s[6:7]
	s_mov_b32 s6, 0
	s_cbranch_scc1 .LBB272_56
; %bb.55:
	s_add_u32 s0, s2, s0
	s_addc_u32 s1, s3, s1
	s_load_dword s0, s[0:1], 0x0
	s_waitcnt lgkmcnt(0)
	s_cmp_lt_u32 s0, 10
	s_cselect_b32 s6, -1, 0
.LBB272_56:
	v_mov_b32_e32 v0, 0
	v_cndmask_b32_e64 v1, 0, 1, s6
	global_store_byte v0, v1, s[4:5] offset:9
	s_endpgm
	.section	.rodata,"a",@progbits
	.p2align	6, 0x0
	.amdhsa_kernel _Z20binary_search_kernelIjEvmPT_Pb
		.amdhsa_group_segment_fixed_size 0
		.amdhsa_private_segment_fixed_size 0
		.amdhsa_kernarg_size 24
		.amdhsa_user_sgpr_count 6
		.amdhsa_user_sgpr_private_segment_buffer 1
		.amdhsa_user_sgpr_dispatch_ptr 0
		.amdhsa_user_sgpr_queue_ptr 0
		.amdhsa_user_sgpr_kernarg_segment_ptr 1
		.amdhsa_user_sgpr_dispatch_id 0
		.amdhsa_user_sgpr_flat_scratch_init 0
		.amdhsa_user_sgpr_private_segment_size 0
		.amdhsa_wavefront_size32 1
		.amdhsa_uses_dynamic_stack 0
		.amdhsa_system_sgpr_private_segment_wavefront_offset 0
		.amdhsa_system_sgpr_workgroup_id_x 1
		.amdhsa_system_sgpr_workgroup_id_y 0
		.amdhsa_system_sgpr_workgroup_id_z 0
		.amdhsa_system_sgpr_workgroup_info 0
		.amdhsa_system_vgpr_workitem_id 0
		.amdhsa_next_free_vgpr 2
		.amdhsa_next_free_sgpr 18
		.amdhsa_reserve_vcc 1
		.amdhsa_reserve_flat_scratch 0
		.amdhsa_float_round_mode_32 0
		.amdhsa_float_round_mode_16_64 0
		.amdhsa_float_denorm_mode_32 3
		.amdhsa_float_denorm_mode_16_64 3
		.amdhsa_dx10_clamp 1
		.amdhsa_ieee_mode 1
		.amdhsa_fp16_overflow 0
		.amdhsa_workgroup_processor_mode 1
		.amdhsa_memory_ordered 1
		.amdhsa_forward_progress 1
		.amdhsa_shared_vgpr_count 0
		.amdhsa_exception_fp_ieee_invalid_op 0
		.amdhsa_exception_fp_denorm_src 0
		.amdhsa_exception_fp_ieee_div_zero 0
		.amdhsa_exception_fp_ieee_overflow 0
		.amdhsa_exception_fp_ieee_underflow 0
		.amdhsa_exception_fp_ieee_inexact 0
		.amdhsa_exception_int_div_zero 0
	.end_amdhsa_kernel
	.section	.text._Z20binary_search_kernelIjEvmPT_Pb,"axG",@progbits,_Z20binary_search_kernelIjEvmPT_Pb,comdat
.Lfunc_end272:
	.size	_Z20binary_search_kernelIjEvmPT_Pb, .Lfunc_end272-_Z20binary_search_kernelIjEvmPT_Pb
                                        ; -- End function
	.set _Z20binary_search_kernelIjEvmPT_Pb.num_vgpr, 2
	.set _Z20binary_search_kernelIjEvmPT_Pb.num_agpr, 0
	.set _Z20binary_search_kernelIjEvmPT_Pb.numbered_sgpr, 18
	.set _Z20binary_search_kernelIjEvmPT_Pb.num_named_barrier, 0
	.set _Z20binary_search_kernelIjEvmPT_Pb.private_seg_size, 0
	.set _Z20binary_search_kernelIjEvmPT_Pb.uses_vcc, 1
	.set _Z20binary_search_kernelIjEvmPT_Pb.uses_flat_scratch, 0
	.set _Z20binary_search_kernelIjEvmPT_Pb.has_dyn_sized_stack, 0
	.set _Z20binary_search_kernelIjEvmPT_Pb.has_recursion, 0
	.set _Z20binary_search_kernelIjEvmPT_Pb.has_indirect_call, 0
	.section	.AMDGPU.csdata,"",@progbits
; Kernel info:
; codeLenInByte = 1884
; TotalNumSgprs: 20
; NumVgprs: 2
; ScratchSize: 0
; MemoryBound: 0
; FloatMode: 240
; IeeeMode: 1
; LDSByteSize: 0 bytes/workgroup (compile time only)
; SGPRBlocks: 0
; VGPRBlocks: 0
; NumSGPRsForWavesPerEU: 20
; NumVGPRsForWavesPerEU: 2
; Occupancy: 16
; WaveLimiterHint : 0
; COMPUTE_PGM_RSRC2:SCRATCH_EN: 0
; COMPUTE_PGM_RSRC2:USER_SGPR: 6
; COMPUTE_PGM_RSRC2:TRAP_HANDLER: 0
; COMPUTE_PGM_RSRC2:TGID_X_EN: 1
; COMPUTE_PGM_RSRC2:TGID_Y_EN: 0
; COMPUTE_PGM_RSRC2:TGID_Z_EN: 0
; COMPUTE_PGM_RSRC2:TIDIG_COMP_CNT: 0
	.section	.text._ZN7rocprim17ROCPRIM_400000_NS6detail17trampoline_kernelINS0_14default_configENS1_29binary_search_config_selectorIjiEEZNS1_14transform_implILb0ES3_S5_N6thrust23THRUST_200600_302600_NS6detail15normal_iteratorINS8_7pointerIjNS8_11hip_rocprim5par_tENS8_11use_defaultESE_EEEENSA_INSB_IiSD_SE_SE_EEEEZNS1_13binary_searchIS3_S5_PjSG_SI_NS1_16binary_search_opENS9_16wrapped_functionINS8_6system6detail7generic6detail18binary_search_lessEbEEEE10hipError_tPvRmT1_T2_T3_mmT4_T5_P12ihipStream_tbEUlRKjE_EEST_SX_SY_mSZ_S12_bEUlT_E_NS1_11comp_targetILNS1_3genE0ELNS1_11target_archE4294967295ELNS1_3gpuE0ELNS1_3repE0EEENS1_30default_config_static_selectorELNS0_4arch9wavefront6targetE0EEEvSW_,"axG",@progbits,_ZN7rocprim17ROCPRIM_400000_NS6detail17trampoline_kernelINS0_14default_configENS1_29binary_search_config_selectorIjiEEZNS1_14transform_implILb0ES3_S5_N6thrust23THRUST_200600_302600_NS6detail15normal_iteratorINS8_7pointerIjNS8_11hip_rocprim5par_tENS8_11use_defaultESE_EEEENSA_INSB_IiSD_SE_SE_EEEEZNS1_13binary_searchIS3_S5_PjSG_SI_NS1_16binary_search_opENS9_16wrapped_functionINS8_6system6detail7generic6detail18binary_search_lessEbEEEE10hipError_tPvRmT1_T2_T3_mmT4_T5_P12ihipStream_tbEUlRKjE_EEST_SX_SY_mSZ_S12_bEUlT_E_NS1_11comp_targetILNS1_3genE0ELNS1_11target_archE4294967295ELNS1_3gpuE0ELNS1_3repE0EEENS1_30default_config_static_selectorELNS0_4arch9wavefront6targetE0EEEvSW_,comdat
	.protected	_ZN7rocprim17ROCPRIM_400000_NS6detail17trampoline_kernelINS0_14default_configENS1_29binary_search_config_selectorIjiEEZNS1_14transform_implILb0ES3_S5_N6thrust23THRUST_200600_302600_NS6detail15normal_iteratorINS8_7pointerIjNS8_11hip_rocprim5par_tENS8_11use_defaultESE_EEEENSA_INSB_IiSD_SE_SE_EEEEZNS1_13binary_searchIS3_S5_PjSG_SI_NS1_16binary_search_opENS9_16wrapped_functionINS8_6system6detail7generic6detail18binary_search_lessEbEEEE10hipError_tPvRmT1_T2_T3_mmT4_T5_P12ihipStream_tbEUlRKjE_EEST_SX_SY_mSZ_S12_bEUlT_E_NS1_11comp_targetILNS1_3genE0ELNS1_11target_archE4294967295ELNS1_3gpuE0ELNS1_3repE0EEENS1_30default_config_static_selectorELNS0_4arch9wavefront6targetE0EEEvSW_ ; -- Begin function _ZN7rocprim17ROCPRIM_400000_NS6detail17trampoline_kernelINS0_14default_configENS1_29binary_search_config_selectorIjiEEZNS1_14transform_implILb0ES3_S5_N6thrust23THRUST_200600_302600_NS6detail15normal_iteratorINS8_7pointerIjNS8_11hip_rocprim5par_tENS8_11use_defaultESE_EEEENSA_INSB_IiSD_SE_SE_EEEEZNS1_13binary_searchIS3_S5_PjSG_SI_NS1_16binary_search_opENS9_16wrapped_functionINS8_6system6detail7generic6detail18binary_search_lessEbEEEE10hipError_tPvRmT1_T2_T3_mmT4_T5_P12ihipStream_tbEUlRKjE_EEST_SX_SY_mSZ_S12_bEUlT_E_NS1_11comp_targetILNS1_3genE0ELNS1_11target_archE4294967295ELNS1_3gpuE0ELNS1_3repE0EEENS1_30default_config_static_selectorELNS0_4arch9wavefront6targetE0EEEvSW_
	.globl	_ZN7rocprim17ROCPRIM_400000_NS6detail17trampoline_kernelINS0_14default_configENS1_29binary_search_config_selectorIjiEEZNS1_14transform_implILb0ES3_S5_N6thrust23THRUST_200600_302600_NS6detail15normal_iteratorINS8_7pointerIjNS8_11hip_rocprim5par_tENS8_11use_defaultESE_EEEENSA_INSB_IiSD_SE_SE_EEEEZNS1_13binary_searchIS3_S5_PjSG_SI_NS1_16binary_search_opENS9_16wrapped_functionINS8_6system6detail7generic6detail18binary_search_lessEbEEEE10hipError_tPvRmT1_T2_T3_mmT4_T5_P12ihipStream_tbEUlRKjE_EEST_SX_SY_mSZ_S12_bEUlT_E_NS1_11comp_targetILNS1_3genE0ELNS1_11target_archE4294967295ELNS1_3gpuE0ELNS1_3repE0EEENS1_30default_config_static_selectorELNS0_4arch9wavefront6targetE0EEEvSW_
	.p2align	8
	.type	_ZN7rocprim17ROCPRIM_400000_NS6detail17trampoline_kernelINS0_14default_configENS1_29binary_search_config_selectorIjiEEZNS1_14transform_implILb0ES3_S5_N6thrust23THRUST_200600_302600_NS6detail15normal_iteratorINS8_7pointerIjNS8_11hip_rocprim5par_tENS8_11use_defaultESE_EEEENSA_INSB_IiSD_SE_SE_EEEEZNS1_13binary_searchIS3_S5_PjSG_SI_NS1_16binary_search_opENS9_16wrapped_functionINS8_6system6detail7generic6detail18binary_search_lessEbEEEE10hipError_tPvRmT1_T2_T3_mmT4_T5_P12ihipStream_tbEUlRKjE_EEST_SX_SY_mSZ_S12_bEUlT_E_NS1_11comp_targetILNS1_3genE0ELNS1_11target_archE4294967295ELNS1_3gpuE0ELNS1_3repE0EEENS1_30default_config_static_selectorELNS0_4arch9wavefront6targetE0EEEvSW_,@function
_ZN7rocprim17ROCPRIM_400000_NS6detail17trampoline_kernelINS0_14default_configENS1_29binary_search_config_selectorIjiEEZNS1_14transform_implILb0ES3_S5_N6thrust23THRUST_200600_302600_NS6detail15normal_iteratorINS8_7pointerIjNS8_11hip_rocprim5par_tENS8_11use_defaultESE_EEEENSA_INSB_IiSD_SE_SE_EEEEZNS1_13binary_searchIS3_S5_PjSG_SI_NS1_16binary_search_opENS9_16wrapped_functionINS8_6system6detail7generic6detail18binary_search_lessEbEEEE10hipError_tPvRmT1_T2_T3_mmT4_T5_P12ihipStream_tbEUlRKjE_EEST_SX_SY_mSZ_S12_bEUlT_E_NS1_11comp_targetILNS1_3genE0ELNS1_11target_archE4294967295ELNS1_3gpuE0ELNS1_3repE0EEENS1_30default_config_static_selectorELNS0_4arch9wavefront6targetE0EEEvSW_: ; @_ZN7rocprim17ROCPRIM_400000_NS6detail17trampoline_kernelINS0_14default_configENS1_29binary_search_config_selectorIjiEEZNS1_14transform_implILb0ES3_S5_N6thrust23THRUST_200600_302600_NS6detail15normal_iteratorINS8_7pointerIjNS8_11hip_rocprim5par_tENS8_11use_defaultESE_EEEENSA_INSB_IiSD_SE_SE_EEEEZNS1_13binary_searchIS3_S5_PjSG_SI_NS1_16binary_search_opENS9_16wrapped_functionINS8_6system6detail7generic6detail18binary_search_lessEbEEEE10hipError_tPvRmT1_T2_T3_mmT4_T5_P12ihipStream_tbEUlRKjE_EEST_SX_SY_mSZ_S12_bEUlT_E_NS1_11comp_targetILNS1_3genE0ELNS1_11target_archE4294967295ELNS1_3gpuE0ELNS1_3repE0EEENS1_30default_config_static_selectorELNS0_4arch9wavefront6targetE0EEEvSW_
; %bb.0:
	.section	.rodata,"a",@progbits
	.p2align	6, 0x0
	.amdhsa_kernel _ZN7rocprim17ROCPRIM_400000_NS6detail17trampoline_kernelINS0_14default_configENS1_29binary_search_config_selectorIjiEEZNS1_14transform_implILb0ES3_S5_N6thrust23THRUST_200600_302600_NS6detail15normal_iteratorINS8_7pointerIjNS8_11hip_rocprim5par_tENS8_11use_defaultESE_EEEENSA_INSB_IiSD_SE_SE_EEEEZNS1_13binary_searchIS3_S5_PjSG_SI_NS1_16binary_search_opENS9_16wrapped_functionINS8_6system6detail7generic6detail18binary_search_lessEbEEEE10hipError_tPvRmT1_T2_T3_mmT4_T5_P12ihipStream_tbEUlRKjE_EEST_SX_SY_mSZ_S12_bEUlT_E_NS1_11comp_targetILNS1_3genE0ELNS1_11target_archE4294967295ELNS1_3gpuE0ELNS1_3repE0EEENS1_30default_config_static_selectorELNS0_4arch9wavefront6targetE0EEEvSW_
		.amdhsa_group_segment_fixed_size 0
		.amdhsa_private_segment_fixed_size 0
		.amdhsa_kernarg_size 56
		.amdhsa_user_sgpr_count 6
		.amdhsa_user_sgpr_private_segment_buffer 1
		.amdhsa_user_sgpr_dispatch_ptr 0
		.amdhsa_user_sgpr_queue_ptr 0
		.amdhsa_user_sgpr_kernarg_segment_ptr 1
		.amdhsa_user_sgpr_dispatch_id 0
		.amdhsa_user_sgpr_flat_scratch_init 0
		.amdhsa_user_sgpr_private_segment_size 0
		.amdhsa_wavefront_size32 1
		.amdhsa_uses_dynamic_stack 0
		.amdhsa_system_sgpr_private_segment_wavefront_offset 0
		.amdhsa_system_sgpr_workgroup_id_x 1
		.amdhsa_system_sgpr_workgroup_id_y 0
		.amdhsa_system_sgpr_workgroup_id_z 0
		.amdhsa_system_sgpr_workgroup_info 0
		.amdhsa_system_vgpr_workitem_id 0
		.amdhsa_next_free_vgpr 1
		.amdhsa_next_free_sgpr 1
		.amdhsa_reserve_vcc 0
		.amdhsa_reserve_flat_scratch 0
		.amdhsa_float_round_mode_32 0
		.amdhsa_float_round_mode_16_64 0
		.amdhsa_float_denorm_mode_32 3
		.amdhsa_float_denorm_mode_16_64 3
		.amdhsa_dx10_clamp 1
		.amdhsa_ieee_mode 1
		.amdhsa_fp16_overflow 0
		.amdhsa_workgroup_processor_mode 1
		.amdhsa_memory_ordered 1
		.amdhsa_forward_progress 1
		.amdhsa_shared_vgpr_count 0
		.amdhsa_exception_fp_ieee_invalid_op 0
		.amdhsa_exception_fp_denorm_src 0
		.amdhsa_exception_fp_ieee_div_zero 0
		.amdhsa_exception_fp_ieee_overflow 0
		.amdhsa_exception_fp_ieee_underflow 0
		.amdhsa_exception_fp_ieee_inexact 0
		.amdhsa_exception_int_div_zero 0
	.end_amdhsa_kernel
	.section	.text._ZN7rocprim17ROCPRIM_400000_NS6detail17trampoline_kernelINS0_14default_configENS1_29binary_search_config_selectorIjiEEZNS1_14transform_implILb0ES3_S5_N6thrust23THRUST_200600_302600_NS6detail15normal_iteratorINS8_7pointerIjNS8_11hip_rocprim5par_tENS8_11use_defaultESE_EEEENSA_INSB_IiSD_SE_SE_EEEEZNS1_13binary_searchIS3_S5_PjSG_SI_NS1_16binary_search_opENS9_16wrapped_functionINS8_6system6detail7generic6detail18binary_search_lessEbEEEE10hipError_tPvRmT1_T2_T3_mmT4_T5_P12ihipStream_tbEUlRKjE_EEST_SX_SY_mSZ_S12_bEUlT_E_NS1_11comp_targetILNS1_3genE0ELNS1_11target_archE4294967295ELNS1_3gpuE0ELNS1_3repE0EEENS1_30default_config_static_selectorELNS0_4arch9wavefront6targetE0EEEvSW_,"axG",@progbits,_ZN7rocprim17ROCPRIM_400000_NS6detail17trampoline_kernelINS0_14default_configENS1_29binary_search_config_selectorIjiEEZNS1_14transform_implILb0ES3_S5_N6thrust23THRUST_200600_302600_NS6detail15normal_iteratorINS8_7pointerIjNS8_11hip_rocprim5par_tENS8_11use_defaultESE_EEEENSA_INSB_IiSD_SE_SE_EEEEZNS1_13binary_searchIS3_S5_PjSG_SI_NS1_16binary_search_opENS9_16wrapped_functionINS8_6system6detail7generic6detail18binary_search_lessEbEEEE10hipError_tPvRmT1_T2_T3_mmT4_T5_P12ihipStream_tbEUlRKjE_EEST_SX_SY_mSZ_S12_bEUlT_E_NS1_11comp_targetILNS1_3genE0ELNS1_11target_archE4294967295ELNS1_3gpuE0ELNS1_3repE0EEENS1_30default_config_static_selectorELNS0_4arch9wavefront6targetE0EEEvSW_,comdat
.Lfunc_end273:
	.size	_ZN7rocprim17ROCPRIM_400000_NS6detail17trampoline_kernelINS0_14default_configENS1_29binary_search_config_selectorIjiEEZNS1_14transform_implILb0ES3_S5_N6thrust23THRUST_200600_302600_NS6detail15normal_iteratorINS8_7pointerIjNS8_11hip_rocprim5par_tENS8_11use_defaultESE_EEEENSA_INSB_IiSD_SE_SE_EEEEZNS1_13binary_searchIS3_S5_PjSG_SI_NS1_16binary_search_opENS9_16wrapped_functionINS8_6system6detail7generic6detail18binary_search_lessEbEEEE10hipError_tPvRmT1_T2_T3_mmT4_T5_P12ihipStream_tbEUlRKjE_EEST_SX_SY_mSZ_S12_bEUlT_E_NS1_11comp_targetILNS1_3genE0ELNS1_11target_archE4294967295ELNS1_3gpuE0ELNS1_3repE0EEENS1_30default_config_static_selectorELNS0_4arch9wavefront6targetE0EEEvSW_, .Lfunc_end273-_ZN7rocprim17ROCPRIM_400000_NS6detail17trampoline_kernelINS0_14default_configENS1_29binary_search_config_selectorIjiEEZNS1_14transform_implILb0ES3_S5_N6thrust23THRUST_200600_302600_NS6detail15normal_iteratorINS8_7pointerIjNS8_11hip_rocprim5par_tENS8_11use_defaultESE_EEEENSA_INSB_IiSD_SE_SE_EEEEZNS1_13binary_searchIS3_S5_PjSG_SI_NS1_16binary_search_opENS9_16wrapped_functionINS8_6system6detail7generic6detail18binary_search_lessEbEEEE10hipError_tPvRmT1_T2_T3_mmT4_T5_P12ihipStream_tbEUlRKjE_EEST_SX_SY_mSZ_S12_bEUlT_E_NS1_11comp_targetILNS1_3genE0ELNS1_11target_archE4294967295ELNS1_3gpuE0ELNS1_3repE0EEENS1_30default_config_static_selectorELNS0_4arch9wavefront6targetE0EEEvSW_
                                        ; -- End function
	.set _ZN7rocprim17ROCPRIM_400000_NS6detail17trampoline_kernelINS0_14default_configENS1_29binary_search_config_selectorIjiEEZNS1_14transform_implILb0ES3_S5_N6thrust23THRUST_200600_302600_NS6detail15normal_iteratorINS8_7pointerIjNS8_11hip_rocprim5par_tENS8_11use_defaultESE_EEEENSA_INSB_IiSD_SE_SE_EEEEZNS1_13binary_searchIS3_S5_PjSG_SI_NS1_16binary_search_opENS9_16wrapped_functionINS8_6system6detail7generic6detail18binary_search_lessEbEEEE10hipError_tPvRmT1_T2_T3_mmT4_T5_P12ihipStream_tbEUlRKjE_EEST_SX_SY_mSZ_S12_bEUlT_E_NS1_11comp_targetILNS1_3genE0ELNS1_11target_archE4294967295ELNS1_3gpuE0ELNS1_3repE0EEENS1_30default_config_static_selectorELNS0_4arch9wavefront6targetE0EEEvSW_.num_vgpr, 0
	.set _ZN7rocprim17ROCPRIM_400000_NS6detail17trampoline_kernelINS0_14default_configENS1_29binary_search_config_selectorIjiEEZNS1_14transform_implILb0ES3_S5_N6thrust23THRUST_200600_302600_NS6detail15normal_iteratorINS8_7pointerIjNS8_11hip_rocprim5par_tENS8_11use_defaultESE_EEEENSA_INSB_IiSD_SE_SE_EEEEZNS1_13binary_searchIS3_S5_PjSG_SI_NS1_16binary_search_opENS9_16wrapped_functionINS8_6system6detail7generic6detail18binary_search_lessEbEEEE10hipError_tPvRmT1_T2_T3_mmT4_T5_P12ihipStream_tbEUlRKjE_EEST_SX_SY_mSZ_S12_bEUlT_E_NS1_11comp_targetILNS1_3genE0ELNS1_11target_archE4294967295ELNS1_3gpuE0ELNS1_3repE0EEENS1_30default_config_static_selectorELNS0_4arch9wavefront6targetE0EEEvSW_.num_agpr, 0
	.set _ZN7rocprim17ROCPRIM_400000_NS6detail17trampoline_kernelINS0_14default_configENS1_29binary_search_config_selectorIjiEEZNS1_14transform_implILb0ES3_S5_N6thrust23THRUST_200600_302600_NS6detail15normal_iteratorINS8_7pointerIjNS8_11hip_rocprim5par_tENS8_11use_defaultESE_EEEENSA_INSB_IiSD_SE_SE_EEEEZNS1_13binary_searchIS3_S5_PjSG_SI_NS1_16binary_search_opENS9_16wrapped_functionINS8_6system6detail7generic6detail18binary_search_lessEbEEEE10hipError_tPvRmT1_T2_T3_mmT4_T5_P12ihipStream_tbEUlRKjE_EEST_SX_SY_mSZ_S12_bEUlT_E_NS1_11comp_targetILNS1_3genE0ELNS1_11target_archE4294967295ELNS1_3gpuE0ELNS1_3repE0EEENS1_30default_config_static_selectorELNS0_4arch9wavefront6targetE0EEEvSW_.numbered_sgpr, 0
	.set _ZN7rocprim17ROCPRIM_400000_NS6detail17trampoline_kernelINS0_14default_configENS1_29binary_search_config_selectorIjiEEZNS1_14transform_implILb0ES3_S5_N6thrust23THRUST_200600_302600_NS6detail15normal_iteratorINS8_7pointerIjNS8_11hip_rocprim5par_tENS8_11use_defaultESE_EEEENSA_INSB_IiSD_SE_SE_EEEEZNS1_13binary_searchIS3_S5_PjSG_SI_NS1_16binary_search_opENS9_16wrapped_functionINS8_6system6detail7generic6detail18binary_search_lessEbEEEE10hipError_tPvRmT1_T2_T3_mmT4_T5_P12ihipStream_tbEUlRKjE_EEST_SX_SY_mSZ_S12_bEUlT_E_NS1_11comp_targetILNS1_3genE0ELNS1_11target_archE4294967295ELNS1_3gpuE0ELNS1_3repE0EEENS1_30default_config_static_selectorELNS0_4arch9wavefront6targetE0EEEvSW_.num_named_barrier, 0
	.set _ZN7rocprim17ROCPRIM_400000_NS6detail17trampoline_kernelINS0_14default_configENS1_29binary_search_config_selectorIjiEEZNS1_14transform_implILb0ES3_S5_N6thrust23THRUST_200600_302600_NS6detail15normal_iteratorINS8_7pointerIjNS8_11hip_rocprim5par_tENS8_11use_defaultESE_EEEENSA_INSB_IiSD_SE_SE_EEEEZNS1_13binary_searchIS3_S5_PjSG_SI_NS1_16binary_search_opENS9_16wrapped_functionINS8_6system6detail7generic6detail18binary_search_lessEbEEEE10hipError_tPvRmT1_T2_T3_mmT4_T5_P12ihipStream_tbEUlRKjE_EEST_SX_SY_mSZ_S12_bEUlT_E_NS1_11comp_targetILNS1_3genE0ELNS1_11target_archE4294967295ELNS1_3gpuE0ELNS1_3repE0EEENS1_30default_config_static_selectorELNS0_4arch9wavefront6targetE0EEEvSW_.private_seg_size, 0
	.set _ZN7rocprim17ROCPRIM_400000_NS6detail17trampoline_kernelINS0_14default_configENS1_29binary_search_config_selectorIjiEEZNS1_14transform_implILb0ES3_S5_N6thrust23THRUST_200600_302600_NS6detail15normal_iteratorINS8_7pointerIjNS8_11hip_rocprim5par_tENS8_11use_defaultESE_EEEENSA_INSB_IiSD_SE_SE_EEEEZNS1_13binary_searchIS3_S5_PjSG_SI_NS1_16binary_search_opENS9_16wrapped_functionINS8_6system6detail7generic6detail18binary_search_lessEbEEEE10hipError_tPvRmT1_T2_T3_mmT4_T5_P12ihipStream_tbEUlRKjE_EEST_SX_SY_mSZ_S12_bEUlT_E_NS1_11comp_targetILNS1_3genE0ELNS1_11target_archE4294967295ELNS1_3gpuE0ELNS1_3repE0EEENS1_30default_config_static_selectorELNS0_4arch9wavefront6targetE0EEEvSW_.uses_vcc, 0
	.set _ZN7rocprim17ROCPRIM_400000_NS6detail17trampoline_kernelINS0_14default_configENS1_29binary_search_config_selectorIjiEEZNS1_14transform_implILb0ES3_S5_N6thrust23THRUST_200600_302600_NS6detail15normal_iteratorINS8_7pointerIjNS8_11hip_rocprim5par_tENS8_11use_defaultESE_EEEENSA_INSB_IiSD_SE_SE_EEEEZNS1_13binary_searchIS3_S5_PjSG_SI_NS1_16binary_search_opENS9_16wrapped_functionINS8_6system6detail7generic6detail18binary_search_lessEbEEEE10hipError_tPvRmT1_T2_T3_mmT4_T5_P12ihipStream_tbEUlRKjE_EEST_SX_SY_mSZ_S12_bEUlT_E_NS1_11comp_targetILNS1_3genE0ELNS1_11target_archE4294967295ELNS1_3gpuE0ELNS1_3repE0EEENS1_30default_config_static_selectorELNS0_4arch9wavefront6targetE0EEEvSW_.uses_flat_scratch, 0
	.set _ZN7rocprim17ROCPRIM_400000_NS6detail17trampoline_kernelINS0_14default_configENS1_29binary_search_config_selectorIjiEEZNS1_14transform_implILb0ES3_S5_N6thrust23THRUST_200600_302600_NS6detail15normal_iteratorINS8_7pointerIjNS8_11hip_rocprim5par_tENS8_11use_defaultESE_EEEENSA_INSB_IiSD_SE_SE_EEEEZNS1_13binary_searchIS3_S5_PjSG_SI_NS1_16binary_search_opENS9_16wrapped_functionINS8_6system6detail7generic6detail18binary_search_lessEbEEEE10hipError_tPvRmT1_T2_T3_mmT4_T5_P12ihipStream_tbEUlRKjE_EEST_SX_SY_mSZ_S12_bEUlT_E_NS1_11comp_targetILNS1_3genE0ELNS1_11target_archE4294967295ELNS1_3gpuE0ELNS1_3repE0EEENS1_30default_config_static_selectorELNS0_4arch9wavefront6targetE0EEEvSW_.has_dyn_sized_stack, 0
	.set _ZN7rocprim17ROCPRIM_400000_NS6detail17trampoline_kernelINS0_14default_configENS1_29binary_search_config_selectorIjiEEZNS1_14transform_implILb0ES3_S5_N6thrust23THRUST_200600_302600_NS6detail15normal_iteratorINS8_7pointerIjNS8_11hip_rocprim5par_tENS8_11use_defaultESE_EEEENSA_INSB_IiSD_SE_SE_EEEEZNS1_13binary_searchIS3_S5_PjSG_SI_NS1_16binary_search_opENS9_16wrapped_functionINS8_6system6detail7generic6detail18binary_search_lessEbEEEE10hipError_tPvRmT1_T2_T3_mmT4_T5_P12ihipStream_tbEUlRKjE_EEST_SX_SY_mSZ_S12_bEUlT_E_NS1_11comp_targetILNS1_3genE0ELNS1_11target_archE4294967295ELNS1_3gpuE0ELNS1_3repE0EEENS1_30default_config_static_selectorELNS0_4arch9wavefront6targetE0EEEvSW_.has_recursion, 0
	.set _ZN7rocprim17ROCPRIM_400000_NS6detail17trampoline_kernelINS0_14default_configENS1_29binary_search_config_selectorIjiEEZNS1_14transform_implILb0ES3_S5_N6thrust23THRUST_200600_302600_NS6detail15normal_iteratorINS8_7pointerIjNS8_11hip_rocprim5par_tENS8_11use_defaultESE_EEEENSA_INSB_IiSD_SE_SE_EEEEZNS1_13binary_searchIS3_S5_PjSG_SI_NS1_16binary_search_opENS9_16wrapped_functionINS8_6system6detail7generic6detail18binary_search_lessEbEEEE10hipError_tPvRmT1_T2_T3_mmT4_T5_P12ihipStream_tbEUlRKjE_EEST_SX_SY_mSZ_S12_bEUlT_E_NS1_11comp_targetILNS1_3genE0ELNS1_11target_archE4294967295ELNS1_3gpuE0ELNS1_3repE0EEENS1_30default_config_static_selectorELNS0_4arch9wavefront6targetE0EEEvSW_.has_indirect_call, 0
	.section	.AMDGPU.csdata,"",@progbits
; Kernel info:
; codeLenInByte = 0
; TotalNumSgprs: 0
; NumVgprs: 0
; ScratchSize: 0
; MemoryBound: 0
; FloatMode: 240
; IeeeMode: 1
; LDSByteSize: 0 bytes/workgroup (compile time only)
; SGPRBlocks: 0
; VGPRBlocks: 0
; NumSGPRsForWavesPerEU: 1
; NumVGPRsForWavesPerEU: 1
; Occupancy: 16
; WaveLimiterHint : 0
; COMPUTE_PGM_RSRC2:SCRATCH_EN: 0
; COMPUTE_PGM_RSRC2:USER_SGPR: 6
; COMPUTE_PGM_RSRC2:TRAP_HANDLER: 0
; COMPUTE_PGM_RSRC2:TGID_X_EN: 1
; COMPUTE_PGM_RSRC2:TGID_Y_EN: 0
; COMPUTE_PGM_RSRC2:TGID_Z_EN: 0
; COMPUTE_PGM_RSRC2:TIDIG_COMP_CNT: 0
	.section	.text._ZN7rocprim17ROCPRIM_400000_NS6detail17trampoline_kernelINS0_14default_configENS1_29binary_search_config_selectorIjiEEZNS1_14transform_implILb0ES3_S5_N6thrust23THRUST_200600_302600_NS6detail15normal_iteratorINS8_7pointerIjNS8_11hip_rocprim5par_tENS8_11use_defaultESE_EEEENSA_INSB_IiSD_SE_SE_EEEEZNS1_13binary_searchIS3_S5_PjSG_SI_NS1_16binary_search_opENS9_16wrapped_functionINS8_6system6detail7generic6detail18binary_search_lessEbEEEE10hipError_tPvRmT1_T2_T3_mmT4_T5_P12ihipStream_tbEUlRKjE_EEST_SX_SY_mSZ_S12_bEUlT_E_NS1_11comp_targetILNS1_3genE5ELNS1_11target_archE942ELNS1_3gpuE9ELNS1_3repE0EEENS1_30default_config_static_selectorELNS0_4arch9wavefront6targetE0EEEvSW_,"axG",@progbits,_ZN7rocprim17ROCPRIM_400000_NS6detail17trampoline_kernelINS0_14default_configENS1_29binary_search_config_selectorIjiEEZNS1_14transform_implILb0ES3_S5_N6thrust23THRUST_200600_302600_NS6detail15normal_iteratorINS8_7pointerIjNS8_11hip_rocprim5par_tENS8_11use_defaultESE_EEEENSA_INSB_IiSD_SE_SE_EEEEZNS1_13binary_searchIS3_S5_PjSG_SI_NS1_16binary_search_opENS9_16wrapped_functionINS8_6system6detail7generic6detail18binary_search_lessEbEEEE10hipError_tPvRmT1_T2_T3_mmT4_T5_P12ihipStream_tbEUlRKjE_EEST_SX_SY_mSZ_S12_bEUlT_E_NS1_11comp_targetILNS1_3genE5ELNS1_11target_archE942ELNS1_3gpuE9ELNS1_3repE0EEENS1_30default_config_static_selectorELNS0_4arch9wavefront6targetE0EEEvSW_,comdat
	.protected	_ZN7rocprim17ROCPRIM_400000_NS6detail17trampoline_kernelINS0_14default_configENS1_29binary_search_config_selectorIjiEEZNS1_14transform_implILb0ES3_S5_N6thrust23THRUST_200600_302600_NS6detail15normal_iteratorINS8_7pointerIjNS8_11hip_rocprim5par_tENS8_11use_defaultESE_EEEENSA_INSB_IiSD_SE_SE_EEEEZNS1_13binary_searchIS3_S5_PjSG_SI_NS1_16binary_search_opENS9_16wrapped_functionINS8_6system6detail7generic6detail18binary_search_lessEbEEEE10hipError_tPvRmT1_T2_T3_mmT4_T5_P12ihipStream_tbEUlRKjE_EEST_SX_SY_mSZ_S12_bEUlT_E_NS1_11comp_targetILNS1_3genE5ELNS1_11target_archE942ELNS1_3gpuE9ELNS1_3repE0EEENS1_30default_config_static_selectorELNS0_4arch9wavefront6targetE0EEEvSW_ ; -- Begin function _ZN7rocprim17ROCPRIM_400000_NS6detail17trampoline_kernelINS0_14default_configENS1_29binary_search_config_selectorIjiEEZNS1_14transform_implILb0ES3_S5_N6thrust23THRUST_200600_302600_NS6detail15normal_iteratorINS8_7pointerIjNS8_11hip_rocprim5par_tENS8_11use_defaultESE_EEEENSA_INSB_IiSD_SE_SE_EEEEZNS1_13binary_searchIS3_S5_PjSG_SI_NS1_16binary_search_opENS9_16wrapped_functionINS8_6system6detail7generic6detail18binary_search_lessEbEEEE10hipError_tPvRmT1_T2_T3_mmT4_T5_P12ihipStream_tbEUlRKjE_EEST_SX_SY_mSZ_S12_bEUlT_E_NS1_11comp_targetILNS1_3genE5ELNS1_11target_archE942ELNS1_3gpuE9ELNS1_3repE0EEENS1_30default_config_static_selectorELNS0_4arch9wavefront6targetE0EEEvSW_
	.globl	_ZN7rocprim17ROCPRIM_400000_NS6detail17trampoline_kernelINS0_14default_configENS1_29binary_search_config_selectorIjiEEZNS1_14transform_implILb0ES3_S5_N6thrust23THRUST_200600_302600_NS6detail15normal_iteratorINS8_7pointerIjNS8_11hip_rocprim5par_tENS8_11use_defaultESE_EEEENSA_INSB_IiSD_SE_SE_EEEEZNS1_13binary_searchIS3_S5_PjSG_SI_NS1_16binary_search_opENS9_16wrapped_functionINS8_6system6detail7generic6detail18binary_search_lessEbEEEE10hipError_tPvRmT1_T2_T3_mmT4_T5_P12ihipStream_tbEUlRKjE_EEST_SX_SY_mSZ_S12_bEUlT_E_NS1_11comp_targetILNS1_3genE5ELNS1_11target_archE942ELNS1_3gpuE9ELNS1_3repE0EEENS1_30default_config_static_selectorELNS0_4arch9wavefront6targetE0EEEvSW_
	.p2align	8
	.type	_ZN7rocprim17ROCPRIM_400000_NS6detail17trampoline_kernelINS0_14default_configENS1_29binary_search_config_selectorIjiEEZNS1_14transform_implILb0ES3_S5_N6thrust23THRUST_200600_302600_NS6detail15normal_iteratorINS8_7pointerIjNS8_11hip_rocprim5par_tENS8_11use_defaultESE_EEEENSA_INSB_IiSD_SE_SE_EEEEZNS1_13binary_searchIS3_S5_PjSG_SI_NS1_16binary_search_opENS9_16wrapped_functionINS8_6system6detail7generic6detail18binary_search_lessEbEEEE10hipError_tPvRmT1_T2_T3_mmT4_T5_P12ihipStream_tbEUlRKjE_EEST_SX_SY_mSZ_S12_bEUlT_E_NS1_11comp_targetILNS1_3genE5ELNS1_11target_archE942ELNS1_3gpuE9ELNS1_3repE0EEENS1_30default_config_static_selectorELNS0_4arch9wavefront6targetE0EEEvSW_,@function
_ZN7rocprim17ROCPRIM_400000_NS6detail17trampoline_kernelINS0_14default_configENS1_29binary_search_config_selectorIjiEEZNS1_14transform_implILb0ES3_S5_N6thrust23THRUST_200600_302600_NS6detail15normal_iteratorINS8_7pointerIjNS8_11hip_rocprim5par_tENS8_11use_defaultESE_EEEENSA_INSB_IiSD_SE_SE_EEEEZNS1_13binary_searchIS3_S5_PjSG_SI_NS1_16binary_search_opENS9_16wrapped_functionINS8_6system6detail7generic6detail18binary_search_lessEbEEEE10hipError_tPvRmT1_T2_T3_mmT4_T5_P12ihipStream_tbEUlRKjE_EEST_SX_SY_mSZ_S12_bEUlT_E_NS1_11comp_targetILNS1_3genE5ELNS1_11target_archE942ELNS1_3gpuE9ELNS1_3repE0EEENS1_30default_config_static_selectorELNS0_4arch9wavefront6targetE0EEEvSW_: ; @_ZN7rocprim17ROCPRIM_400000_NS6detail17trampoline_kernelINS0_14default_configENS1_29binary_search_config_selectorIjiEEZNS1_14transform_implILb0ES3_S5_N6thrust23THRUST_200600_302600_NS6detail15normal_iteratorINS8_7pointerIjNS8_11hip_rocprim5par_tENS8_11use_defaultESE_EEEENSA_INSB_IiSD_SE_SE_EEEEZNS1_13binary_searchIS3_S5_PjSG_SI_NS1_16binary_search_opENS9_16wrapped_functionINS8_6system6detail7generic6detail18binary_search_lessEbEEEE10hipError_tPvRmT1_T2_T3_mmT4_T5_P12ihipStream_tbEUlRKjE_EEST_SX_SY_mSZ_S12_bEUlT_E_NS1_11comp_targetILNS1_3genE5ELNS1_11target_archE942ELNS1_3gpuE9ELNS1_3repE0EEENS1_30default_config_static_selectorELNS0_4arch9wavefront6targetE0EEEvSW_
; %bb.0:
	.section	.rodata,"a",@progbits
	.p2align	6, 0x0
	.amdhsa_kernel _ZN7rocprim17ROCPRIM_400000_NS6detail17trampoline_kernelINS0_14default_configENS1_29binary_search_config_selectorIjiEEZNS1_14transform_implILb0ES3_S5_N6thrust23THRUST_200600_302600_NS6detail15normal_iteratorINS8_7pointerIjNS8_11hip_rocprim5par_tENS8_11use_defaultESE_EEEENSA_INSB_IiSD_SE_SE_EEEEZNS1_13binary_searchIS3_S5_PjSG_SI_NS1_16binary_search_opENS9_16wrapped_functionINS8_6system6detail7generic6detail18binary_search_lessEbEEEE10hipError_tPvRmT1_T2_T3_mmT4_T5_P12ihipStream_tbEUlRKjE_EEST_SX_SY_mSZ_S12_bEUlT_E_NS1_11comp_targetILNS1_3genE5ELNS1_11target_archE942ELNS1_3gpuE9ELNS1_3repE0EEENS1_30default_config_static_selectorELNS0_4arch9wavefront6targetE0EEEvSW_
		.amdhsa_group_segment_fixed_size 0
		.amdhsa_private_segment_fixed_size 0
		.amdhsa_kernarg_size 56
		.amdhsa_user_sgpr_count 6
		.amdhsa_user_sgpr_private_segment_buffer 1
		.amdhsa_user_sgpr_dispatch_ptr 0
		.amdhsa_user_sgpr_queue_ptr 0
		.amdhsa_user_sgpr_kernarg_segment_ptr 1
		.amdhsa_user_sgpr_dispatch_id 0
		.amdhsa_user_sgpr_flat_scratch_init 0
		.amdhsa_user_sgpr_private_segment_size 0
		.amdhsa_wavefront_size32 1
		.amdhsa_uses_dynamic_stack 0
		.amdhsa_system_sgpr_private_segment_wavefront_offset 0
		.amdhsa_system_sgpr_workgroup_id_x 1
		.amdhsa_system_sgpr_workgroup_id_y 0
		.amdhsa_system_sgpr_workgroup_id_z 0
		.amdhsa_system_sgpr_workgroup_info 0
		.amdhsa_system_vgpr_workitem_id 0
		.amdhsa_next_free_vgpr 1
		.amdhsa_next_free_sgpr 1
		.amdhsa_reserve_vcc 0
		.amdhsa_reserve_flat_scratch 0
		.amdhsa_float_round_mode_32 0
		.amdhsa_float_round_mode_16_64 0
		.amdhsa_float_denorm_mode_32 3
		.amdhsa_float_denorm_mode_16_64 3
		.amdhsa_dx10_clamp 1
		.amdhsa_ieee_mode 1
		.amdhsa_fp16_overflow 0
		.amdhsa_workgroup_processor_mode 1
		.amdhsa_memory_ordered 1
		.amdhsa_forward_progress 1
		.amdhsa_shared_vgpr_count 0
		.amdhsa_exception_fp_ieee_invalid_op 0
		.amdhsa_exception_fp_denorm_src 0
		.amdhsa_exception_fp_ieee_div_zero 0
		.amdhsa_exception_fp_ieee_overflow 0
		.amdhsa_exception_fp_ieee_underflow 0
		.amdhsa_exception_fp_ieee_inexact 0
		.amdhsa_exception_int_div_zero 0
	.end_amdhsa_kernel
	.section	.text._ZN7rocprim17ROCPRIM_400000_NS6detail17trampoline_kernelINS0_14default_configENS1_29binary_search_config_selectorIjiEEZNS1_14transform_implILb0ES3_S5_N6thrust23THRUST_200600_302600_NS6detail15normal_iteratorINS8_7pointerIjNS8_11hip_rocprim5par_tENS8_11use_defaultESE_EEEENSA_INSB_IiSD_SE_SE_EEEEZNS1_13binary_searchIS3_S5_PjSG_SI_NS1_16binary_search_opENS9_16wrapped_functionINS8_6system6detail7generic6detail18binary_search_lessEbEEEE10hipError_tPvRmT1_T2_T3_mmT4_T5_P12ihipStream_tbEUlRKjE_EEST_SX_SY_mSZ_S12_bEUlT_E_NS1_11comp_targetILNS1_3genE5ELNS1_11target_archE942ELNS1_3gpuE9ELNS1_3repE0EEENS1_30default_config_static_selectorELNS0_4arch9wavefront6targetE0EEEvSW_,"axG",@progbits,_ZN7rocprim17ROCPRIM_400000_NS6detail17trampoline_kernelINS0_14default_configENS1_29binary_search_config_selectorIjiEEZNS1_14transform_implILb0ES3_S5_N6thrust23THRUST_200600_302600_NS6detail15normal_iteratorINS8_7pointerIjNS8_11hip_rocprim5par_tENS8_11use_defaultESE_EEEENSA_INSB_IiSD_SE_SE_EEEEZNS1_13binary_searchIS3_S5_PjSG_SI_NS1_16binary_search_opENS9_16wrapped_functionINS8_6system6detail7generic6detail18binary_search_lessEbEEEE10hipError_tPvRmT1_T2_T3_mmT4_T5_P12ihipStream_tbEUlRKjE_EEST_SX_SY_mSZ_S12_bEUlT_E_NS1_11comp_targetILNS1_3genE5ELNS1_11target_archE942ELNS1_3gpuE9ELNS1_3repE0EEENS1_30default_config_static_selectorELNS0_4arch9wavefront6targetE0EEEvSW_,comdat
.Lfunc_end274:
	.size	_ZN7rocprim17ROCPRIM_400000_NS6detail17trampoline_kernelINS0_14default_configENS1_29binary_search_config_selectorIjiEEZNS1_14transform_implILb0ES3_S5_N6thrust23THRUST_200600_302600_NS6detail15normal_iteratorINS8_7pointerIjNS8_11hip_rocprim5par_tENS8_11use_defaultESE_EEEENSA_INSB_IiSD_SE_SE_EEEEZNS1_13binary_searchIS3_S5_PjSG_SI_NS1_16binary_search_opENS9_16wrapped_functionINS8_6system6detail7generic6detail18binary_search_lessEbEEEE10hipError_tPvRmT1_T2_T3_mmT4_T5_P12ihipStream_tbEUlRKjE_EEST_SX_SY_mSZ_S12_bEUlT_E_NS1_11comp_targetILNS1_3genE5ELNS1_11target_archE942ELNS1_3gpuE9ELNS1_3repE0EEENS1_30default_config_static_selectorELNS0_4arch9wavefront6targetE0EEEvSW_, .Lfunc_end274-_ZN7rocprim17ROCPRIM_400000_NS6detail17trampoline_kernelINS0_14default_configENS1_29binary_search_config_selectorIjiEEZNS1_14transform_implILb0ES3_S5_N6thrust23THRUST_200600_302600_NS6detail15normal_iteratorINS8_7pointerIjNS8_11hip_rocprim5par_tENS8_11use_defaultESE_EEEENSA_INSB_IiSD_SE_SE_EEEEZNS1_13binary_searchIS3_S5_PjSG_SI_NS1_16binary_search_opENS9_16wrapped_functionINS8_6system6detail7generic6detail18binary_search_lessEbEEEE10hipError_tPvRmT1_T2_T3_mmT4_T5_P12ihipStream_tbEUlRKjE_EEST_SX_SY_mSZ_S12_bEUlT_E_NS1_11comp_targetILNS1_3genE5ELNS1_11target_archE942ELNS1_3gpuE9ELNS1_3repE0EEENS1_30default_config_static_selectorELNS0_4arch9wavefront6targetE0EEEvSW_
                                        ; -- End function
	.set _ZN7rocprim17ROCPRIM_400000_NS6detail17trampoline_kernelINS0_14default_configENS1_29binary_search_config_selectorIjiEEZNS1_14transform_implILb0ES3_S5_N6thrust23THRUST_200600_302600_NS6detail15normal_iteratorINS8_7pointerIjNS8_11hip_rocprim5par_tENS8_11use_defaultESE_EEEENSA_INSB_IiSD_SE_SE_EEEEZNS1_13binary_searchIS3_S5_PjSG_SI_NS1_16binary_search_opENS9_16wrapped_functionINS8_6system6detail7generic6detail18binary_search_lessEbEEEE10hipError_tPvRmT1_T2_T3_mmT4_T5_P12ihipStream_tbEUlRKjE_EEST_SX_SY_mSZ_S12_bEUlT_E_NS1_11comp_targetILNS1_3genE5ELNS1_11target_archE942ELNS1_3gpuE9ELNS1_3repE0EEENS1_30default_config_static_selectorELNS0_4arch9wavefront6targetE0EEEvSW_.num_vgpr, 0
	.set _ZN7rocprim17ROCPRIM_400000_NS6detail17trampoline_kernelINS0_14default_configENS1_29binary_search_config_selectorIjiEEZNS1_14transform_implILb0ES3_S5_N6thrust23THRUST_200600_302600_NS6detail15normal_iteratorINS8_7pointerIjNS8_11hip_rocprim5par_tENS8_11use_defaultESE_EEEENSA_INSB_IiSD_SE_SE_EEEEZNS1_13binary_searchIS3_S5_PjSG_SI_NS1_16binary_search_opENS9_16wrapped_functionINS8_6system6detail7generic6detail18binary_search_lessEbEEEE10hipError_tPvRmT1_T2_T3_mmT4_T5_P12ihipStream_tbEUlRKjE_EEST_SX_SY_mSZ_S12_bEUlT_E_NS1_11comp_targetILNS1_3genE5ELNS1_11target_archE942ELNS1_3gpuE9ELNS1_3repE0EEENS1_30default_config_static_selectorELNS0_4arch9wavefront6targetE0EEEvSW_.num_agpr, 0
	.set _ZN7rocprim17ROCPRIM_400000_NS6detail17trampoline_kernelINS0_14default_configENS1_29binary_search_config_selectorIjiEEZNS1_14transform_implILb0ES3_S5_N6thrust23THRUST_200600_302600_NS6detail15normal_iteratorINS8_7pointerIjNS8_11hip_rocprim5par_tENS8_11use_defaultESE_EEEENSA_INSB_IiSD_SE_SE_EEEEZNS1_13binary_searchIS3_S5_PjSG_SI_NS1_16binary_search_opENS9_16wrapped_functionINS8_6system6detail7generic6detail18binary_search_lessEbEEEE10hipError_tPvRmT1_T2_T3_mmT4_T5_P12ihipStream_tbEUlRKjE_EEST_SX_SY_mSZ_S12_bEUlT_E_NS1_11comp_targetILNS1_3genE5ELNS1_11target_archE942ELNS1_3gpuE9ELNS1_3repE0EEENS1_30default_config_static_selectorELNS0_4arch9wavefront6targetE0EEEvSW_.numbered_sgpr, 0
	.set _ZN7rocprim17ROCPRIM_400000_NS6detail17trampoline_kernelINS0_14default_configENS1_29binary_search_config_selectorIjiEEZNS1_14transform_implILb0ES3_S5_N6thrust23THRUST_200600_302600_NS6detail15normal_iteratorINS8_7pointerIjNS8_11hip_rocprim5par_tENS8_11use_defaultESE_EEEENSA_INSB_IiSD_SE_SE_EEEEZNS1_13binary_searchIS3_S5_PjSG_SI_NS1_16binary_search_opENS9_16wrapped_functionINS8_6system6detail7generic6detail18binary_search_lessEbEEEE10hipError_tPvRmT1_T2_T3_mmT4_T5_P12ihipStream_tbEUlRKjE_EEST_SX_SY_mSZ_S12_bEUlT_E_NS1_11comp_targetILNS1_3genE5ELNS1_11target_archE942ELNS1_3gpuE9ELNS1_3repE0EEENS1_30default_config_static_selectorELNS0_4arch9wavefront6targetE0EEEvSW_.num_named_barrier, 0
	.set _ZN7rocprim17ROCPRIM_400000_NS6detail17trampoline_kernelINS0_14default_configENS1_29binary_search_config_selectorIjiEEZNS1_14transform_implILb0ES3_S5_N6thrust23THRUST_200600_302600_NS6detail15normal_iteratorINS8_7pointerIjNS8_11hip_rocprim5par_tENS8_11use_defaultESE_EEEENSA_INSB_IiSD_SE_SE_EEEEZNS1_13binary_searchIS3_S5_PjSG_SI_NS1_16binary_search_opENS9_16wrapped_functionINS8_6system6detail7generic6detail18binary_search_lessEbEEEE10hipError_tPvRmT1_T2_T3_mmT4_T5_P12ihipStream_tbEUlRKjE_EEST_SX_SY_mSZ_S12_bEUlT_E_NS1_11comp_targetILNS1_3genE5ELNS1_11target_archE942ELNS1_3gpuE9ELNS1_3repE0EEENS1_30default_config_static_selectorELNS0_4arch9wavefront6targetE0EEEvSW_.private_seg_size, 0
	.set _ZN7rocprim17ROCPRIM_400000_NS6detail17trampoline_kernelINS0_14default_configENS1_29binary_search_config_selectorIjiEEZNS1_14transform_implILb0ES3_S5_N6thrust23THRUST_200600_302600_NS6detail15normal_iteratorINS8_7pointerIjNS8_11hip_rocprim5par_tENS8_11use_defaultESE_EEEENSA_INSB_IiSD_SE_SE_EEEEZNS1_13binary_searchIS3_S5_PjSG_SI_NS1_16binary_search_opENS9_16wrapped_functionINS8_6system6detail7generic6detail18binary_search_lessEbEEEE10hipError_tPvRmT1_T2_T3_mmT4_T5_P12ihipStream_tbEUlRKjE_EEST_SX_SY_mSZ_S12_bEUlT_E_NS1_11comp_targetILNS1_3genE5ELNS1_11target_archE942ELNS1_3gpuE9ELNS1_3repE0EEENS1_30default_config_static_selectorELNS0_4arch9wavefront6targetE0EEEvSW_.uses_vcc, 0
	.set _ZN7rocprim17ROCPRIM_400000_NS6detail17trampoline_kernelINS0_14default_configENS1_29binary_search_config_selectorIjiEEZNS1_14transform_implILb0ES3_S5_N6thrust23THRUST_200600_302600_NS6detail15normal_iteratorINS8_7pointerIjNS8_11hip_rocprim5par_tENS8_11use_defaultESE_EEEENSA_INSB_IiSD_SE_SE_EEEEZNS1_13binary_searchIS3_S5_PjSG_SI_NS1_16binary_search_opENS9_16wrapped_functionINS8_6system6detail7generic6detail18binary_search_lessEbEEEE10hipError_tPvRmT1_T2_T3_mmT4_T5_P12ihipStream_tbEUlRKjE_EEST_SX_SY_mSZ_S12_bEUlT_E_NS1_11comp_targetILNS1_3genE5ELNS1_11target_archE942ELNS1_3gpuE9ELNS1_3repE0EEENS1_30default_config_static_selectorELNS0_4arch9wavefront6targetE0EEEvSW_.uses_flat_scratch, 0
	.set _ZN7rocprim17ROCPRIM_400000_NS6detail17trampoline_kernelINS0_14default_configENS1_29binary_search_config_selectorIjiEEZNS1_14transform_implILb0ES3_S5_N6thrust23THRUST_200600_302600_NS6detail15normal_iteratorINS8_7pointerIjNS8_11hip_rocprim5par_tENS8_11use_defaultESE_EEEENSA_INSB_IiSD_SE_SE_EEEEZNS1_13binary_searchIS3_S5_PjSG_SI_NS1_16binary_search_opENS9_16wrapped_functionINS8_6system6detail7generic6detail18binary_search_lessEbEEEE10hipError_tPvRmT1_T2_T3_mmT4_T5_P12ihipStream_tbEUlRKjE_EEST_SX_SY_mSZ_S12_bEUlT_E_NS1_11comp_targetILNS1_3genE5ELNS1_11target_archE942ELNS1_3gpuE9ELNS1_3repE0EEENS1_30default_config_static_selectorELNS0_4arch9wavefront6targetE0EEEvSW_.has_dyn_sized_stack, 0
	.set _ZN7rocprim17ROCPRIM_400000_NS6detail17trampoline_kernelINS0_14default_configENS1_29binary_search_config_selectorIjiEEZNS1_14transform_implILb0ES3_S5_N6thrust23THRUST_200600_302600_NS6detail15normal_iteratorINS8_7pointerIjNS8_11hip_rocprim5par_tENS8_11use_defaultESE_EEEENSA_INSB_IiSD_SE_SE_EEEEZNS1_13binary_searchIS3_S5_PjSG_SI_NS1_16binary_search_opENS9_16wrapped_functionINS8_6system6detail7generic6detail18binary_search_lessEbEEEE10hipError_tPvRmT1_T2_T3_mmT4_T5_P12ihipStream_tbEUlRKjE_EEST_SX_SY_mSZ_S12_bEUlT_E_NS1_11comp_targetILNS1_3genE5ELNS1_11target_archE942ELNS1_3gpuE9ELNS1_3repE0EEENS1_30default_config_static_selectorELNS0_4arch9wavefront6targetE0EEEvSW_.has_recursion, 0
	.set _ZN7rocprim17ROCPRIM_400000_NS6detail17trampoline_kernelINS0_14default_configENS1_29binary_search_config_selectorIjiEEZNS1_14transform_implILb0ES3_S5_N6thrust23THRUST_200600_302600_NS6detail15normal_iteratorINS8_7pointerIjNS8_11hip_rocprim5par_tENS8_11use_defaultESE_EEEENSA_INSB_IiSD_SE_SE_EEEEZNS1_13binary_searchIS3_S5_PjSG_SI_NS1_16binary_search_opENS9_16wrapped_functionINS8_6system6detail7generic6detail18binary_search_lessEbEEEE10hipError_tPvRmT1_T2_T3_mmT4_T5_P12ihipStream_tbEUlRKjE_EEST_SX_SY_mSZ_S12_bEUlT_E_NS1_11comp_targetILNS1_3genE5ELNS1_11target_archE942ELNS1_3gpuE9ELNS1_3repE0EEENS1_30default_config_static_selectorELNS0_4arch9wavefront6targetE0EEEvSW_.has_indirect_call, 0
	.section	.AMDGPU.csdata,"",@progbits
; Kernel info:
; codeLenInByte = 0
; TotalNumSgprs: 0
; NumVgprs: 0
; ScratchSize: 0
; MemoryBound: 0
; FloatMode: 240
; IeeeMode: 1
; LDSByteSize: 0 bytes/workgroup (compile time only)
; SGPRBlocks: 0
; VGPRBlocks: 0
; NumSGPRsForWavesPerEU: 1
; NumVGPRsForWavesPerEU: 1
; Occupancy: 16
; WaveLimiterHint : 0
; COMPUTE_PGM_RSRC2:SCRATCH_EN: 0
; COMPUTE_PGM_RSRC2:USER_SGPR: 6
; COMPUTE_PGM_RSRC2:TRAP_HANDLER: 0
; COMPUTE_PGM_RSRC2:TGID_X_EN: 1
; COMPUTE_PGM_RSRC2:TGID_Y_EN: 0
; COMPUTE_PGM_RSRC2:TGID_Z_EN: 0
; COMPUTE_PGM_RSRC2:TIDIG_COMP_CNT: 0
	.section	.text._ZN7rocprim17ROCPRIM_400000_NS6detail17trampoline_kernelINS0_14default_configENS1_29binary_search_config_selectorIjiEEZNS1_14transform_implILb0ES3_S5_N6thrust23THRUST_200600_302600_NS6detail15normal_iteratorINS8_7pointerIjNS8_11hip_rocprim5par_tENS8_11use_defaultESE_EEEENSA_INSB_IiSD_SE_SE_EEEEZNS1_13binary_searchIS3_S5_PjSG_SI_NS1_16binary_search_opENS9_16wrapped_functionINS8_6system6detail7generic6detail18binary_search_lessEbEEEE10hipError_tPvRmT1_T2_T3_mmT4_T5_P12ihipStream_tbEUlRKjE_EEST_SX_SY_mSZ_S12_bEUlT_E_NS1_11comp_targetILNS1_3genE4ELNS1_11target_archE910ELNS1_3gpuE8ELNS1_3repE0EEENS1_30default_config_static_selectorELNS0_4arch9wavefront6targetE0EEEvSW_,"axG",@progbits,_ZN7rocprim17ROCPRIM_400000_NS6detail17trampoline_kernelINS0_14default_configENS1_29binary_search_config_selectorIjiEEZNS1_14transform_implILb0ES3_S5_N6thrust23THRUST_200600_302600_NS6detail15normal_iteratorINS8_7pointerIjNS8_11hip_rocprim5par_tENS8_11use_defaultESE_EEEENSA_INSB_IiSD_SE_SE_EEEEZNS1_13binary_searchIS3_S5_PjSG_SI_NS1_16binary_search_opENS9_16wrapped_functionINS8_6system6detail7generic6detail18binary_search_lessEbEEEE10hipError_tPvRmT1_T2_T3_mmT4_T5_P12ihipStream_tbEUlRKjE_EEST_SX_SY_mSZ_S12_bEUlT_E_NS1_11comp_targetILNS1_3genE4ELNS1_11target_archE910ELNS1_3gpuE8ELNS1_3repE0EEENS1_30default_config_static_selectorELNS0_4arch9wavefront6targetE0EEEvSW_,comdat
	.protected	_ZN7rocprim17ROCPRIM_400000_NS6detail17trampoline_kernelINS0_14default_configENS1_29binary_search_config_selectorIjiEEZNS1_14transform_implILb0ES3_S5_N6thrust23THRUST_200600_302600_NS6detail15normal_iteratorINS8_7pointerIjNS8_11hip_rocprim5par_tENS8_11use_defaultESE_EEEENSA_INSB_IiSD_SE_SE_EEEEZNS1_13binary_searchIS3_S5_PjSG_SI_NS1_16binary_search_opENS9_16wrapped_functionINS8_6system6detail7generic6detail18binary_search_lessEbEEEE10hipError_tPvRmT1_T2_T3_mmT4_T5_P12ihipStream_tbEUlRKjE_EEST_SX_SY_mSZ_S12_bEUlT_E_NS1_11comp_targetILNS1_3genE4ELNS1_11target_archE910ELNS1_3gpuE8ELNS1_3repE0EEENS1_30default_config_static_selectorELNS0_4arch9wavefront6targetE0EEEvSW_ ; -- Begin function _ZN7rocprim17ROCPRIM_400000_NS6detail17trampoline_kernelINS0_14default_configENS1_29binary_search_config_selectorIjiEEZNS1_14transform_implILb0ES3_S5_N6thrust23THRUST_200600_302600_NS6detail15normal_iteratorINS8_7pointerIjNS8_11hip_rocprim5par_tENS8_11use_defaultESE_EEEENSA_INSB_IiSD_SE_SE_EEEEZNS1_13binary_searchIS3_S5_PjSG_SI_NS1_16binary_search_opENS9_16wrapped_functionINS8_6system6detail7generic6detail18binary_search_lessEbEEEE10hipError_tPvRmT1_T2_T3_mmT4_T5_P12ihipStream_tbEUlRKjE_EEST_SX_SY_mSZ_S12_bEUlT_E_NS1_11comp_targetILNS1_3genE4ELNS1_11target_archE910ELNS1_3gpuE8ELNS1_3repE0EEENS1_30default_config_static_selectorELNS0_4arch9wavefront6targetE0EEEvSW_
	.globl	_ZN7rocprim17ROCPRIM_400000_NS6detail17trampoline_kernelINS0_14default_configENS1_29binary_search_config_selectorIjiEEZNS1_14transform_implILb0ES3_S5_N6thrust23THRUST_200600_302600_NS6detail15normal_iteratorINS8_7pointerIjNS8_11hip_rocprim5par_tENS8_11use_defaultESE_EEEENSA_INSB_IiSD_SE_SE_EEEEZNS1_13binary_searchIS3_S5_PjSG_SI_NS1_16binary_search_opENS9_16wrapped_functionINS8_6system6detail7generic6detail18binary_search_lessEbEEEE10hipError_tPvRmT1_T2_T3_mmT4_T5_P12ihipStream_tbEUlRKjE_EEST_SX_SY_mSZ_S12_bEUlT_E_NS1_11comp_targetILNS1_3genE4ELNS1_11target_archE910ELNS1_3gpuE8ELNS1_3repE0EEENS1_30default_config_static_selectorELNS0_4arch9wavefront6targetE0EEEvSW_
	.p2align	8
	.type	_ZN7rocprim17ROCPRIM_400000_NS6detail17trampoline_kernelINS0_14default_configENS1_29binary_search_config_selectorIjiEEZNS1_14transform_implILb0ES3_S5_N6thrust23THRUST_200600_302600_NS6detail15normal_iteratorINS8_7pointerIjNS8_11hip_rocprim5par_tENS8_11use_defaultESE_EEEENSA_INSB_IiSD_SE_SE_EEEEZNS1_13binary_searchIS3_S5_PjSG_SI_NS1_16binary_search_opENS9_16wrapped_functionINS8_6system6detail7generic6detail18binary_search_lessEbEEEE10hipError_tPvRmT1_T2_T3_mmT4_T5_P12ihipStream_tbEUlRKjE_EEST_SX_SY_mSZ_S12_bEUlT_E_NS1_11comp_targetILNS1_3genE4ELNS1_11target_archE910ELNS1_3gpuE8ELNS1_3repE0EEENS1_30default_config_static_selectorELNS0_4arch9wavefront6targetE0EEEvSW_,@function
_ZN7rocprim17ROCPRIM_400000_NS6detail17trampoline_kernelINS0_14default_configENS1_29binary_search_config_selectorIjiEEZNS1_14transform_implILb0ES3_S5_N6thrust23THRUST_200600_302600_NS6detail15normal_iteratorINS8_7pointerIjNS8_11hip_rocprim5par_tENS8_11use_defaultESE_EEEENSA_INSB_IiSD_SE_SE_EEEEZNS1_13binary_searchIS3_S5_PjSG_SI_NS1_16binary_search_opENS9_16wrapped_functionINS8_6system6detail7generic6detail18binary_search_lessEbEEEE10hipError_tPvRmT1_T2_T3_mmT4_T5_P12ihipStream_tbEUlRKjE_EEST_SX_SY_mSZ_S12_bEUlT_E_NS1_11comp_targetILNS1_3genE4ELNS1_11target_archE910ELNS1_3gpuE8ELNS1_3repE0EEENS1_30default_config_static_selectorELNS0_4arch9wavefront6targetE0EEEvSW_: ; @_ZN7rocprim17ROCPRIM_400000_NS6detail17trampoline_kernelINS0_14default_configENS1_29binary_search_config_selectorIjiEEZNS1_14transform_implILb0ES3_S5_N6thrust23THRUST_200600_302600_NS6detail15normal_iteratorINS8_7pointerIjNS8_11hip_rocprim5par_tENS8_11use_defaultESE_EEEENSA_INSB_IiSD_SE_SE_EEEEZNS1_13binary_searchIS3_S5_PjSG_SI_NS1_16binary_search_opENS9_16wrapped_functionINS8_6system6detail7generic6detail18binary_search_lessEbEEEE10hipError_tPvRmT1_T2_T3_mmT4_T5_P12ihipStream_tbEUlRKjE_EEST_SX_SY_mSZ_S12_bEUlT_E_NS1_11comp_targetILNS1_3genE4ELNS1_11target_archE910ELNS1_3gpuE8ELNS1_3repE0EEENS1_30default_config_static_selectorELNS0_4arch9wavefront6targetE0EEEvSW_
; %bb.0:
	.section	.rodata,"a",@progbits
	.p2align	6, 0x0
	.amdhsa_kernel _ZN7rocprim17ROCPRIM_400000_NS6detail17trampoline_kernelINS0_14default_configENS1_29binary_search_config_selectorIjiEEZNS1_14transform_implILb0ES3_S5_N6thrust23THRUST_200600_302600_NS6detail15normal_iteratorINS8_7pointerIjNS8_11hip_rocprim5par_tENS8_11use_defaultESE_EEEENSA_INSB_IiSD_SE_SE_EEEEZNS1_13binary_searchIS3_S5_PjSG_SI_NS1_16binary_search_opENS9_16wrapped_functionINS8_6system6detail7generic6detail18binary_search_lessEbEEEE10hipError_tPvRmT1_T2_T3_mmT4_T5_P12ihipStream_tbEUlRKjE_EEST_SX_SY_mSZ_S12_bEUlT_E_NS1_11comp_targetILNS1_3genE4ELNS1_11target_archE910ELNS1_3gpuE8ELNS1_3repE0EEENS1_30default_config_static_selectorELNS0_4arch9wavefront6targetE0EEEvSW_
		.amdhsa_group_segment_fixed_size 0
		.amdhsa_private_segment_fixed_size 0
		.amdhsa_kernarg_size 56
		.amdhsa_user_sgpr_count 6
		.amdhsa_user_sgpr_private_segment_buffer 1
		.amdhsa_user_sgpr_dispatch_ptr 0
		.amdhsa_user_sgpr_queue_ptr 0
		.amdhsa_user_sgpr_kernarg_segment_ptr 1
		.amdhsa_user_sgpr_dispatch_id 0
		.amdhsa_user_sgpr_flat_scratch_init 0
		.amdhsa_user_sgpr_private_segment_size 0
		.amdhsa_wavefront_size32 1
		.amdhsa_uses_dynamic_stack 0
		.amdhsa_system_sgpr_private_segment_wavefront_offset 0
		.amdhsa_system_sgpr_workgroup_id_x 1
		.amdhsa_system_sgpr_workgroup_id_y 0
		.amdhsa_system_sgpr_workgroup_id_z 0
		.amdhsa_system_sgpr_workgroup_info 0
		.amdhsa_system_vgpr_workitem_id 0
		.amdhsa_next_free_vgpr 1
		.amdhsa_next_free_sgpr 1
		.amdhsa_reserve_vcc 0
		.amdhsa_reserve_flat_scratch 0
		.amdhsa_float_round_mode_32 0
		.amdhsa_float_round_mode_16_64 0
		.amdhsa_float_denorm_mode_32 3
		.amdhsa_float_denorm_mode_16_64 3
		.amdhsa_dx10_clamp 1
		.amdhsa_ieee_mode 1
		.amdhsa_fp16_overflow 0
		.amdhsa_workgroup_processor_mode 1
		.amdhsa_memory_ordered 1
		.amdhsa_forward_progress 1
		.amdhsa_shared_vgpr_count 0
		.amdhsa_exception_fp_ieee_invalid_op 0
		.amdhsa_exception_fp_denorm_src 0
		.amdhsa_exception_fp_ieee_div_zero 0
		.amdhsa_exception_fp_ieee_overflow 0
		.amdhsa_exception_fp_ieee_underflow 0
		.amdhsa_exception_fp_ieee_inexact 0
		.amdhsa_exception_int_div_zero 0
	.end_amdhsa_kernel
	.section	.text._ZN7rocprim17ROCPRIM_400000_NS6detail17trampoline_kernelINS0_14default_configENS1_29binary_search_config_selectorIjiEEZNS1_14transform_implILb0ES3_S5_N6thrust23THRUST_200600_302600_NS6detail15normal_iteratorINS8_7pointerIjNS8_11hip_rocprim5par_tENS8_11use_defaultESE_EEEENSA_INSB_IiSD_SE_SE_EEEEZNS1_13binary_searchIS3_S5_PjSG_SI_NS1_16binary_search_opENS9_16wrapped_functionINS8_6system6detail7generic6detail18binary_search_lessEbEEEE10hipError_tPvRmT1_T2_T3_mmT4_T5_P12ihipStream_tbEUlRKjE_EEST_SX_SY_mSZ_S12_bEUlT_E_NS1_11comp_targetILNS1_3genE4ELNS1_11target_archE910ELNS1_3gpuE8ELNS1_3repE0EEENS1_30default_config_static_selectorELNS0_4arch9wavefront6targetE0EEEvSW_,"axG",@progbits,_ZN7rocprim17ROCPRIM_400000_NS6detail17trampoline_kernelINS0_14default_configENS1_29binary_search_config_selectorIjiEEZNS1_14transform_implILb0ES3_S5_N6thrust23THRUST_200600_302600_NS6detail15normal_iteratorINS8_7pointerIjNS8_11hip_rocprim5par_tENS8_11use_defaultESE_EEEENSA_INSB_IiSD_SE_SE_EEEEZNS1_13binary_searchIS3_S5_PjSG_SI_NS1_16binary_search_opENS9_16wrapped_functionINS8_6system6detail7generic6detail18binary_search_lessEbEEEE10hipError_tPvRmT1_T2_T3_mmT4_T5_P12ihipStream_tbEUlRKjE_EEST_SX_SY_mSZ_S12_bEUlT_E_NS1_11comp_targetILNS1_3genE4ELNS1_11target_archE910ELNS1_3gpuE8ELNS1_3repE0EEENS1_30default_config_static_selectorELNS0_4arch9wavefront6targetE0EEEvSW_,comdat
.Lfunc_end275:
	.size	_ZN7rocprim17ROCPRIM_400000_NS6detail17trampoline_kernelINS0_14default_configENS1_29binary_search_config_selectorIjiEEZNS1_14transform_implILb0ES3_S5_N6thrust23THRUST_200600_302600_NS6detail15normal_iteratorINS8_7pointerIjNS8_11hip_rocprim5par_tENS8_11use_defaultESE_EEEENSA_INSB_IiSD_SE_SE_EEEEZNS1_13binary_searchIS3_S5_PjSG_SI_NS1_16binary_search_opENS9_16wrapped_functionINS8_6system6detail7generic6detail18binary_search_lessEbEEEE10hipError_tPvRmT1_T2_T3_mmT4_T5_P12ihipStream_tbEUlRKjE_EEST_SX_SY_mSZ_S12_bEUlT_E_NS1_11comp_targetILNS1_3genE4ELNS1_11target_archE910ELNS1_3gpuE8ELNS1_3repE0EEENS1_30default_config_static_selectorELNS0_4arch9wavefront6targetE0EEEvSW_, .Lfunc_end275-_ZN7rocprim17ROCPRIM_400000_NS6detail17trampoline_kernelINS0_14default_configENS1_29binary_search_config_selectorIjiEEZNS1_14transform_implILb0ES3_S5_N6thrust23THRUST_200600_302600_NS6detail15normal_iteratorINS8_7pointerIjNS8_11hip_rocprim5par_tENS8_11use_defaultESE_EEEENSA_INSB_IiSD_SE_SE_EEEEZNS1_13binary_searchIS3_S5_PjSG_SI_NS1_16binary_search_opENS9_16wrapped_functionINS8_6system6detail7generic6detail18binary_search_lessEbEEEE10hipError_tPvRmT1_T2_T3_mmT4_T5_P12ihipStream_tbEUlRKjE_EEST_SX_SY_mSZ_S12_bEUlT_E_NS1_11comp_targetILNS1_3genE4ELNS1_11target_archE910ELNS1_3gpuE8ELNS1_3repE0EEENS1_30default_config_static_selectorELNS0_4arch9wavefront6targetE0EEEvSW_
                                        ; -- End function
	.set _ZN7rocprim17ROCPRIM_400000_NS6detail17trampoline_kernelINS0_14default_configENS1_29binary_search_config_selectorIjiEEZNS1_14transform_implILb0ES3_S5_N6thrust23THRUST_200600_302600_NS6detail15normal_iteratorINS8_7pointerIjNS8_11hip_rocprim5par_tENS8_11use_defaultESE_EEEENSA_INSB_IiSD_SE_SE_EEEEZNS1_13binary_searchIS3_S5_PjSG_SI_NS1_16binary_search_opENS9_16wrapped_functionINS8_6system6detail7generic6detail18binary_search_lessEbEEEE10hipError_tPvRmT1_T2_T3_mmT4_T5_P12ihipStream_tbEUlRKjE_EEST_SX_SY_mSZ_S12_bEUlT_E_NS1_11comp_targetILNS1_3genE4ELNS1_11target_archE910ELNS1_3gpuE8ELNS1_3repE0EEENS1_30default_config_static_selectorELNS0_4arch9wavefront6targetE0EEEvSW_.num_vgpr, 0
	.set _ZN7rocprim17ROCPRIM_400000_NS6detail17trampoline_kernelINS0_14default_configENS1_29binary_search_config_selectorIjiEEZNS1_14transform_implILb0ES3_S5_N6thrust23THRUST_200600_302600_NS6detail15normal_iteratorINS8_7pointerIjNS8_11hip_rocprim5par_tENS8_11use_defaultESE_EEEENSA_INSB_IiSD_SE_SE_EEEEZNS1_13binary_searchIS3_S5_PjSG_SI_NS1_16binary_search_opENS9_16wrapped_functionINS8_6system6detail7generic6detail18binary_search_lessEbEEEE10hipError_tPvRmT1_T2_T3_mmT4_T5_P12ihipStream_tbEUlRKjE_EEST_SX_SY_mSZ_S12_bEUlT_E_NS1_11comp_targetILNS1_3genE4ELNS1_11target_archE910ELNS1_3gpuE8ELNS1_3repE0EEENS1_30default_config_static_selectorELNS0_4arch9wavefront6targetE0EEEvSW_.num_agpr, 0
	.set _ZN7rocprim17ROCPRIM_400000_NS6detail17trampoline_kernelINS0_14default_configENS1_29binary_search_config_selectorIjiEEZNS1_14transform_implILb0ES3_S5_N6thrust23THRUST_200600_302600_NS6detail15normal_iteratorINS8_7pointerIjNS8_11hip_rocprim5par_tENS8_11use_defaultESE_EEEENSA_INSB_IiSD_SE_SE_EEEEZNS1_13binary_searchIS3_S5_PjSG_SI_NS1_16binary_search_opENS9_16wrapped_functionINS8_6system6detail7generic6detail18binary_search_lessEbEEEE10hipError_tPvRmT1_T2_T3_mmT4_T5_P12ihipStream_tbEUlRKjE_EEST_SX_SY_mSZ_S12_bEUlT_E_NS1_11comp_targetILNS1_3genE4ELNS1_11target_archE910ELNS1_3gpuE8ELNS1_3repE0EEENS1_30default_config_static_selectorELNS0_4arch9wavefront6targetE0EEEvSW_.numbered_sgpr, 0
	.set _ZN7rocprim17ROCPRIM_400000_NS6detail17trampoline_kernelINS0_14default_configENS1_29binary_search_config_selectorIjiEEZNS1_14transform_implILb0ES3_S5_N6thrust23THRUST_200600_302600_NS6detail15normal_iteratorINS8_7pointerIjNS8_11hip_rocprim5par_tENS8_11use_defaultESE_EEEENSA_INSB_IiSD_SE_SE_EEEEZNS1_13binary_searchIS3_S5_PjSG_SI_NS1_16binary_search_opENS9_16wrapped_functionINS8_6system6detail7generic6detail18binary_search_lessEbEEEE10hipError_tPvRmT1_T2_T3_mmT4_T5_P12ihipStream_tbEUlRKjE_EEST_SX_SY_mSZ_S12_bEUlT_E_NS1_11comp_targetILNS1_3genE4ELNS1_11target_archE910ELNS1_3gpuE8ELNS1_3repE0EEENS1_30default_config_static_selectorELNS0_4arch9wavefront6targetE0EEEvSW_.num_named_barrier, 0
	.set _ZN7rocprim17ROCPRIM_400000_NS6detail17trampoline_kernelINS0_14default_configENS1_29binary_search_config_selectorIjiEEZNS1_14transform_implILb0ES3_S5_N6thrust23THRUST_200600_302600_NS6detail15normal_iteratorINS8_7pointerIjNS8_11hip_rocprim5par_tENS8_11use_defaultESE_EEEENSA_INSB_IiSD_SE_SE_EEEEZNS1_13binary_searchIS3_S5_PjSG_SI_NS1_16binary_search_opENS9_16wrapped_functionINS8_6system6detail7generic6detail18binary_search_lessEbEEEE10hipError_tPvRmT1_T2_T3_mmT4_T5_P12ihipStream_tbEUlRKjE_EEST_SX_SY_mSZ_S12_bEUlT_E_NS1_11comp_targetILNS1_3genE4ELNS1_11target_archE910ELNS1_3gpuE8ELNS1_3repE0EEENS1_30default_config_static_selectorELNS0_4arch9wavefront6targetE0EEEvSW_.private_seg_size, 0
	.set _ZN7rocprim17ROCPRIM_400000_NS6detail17trampoline_kernelINS0_14default_configENS1_29binary_search_config_selectorIjiEEZNS1_14transform_implILb0ES3_S5_N6thrust23THRUST_200600_302600_NS6detail15normal_iteratorINS8_7pointerIjNS8_11hip_rocprim5par_tENS8_11use_defaultESE_EEEENSA_INSB_IiSD_SE_SE_EEEEZNS1_13binary_searchIS3_S5_PjSG_SI_NS1_16binary_search_opENS9_16wrapped_functionINS8_6system6detail7generic6detail18binary_search_lessEbEEEE10hipError_tPvRmT1_T2_T3_mmT4_T5_P12ihipStream_tbEUlRKjE_EEST_SX_SY_mSZ_S12_bEUlT_E_NS1_11comp_targetILNS1_3genE4ELNS1_11target_archE910ELNS1_3gpuE8ELNS1_3repE0EEENS1_30default_config_static_selectorELNS0_4arch9wavefront6targetE0EEEvSW_.uses_vcc, 0
	.set _ZN7rocprim17ROCPRIM_400000_NS6detail17trampoline_kernelINS0_14default_configENS1_29binary_search_config_selectorIjiEEZNS1_14transform_implILb0ES3_S5_N6thrust23THRUST_200600_302600_NS6detail15normal_iteratorINS8_7pointerIjNS8_11hip_rocprim5par_tENS8_11use_defaultESE_EEEENSA_INSB_IiSD_SE_SE_EEEEZNS1_13binary_searchIS3_S5_PjSG_SI_NS1_16binary_search_opENS9_16wrapped_functionINS8_6system6detail7generic6detail18binary_search_lessEbEEEE10hipError_tPvRmT1_T2_T3_mmT4_T5_P12ihipStream_tbEUlRKjE_EEST_SX_SY_mSZ_S12_bEUlT_E_NS1_11comp_targetILNS1_3genE4ELNS1_11target_archE910ELNS1_3gpuE8ELNS1_3repE0EEENS1_30default_config_static_selectorELNS0_4arch9wavefront6targetE0EEEvSW_.uses_flat_scratch, 0
	.set _ZN7rocprim17ROCPRIM_400000_NS6detail17trampoline_kernelINS0_14default_configENS1_29binary_search_config_selectorIjiEEZNS1_14transform_implILb0ES3_S5_N6thrust23THRUST_200600_302600_NS6detail15normal_iteratorINS8_7pointerIjNS8_11hip_rocprim5par_tENS8_11use_defaultESE_EEEENSA_INSB_IiSD_SE_SE_EEEEZNS1_13binary_searchIS3_S5_PjSG_SI_NS1_16binary_search_opENS9_16wrapped_functionINS8_6system6detail7generic6detail18binary_search_lessEbEEEE10hipError_tPvRmT1_T2_T3_mmT4_T5_P12ihipStream_tbEUlRKjE_EEST_SX_SY_mSZ_S12_bEUlT_E_NS1_11comp_targetILNS1_3genE4ELNS1_11target_archE910ELNS1_3gpuE8ELNS1_3repE0EEENS1_30default_config_static_selectorELNS0_4arch9wavefront6targetE0EEEvSW_.has_dyn_sized_stack, 0
	.set _ZN7rocprim17ROCPRIM_400000_NS6detail17trampoline_kernelINS0_14default_configENS1_29binary_search_config_selectorIjiEEZNS1_14transform_implILb0ES3_S5_N6thrust23THRUST_200600_302600_NS6detail15normal_iteratorINS8_7pointerIjNS8_11hip_rocprim5par_tENS8_11use_defaultESE_EEEENSA_INSB_IiSD_SE_SE_EEEEZNS1_13binary_searchIS3_S5_PjSG_SI_NS1_16binary_search_opENS9_16wrapped_functionINS8_6system6detail7generic6detail18binary_search_lessEbEEEE10hipError_tPvRmT1_T2_T3_mmT4_T5_P12ihipStream_tbEUlRKjE_EEST_SX_SY_mSZ_S12_bEUlT_E_NS1_11comp_targetILNS1_3genE4ELNS1_11target_archE910ELNS1_3gpuE8ELNS1_3repE0EEENS1_30default_config_static_selectorELNS0_4arch9wavefront6targetE0EEEvSW_.has_recursion, 0
	.set _ZN7rocprim17ROCPRIM_400000_NS6detail17trampoline_kernelINS0_14default_configENS1_29binary_search_config_selectorIjiEEZNS1_14transform_implILb0ES3_S5_N6thrust23THRUST_200600_302600_NS6detail15normal_iteratorINS8_7pointerIjNS8_11hip_rocprim5par_tENS8_11use_defaultESE_EEEENSA_INSB_IiSD_SE_SE_EEEEZNS1_13binary_searchIS3_S5_PjSG_SI_NS1_16binary_search_opENS9_16wrapped_functionINS8_6system6detail7generic6detail18binary_search_lessEbEEEE10hipError_tPvRmT1_T2_T3_mmT4_T5_P12ihipStream_tbEUlRKjE_EEST_SX_SY_mSZ_S12_bEUlT_E_NS1_11comp_targetILNS1_3genE4ELNS1_11target_archE910ELNS1_3gpuE8ELNS1_3repE0EEENS1_30default_config_static_selectorELNS0_4arch9wavefront6targetE0EEEvSW_.has_indirect_call, 0
	.section	.AMDGPU.csdata,"",@progbits
; Kernel info:
; codeLenInByte = 0
; TotalNumSgprs: 0
; NumVgprs: 0
; ScratchSize: 0
; MemoryBound: 0
; FloatMode: 240
; IeeeMode: 1
; LDSByteSize: 0 bytes/workgroup (compile time only)
; SGPRBlocks: 0
; VGPRBlocks: 0
; NumSGPRsForWavesPerEU: 1
; NumVGPRsForWavesPerEU: 1
; Occupancy: 16
; WaveLimiterHint : 0
; COMPUTE_PGM_RSRC2:SCRATCH_EN: 0
; COMPUTE_PGM_RSRC2:USER_SGPR: 6
; COMPUTE_PGM_RSRC2:TRAP_HANDLER: 0
; COMPUTE_PGM_RSRC2:TGID_X_EN: 1
; COMPUTE_PGM_RSRC2:TGID_Y_EN: 0
; COMPUTE_PGM_RSRC2:TGID_Z_EN: 0
; COMPUTE_PGM_RSRC2:TIDIG_COMP_CNT: 0
	.section	.text._ZN7rocprim17ROCPRIM_400000_NS6detail17trampoline_kernelINS0_14default_configENS1_29binary_search_config_selectorIjiEEZNS1_14transform_implILb0ES3_S5_N6thrust23THRUST_200600_302600_NS6detail15normal_iteratorINS8_7pointerIjNS8_11hip_rocprim5par_tENS8_11use_defaultESE_EEEENSA_INSB_IiSD_SE_SE_EEEEZNS1_13binary_searchIS3_S5_PjSG_SI_NS1_16binary_search_opENS9_16wrapped_functionINS8_6system6detail7generic6detail18binary_search_lessEbEEEE10hipError_tPvRmT1_T2_T3_mmT4_T5_P12ihipStream_tbEUlRKjE_EEST_SX_SY_mSZ_S12_bEUlT_E_NS1_11comp_targetILNS1_3genE3ELNS1_11target_archE908ELNS1_3gpuE7ELNS1_3repE0EEENS1_30default_config_static_selectorELNS0_4arch9wavefront6targetE0EEEvSW_,"axG",@progbits,_ZN7rocprim17ROCPRIM_400000_NS6detail17trampoline_kernelINS0_14default_configENS1_29binary_search_config_selectorIjiEEZNS1_14transform_implILb0ES3_S5_N6thrust23THRUST_200600_302600_NS6detail15normal_iteratorINS8_7pointerIjNS8_11hip_rocprim5par_tENS8_11use_defaultESE_EEEENSA_INSB_IiSD_SE_SE_EEEEZNS1_13binary_searchIS3_S5_PjSG_SI_NS1_16binary_search_opENS9_16wrapped_functionINS8_6system6detail7generic6detail18binary_search_lessEbEEEE10hipError_tPvRmT1_T2_T3_mmT4_T5_P12ihipStream_tbEUlRKjE_EEST_SX_SY_mSZ_S12_bEUlT_E_NS1_11comp_targetILNS1_3genE3ELNS1_11target_archE908ELNS1_3gpuE7ELNS1_3repE0EEENS1_30default_config_static_selectorELNS0_4arch9wavefront6targetE0EEEvSW_,comdat
	.protected	_ZN7rocprim17ROCPRIM_400000_NS6detail17trampoline_kernelINS0_14default_configENS1_29binary_search_config_selectorIjiEEZNS1_14transform_implILb0ES3_S5_N6thrust23THRUST_200600_302600_NS6detail15normal_iteratorINS8_7pointerIjNS8_11hip_rocprim5par_tENS8_11use_defaultESE_EEEENSA_INSB_IiSD_SE_SE_EEEEZNS1_13binary_searchIS3_S5_PjSG_SI_NS1_16binary_search_opENS9_16wrapped_functionINS8_6system6detail7generic6detail18binary_search_lessEbEEEE10hipError_tPvRmT1_T2_T3_mmT4_T5_P12ihipStream_tbEUlRKjE_EEST_SX_SY_mSZ_S12_bEUlT_E_NS1_11comp_targetILNS1_3genE3ELNS1_11target_archE908ELNS1_3gpuE7ELNS1_3repE0EEENS1_30default_config_static_selectorELNS0_4arch9wavefront6targetE0EEEvSW_ ; -- Begin function _ZN7rocprim17ROCPRIM_400000_NS6detail17trampoline_kernelINS0_14default_configENS1_29binary_search_config_selectorIjiEEZNS1_14transform_implILb0ES3_S5_N6thrust23THRUST_200600_302600_NS6detail15normal_iteratorINS8_7pointerIjNS8_11hip_rocprim5par_tENS8_11use_defaultESE_EEEENSA_INSB_IiSD_SE_SE_EEEEZNS1_13binary_searchIS3_S5_PjSG_SI_NS1_16binary_search_opENS9_16wrapped_functionINS8_6system6detail7generic6detail18binary_search_lessEbEEEE10hipError_tPvRmT1_T2_T3_mmT4_T5_P12ihipStream_tbEUlRKjE_EEST_SX_SY_mSZ_S12_bEUlT_E_NS1_11comp_targetILNS1_3genE3ELNS1_11target_archE908ELNS1_3gpuE7ELNS1_3repE0EEENS1_30default_config_static_selectorELNS0_4arch9wavefront6targetE0EEEvSW_
	.globl	_ZN7rocprim17ROCPRIM_400000_NS6detail17trampoline_kernelINS0_14default_configENS1_29binary_search_config_selectorIjiEEZNS1_14transform_implILb0ES3_S5_N6thrust23THRUST_200600_302600_NS6detail15normal_iteratorINS8_7pointerIjNS8_11hip_rocprim5par_tENS8_11use_defaultESE_EEEENSA_INSB_IiSD_SE_SE_EEEEZNS1_13binary_searchIS3_S5_PjSG_SI_NS1_16binary_search_opENS9_16wrapped_functionINS8_6system6detail7generic6detail18binary_search_lessEbEEEE10hipError_tPvRmT1_T2_T3_mmT4_T5_P12ihipStream_tbEUlRKjE_EEST_SX_SY_mSZ_S12_bEUlT_E_NS1_11comp_targetILNS1_3genE3ELNS1_11target_archE908ELNS1_3gpuE7ELNS1_3repE0EEENS1_30default_config_static_selectorELNS0_4arch9wavefront6targetE0EEEvSW_
	.p2align	8
	.type	_ZN7rocprim17ROCPRIM_400000_NS6detail17trampoline_kernelINS0_14default_configENS1_29binary_search_config_selectorIjiEEZNS1_14transform_implILb0ES3_S5_N6thrust23THRUST_200600_302600_NS6detail15normal_iteratorINS8_7pointerIjNS8_11hip_rocprim5par_tENS8_11use_defaultESE_EEEENSA_INSB_IiSD_SE_SE_EEEEZNS1_13binary_searchIS3_S5_PjSG_SI_NS1_16binary_search_opENS9_16wrapped_functionINS8_6system6detail7generic6detail18binary_search_lessEbEEEE10hipError_tPvRmT1_T2_T3_mmT4_T5_P12ihipStream_tbEUlRKjE_EEST_SX_SY_mSZ_S12_bEUlT_E_NS1_11comp_targetILNS1_3genE3ELNS1_11target_archE908ELNS1_3gpuE7ELNS1_3repE0EEENS1_30default_config_static_selectorELNS0_4arch9wavefront6targetE0EEEvSW_,@function
_ZN7rocprim17ROCPRIM_400000_NS6detail17trampoline_kernelINS0_14default_configENS1_29binary_search_config_selectorIjiEEZNS1_14transform_implILb0ES3_S5_N6thrust23THRUST_200600_302600_NS6detail15normal_iteratorINS8_7pointerIjNS8_11hip_rocprim5par_tENS8_11use_defaultESE_EEEENSA_INSB_IiSD_SE_SE_EEEEZNS1_13binary_searchIS3_S5_PjSG_SI_NS1_16binary_search_opENS9_16wrapped_functionINS8_6system6detail7generic6detail18binary_search_lessEbEEEE10hipError_tPvRmT1_T2_T3_mmT4_T5_P12ihipStream_tbEUlRKjE_EEST_SX_SY_mSZ_S12_bEUlT_E_NS1_11comp_targetILNS1_3genE3ELNS1_11target_archE908ELNS1_3gpuE7ELNS1_3repE0EEENS1_30default_config_static_selectorELNS0_4arch9wavefront6targetE0EEEvSW_: ; @_ZN7rocprim17ROCPRIM_400000_NS6detail17trampoline_kernelINS0_14default_configENS1_29binary_search_config_selectorIjiEEZNS1_14transform_implILb0ES3_S5_N6thrust23THRUST_200600_302600_NS6detail15normal_iteratorINS8_7pointerIjNS8_11hip_rocprim5par_tENS8_11use_defaultESE_EEEENSA_INSB_IiSD_SE_SE_EEEEZNS1_13binary_searchIS3_S5_PjSG_SI_NS1_16binary_search_opENS9_16wrapped_functionINS8_6system6detail7generic6detail18binary_search_lessEbEEEE10hipError_tPvRmT1_T2_T3_mmT4_T5_P12ihipStream_tbEUlRKjE_EEST_SX_SY_mSZ_S12_bEUlT_E_NS1_11comp_targetILNS1_3genE3ELNS1_11target_archE908ELNS1_3gpuE7ELNS1_3repE0EEENS1_30default_config_static_selectorELNS0_4arch9wavefront6targetE0EEEvSW_
; %bb.0:
	.section	.rodata,"a",@progbits
	.p2align	6, 0x0
	.amdhsa_kernel _ZN7rocprim17ROCPRIM_400000_NS6detail17trampoline_kernelINS0_14default_configENS1_29binary_search_config_selectorIjiEEZNS1_14transform_implILb0ES3_S5_N6thrust23THRUST_200600_302600_NS6detail15normal_iteratorINS8_7pointerIjNS8_11hip_rocprim5par_tENS8_11use_defaultESE_EEEENSA_INSB_IiSD_SE_SE_EEEEZNS1_13binary_searchIS3_S5_PjSG_SI_NS1_16binary_search_opENS9_16wrapped_functionINS8_6system6detail7generic6detail18binary_search_lessEbEEEE10hipError_tPvRmT1_T2_T3_mmT4_T5_P12ihipStream_tbEUlRKjE_EEST_SX_SY_mSZ_S12_bEUlT_E_NS1_11comp_targetILNS1_3genE3ELNS1_11target_archE908ELNS1_3gpuE7ELNS1_3repE0EEENS1_30default_config_static_selectorELNS0_4arch9wavefront6targetE0EEEvSW_
		.amdhsa_group_segment_fixed_size 0
		.amdhsa_private_segment_fixed_size 0
		.amdhsa_kernarg_size 56
		.amdhsa_user_sgpr_count 6
		.amdhsa_user_sgpr_private_segment_buffer 1
		.amdhsa_user_sgpr_dispatch_ptr 0
		.amdhsa_user_sgpr_queue_ptr 0
		.amdhsa_user_sgpr_kernarg_segment_ptr 1
		.amdhsa_user_sgpr_dispatch_id 0
		.amdhsa_user_sgpr_flat_scratch_init 0
		.amdhsa_user_sgpr_private_segment_size 0
		.amdhsa_wavefront_size32 1
		.amdhsa_uses_dynamic_stack 0
		.amdhsa_system_sgpr_private_segment_wavefront_offset 0
		.amdhsa_system_sgpr_workgroup_id_x 1
		.amdhsa_system_sgpr_workgroup_id_y 0
		.amdhsa_system_sgpr_workgroup_id_z 0
		.amdhsa_system_sgpr_workgroup_info 0
		.amdhsa_system_vgpr_workitem_id 0
		.amdhsa_next_free_vgpr 1
		.amdhsa_next_free_sgpr 1
		.amdhsa_reserve_vcc 0
		.amdhsa_reserve_flat_scratch 0
		.amdhsa_float_round_mode_32 0
		.amdhsa_float_round_mode_16_64 0
		.amdhsa_float_denorm_mode_32 3
		.amdhsa_float_denorm_mode_16_64 3
		.amdhsa_dx10_clamp 1
		.amdhsa_ieee_mode 1
		.amdhsa_fp16_overflow 0
		.amdhsa_workgroup_processor_mode 1
		.amdhsa_memory_ordered 1
		.amdhsa_forward_progress 1
		.amdhsa_shared_vgpr_count 0
		.amdhsa_exception_fp_ieee_invalid_op 0
		.amdhsa_exception_fp_denorm_src 0
		.amdhsa_exception_fp_ieee_div_zero 0
		.amdhsa_exception_fp_ieee_overflow 0
		.amdhsa_exception_fp_ieee_underflow 0
		.amdhsa_exception_fp_ieee_inexact 0
		.amdhsa_exception_int_div_zero 0
	.end_amdhsa_kernel
	.section	.text._ZN7rocprim17ROCPRIM_400000_NS6detail17trampoline_kernelINS0_14default_configENS1_29binary_search_config_selectorIjiEEZNS1_14transform_implILb0ES3_S5_N6thrust23THRUST_200600_302600_NS6detail15normal_iteratorINS8_7pointerIjNS8_11hip_rocprim5par_tENS8_11use_defaultESE_EEEENSA_INSB_IiSD_SE_SE_EEEEZNS1_13binary_searchIS3_S5_PjSG_SI_NS1_16binary_search_opENS9_16wrapped_functionINS8_6system6detail7generic6detail18binary_search_lessEbEEEE10hipError_tPvRmT1_T2_T3_mmT4_T5_P12ihipStream_tbEUlRKjE_EEST_SX_SY_mSZ_S12_bEUlT_E_NS1_11comp_targetILNS1_3genE3ELNS1_11target_archE908ELNS1_3gpuE7ELNS1_3repE0EEENS1_30default_config_static_selectorELNS0_4arch9wavefront6targetE0EEEvSW_,"axG",@progbits,_ZN7rocprim17ROCPRIM_400000_NS6detail17trampoline_kernelINS0_14default_configENS1_29binary_search_config_selectorIjiEEZNS1_14transform_implILb0ES3_S5_N6thrust23THRUST_200600_302600_NS6detail15normal_iteratorINS8_7pointerIjNS8_11hip_rocprim5par_tENS8_11use_defaultESE_EEEENSA_INSB_IiSD_SE_SE_EEEEZNS1_13binary_searchIS3_S5_PjSG_SI_NS1_16binary_search_opENS9_16wrapped_functionINS8_6system6detail7generic6detail18binary_search_lessEbEEEE10hipError_tPvRmT1_T2_T3_mmT4_T5_P12ihipStream_tbEUlRKjE_EEST_SX_SY_mSZ_S12_bEUlT_E_NS1_11comp_targetILNS1_3genE3ELNS1_11target_archE908ELNS1_3gpuE7ELNS1_3repE0EEENS1_30default_config_static_selectorELNS0_4arch9wavefront6targetE0EEEvSW_,comdat
.Lfunc_end276:
	.size	_ZN7rocprim17ROCPRIM_400000_NS6detail17trampoline_kernelINS0_14default_configENS1_29binary_search_config_selectorIjiEEZNS1_14transform_implILb0ES3_S5_N6thrust23THRUST_200600_302600_NS6detail15normal_iteratorINS8_7pointerIjNS8_11hip_rocprim5par_tENS8_11use_defaultESE_EEEENSA_INSB_IiSD_SE_SE_EEEEZNS1_13binary_searchIS3_S5_PjSG_SI_NS1_16binary_search_opENS9_16wrapped_functionINS8_6system6detail7generic6detail18binary_search_lessEbEEEE10hipError_tPvRmT1_T2_T3_mmT4_T5_P12ihipStream_tbEUlRKjE_EEST_SX_SY_mSZ_S12_bEUlT_E_NS1_11comp_targetILNS1_3genE3ELNS1_11target_archE908ELNS1_3gpuE7ELNS1_3repE0EEENS1_30default_config_static_selectorELNS0_4arch9wavefront6targetE0EEEvSW_, .Lfunc_end276-_ZN7rocprim17ROCPRIM_400000_NS6detail17trampoline_kernelINS0_14default_configENS1_29binary_search_config_selectorIjiEEZNS1_14transform_implILb0ES3_S5_N6thrust23THRUST_200600_302600_NS6detail15normal_iteratorINS8_7pointerIjNS8_11hip_rocprim5par_tENS8_11use_defaultESE_EEEENSA_INSB_IiSD_SE_SE_EEEEZNS1_13binary_searchIS3_S5_PjSG_SI_NS1_16binary_search_opENS9_16wrapped_functionINS8_6system6detail7generic6detail18binary_search_lessEbEEEE10hipError_tPvRmT1_T2_T3_mmT4_T5_P12ihipStream_tbEUlRKjE_EEST_SX_SY_mSZ_S12_bEUlT_E_NS1_11comp_targetILNS1_3genE3ELNS1_11target_archE908ELNS1_3gpuE7ELNS1_3repE0EEENS1_30default_config_static_selectorELNS0_4arch9wavefront6targetE0EEEvSW_
                                        ; -- End function
	.set _ZN7rocprim17ROCPRIM_400000_NS6detail17trampoline_kernelINS0_14default_configENS1_29binary_search_config_selectorIjiEEZNS1_14transform_implILb0ES3_S5_N6thrust23THRUST_200600_302600_NS6detail15normal_iteratorINS8_7pointerIjNS8_11hip_rocprim5par_tENS8_11use_defaultESE_EEEENSA_INSB_IiSD_SE_SE_EEEEZNS1_13binary_searchIS3_S5_PjSG_SI_NS1_16binary_search_opENS9_16wrapped_functionINS8_6system6detail7generic6detail18binary_search_lessEbEEEE10hipError_tPvRmT1_T2_T3_mmT4_T5_P12ihipStream_tbEUlRKjE_EEST_SX_SY_mSZ_S12_bEUlT_E_NS1_11comp_targetILNS1_3genE3ELNS1_11target_archE908ELNS1_3gpuE7ELNS1_3repE0EEENS1_30default_config_static_selectorELNS0_4arch9wavefront6targetE0EEEvSW_.num_vgpr, 0
	.set _ZN7rocprim17ROCPRIM_400000_NS6detail17trampoline_kernelINS0_14default_configENS1_29binary_search_config_selectorIjiEEZNS1_14transform_implILb0ES3_S5_N6thrust23THRUST_200600_302600_NS6detail15normal_iteratorINS8_7pointerIjNS8_11hip_rocprim5par_tENS8_11use_defaultESE_EEEENSA_INSB_IiSD_SE_SE_EEEEZNS1_13binary_searchIS3_S5_PjSG_SI_NS1_16binary_search_opENS9_16wrapped_functionINS8_6system6detail7generic6detail18binary_search_lessEbEEEE10hipError_tPvRmT1_T2_T3_mmT4_T5_P12ihipStream_tbEUlRKjE_EEST_SX_SY_mSZ_S12_bEUlT_E_NS1_11comp_targetILNS1_3genE3ELNS1_11target_archE908ELNS1_3gpuE7ELNS1_3repE0EEENS1_30default_config_static_selectorELNS0_4arch9wavefront6targetE0EEEvSW_.num_agpr, 0
	.set _ZN7rocprim17ROCPRIM_400000_NS6detail17trampoline_kernelINS0_14default_configENS1_29binary_search_config_selectorIjiEEZNS1_14transform_implILb0ES3_S5_N6thrust23THRUST_200600_302600_NS6detail15normal_iteratorINS8_7pointerIjNS8_11hip_rocprim5par_tENS8_11use_defaultESE_EEEENSA_INSB_IiSD_SE_SE_EEEEZNS1_13binary_searchIS3_S5_PjSG_SI_NS1_16binary_search_opENS9_16wrapped_functionINS8_6system6detail7generic6detail18binary_search_lessEbEEEE10hipError_tPvRmT1_T2_T3_mmT4_T5_P12ihipStream_tbEUlRKjE_EEST_SX_SY_mSZ_S12_bEUlT_E_NS1_11comp_targetILNS1_3genE3ELNS1_11target_archE908ELNS1_3gpuE7ELNS1_3repE0EEENS1_30default_config_static_selectorELNS0_4arch9wavefront6targetE0EEEvSW_.numbered_sgpr, 0
	.set _ZN7rocprim17ROCPRIM_400000_NS6detail17trampoline_kernelINS0_14default_configENS1_29binary_search_config_selectorIjiEEZNS1_14transform_implILb0ES3_S5_N6thrust23THRUST_200600_302600_NS6detail15normal_iteratorINS8_7pointerIjNS8_11hip_rocprim5par_tENS8_11use_defaultESE_EEEENSA_INSB_IiSD_SE_SE_EEEEZNS1_13binary_searchIS3_S5_PjSG_SI_NS1_16binary_search_opENS9_16wrapped_functionINS8_6system6detail7generic6detail18binary_search_lessEbEEEE10hipError_tPvRmT1_T2_T3_mmT4_T5_P12ihipStream_tbEUlRKjE_EEST_SX_SY_mSZ_S12_bEUlT_E_NS1_11comp_targetILNS1_3genE3ELNS1_11target_archE908ELNS1_3gpuE7ELNS1_3repE0EEENS1_30default_config_static_selectorELNS0_4arch9wavefront6targetE0EEEvSW_.num_named_barrier, 0
	.set _ZN7rocprim17ROCPRIM_400000_NS6detail17trampoline_kernelINS0_14default_configENS1_29binary_search_config_selectorIjiEEZNS1_14transform_implILb0ES3_S5_N6thrust23THRUST_200600_302600_NS6detail15normal_iteratorINS8_7pointerIjNS8_11hip_rocprim5par_tENS8_11use_defaultESE_EEEENSA_INSB_IiSD_SE_SE_EEEEZNS1_13binary_searchIS3_S5_PjSG_SI_NS1_16binary_search_opENS9_16wrapped_functionINS8_6system6detail7generic6detail18binary_search_lessEbEEEE10hipError_tPvRmT1_T2_T3_mmT4_T5_P12ihipStream_tbEUlRKjE_EEST_SX_SY_mSZ_S12_bEUlT_E_NS1_11comp_targetILNS1_3genE3ELNS1_11target_archE908ELNS1_3gpuE7ELNS1_3repE0EEENS1_30default_config_static_selectorELNS0_4arch9wavefront6targetE0EEEvSW_.private_seg_size, 0
	.set _ZN7rocprim17ROCPRIM_400000_NS6detail17trampoline_kernelINS0_14default_configENS1_29binary_search_config_selectorIjiEEZNS1_14transform_implILb0ES3_S5_N6thrust23THRUST_200600_302600_NS6detail15normal_iteratorINS8_7pointerIjNS8_11hip_rocprim5par_tENS8_11use_defaultESE_EEEENSA_INSB_IiSD_SE_SE_EEEEZNS1_13binary_searchIS3_S5_PjSG_SI_NS1_16binary_search_opENS9_16wrapped_functionINS8_6system6detail7generic6detail18binary_search_lessEbEEEE10hipError_tPvRmT1_T2_T3_mmT4_T5_P12ihipStream_tbEUlRKjE_EEST_SX_SY_mSZ_S12_bEUlT_E_NS1_11comp_targetILNS1_3genE3ELNS1_11target_archE908ELNS1_3gpuE7ELNS1_3repE0EEENS1_30default_config_static_selectorELNS0_4arch9wavefront6targetE0EEEvSW_.uses_vcc, 0
	.set _ZN7rocprim17ROCPRIM_400000_NS6detail17trampoline_kernelINS0_14default_configENS1_29binary_search_config_selectorIjiEEZNS1_14transform_implILb0ES3_S5_N6thrust23THRUST_200600_302600_NS6detail15normal_iteratorINS8_7pointerIjNS8_11hip_rocprim5par_tENS8_11use_defaultESE_EEEENSA_INSB_IiSD_SE_SE_EEEEZNS1_13binary_searchIS3_S5_PjSG_SI_NS1_16binary_search_opENS9_16wrapped_functionINS8_6system6detail7generic6detail18binary_search_lessEbEEEE10hipError_tPvRmT1_T2_T3_mmT4_T5_P12ihipStream_tbEUlRKjE_EEST_SX_SY_mSZ_S12_bEUlT_E_NS1_11comp_targetILNS1_3genE3ELNS1_11target_archE908ELNS1_3gpuE7ELNS1_3repE0EEENS1_30default_config_static_selectorELNS0_4arch9wavefront6targetE0EEEvSW_.uses_flat_scratch, 0
	.set _ZN7rocprim17ROCPRIM_400000_NS6detail17trampoline_kernelINS0_14default_configENS1_29binary_search_config_selectorIjiEEZNS1_14transform_implILb0ES3_S5_N6thrust23THRUST_200600_302600_NS6detail15normal_iteratorINS8_7pointerIjNS8_11hip_rocprim5par_tENS8_11use_defaultESE_EEEENSA_INSB_IiSD_SE_SE_EEEEZNS1_13binary_searchIS3_S5_PjSG_SI_NS1_16binary_search_opENS9_16wrapped_functionINS8_6system6detail7generic6detail18binary_search_lessEbEEEE10hipError_tPvRmT1_T2_T3_mmT4_T5_P12ihipStream_tbEUlRKjE_EEST_SX_SY_mSZ_S12_bEUlT_E_NS1_11comp_targetILNS1_3genE3ELNS1_11target_archE908ELNS1_3gpuE7ELNS1_3repE0EEENS1_30default_config_static_selectorELNS0_4arch9wavefront6targetE0EEEvSW_.has_dyn_sized_stack, 0
	.set _ZN7rocprim17ROCPRIM_400000_NS6detail17trampoline_kernelINS0_14default_configENS1_29binary_search_config_selectorIjiEEZNS1_14transform_implILb0ES3_S5_N6thrust23THRUST_200600_302600_NS6detail15normal_iteratorINS8_7pointerIjNS8_11hip_rocprim5par_tENS8_11use_defaultESE_EEEENSA_INSB_IiSD_SE_SE_EEEEZNS1_13binary_searchIS3_S5_PjSG_SI_NS1_16binary_search_opENS9_16wrapped_functionINS8_6system6detail7generic6detail18binary_search_lessEbEEEE10hipError_tPvRmT1_T2_T3_mmT4_T5_P12ihipStream_tbEUlRKjE_EEST_SX_SY_mSZ_S12_bEUlT_E_NS1_11comp_targetILNS1_3genE3ELNS1_11target_archE908ELNS1_3gpuE7ELNS1_3repE0EEENS1_30default_config_static_selectorELNS0_4arch9wavefront6targetE0EEEvSW_.has_recursion, 0
	.set _ZN7rocprim17ROCPRIM_400000_NS6detail17trampoline_kernelINS0_14default_configENS1_29binary_search_config_selectorIjiEEZNS1_14transform_implILb0ES3_S5_N6thrust23THRUST_200600_302600_NS6detail15normal_iteratorINS8_7pointerIjNS8_11hip_rocprim5par_tENS8_11use_defaultESE_EEEENSA_INSB_IiSD_SE_SE_EEEEZNS1_13binary_searchIS3_S5_PjSG_SI_NS1_16binary_search_opENS9_16wrapped_functionINS8_6system6detail7generic6detail18binary_search_lessEbEEEE10hipError_tPvRmT1_T2_T3_mmT4_T5_P12ihipStream_tbEUlRKjE_EEST_SX_SY_mSZ_S12_bEUlT_E_NS1_11comp_targetILNS1_3genE3ELNS1_11target_archE908ELNS1_3gpuE7ELNS1_3repE0EEENS1_30default_config_static_selectorELNS0_4arch9wavefront6targetE0EEEvSW_.has_indirect_call, 0
	.section	.AMDGPU.csdata,"",@progbits
; Kernel info:
; codeLenInByte = 0
; TotalNumSgprs: 0
; NumVgprs: 0
; ScratchSize: 0
; MemoryBound: 0
; FloatMode: 240
; IeeeMode: 1
; LDSByteSize: 0 bytes/workgroup (compile time only)
; SGPRBlocks: 0
; VGPRBlocks: 0
; NumSGPRsForWavesPerEU: 1
; NumVGPRsForWavesPerEU: 1
; Occupancy: 16
; WaveLimiterHint : 0
; COMPUTE_PGM_RSRC2:SCRATCH_EN: 0
; COMPUTE_PGM_RSRC2:USER_SGPR: 6
; COMPUTE_PGM_RSRC2:TRAP_HANDLER: 0
; COMPUTE_PGM_RSRC2:TGID_X_EN: 1
; COMPUTE_PGM_RSRC2:TGID_Y_EN: 0
; COMPUTE_PGM_RSRC2:TGID_Z_EN: 0
; COMPUTE_PGM_RSRC2:TIDIG_COMP_CNT: 0
	.section	.text._ZN7rocprim17ROCPRIM_400000_NS6detail17trampoline_kernelINS0_14default_configENS1_29binary_search_config_selectorIjiEEZNS1_14transform_implILb0ES3_S5_N6thrust23THRUST_200600_302600_NS6detail15normal_iteratorINS8_7pointerIjNS8_11hip_rocprim5par_tENS8_11use_defaultESE_EEEENSA_INSB_IiSD_SE_SE_EEEEZNS1_13binary_searchIS3_S5_PjSG_SI_NS1_16binary_search_opENS9_16wrapped_functionINS8_6system6detail7generic6detail18binary_search_lessEbEEEE10hipError_tPvRmT1_T2_T3_mmT4_T5_P12ihipStream_tbEUlRKjE_EEST_SX_SY_mSZ_S12_bEUlT_E_NS1_11comp_targetILNS1_3genE2ELNS1_11target_archE906ELNS1_3gpuE6ELNS1_3repE0EEENS1_30default_config_static_selectorELNS0_4arch9wavefront6targetE0EEEvSW_,"axG",@progbits,_ZN7rocprim17ROCPRIM_400000_NS6detail17trampoline_kernelINS0_14default_configENS1_29binary_search_config_selectorIjiEEZNS1_14transform_implILb0ES3_S5_N6thrust23THRUST_200600_302600_NS6detail15normal_iteratorINS8_7pointerIjNS8_11hip_rocprim5par_tENS8_11use_defaultESE_EEEENSA_INSB_IiSD_SE_SE_EEEEZNS1_13binary_searchIS3_S5_PjSG_SI_NS1_16binary_search_opENS9_16wrapped_functionINS8_6system6detail7generic6detail18binary_search_lessEbEEEE10hipError_tPvRmT1_T2_T3_mmT4_T5_P12ihipStream_tbEUlRKjE_EEST_SX_SY_mSZ_S12_bEUlT_E_NS1_11comp_targetILNS1_3genE2ELNS1_11target_archE906ELNS1_3gpuE6ELNS1_3repE0EEENS1_30default_config_static_selectorELNS0_4arch9wavefront6targetE0EEEvSW_,comdat
	.protected	_ZN7rocprim17ROCPRIM_400000_NS6detail17trampoline_kernelINS0_14default_configENS1_29binary_search_config_selectorIjiEEZNS1_14transform_implILb0ES3_S5_N6thrust23THRUST_200600_302600_NS6detail15normal_iteratorINS8_7pointerIjNS8_11hip_rocprim5par_tENS8_11use_defaultESE_EEEENSA_INSB_IiSD_SE_SE_EEEEZNS1_13binary_searchIS3_S5_PjSG_SI_NS1_16binary_search_opENS9_16wrapped_functionINS8_6system6detail7generic6detail18binary_search_lessEbEEEE10hipError_tPvRmT1_T2_T3_mmT4_T5_P12ihipStream_tbEUlRKjE_EEST_SX_SY_mSZ_S12_bEUlT_E_NS1_11comp_targetILNS1_3genE2ELNS1_11target_archE906ELNS1_3gpuE6ELNS1_3repE0EEENS1_30default_config_static_selectorELNS0_4arch9wavefront6targetE0EEEvSW_ ; -- Begin function _ZN7rocprim17ROCPRIM_400000_NS6detail17trampoline_kernelINS0_14default_configENS1_29binary_search_config_selectorIjiEEZNS1_14transform_implILb0ES3_S5_N6thrust23THRUST_200600_302600_NS6detail15normal_iteratorINS8_7pointerIjNS8_11hip_rocprim5par_tENS8_11use_defaultESE_EEEENSA_INSB_IiSD_SE_SE_EEEEZNS1_13binary_searchIS3_S5_PjSG_SI_NS1_16binary_search_opENS9_16wrapped_functionINS8_6system6detail7generic6detail18binary_search_lessEbEEEE10hipError_tPvRmT1_T2_T3_mmT4_T5_P12ihipStream_tbEUlRKjE_EEST_SX_SY_mSZ_S12_bEUlT_E_NS1_11comp_targetILNS1_3genE2ELNS1_11target_archE906ELNS1_3gpuE6ELNS1_3repE0EEENS1_30default_config_static_selectorELNS0_4arch9wavefront6targetE0EEEvSW_
	.globl	_ZN7rocprim17ROCPRIM_400000_NS6detail17trampoline_kernelINS0_14default_configENS1_29binary_search_config_selectorIjiEEZNS1_14transform_implILb0ES3_S5_N6thrust23THRUST_200600_302600_NS6detail15normal_iteratorINS8_7pointerIjNS8_11hip_rocprim5par_tENS8_11use_defaultESE_EEEENSA_INSB_IiSD_SE_SE_EEEEZNS1_13binary_searchIS3_S5_PjSG_SI_NS1_16binary_search_opENS9_16wrapped_functionINS8_6system6detail7generic6detail18binary_search_lessEbEEEE10hipError_tPvRmT1_T2_T3_mmT4_T5_P12ihipStream_tbEUlRKjE_EEST_SX_SY_mSZ_S12_bEUlT_E_NS1_11comp_targetILNS1_3genE2ELNS1_11target_archE906ELNS1_3gpuE6ELNS1_3repE0EEENS1_30default_config_static_selectorELNS0_4arch9wavefront6targetE0EEEvSW_
	.p2align	8
	.type	_ZN7rocprim17ROCPRIM_400000_NS6detail17trampoline_kernelINS0_14default_configENS1_29binary_search_config_selectorIjiEEZNS1_14transform_implILb0ES3_S5_N6thrust23THRUST_200600_302600_NS6detail15normal_iteratorINS8_7pointerIjNS8_11hip_rocprim5par_tENS8_11use_defaultESE_EEEENSA_INSB_IiSD_SE_SE_EEEEZNS1_13binary_searchIS3_S5_PjSG_SI_NS1_16binary_search_opENS9_16wrapped_functionINS8_6system6detail7generic6detail18binary_search_lessEbEEEE10hipError_tPvRmT1_T2_T3_mmT4_T5_P12ihipStream_tbEUlRKjE_EEST_SX_SY_mSZ_S12_bEUlT_E_NS1_11comp_targetILNS1_3genE2ELNS1_11target_archE906ELNS1_3gpuE6ELNS1_3repE0EEENS1_30default_config_static_selectorELNS0_4arch9wavefront6targetE0EEEvSW_,@function
_ZN7rocprim17ROCPRIM_400000_NS6detail17trampoline_kernelINS0_14default_configENS1_29binary_search_config_selectorIjiEEZNS1_14transform_implILb0ES3_S5_N6thrust23THRUST_200600_302600_NS6detail15normal_iteratorINS8_7pointerIjNS8_11hip_rocprim5par_tENS8_11use_defaultESE_EEEENSA_INSB_IiSD_SE_SE_EEEEZNS1_13binary_searchIS3_S5_PjSG_SI_NS1_16binary_search_opENS9_16wrapped_functionINS8_6system6detail7generic6detail18binary_search_lessEbEEEE10hipError_tPvRmT1_T2_T3_mmT4_T5_P12ihipStream_tbEUlRKjE_EEST_SX_SY_mSZ_S12_bEUlT_E_NS1_11comp_targetILNS1_3genE2ELNS1_11target_archE906ELNS1_3gpuE6ELNS1_3repE0EEENS1_30default_config_static_selectorELNS0_4arch9wavefront6targetE0EEEvSW_: ; @_ZN7rocprim17ROCPRIM_400000_NS6detail17trampoline_kernelINS0_14default_configENS1_29binary_search_config_selectorIjiEEZNS1_14transform_implILb0ES3_S5_N6thrust23THRUST_200600_302600_NS6detail15normal_iteratorINS8_7pointerIjNS8_11hip_rocprim5par_tENS8_11use_defaultESE_EEEENSA_INSB_IiSD_SE_SE_EEEEZNS1_13binary_searchIS3_S5_PjSG_SI_NS1_16binary_search_opENS9_16wrapped_functionINS8_6system6detail7generic6detail18binary_search_lessEbEEEE10hipError_tPvRmT1_T2_T3_mmT4_T5_P12ihipStream_tbEUlRKjE_EEST_SX_SY_mSZ_S12_bEUlT_E_NS1_11comp_targetILNS1_3genE2ELNS1_11target_archE906ELNS1_3gpuE6ELNS1_3repE0EEENS1_30default_config_static_selectorELNS0_4arch9wavefront6targetE0EEEvSW_
; %bb.0:
	.section	.rodata,"a",@progbits
	.p2align	6, 0x0
	.amdhsa_kernel _ZN7rocprim17ROCPRIM_400000_NS6detail17trampoline_kernelINS0_14default_configENS1_29binary_search_config_selectorIjiEEZNS1_14transform_implILb0ES3_S5_N6thrust23THRUST_200600_302600_NS6detail15normal_iteratorINS8_7pointerIjNS8_11hip_rocprim5par_tENS8_11use_defaultESE_EEEENSA_INSB_IiSD_SE_SE_EEEEZNS1_13binary_searchIS3_S5_PjSG_SI_NS1_16binary_search_opENS9_16wrapped_functionINS8_6system6detail7generic6detail18binary_search_lessEbEEEE10hipError_tPvRmT1_T2_T3_mmT4_T5_P12ihipStream_tbEUlRKjE_EEST_SX_SY_mSZ_S12_bEUlT_E_NS1_11comp_targetILNS1_3genE2ELNS1_11target_archE906ELNS1_3gpuE6ELNS1_3repE0EEENS1_30default_config_static_selectorELNS0_4arch9wavefront6targetE0EEEvSW_
		.amdhsa_group_segment_fixed_size 0
		.amdhsa_private_segment_fixed_size 0
		.amdhsa_kernarg_size 56
		.amdhsa_user_sgpr_count 6
		.amdhsa_user_sgpr_private_segment_buffer 1
		.amdhsa_user_sgpr_dispatch_ptr 0
		.amdhsa_user_sgpr_queue_ptr 0
		.amdhsa_user_sgpr_kernarg_segment_ptr 1
		.amdhsa_user_sgpr_dispatch_id 0
		.amdhsa_user_sgpr_flat_scratch_init 0
		.amdhsa_user_sgpr_private_segment_size 0
		.amdhsa_wavefront_size32 1
		.amdhsa_uses_dynamic_stack 0
		.amdhsa_system_sgpr_private_segment_wavefront_offset 0
		.amdhsa_system_sgpr_workgroup_id_x 1
		.amdhsa_system_sgpr_workgroup_id_y 0
		.amdhsa_system_sgpr_workgroup_id_z 0
		.amdhsa_system_sgpr_workgroup_info 0
		.amdhsa_system_vgpr_workitem_id 0
		.amdhsa_next_free_vgpr 1
		.amdhsa_next_free_sgpr 1
		.amdhsa_reserve_vcc 0
		.amdhsa_reserve_flat_scratch 0
		.amdhsa_float_round_mode_32 0
		.amdhsa_float_round_mode_16_64 0
		.amdhsa_float_denorm_mode_32 3
		.amdhsa_float_denorm_mode_16_64 3
		.amdhsa_dx10_clamp 1
		.amdhsa_ieee_mode 1
		.amdhsa_fp16_overflow 0
		.amdhsa_workgroup_processor_mode 1
		.amdhsa_memory_ordered 1
		.amdhsa_forward_progress 1
		.amdhsa_shared_vgpr_count 0
		.amdhsa_exception_fp_ieee_invalid_op 0
		.amdhsa_exception_fp_denorm_src 0
		.amdhsa_exception_fp_ieee_div_zero 0
		.amdhsa_exception_fp_ieee_overflow 0
		.amdhsa_exception_fp_ieee_underflow 0
		.amdhsa_exception_fp_ieee_inexact 0
		.amdhsa_exception_int_div_zero 0
	.end_amdhsa_kernel
	.section	.text._ZN7rocprim17ROCPRIM_400000_NS6detail17trampoline_kernelINS0_14default_configENS1_29binary_search_config_selectorIjiEEZNS1_14transform_implILb0ES3_S5_N6thrust23THRUST_200600_302600_NS6detail15normal_iteratorINS8_7pointerIjNS8_11hip_rocprim5par_tENS8_11use_defaultESE_EEEENSA_INSB_IiSD_SE_SE_EEEEZNS1_13binary_searchIS3_S5_PjSG_SI_NS1_16binary_search_opENS9_16wrapped_functionINS8_6system6detail7generic6detail18binary_search_lessEbEEEE10hipError_tPvRmT1_T2_T3_mmT4_T5_P12ihipStream_tbEUlRKjE_EEST_SX_SY_mSZ_S12_bEUlT_E_NS1_11comp_targetILNS1_3genE2ELNS1_11target_archE906ELNS1_3gpuE6ELNS1_3repE0EEENS1_30default_config_static_selectorELNS0_4arch9wavefront6targetE0EEEvSW_,"axG",@progbits,_ZN7rocprim17ROCPRIM_400000_NS6detail17trampoline_kernelINS0_14default_configENS1_29binary_search_config_selectorIjiEEZNS1_14transform_implILb0ES3_S5_N6thrust23THRUST_200600_302600_NS6detail15normal_iteratorINS8_7pointerIjNS8_11hip_rocprim5par_tENS8_11use_defaultESE_EEEENSA_INSB_IiSD_SE_SE_EEEEZNS1_13binary_searchIS3_S5_PjSG_SI_NS1_16binary_search_opENS9_16wrapped_functionINS8_6system6detail7generic6detail18binary_search_lessEbEEEE10hipError_tPvRmT1_T2_T3_mmT4_T5_P12ihipStream_tbEUlRKjE_EEST_SX_SY_mSZ_S12_bEUlT_E_NS1_11comp_targetILNS1_3genE2ELNS1_11target_archE906ELNS1_3gpuE6ELNS1_3repE0EEENS1_30default_config_static_selectorELNS0_4arch9wavefront6targetE0EEEvSW_,comdat
.Lfunc_end277:
	.size	_ZN7rocprim17ROCPRIM_400000_NS6detail17trampoline_kernelINS0_14default_configENS1_29binary_search_config_selectorIjiEEZNS1_14transform_implILb0ES3_S5_N6thrust23THRUST_200600_302600_NS6detail15normal_iteratorINS8_7pointerIjNS8_11hip_rocprim5par_tENS8_11use_defaultESE_EEEENSA_INSB_IiSD_SE_SE_EEEEZNS1_13binary_searchIS3_S5_PjSG_SI_NS1_16binary_search_opENS9_16wrapped_functionINS8_6system6detail7generic6detail18binary_search_lessEbEEEE10hipError_tPvRmT1_T2_T3_mmT4_T5_P12ihipStream_tbEUlRKjE_EEST_SX_SY_mSZ_S12_bEUlT_E_NS1_11comp_targetILNS1_3genE2ELNS1_11target_archE906ELNS1_3gpuE6ELNS1_3repE0EEENS1_30default_config_static_selectorELNS0_4arch9wavefront6targetE0EEEvSW_, .Lfunc_end277-_ZN7rocprim17ROCPRIM_400000_NS6detail17trampoline_kernelINS0_14default_configENS1_29binary_search_config_selectorIjiEEZNS1_14transform_implILb0ES3_S5_N6thrust23THRUST_200600_302600_NS6detail15normal_iteratorINS8_7pointerIjNS8_11hip_rocprim5par_tENS8_11use_defaultESE_EEEENSA_INSB_IiSD_SE_SE_EEEEZNS1_13binary_searchIS3_S5_PjSG_SI_NS1_16binary_search_opENS9_16wrapped_functionINS8_6system6detail7generic6detail18binary_search_lessEbEEEE10hipError_tPvRmT1_T2_T3_mmT4_T5_P12ihipStream_tbEUlRKjE_EEST_SX_SY_mSZ_S12_bEUlT_E_NS1_11comp_targetILNS1_3genE2ELNS1_11target_archE906ELNS1_3gpuE6ELNS1_3repE0EEENS1_30default_config_static_selectorELNS0_4arch9wavefront6targetE0EEEvSW_
                                        ; -- End function
	.set _ZN7rocprim17ROCPRIM_400000_NS6detail17trampoline_kernelINS0_14default_configENS1_29binary_search_config_selectorIjiEEZNS1_14transform_implILb0ES3_S5_N6thrust23THRUST_200600_302600_NS6detail15normal_iteratorINS8_7pointerIjNS8_11hip_rocprim5par_tENS8_11use_defaultESE_EEEENSA_INSB_IiSD_SE_SE_EEEEZNS1_13binary_searchIS3_S5_PjSG_SI_NS1_16binary_search_opENS9_16wrapped_functionINS8_6system6detail7generic6detail18binary_search_lessEbEEEE10hipError_tPvRmT1_T2_T3_mmT4_T5_P12ihipStream_tbEUlRKjE_EEST_SX_SY_mSZ_S12_bEUlT_E_NS1_11comp_targetILNS1_3genE2ELNS1_11target_archE906ELNS1_3gpuE6ELNS1_3repE0EEENS1_30default_config_static_selectorELNS0_4arch9wavefront6targetE0EEEvSW_.num_vgpr, 0
	.set _ZN7rocprim17ROCPRIM_400000_NS6detail17trampoline_kernelINS0_14default_configENS1_29binary_search_config_selectorIjiEEZNS1_14transform_implILb0ES3_S5_N6thrust23THRUST_200600_302600_NS6detail15normal_iteratorINS8_7pointerIjNS8_11hip_rocprim5par_tENS8_11use_defaultESE_EEEENSA_INSB_IiSD_SE_SE_EEEEZNS1_13binary_searchIS3_S5_PjSG_SI_NS1_16binary_search_opENS9_16wrapped_functionINS8_6system6detail7generic6detail18binary_search_lessEbEEEE10hipError_tPvRmT1_T2_T3_mmT4_T5_P12ihipStream_tbEUlRKjE_EEST_SX_SY_mSZ_S12_bEUlT_E_NS1_11comp_targetILNS1_3genE2ELNS1_11target_archE906ELNS1_3gpuE6ELNS1_3repE0EEENS1_30default_config_static_selectorELNS0_4arch9wavefront6targetE0EEEvSW_.num_agpr, 0
	.set _ZN7rocprim17ROCPRIM_400000_NS6detail17trampoline_kernelINS0_14default_configENS1_29binary_search_config_selectorIjiEEZNS1_14transform_implILb0ES3_S5_N6thrust23THRUST_200600_302600_NS6detail15normal_iteratorINS8_7pointerIjNS8_11hip_rocprim5par_tENS8_11use_defaultESE_EEEENSA_INSB_IiSD_SE_SE_EEEEZNS1_13binary_searchIS3_S5_PjSG_SI_NS1_16binary_search_opENS9_16wrapped_functionINS8_6system6detail7generic6detail18binary_search_lessEbEEEE10hipError_tPvRmT1_T2_T3_mmT4_T5_P12ihipStream_tbEUlRKjE_EEST_SX_SY_mSZ_S12_bEUlT_E_NS1_11comp_targetILNS1_3genE2ELNS1_11target_archE906ELNS1_3gpuE6ELNS1_3repE0EEENS1_30default_config_static_selectorELNS0_4arch9wavefront6targetE0EEEvSW_.numbered_sgpr, 0
	.set _ZN7rocprim17ROCPRIM_400000_NS6detail17trampoline_kernelINS0_14default_configENS1_29binary_search_config_selectorIjiEEZNS1_14transform_implILb0ES3_S5_N6thrust23THRUST_200600_302600_NS6detail15normal_iteratorINS8_7pointerIjNS8_11hip_rocprim5par_tENS8_11use_defaultESE_EEEENSA_INSB_IiSD_SE_SE_EEEEZNS1_13binary_searchIS3_S5_PjSG_SI_NS1_16binary_search_opENS9_16wrapped_functionINS8_6system6detail7generic6detail18binary_search_lessEbEEEE10hipError_tPvRmT1_T2_T3_mmT4_T5_P12ihipStream_tbEUlRKjE_EEST_SX_SY_mSZ_S12_bEUlT_E_NS1_11comp_targetILNS1_3genE2ELNS1_11target_archE906ELNS1_3gpuE6ELNS1_3repE0EEENS1_30default_config_static_selectorELNS0_4arch9wavefront6targetE0EEEvSW_.num_named_barrier, 0
	.set _ZN7rocprim17ROCPRIM_400000_NS6detail17trampoline_kernelINS0_14default_configENS1_29binary_search_config_selectorIjiEEZNS1_14transform_implILb0ES3_S5_N6thrust23THRUST_200600_302600_NS6detail15normal_iteratorINS8_7pointerIjNS8_11hip_rocprim5par_tENS8_11use_defaultESE_EEEENSA_INSB_IiSD_SE_SE_EEEEZNS1_13binary_searchIS3_S5_PjSG_SI_NS1_16binary_search_opENS9_16wrapped_functionINS8_6system6detail7generic6detail18binary_search_lessEbEEEE10hipError_tPvRmT1_T2_T3_mmT4_T5_P12ihipStream_tbEUlRKjE_EEST_SX_SY_mSZ_S12_bEUlT_E_NS1_11comp_targetILNS1_3genE2ELNS1_11target_archE906ELNS1_3gpuE6ELNS1_3repE0EEENS1_30default_config_static_selectorELNS0_4arch9wavefront6targetE0EEEvSW_.private_seg_size, 0
	.set _ZN7rocprim17ROCPRIM_400000_NS6detail17trampoline_kernelINS0_14default_configENS1_29binary_search_config_selectorIjiEEZNS1_14transform_implILb0ES3_S5_N6thrust23THRUST_200600_302600_NS6detail15normal_iteratorINS8_7pointerIjNS8_11hip_rocprim5par_tENS8_11use_defaultESE_EEEENSA_INSB_IiSD_SE_SE_EEEEZNS1_13binary_searchIS3_S5_PjSG_SI_NS1_16binary_search_opENS9_16wrapped_functionINS8_6system6detail7generic6detail18binary_search_lessEbEEEE10hipError_tPvRmT1_T2_T3_mmT4_T5_P12ihipStream_tbEUlRKjE_EEST_SX_SY_mSZ_S12_bEUlT_E_NS1_11comp_targetILNS1_3genE2ELNS1_11target_archE906ELNS1_3gpuE6ELNS1_3repE0EEENS1_30default_config_static_selectorELNS0_4arch9wavefront6targetE0EEEvSW_.uses_vcc, 0
	.set _ZN7rocprim17ROCPRIM_400000_NS6detail17trampoline_kernelINS0_14default_configENS1_29binary_search_config_selectorIjiEEZNS1_14transform_implILb0ES3_S5_N6thrust23THRUST_200600_302600_NS6detail15normal_iteratorINS8_7pointerIjNS8_11hip_rocprim5par_tENS8_11use_defaultESE_EEEENSA_INSB_IiSD_SE_SE_EEEEZNS1_13binary_searchIS3_S5_PjSG_SI_NS1_16binary_search_opENS9_16wrapped_functionINS8_6system6detail7generic6detail18binary_search_lessEbEEEE10hipError_tPvRmT1_T2_T3_mmT4_T5_P12ihipStream_tbEUlRKjE_EEST_SX_SY_mSZ_S12_bEUlT_E_NS1_11comp_targetILNS1_3genE2ELNS1_11target_archE906ELNS1_3gpuE6ELNS1_3repE0EEENS1_30default_config_static_selectorELNS0_4arch9wavefront6targetE0EEEvSW_.uses_flat_scratch, 0
	.set _ZN7rocprim17ROCPRIM_400000_NS6detail17trampoline_kernelINS0_14default_configENS1_29binary_search_config_selectorIjiEEZNS1_14transform_implILb0ES3_S5_N6thrust23THRUST_200600_302600_NS6detail15normal_iteratorINS8_7pointerIjNS8_11hip_rocprim5par_tENS8_11use_defaultESE_EEEENSA_INSB_IiSD_SE_SE_EEEEZNS1_13binary_searchIS3_S5_PjSG_SI_NS1_16binary_search_opENS9_16wrapped_functionINS8_6system6detail7generic6detail18binary_search_lessEbEEEE10hipError_tPvRmT1_T2_T3_mmT4_T5_P12ihipStream_tbEUlRKjE_EEST_SX_SY_mSZ_S12_bEUlT_E_NS1_11comp_targetILNS1_3genE2ELNS1_11target_archE906ELNS1_3gpuE6ELNS1_3repE0EEENS1_30default_config_static_selectorELNS0_4arch9wavefront6targetE0EEEvSW_.has_dyn_sized_stack, 0
	.set _ZN7rocprim17ROCPRIM_400000_NS6detail17trampoline_kernelINS0_14default_configENS1_29binary_search_config_selectorIjiEEZNS1_14transform_implILb0ES3_S5_N6thrust23THRUST_200600_302600_NS6detail15normal_iteratorINS8_7pointerIjNS8_11hip_rocprim5par_tENS8_11use_defaultESE_EEEENSA_INSB_IiSD_SE_SE_EEEEZNS1_13binary_searchIS3_S5_PjSG_SI_NS1_16binary_search_opENS9_16wrapped_functionINS8_6system6detail7generic6detail18binary_search_lessEbEEEE10hipError_tPvRmT1_T2_T3_mmT4_T5_P12ihipStream_tbEUlRKjE_EEST_SX_SY_mSZ_S12_bEUlT_E_NS1_11comp_targetILNS1_3genE2ELNS1_11target_archE906ELNS1_3gpuE6ELNS1_3repE0EEENS1_30default_config_static_selectorELNS0_4arch9wavefront6targetE0EEEvSW_.has_recursion, 0
	.set _ZN7rocprim17ROCPRIM_400000_NS6detail17trampoline_kernelINS0_14default_configENS1_29binary_search_config_selectorIjiEEZNS1_14transform_implILb0ES3_S5_N6thrust23THRUST_200600_302600_NS6detail15normal_iteratorINS8_7pointerIjNS8_11hip_rocprim5par_tENS8_11use_defaultESE_EEEENSA_INSB_IiSD_SE_SE_EEEEZNS1_13binary_searchIS3_S5_PjSG_SI_NS1_16binary_search_opENS9_16wrapped_functionINS8_6system6detail7generic6detail18binary_search_lessEbEEEE10hipError_tPvRmT1_T2_T3_mmT4_T5_P12ihipStream_tbEUlRKjE_EEST_SX_SY_mSZ_S12_bEUlT_E_NS1_11comp_targetILNS1_3genE2ELNS1_11target_archE906ELNS1_3gpuE6ELNS1_3repE0EEENS1_30default_config_static_selectorELNS0_4arch9wavefront6targetE0EEEvSW_.has_indirect_call, 0
	.section	.AMDGPU.csdata,"",@progbits
; Kernel info:
; codeLenInByte = 0
; TotalNumSgprs: 0
; NumVgprs: 0
; ScratchSize: 0
; MemoryBound: 0
; FloatMode: 240
; IeeeMode: 1
; LDSByteSize: 0 bytes/workgroup (compile time only)
; SGPRBlocks: 0
; VGPRBlocks: 0
; NumSGPRsForWavesPerEU: 1
; NumVGPRsForWavesPerEU: 1
; Occupancy: 16
; WaveLimiterHint : 0
; COMPUTE_PGM_RSRC2:SCRATCH_EN: 0
; COMPUTE_PGM_RSRC2:USER_SGPR: 6
; COMPUTE_PGM_RSRC2:TRAP_HANDLER: 0
; COMPUTE_PGM_RSRC2:TGID_X_EN: 1
; COMPUTE_PGM_RSRC2:TGID_Y_EN: 0
; COMPUTE_PGM_RSRC2:TGID_Z_EN: 0
; COMPUTE_PGM_RSRC2:TIDIG_COMP_CNT: 0
	.section	.text._ZN7rocprim17ROCPRIM_400000_NS6detail17trampoline_kernelINS0_14default_configENS1_29binary_search_config_selectorIjiEEZNS1_14transform_implILb0ES3_S5_N6thrust23THRUST_200600_302600_NS6detail15normal_iteratorINS8_7pointerIjNS8_11hip_rocprim5par_tENS8_11use_defaultESE_EEEENSA_INSB_IiSD_SE_SE_EEEEZNS1_13binary_searchIS3_S5_PjSG_SI_NS1_16binary_search_opENS9_16wrapped_functionINS8_6system6detail7generic6detail18binary_search_lessEbEEEE10hipError_tPvRmT1_T2_T3_mmT4_T5_P12ihipStream_tbEUlRKjE_EEST_SX_SY_mSZ_S12_bEUlT_E_NS1_11comp_targetILNS1_3genE10ELNS1_11target_archE1201ELNS1_3gpuE5ELNS1_3repE0EEENS1_30default_config_static_selectorELNS0_4arch9wavefront6targetE0EEEvSW_,"axG",@progbits,_ZN7rocprim17ROCPRIM_400000_NS6detail17trampoline_kernelINS0_14default_configENS1_29binary_search_config_selectorIjiEEZNS1_14transform_implILb0ES3_S5_N6thrust23THRUST_200600_302600_NS6detail15normal_iteratorINS8_7pointerIjNS8_11hip_rocprim5par_tENS8_11use_defaultESE_EEEENSA_INSB_IiSD_SE_SE_EEEEZNS1_13binary_searchIS3_S5_PjSG_SI_NS1_16binary_search_opENS9_16wrapped_functionINS8_6system6detail7generic6detail18binary_search_lessEbEEEE10hipError_tPvRmT1_T2_T3_mmT4_T5_P12ihipStream_tbEUlRKjE_EEST_SX_SY_mSZ_S12_bEUlT_E_NS1_11comp_targetILNS1_3genE10ELNS1_11target_archE1201ELNS1_3gpuE5ELNS1_3repE0EEENS1_30default_config_static_selectorELNS0_4arch9wavefront6targetE0EEEvSW_,comdat
	.protected	_ZN7rocprim17ROCPRIM_400000_NS6detail17trampoline_kernelINS0_14default_configENS1_29binary_search_config_selectorIjiEEZNS1_14transform_implILb0ES3_S5_N6thrust23THRUST_200600_302600_NS6detail15normal_iteratorINS8_7pointerIjNS8_11hip_rocprim5par_tENS8_11use_defaultESE_EEEENSA_INSB_IiSD_SE_SE_EEEEZNS1_13binary_searchIS3_S5_PjSG_SI_NS1_16binary_search_opENS9_16wrapped_functionINS8_6system6detail7generic6detail18binary_search_lessEbEEEE10hipError_tPvRmT1_T2_T3_mmT4_T5_P12ihipStream_tbEUlRKjE_EEST_SX_SY_mSZ_S12_bEUlT_E_NS1_11comp_targetILNS1_3genE10ELNS1_11target_archE1201ELNS1_3gpuE5ELNS1_3repE0EEENS1_30default_config_static_selectorELNS0_4arch9wavefront6targetE0EEEvSW_ ; -- Begin function _ZN7rocprim17ROCPRIM_400000_NS6detail17trampoline_kernelINS0_14default_configENS1_29binary_search_config_selectorIjiEEZNS1_14transform_implILb0ES3_S5_N6thrust23THRUST_200600_302600_NS6detail15normal_iteratorINS8_7pointerIjNS8_11hip_rocprim5par_tENS8_11use_defaultESE_EEEENSA_INSB_IiSD_SE_SE_EEEEZNS1_13binary_searchIS3_S5_PjSG_SI_NS1_16binary_search_opENS9_16wrapped_functionINS8_6system6detail7generic6detail18binary_search_lessEbEEEE10hipError_tPvRmT1_T2_T3_mmT4_T5_P12ihipStream_tbEUlRKjE_EEST_SX_SY_mSZ_S12_bEUlT_E_NS1_11comp_targetILNS1_3genE10ELNS1_11target_archE1201ELNS1_3gpuE5ELNS1_3repE0EEENS1_30default_config_static_selectorELNS0_4arch9wavefront6targetE0EEEvSW_
	.globl	_ZN7rocprim17ROCPRIM_400000_NS6detail17trampoline_kernelINS0_14default_configENS1_29binary_search_config_selectorIjiEEZNS1_14transform_implILb0ES3_S5_N6thrust23THRUST_200600_302600_NS6detail15normal_iteratorINS8_7pointerIjNS8_11hip_rocprim5par_tENS8_11use_defaultESE_EEEENSA_INSB_IiSD_SE_SE_EEEEZNS1_13binary_searchIS3_S5_PjSG_SI_NS1_16binary_search_opENS9_16wrapped_functionINS8_6system6detail7generic6detail18binary_search_lessEbEEEE10hipError_tPvRmT1_T2_T3_mmT4_T5_P12ihipStream_tbEUlRKjE_EEST_SX_SY_mSZ_S12_bEUlT_E_NS1_11comp_targetILNS1_3genE10ELNS1_11target_archE1201ELNS1_3gpuE5ELNS1_3repE0EEENS1_30default_config_static_selectorELNS0_4arch9wavefront6targetE0EEEvSW_
	.p2align	8
	.type	_ZN7rocprim17ROCPRIM_400000_NS6detail17trampoline_kernelINS0_14default_configENS1_29binary_search_config_selectorIjiEEZNS1_14transform_implILb0ES3_S5_N6thrust23THRUST_200600_302600_NS6detail15normal_iteratorINS8_7pointerIjNS8_11hip_rocprim5par_tENS8_11use_defaultESE_EEEENSA_INSB_IiSD_SE_SE_EEEEZNS1_13binary_searchIS3_S5_PjSG_SI_NS1_16binary_search_opENS9_16wrapped_functionINS8_6system6detail7generic6detail18binary_search_lessEbEEEE10hipError_tPvRmT1_T2_T3_mmT4_T5_P12ihipStream_tbEUlRKjE_EEST_SX_SY_mSZ_S12_bEUlT_E_NS1_11comp_targetILNS1_3genE10ELNS1_11target_archE1201ELNS1_3gpuE5ELNS1_3repE0EEENS1_30default_config_static_selectorELNS0_4arch9wavefront6targetE0EEEvSW_,@function
_ZN7rocprim17ROCPRIM_400000_NS6detail17trampoline_kernelINS0_14default_configENS1_29binary_search_config_selectorIjiEEZNS1_14transform_implILb0ES3_S5_N6thrust23THRUST_200600_302600_NS6detail15normal_iteratorINS8_7pointerIjNS8_11hip_rocprim5par_tENS8_11use_defaultESE_EEEENSA_INSB_IiSD_SE_SE_EEEEZNS1_13binary_searchIS3_S5_PjSG_SI_NS1_16binary_search_opENS9_16wrapped_functionINS8_6system6detail7generic6detail18binary_search_lessEbEEEE10hipError_tPvRmT1_T2_T3_mmT4_T5_P12ihipStream_tbEUlRKjE_EEST_SX_SY_mSZ_S12_bEUlT_E_NS1_11comp_targetILNS1_3genE10ELNS1_11target_archE1201ELNS1_3gpuE5ELNS1_3repE0EEENS1_30default_config_static_selectorELNS0_4arch9wavefront6targetE0EEEvSW_: ; @_ZN7rocprim17ROCPRIM_400000_NS6detail17trampoline_kernelINS0_14default_configENS1_29binary_search_config_selectorIjiEEZNS1_14transform_implILb0ES3_S5_N6thrust23THRUST_200600_302600_NS6detail15normal_iteratorINS8_7pointerIjNS8_11hip_rocprim5par_tENS8_11use_defaultESE_EEEENSA_INSB_IiSD_SE_SE_EEEEZNS1_13binary_searchIS3_S5_PjSG_SI_NS1_16binary_search_opENS9_16wrapped_functionINS8_6system6detail7generic6detail18binary_search_lessEbEEEE10hipError_tPvRmT1_T2_T3_mmT4_T5_P12ihipStream_tbEUlRKjE_EEST_SX_SY_mSZ_S12_bEUlT_E_NS1_11comp_targetILNS1_3genE10ELNS1_11target_archE1201ELNS1_3gpuE5ELNS1_3repE0EEENS1_30default_config_static_selectorELNS0_4arch9wavefront6targetE0EEEvSW_
; %bb.0:
	.section	.rodata,"a",@progbits
	.p2align	6, 0x0
	.amdhsa_kernel _ZN7rocprim17ROCPRIM_400000_NS6detail17trampoline_kernelINS0_14default_configENS1_29binary_search_config_selectorIjiEEZNS1_14transform_implILb0ES3_S5_N6thrust23THRUST_200600_302600_NS6detail15normal_iteratorINS8_7pointerIjNS8_11hip_rocprim5par_tENS8_11use_defaultESE_EEEENSA_INSB_IiSD_SE_SE_EEEEZNS1_13binary_searchIS3_S5_PjSG_SI_NS1_16binary_search_opENS9_16wrapped_functionINS8_6system6detail7generic6detail18binary_search_lessEbEEEE10hipError_tPvRmT1_T2_T3_mmT4_T5_P12ihipStream_tbEUlRKjE_EEST_SX_SY_mSZ_S12_bEUlT_E_NS1_11comp_targetILNS1_3genE10ELNS1_11target_archE1201ELNS1_3gpuE5ELNS1_3repE0EEENS1_30default_config_static_selectorELNS0_4arch9wavefront6targetE0EEEvSW_
		.amdhsa_group_segment_fixed_size 0
		.amdhsa_private_segment_fixed_size 0
		.amdhsa_kernarg_size 56
		.amdhsa_user_sgpr_count 6
		.amdhsa_user_sgpr_private_segment_buffer 1
		.amdhsa_user_sgpr_dispatch_ptr 0
		.amdhsa_user_sgpr_queue_ptr 0
		.amdhsa_user_sgpr_kernarg_segment_ptr 1
		.amdhsa_user_sgpr_dispatch_id 0
		.amdhsa_user_sgpr_flat_scratch_init 0
		.amdhsa_user_sgpr_private_segment_size 0
		.amdhsa_wavefront_size32 1
		.amdhsa_uses_dynamic_stack 0
		.amdhsa_system_sgpr_private_segment_wavefront_offset 0
		.amdhsa_system_sgpr_workgroup_id_x 1
		.amdhsa_system_sgpr_workgroup_id_y 0
		.amdhsa_system_sgpr_workgroup_id_z 0
		.amdhsa_system_sgpr_workgroup_info 0
		.amdhsa_system_vgpr_workitem_id 0
		.amdhsa_next_free_vgpr 1
		.amdhsa_next_free_sgpr 1
		.amdhsa_reserve_vcc 0
		.amdhsa_reserve_flat_scratch 0
		.amdhsa_float_round_mode_32 0
		.amdhsa_float_round_mode_16_64 0
		.amdhsa_float_denorm_mode_32 3
		.amdhsa_float_denorm_mode_16_64 3
		.amdhsa_dx10_clamp 1
		.amdhsa_ieee_mode 1
		.amdhsa_fp16_overflow 0
		.amdhsa_workgroup_processor_mode 1
		.amdhsa_memory_ordered 1
		.amdhsa_forward_progress 1
		.amdhsa_shared_vgpr_count 0
		.amdhsa_exception_fp_ieee_invalid_op 0
		.amdhsa_exception_fp_denorm_src 0
		.amdhsa_exception_fp_ieee_div_zero 0
		.amdhsa_exception_fp_ieee_overflow 0
		.amdhsa_exception_fp_ieee_underflow 0
		.amdhsa_exception_fp_ieee_inexact 0
		.amdhsa_exception_int_div_zero 0
	.end_amdhsa_kernel
	.section	.text._ZN7rocprim17ROCPRIM_400000_NS6detail17trampoline_kernelINS0_14default_configENS1_29binary_search_config_selectorIjiEEZNS1_14transform_implILb0ES3_S5_N6thrust23THRUST_200600_302600_NS6detail15normal_iteratorINS8_7pointerIjNS8_11hip_rocprim5par_tENS8_11use_defaultESE_EEEENSA_INSB_IiSD_SE_SE_EEEEZNS1_13binary_searchIS3_S5_PjSG_SI_NS1_16binary_search_opENS9_16wrapped_functionINS8_6system6detail7generic6detail18binary_search_lessEbEEEE10hipError_tPvRmT1_T2_T3_mmT4_T5_P12ihipStream_tbEUlRKjE_EEST_SX_SY_mSZ_S12_bEUlT_E_NS1_11comp_targetILNS1_3genE10ELNS1_11target_archE1201ELNS1_3gpuE5ELNS1_3repE0EEENS1_30default_config_static_selectorELNS0_4arch9wavefront6targetE0EEEvSW_,"axG",@progbits,_ZN7rocprim17ROCPRIM_400000_NS6detail17trampoline_kernelINS0_14default_configENS1_29binary_search_config_selectorIjiEEZNS1_14transform_implILb0ES3_S5_N6thrust23THRUST_200600_302600_NS6detail15normal_iteratorINS8_7pointerIjNS8_11hip_rocprim5par_tENS8_11use_defaultESE_EEEENSA_INSB_IiSD_SE_SE_EEEEZNS1_13binary_searchIS3_S5_PjSG_SI_NS1_16binary_search_opENS9_16wrapped_functionINS8_6system6detail7generic6detail18binary_search_lessEbEEEE10hipError_tPvRmT1_T2_T3_mmT4_T5_P12ihipStream_tbEUlRKjE_EEST_SX_SY_mSZ_S12_bEUlT_E_NS1_11comp_targetILNS1_3genE10ELNS1_11target_archE1201ELNS1_3gpuE5ELNS1_3repE0EEENS1_30default_config_static_selectorELNS0_4arch9wavefront6targetE0EEEvSW_,comdat
.Lfunc_end278:
	.size	_ZN7rocprim17ROCPRIM_400000_NS6detail17trampoline_kernelINS0_14default_configENS1_29binary_search_config_selectorIjiEEZNS1_14transform_implILb0ES3_S5_N6thrust23THRUST_200600_302600_NS6detail15normal_iteratorINS8_7pointerIjNS8_11hip_rocprim5par_tENS8_11use_defaultESE_EEEENSA_INSB_IiSD_SE_SE_EEEEZNS1_13binary_searchIS3_S5_PjSG_SI_NS1_16binary_search_opENS9_16wrapped_functionINS8_6system6detail7generic6detail18binary_search_lessEbEEEE10hipError_tPvRmT1_T2_T3_mmT4_T5_P12ihipStream_tbEUlRKjE_EEST_SX_SY_mSZ_S12_bEUlT_E_NS1_11comp_targetILNS1_3genE10ELNS1_11target_archE1201ELNS1_3gpuE5ELNS1_3repE0EEENS1_30default_config_static_selectorELNS0_4arch9wavefront6targetE0EEEvSW_, .Lfunc_end278-_ZN7rocprim17ROCPRIM_400000_NS6detail17trampoline_kernelINS0_14default_configENS1_29binary_search_config_selectorIjiEEZNS1_14transform_implILb0ES3_S5_N6thrust23THRUST_200600_302600_NS6detail15normal_iteratorINS8_7pointerIjNS8_11hip_rocprim5par_tENS8_11use_defaultESE_EEEENSA_INSB_IiSD_SE_SE_EEEEZNS1_13binary_searchIS3_S5_PjSG_SI_NS1_16binary_search_opENS9_16wrapped_functionINS8_6system6detail7generic6detail18binary_search_lessEbEEEE10hipError_tPvRmT1_T2_T3_mmT4_T5_P12ihipStream_tbEUlRKjE_EEST_SX_SY_mSZ_S12_bEUlT_E_NS1_11comp_targetILNS1_3genE10ELNS1_11target_archE1201ELNS1_3gpuE5ELNS1_3repE0EEENS1_30default_config_static_selectorELNS0_4arch9wavefront6targetE0EEEvSW_
                                        ; -- End function
	.set _ZN7rocprim17ROCPRIM_400000_NS6detail17trampoline_kernelINS0_14default_configENS1_29binary_search_config_selectorIjiEEZNS1_14transform_implILb0ES3_S5_N6thrust23THRUST_200600_302600_NS6detail15normal_iteratorINS8_7pointerIjNS8_11hip_rocprim5par_tENS8_11use_defaultESE_EEEENSA_INSB_IiSD_SE_SE_EEEEZNS1_13binary_searchIS3_S5_PjSG_SI_NS1_16binary_search_opENS9_16wrapped_functionINS8_6system6detail7generic6detail18binary_search_lessEbEEEE10hipError_tPvRmT1_T2_T3_mmT4_T5_P12ihipStream_tbEUlRKjE_EEST_SX_SY_mSZ_S12_bEUlT_E_NS1_11comp_targetILNS1_3genE10ELNS1_11target_archE1201ELNS1_3gpuE5ELNS1_3repE0EEENS1_30default_config_static_selectorELNS0_4arch9wavefront6targetE0EEEvSW_.num_vgpr, 0
	.set _ZN7rocprim17ROCPRIM_400000_NS6detail17trampoline_kernelINS0_14default_configENS1_29binary_search_config_selectorIjiEEZNS1_14transform_implILb0ES3_S5_N6thrust23THRUST_200600_302600_NS6detail15normal_iteratorINS8_7pointerIjNS8_11hip_rocprim5par_tENS8_11use_defaultESE_EEEENSA_INSB_IiSD_SE_SE_EEEEZNS1_13binary_searchIS3_S5_PjSG_SI_NS1_16binary_search_opENS9_16wrapped_functionINS8_6system6detail7generic6detail18binary_search_lessEbEEEE10hipError_tPvRmT1_T2_T3_mmT4_T5_P12ihipStream_tbEUlRKjE_EEST_SX_SY_mSZ_S12_bEUlT_E_NS1_11comp_targetILNS1_3genE10ELNS1_11target_archE1201ELNS1_3gpuE5ELNS1_3repE0EEENS1_30default_config_static_selectorELNS0_4arch9wavefront6targetE0EEEvSW_.num_agpr, 0
	.set _ZN7rocprim17ROCPRIM_400000_NS6detail17trampoline_kernelINS0_14default_configENS1_29binary_search_config_selectorIjiEEZNS1_14transform_implILb0ES3_S5_N6thrust23THRUST_200600_302600_NS6detail15normal_iteratorINS8_7pointerIjNS8_11hip_rocprim5par_tENS8_11use_defaultESE_EEEENSA_INSB_IiSD_SE_SE_EEEEZNS1_13binary_searchIS3_S5_PjSG_SI_NS1_16binary_search_opENS9_16wrapped_functionINS8_6system6detail7generic6detail18binary_search_lessEbEEEE10hipError_tPvRmT1_T2_T3_mmT4_T5_P12ihipStream_tbEUlRKjE_EEST_SX_SY_mSZ_S12_bEUlT_E_NS1_11comp_targetILNS1_3genE10ELNS1_11target_archE1201ELNS1_3gpuE5ELNS1_3repE0EEENS1_30default_config_static_selectorELNS0_4arch9wavefront6targetE0EEEvSW_.numbered_sgpr, 0
	.set _ZN7rocprim17ROCPRIM_400000_NS6detail17trampoline_kernelINS0_14default_configENS1_29binary_search_config_selectorIjiEEZNS1_14transform_implILb0ES3_S5_N6thrust23THRUST_200600_302600_NS6detail15normal_iteratorINS8_7pointerIjNS8_11hip_rocprim5par_tENS8_11use_defaultESE_EEEENSA_INSB_IiSD_SE_SE_EEEEZNS1_13binary_searchIS3_S5_PjSG_SI_NS1_16binary_search_opENS9_16wrapped_functionINS8_6system6detail7generic6detail18binary_search_lessEbEEEE10hipError_tPvRmT1_T2_T3_mmT4_T5_P12ihipStream_tbEUlRKjE_EEST_SX_SY_mSZ_S12_bEUlT_E_NS1_11comp_targetILNS1_3genE10ELNS1_11target_archE1201ELNS1_3gpuE5ELNS1_3repE0EEENS1_30default_config_static_selectorELNS0_4arch9wavefront6targetE0EEEvSW_.num_named_barrier, 0
	.set _ZN7rocprim17ROCPRIM_400000_NS6detail17trampoline_kernelINS0_14default_configENS1_29binary_search_config_selectorIjiEEZNS1_14transform_implILb0ES3_S5_N6thrust23THRUST_200600_302600_NS6detail15normal_iteratorINS8_7pointerIjNS8_11hip_rocprim5par_tENS8_11use_defaultESE_EEEENSA_INSB_IiSD_SE_SE_EEEEZNS1_13binary_searchIS3_S5_PjSG_SI_NS1_16binary_search_opENS9_16wrapped_functionINS8_6system6detail7generic6detail18binary_search_lessEbEEEE10hipError_tPvRmT1_T2_T3_mmT4_T5_P12ihipStream_tbEUlRKjE_EEST_SX_SY_mSZ_S12_bEUlT_E_NS1_11comp_targetILNS1_3genE10ELNS1_11target_archE1201ELNS1_3gpuE5ELNS1_3repE0EEENS1_30default_config_static_selectorELNS0_4arch9wavefront6targetE0EEEvSW_.private_seg_size, 0
	.set _ZN7rocprim17ROCPRIM_400000_NS6detail17trampoline_kernelINS0_14default_configENS1_29binary_search_config_selectorIjiEEZNS1_14transform_implILb0ES3_S5_N6thrust23THRUST_200600_302600_NS6detail15normal_iteratorINS8_7pointerIjNS8_11hip_rocprim5par_tENS8_11use_defaultESE_EEEENSA_INSB_IiSD_SE_SE_EEEEZNS1_13binary_searchIS3_S5_PjSG_SI_NS1_16binary_search_opENS9_16wrapped_functionINS8_6system6detail7generic6detail18binary_search_lessEbEEEE10hipError_tPvRmT1_T2_T3_mmT4_T5_P12ihipStream_tbEUlRKjE_EEST_SX_SY_mSZ_S12_bEUlT_E_NS1_11comp_targetILNS1_3genE10ELNS1_11target_archE1201ELNS1_3gpuE5ELNS1_3repE0EEENS1_30default_config_static_selectorELNS0_4arch9wavefront6targetE0EEEvSW_.uses_vcc, 0
	.set _ZN7rocprim17ROCPRIM_400000_NS6detail17trampoline_kernelINS0_14default_configENS1_29binary_search_config_selectorIjiEEZNS1_14transform_implILb0ES3_S5_N6thrust23THRUST_200600_302600_NS6detail15normal_iteratorINS8_7pointerIjNS8_11hip_rocprim5par_tENS8_11use_defaultESE_EEEENSA_INSB_IiSD_SE_SE_EEEEZNS1_13binary_searchIS3_S5_PjSG_SI_NS1_16binary_search_opENS9_16wrapped_functionINS8_6system6detail7generic6detail18binary_search_lessEbEEEE10hipError_tPvRmT1_T2_T3_mmT4_T5_P12ihipStream_tbEUlRKjE_EEST_SX_SY_mSZ_S12_bEUlT_E_NS1_11comp_targetILNS1_3genE10ELNS1_11target_archE1201ELNS1_3gpuE5ELNS1_3repE0EEENS1_30default_config_static_selectorELNS0_4arch9wavefront6targetE0EEEvSW_.uses_flat_scratch, 0
	.set _ZN7rocprim17ROCPRIM_400000_NS6detail17trampoline_kernelINS0_14default_configENS1_29binary_search_config_selectorIjiEEZNS1_14transform_implILb0ES3_S5_N6thrust23THRUST_200600_302600_NS6detail15normal_iteratorINS8_7pointerIjNS8_11hip_rocprim5par_tENS8_11use_defaultESE_EEEENSA_INSB_IiSD_SE_SE_EEEEZNS1_13binary_searchIS3_S5_PjSG_SI_NS1_16binary_search_opENS9_16wrapped_functionINS8_6system6detail7generic6detail18binary_search_lessEbEEEE10hipError_tPvRmT1_T2_T3_mmT4_T5_P12ihipStream_tbEUlRKjE_EEST_SX_SY_mSZ_S12_bEUlT_E_NS1_11comp_targetILNS1_3genE10ELNS1_11target_archE1201ELNS1_3gpuE5ELNS1_3repE0EEENS1_30default_config_static_selectorELNS0_4arch9wavefront6targetE0EEEvSW_.has_dyn_sized_stack, 0
	.set _ZN7rocprim17ROCPRIM_400000_NS6detail17trampoline_kernelINS0_14default_configENS1_29binary_search_config_selectorIjiEEZNS1_14transform_implILb0ES3_S5_N6thrust23THRUST_200600_302600_NS6detail15normal_iteratorINS8_7pointerIjNS8_11hip_rocprim5par_tENS8_11use_defaultESE_EEEENSA_INSB_IiSD_SE_SE_EEEEZNS1_13binary_searchIS3_S5_PjSG_SI_NS1_16binary_search_opENS9_16wrapped_functionINS8_6system6detail7generic6detail18binary_search_lessEbEEEE10hipError_tPvRmT1_T2_T3_mmT4_T5_P12ihipStream_tbEUlRKjE_EEST_SX_SY_mSZ_S12_bEUlT_E_NS1_11comp_targetILNS1_3genE10ELNS1_11target_archE1201ELNS1_3gpuE5ELNS1_3repE0EEENS1_30default_config_static_selectorELNS0_4arch9wavefront6targetE0EEEvSW_.has_recursion, 0
	.set _ZN7rocprim17ROCPRIM_400000_NS6detail17trampoline_kernelINS0_14default_configENS1_29binary_search_config_selectorIjiEEZNS1_14transform_implILb0ES3_S5_N6thrust23THRUST_200600_302600_NS6detail15normal_iteratorINS8_7pointerIjNS8_11hip_rocprim5par_tENS8_11use_defaultESE_EEEENSA_INSB_IiSD_SE_SE_EEEEZNS1_13binary_searchIS3_S5_PjSG_SI_NS1_16binary_search_opENS9_16wrapped_functionINS8_6system6detail7generic6detail18binary_search_lessEbEEEE10hipError_tPvRmT1_T2_T3_mmT4_T5_P12ihipStream_tbEUlRKjE_EEST_SX_SY_mSZ_S12_bEUlT_E_NS1_11comp_targetILNS1_3genE10ELNS1_11target_archE1201ELNS1_3gpuE5ELNS1_3repE0EEENS1_30default_config_static_selectorELNS0_4arch9wavefront6targetE0EEEvSW_.has_indirect_call, 0
	.section	.AMDGPU.csdata,"",@progbits
; Kernel info:
; codeLenInByte = 0
; TotalNumSgprs: 0
; NumVgprs: 0
; ScratchSize: 0
; MemoryBound: 0
; FloatMode: 240
; IeeeMode: 1
; LDSByteSize: 0 bytes/workgroup (compile time only)
; SGPRBlocks: 0
; VGPRBlocks: 0
; NumSGPRsForWavesPerEU: 1
; NumVGPRsForWavesPerEU: 1
; Occupancy: 16
; WaveLimiterHint : 0
; COMPUTE_PGM_RSRC2:SCRATCH_EN: 0
; COMPUTE_PGM_RSRC2:USER_SGPR: 6
; COMPUTE_PGM_RSRC2:TRAP_HANDLER: 0
; COMPUTE_PGM_RSRC2:TGID_X_EN: 1
; COMPUTE_PGM_RSRC2:TGID_Y_EN: 0
; COMPUTE_PGM_RSRC2:TGID_Z_EN: 0
; COMPUTE_PGM_RSRC2:TIDIG_COMP_CNT: 0
	.section	.text._ZN7rocprim17ROCPRIM_400000_NS6detail17trampoline_kernelINS0_14default_configENS1_29binary_search_config_selectorIjiEEZNS1_14transform_implILb0ES3_S5_N6thrust23THRUST_200600_302600_NS6detail15normal_iteratorINS8_7pointerIjNS8_11hip_rocprim5par_tENS8_11use_defaultESE_EEEENSA_INSB_IiSD_SE_SE_EEEEZNS1_13binary_searchIS3_S5_PjSG_SI_NS1_16binary_search_opENS9_16wrapped_functionINS8_6system6detail7generic6detail18binary_search_lessEbEEEE10hipError_tPvRmT1_T2_T3_mmT4_T5_P12ihipStream_tbEUlRKjE_EEST_SX_SY_mSZ_S12_bEUlT_E_NS1_11comp_targetILNS1_3genE10ELNS1_11target_archE1200ELNS1_3gpuE4ELNS1_3repE0EEENS1_30default_config_static_selectorELNS0_4arch9wavefront6targetE0EEEvSW_,"axG",@progbits,_ZN7rocprim17ROCPRIM_400000_NS6detail17trampoline_kernelINS0_14default_configENS1_29binary_search_config_selectorIjiEEZNS1_14transform_implILb0ES3_S5_N6thrust23THRUST_200600_302600_NS6detail15normal_iteratorINS8_7pointerIjNS8_11hip_rocprim5par_tENS8_11use_defaultESE_EEEENSA_INSB_IiSD_SE_SE_EEEEZNS1_13binary_searchIS3_S5_PjSG_SI_NS1_16binary_search_opENS9_16wrapped_functionINS8_6system6detail7generic6detail18binary_search_lessEbEEEE10hipError_tPvRmT1_T2_T3_mmT4_T5_P12ihipStream_tbEUlRKjE_EEST_SX_SY_mSZ_S12_bEUlT_E_NS1_11comp_targetILNS1_3genE10ELNS1_11target_archE1200ELNS1_3gpuE4ELNS1_3repE0EEENS1_30default_config_static_selectorELNS0_4arch9wavefront6targetE0EEEvSW_,comdat
	.protected	_ZN7rocprim17ROCPRIM_400000_NS6detail17trampoline_kernelINS0_14default_configENS1_29binary_search_config_selectorIjiEEZNS1_14transform_implILb0ES3_S5_N6thrust23THRUST_200600_302600_NS6detail15normal_iteratorINS8_7pointerIjNS8_11hip_rocprim5par_tENS8_11use_defaultESE_EEEENSA_INSB_IiSD_SE_SE_EEEEZNS1_13binary_searchIS3_S5_PjSG_SI_NS1_16binary_search_opENS9_16wrapped_functionINS8_6system6detail7generic6detail18binary_search_lessEbEEEE10hipError_tPvRmT1_T2_T3_mmT4_T5_P12ihipStream_tbEUlRKjE_EEST_SX_SY_mSZ_S12_bEUlT_E_NS1_11comp_targetILNS1_3genE10ELNS1_11target_archE1200ELNS1_3gpuE4ELNS1_3repE0EEENS1_30default_config_static_selectorELNS0_4arch9wavefront6targetE0EEEvSW_ ; -- Begin function _ZN7rocprim17ROCPRIM_400000_NS6detail17trampoline_kernelINS0_14default_configENS1_29binary_search_config_selectorIjiEEZNS1_14transform_implILb0ES3_S5_N6thrust23THRUST_200600_302600_NS6detail15normal_iteratorINS8_7pointerIjNS8_11hip_rocprim5par_tENS8_11use_defaultESE_EEEENSA_INSB_IiSD_SE_SE_EEEEZNS1_13binary_searchIS3_S5_PjSG_SI_NS1_16binary_search_opENS9_16wrapped_functionINS8_6system6detail7generic6detail18binary_search_lessEbEEEE10hipError_tPvRmT1_T2_T3_mmT4_T5_P12ihipStream_tbEUlRKjE_EEST_SX_SY_mSZ_S12_bEUlT_E_NS1_11comp_targetILNS1_3genE10ELNS1_11target_archE1200ELNS1_3gpuE4ELNS1_3repE0EEENS1_30default_config_static_selectorELNS0_4arch9wavefront6targetE0EEEvSW_
	.globl	_ZN7rocprim17ROCPRIM_400000_NS6detail17trampoline_kernelINS0_14default_configENS1_29binary_search_config_selectorIjiEEZNS1_14transform_implILb0ES3_S5_N6thrust23THRUST_200600_302600_NS6detail15normal_iteratorINS8_7pointerIjNS8_11hip_rocprim5par_tENS8_11use_defaultESE_EEEENSA_INSB_IiSD_SE_SE_EEEEZNS1_13binary_searchIS3_S5_PjSG_SI_NS1_16binary_search_opENS9_16wrapped_functionINS8_6system6detail7generic6detail18binary_search_lessEbEEEE10hipError_tPvRmT1_T2_T3_mmT4_T5_P12ihipStream_tbEUlRKjE_EEST_SX_SY_mSZ_S12_bEUlT_E_NS1_11comp_targetILNS1_3genE10ELNS1_11target_archE1200ELNS1_3gpuE4ELNS1_3repE0EEENS1_30default_config_static_selectorELNS0_4arch9wavefront6targetE0EEEvSW_
	.p2align	8
	.type	_ZN7rocprim17ROCPRIM_400000_NS6detail17trampoline_kernelINS0_14default_configENS1_29binary_search_config_selectorIjiEEZNS1_14transform_implILb0ES3_S5_N6thrust23THRUST_200600_302600_NS6detail15normal_iteratorINS8_7pointerIjNS8_11hip_rocprim5par_tENS8_11use_defaultESE_EEEENSA_INSB_IiSD_SE_SE_EEEEZNS1_13binary_searchIS3_S5_PjSG_SI_NS1_16binary_search_opENS9_16wrapped_functionINS8_6system6detail7generic6detail18binary_search_lessEbEEEE10hipError_tPvRmT1_T2_T3_mmT4_T5_P12ihipStream_tbEUlRKjE_EEST_SX_SY_mSZ_S12_bEUlT_E_NS1_11comp_targetILNS1_3genE10ELNS1_11target_archE1200ELNS1_3gpuE4ELNS1_3repE0EEENS1_30default_config_static_selectorELNS0_4arch9wavefront6targetE0EEEvSW_,@function
_ZN7rocprim17ROCPRIM_400000_NS6detail17trampoline_kernelINS0_14default_configENS1_29binary_search_config_selectorIjiEEZNS1_14transform_implILb0ES3_S5_N6thrust23THRUST_200600_302600_NS6detail15normal_iteratorINS8_7pointerIjNS8_11hip_rocprim5par_tENS8_11use_defaultESE_EEEENSA_INSB_IiSD_SE_SE_EEEEZNS1_13binary_searchIS3_S5_PjSG_SI_NS1_16binary_search_opENS9_16wrapped_functionINS8_6system6detail7generic6detail18binary_search_lessEbEEEE10hipError_tPvRmT1_T2_T3_mmT4_T5_P12ihipStream_tbEUlRKjE_EEST_SX_SY_mSZ_S12_bEUlT_E_NS1_11comp_targetILNS1_3genE10ELNS1_11target_archE1200ELNS1_3gpuE4ELNS1_3repE0EEENS1_30default_config_static_selectorELNS0_4arch9wavefront6targetE0EEEvSW_: ; @_ZN7rocprim17ROCPRIM_400000_NS6detail17trampoline_kernelINS0_14default_configENS1_29binary_search_config_selectorIjiEEZNS1_14transform_implILb0ES3_S5_N6thrust23THRUST_200600_302600_NS6detail15normal_iteratorINS8_7pointerIjNS8_11hip_rocprim5par_tENS8_11use_defaultESE_EEEENSA_INSB_IiSD_SE_SE_EEEEZNS1_13binary_searchIS3_S5_PjSG_SI_NS1_16binary_search_opENS9_16wrapped_functionINS8_6system6detail7generic6detail18binary_search_lessEbEEEE10hipError_tPvRmT1_T2_T3_mmT4_T5_P12ihipStream_tbEUlRKjE_EEST_SX_SY_mSZ_S12_bEUlT_E_NS1_11comp_targetILNS1_3genE10ELNS1_11target_archE1200ELNS1_3gpuE4ELNS1_3repE0EEENS1_30default_config_static_selectorELNS0_4arch9wavefront6targetE0EEEvSW_
; %bb.0:
	.section	.rodata,"a",@progbits
	.p2align	6, 0x0
	.amdhsa_kernel _ZN7rocprim17ROCPRIM_400000_NS6detail17trampoline_kernelINS0_14default_configENS1_29binary_search_config_selectorIjiEEZNS1_14transform_implILb0ES3_S5_N6thrust23THRUST_200600_302600_NS6detail15normal_iteratorINS8_7pointerIjNS8_11hip_rocprim5par_tENS8_11use_defaultESE_EEEENSA_INSB_IiSD_SE_SE_EEEEZNS1_13binary_searchIS3_S5_PjSG_SI_NS1_16binary_search_opENS9_16wrapped_functionINS8_6system6detail7generic6detail18binary_search_lessEbEEEE10hipError_tPvRmT1_T2_T3_mmT4_T5_P12ihipStream_tbEUlRKjE_EEST_SX_SY_mSZ_S12_bEUlT_E_NS1_11comp_targetILNS1_3genE10ELNS1_11target_archE1200ELNS1_3gpuE4ELNS1_3repE0EEENS1_30default_config_static_selectorELNS0_4arch9wavefront6targetE0EEEvSW_
		.amdhsa_group_segment_fixed_size 0
		.amdhsa_private_segment_fixed_size 0
		.amdhsa_kernarg_size 56
		.amdhsa_user_sgpr_count 6
		.amdhsa_user_sgpr_private_segment_buffer 1
		.amdhsa_user_sgpr_dispatch_ptr 0
		.amdhsa_user_sgpr_queue_ptr 0
		.amdhsa_user_sgpr_kernarg_segment_ptr 1
		.amdhsa_user_sgpr_dispatch_id 0
		.amdhsa_user_sgpr_flat_scratch_init 0
		.amdhsa_user_sgpr_private_segment_size 0
		.amdhsa_wavefront_size32 1
		.amdhsa_uses_dynamic_stack 0
		.amdhsa_system_sgpr_private_segment_wavefront_offset 0
		.amdhsa_system_sgpr_workgroup_id_x 1
		.amdhsa_system_sgpr_workgroup_id_y 0
		.amdhsa_system_sgpr_workgroup_id_z 0
		.amdhsa_system_sgpr_workgroup_info 0
		.amdhsa_system_vgpr_workitem_id 0
		.amdhsa_next_free_vgpr 1
		.amdhsa_next_free_sgpr 1
		.amdhsa_reserve_vcc 0
		.amdhsa_reserve_flat_scratch 0
		.amdhsa_float_round_mode_32 0
		.amdhsa_float_round_mode_16_64 0
		.amdhsa_float_denorm_mode_32 3
		.amdhsa_float_denorm_mode_16_64 3
		.amdhsa_dx10_clamp 1
		.amdhsa_ieee_mode 1
		.amdhsa_fp16_overflow 0
		.amdhsa_workgroup_processor_mode 1
		.amdhsa_memory_ordered 1
		.amdhsa_forward_progress 1
		.amdhsa_shared_vgpr_count 0
		.amdhsa_exception_fp_ieee_invalid_op 0
		.amdhsa_exception_fp_denorm_src 0
		.amdhsa_exception_fp_ieee_div_zero 0
		.amdhsa_exception_fp_ieee_overflow 0
		.amdhsa_exception_fp_ieee_underflow 0
		.amdhsa_exception_fp_ieee_inexact 0
		.amdhsa_exception_int_div_zero 0
	.end_amdhsa_kernel
	.section	.text._ZN7rocprim17ROCPRIM_400000_NS6detail17trampoline_kernelINS0_14default_configENS1_29binary_search_config_selectorIjiEEZNS1_14transform_implILb0ES3_S5_N6thrust23THRUST_200600_302600_NS6detail15normal_iteratorINS8_7pointerIjNS8_11hip_rocprim5par_tENS8_11use_defaultESE_EEEENSA_INSB_IiSD_SE_SE_EEEEZNS1_13binary_searchIS3_S5_PjSG_SI_NS1_16binary_search_opENS9_16wrapped_functionINS8_6system6detail7generic6detail18binary_search_lessEbEEEE10hipError_tPvRmT1_T2_T3_mmT4_T5_P12ihipStream_tbEUlRKjE_EEST_SX_SY_mSZ_S12_bEUlT_E_NS1_11comp_targetILNS1_3genE10ELNS1_11target_archE1200ELNS1_3gpuE4ELNS1_3repE0EEENS1_30default_config_static_selectorELNS0_4arch9wavefront6targetE0EEEvSW_,"axG",@progbits,_ZN7rocprim17ROCPRIM_400000_NS6detail17trampoline_kernelINS0_14default_configENS1_29binary_search_config_selectorIjiEEZNS1_14transform_implILb0ES3_S5_N6thrust23THRUST_200600_302600_NS6detail15normal_iteratorINS8_7pointerIjNS8_11hip_rocprim5par_tENS8_11use_defaultESE_EEEENSA_INSB_IiSD_SE_SE_EEEEZNS1_13binary_searchIS3_S5_PjSG_SI_NS1_16binary_search_opENS9_16wrapped_functionINS8_6system6detail7generic6detail18binary_search_lessEbEEEE10hipError_tPvRmT1_T2_T3_mmT4_T5_P12ihipStream_tbEUlRKjE_EEST_SX_SY_mSZ_S12_bEUlT_E_NS1_11comp_targetILNS1_3genE10ELNS1_11target_archE1200ELNS1_3gpuE4ELNS1_3repE0EEENS1_30default_config_static_selectorELNS0_4arch9wavefront6targetE0EEEvSW_,comdat
.Lfunc_end279:
	.size	_ZN7rocprim17ROCPRIM_400000_NS6detail17trampoline_kernelINS0_14default_configENS1_29binary_search_config_selectorIjiEEZNS1_14transform_implILb0ES3_S5_N6thrust23THRUST_200600_302600_NS6detail15normal_iteratorINS8_7pointerIjNS8_11hip_rocprim5par_tENS8_11use_defaultESE_EEEENSA_INSB_IiSD_SE_SE_EEEEZNS1_13binary_searchIS3_S5_PjSG_SI_NS1_16binary_search_opENS9_16wrapped_functionINS8_6system6detail7generic6detail18binary_search_lessEbEEEE10hipError_tPvRmT1_T2_T3_mmT4_T5_P12ihipStream_tbEUlRKjE_EEST_SX_SY_mSZ_S12_bEUlT_E_NS1_11comp_targetILNS1_3genE10ELNS1_11target_archE1200ELNS1_3gpuE4ELNS1_3repE0EEENS1_30default_config_static_selectorELNS0_4arch9wavefront6targetE0EEEvSW_, .Lfunc_end279-_ZN7rocprim17ROCPRIM_400000_NS6detail17trampoline_kernelINS0_14default_configENS1_29binary_search_config_selectorIjiEEZNS1_14transform_implILb0ES3_S5_N6thrust23THRUST_200600_302600_NS6detail15normal_iteratorINS8_7pointerIjNS8_11hip_rocprim5par_tENS8_11use_defaultESE_EEEENSA_INSB_IiSD_SE_SE_EEEEZNS1_13binary_searchIS3_S5_PjSG_SI_NS1_16binary_search_opENS9_16wrapped_functionINS8_6system6detail7generic6detail18binary_search_lessEbEEEE10hipError_tPvRmT1_T2_T3_mmT4_T5_P12ihipStream_tbEUlRKjE_EEST_SX_SY_mSZ_S12_bEUlT_E_NS1_11comp_targetILNS1_3genE10ELNS1_11target_archE1200ELNS1_3gpuE4ELNS1_3repE0EEENS1_30default_config_static_selectorELNS0_4arch9wavefront6targetE0EEEvSW_
                                        ; -- End function
	.set _ZN7rocprim17ROCPRIM_400000_NS6detail17trampoline_kernelINS0_14default_configENS1_29binary_search_config_selectorIjiEEZNS1_14transform_implILb0ES3_S5_N6thrust23THRUST_200600_302600_NS6detail15normal_iteratorINS8_7pointerIjNS8_11hip_rocprim5par_tENS8_11use_defaultESE_EEEENSA_INSB_IiSD_SE_SE_EEEEZNS1_13binary_searchIS3_S5_PjSG_SI_NS1_16binary_search_opENS9_16wrapped_functionINS8_6system6detail7generic6detail18binary_search_lessEbEEEE10hipError_tPvRmT1_T2_T3_mmT4_T5_P12ihipStream_tbEUlRKjE_EEST_SX_SY_mSZ_S12_bEUlT_E_NS1_11comp_targetILNS1_3genE10ELNS1_11target_archE1200ELNS1_3gpuE4ELNS1_3repE0EEENS1_30default_config_static_selectorELNS0_4arch9wavefront6targetE0EEEvSW_.num_vgpr, 0
	.set _ZN7rocprim17ROCPRIM_400000_NS6detail17trampoline_kernelINS0_14default_configENS1_29binary_search_config_selectorIjiEEZNS1_14transform_implILb0ES3_S5_N6thrust23THRUST_200600_302600_NS6detail15normal_iteratorINS8_7pointerIjNS8_11hip_rocprim5par_tENS8_11use_defaultESE_EEEENSA_INSB_IiSD_SE_SE_EEEEZNS1_13binary_searchIS3_S5_PjSG_SI_NS1_16binary_search_opENS9_16wrapped_functionINS8_6system6detail7generic6detail18binary_search_lessEbEEEE10hipError_tPvRmT1_T2_T3_mmT4_T5_P12ihipStream_tbEUlRKjE_EEST_SX_SY_mSZ_S12_bEUlT_E_NS1_11comp_targetILNS1_3genE10ELNS1_11target_archE1200ELNS1_3gpuE4ELNS1_3repE0EEENS1_30default_config_static_selectorELNS0_4arch9wavefront6targetE0EEEvSW_.num_agpr, 0
	.set _ZN7rocprim17ROCPRIM_400000_NS6detail17trampoline_kernelINS0_14default_configENS1_29binary_search_config_selectorIjiEEZNS1_14transform_implILb0ES3_S5_N6thrust23THRUST_200600_302600_NS6detail15normal_iteratorINS8_7pointerIjNS8_11hip_rocprim5par_tENS8_11use_defaultESE_EEEENSA_INSB_IiSD_SE_SE_EEEEZNS1_13binary_searchIS3_S5_PjSG_SI_NS1_16binary_search_opENS9_16wrapped_functionINS8_6system6detail7generic6detail18binary_search_lessEbEEEE10hipError_tPvRmT1_T2_T3_mmT4_T5_P12ihipStream_tbEUlRKjE_EEST_SX_SY_mSZ_S12_bEUlT_E_NS1_11comp_targetILNS1_3genE10ELNS1_11target_archE1200ELNS1_3gpuE4ELNS1_3repE0EEENS1_30default_config_static_selectorELNS0_4arch9wavefront6targetE0EEEvSW_.numbered_sgpr, 0
	.set _ZN7rocprim17ROCPRIM_400000_NS6detail17trampoline_kernelINS0_14default_configENS1_29binary_search_config_selectorIjiEEZNS1_14transform_implILb0ES3_S5_N6thrust23THRUST_200600_302600_NS6detail15normal_iteratorINS8_7pointerIjNS8_11hip_rocprim5par_tENS8_11use_defaultESE_EEEENSA_INSB_IiSD_SE_SE_EEEEZNS1_13binary_searchIS3_S5_PjSG_SI_NS1_16binary_search_opENS9_16wrapped_functionINS8_6system6detail7generic6detail18binary_search_lessEbEEEE10hipError_tPvRmT1_T2_T3_mmT4_T5_P12ihipStream_tbEUlRKjE_EEST_SX_SY_mSZ_S12_bEUlT_E_NS1_11comp_targetILNS1_3genE10ELNS1_11target_archE1200ELNS1_3gpuE4ELNS1_3repE0EEENS1_30default_config_static_selectorELNS0_4arch9wavefront6targetE0EEEvSW_.num_named_barrier, 0
	.set _ZN7rocprim17ROCPRIM_400000_NS6detail17trampoline_kernelINS0_14default_configENS1_29binary_search_config_selectorIjiEEZNS1_14transform_implILb0ES3_S5_N6thrust23THRUST_200600_302600_NS6detail15normal_iteratorINS8_7pointerIjNS8_11hip_rocprim5par_tENS8_11use_defaultESE_EEEENSA_INSB_IiSD_SE_SE_EEEEZNS1_13binary_searchIS3_S5_PjSG_SI_NS1_16binary_search_opENS9_16wrapped_functionINS8_6system6detail7generic6detail18binary_search_lessEbEEEE10hipError_tPvRmT1_T2_T3_mmT4_T5_P12ihipStream_tbEUlRKjE_EEST_SX_SY_mSZ_S12_bEUlT_E_NS1_11comp_targetILNS1_3genE10ELNS1_11target_archE1200ELNS1_3gpuE4ELNS1_3repE0EEENS1_30default_config_static_selectorELNS0_4arch9wavefront6targetE0EEEvSW_.private_seg_size, 0
	.set _ZN7rocprim17ROCPRIM_400000_NS6detail17trampoline_kernelINS0_14default_configENS1_29binary_search_config_selectorIjiEEZNS1_14transform_implILb0ES3_S5_N6thrust23THRUST_200600_302600_NS6detail15normal_iteratorINS8_7pointerIjNS8_11hip_rocprim5par_tENS8_11use_defaultESE_EEEENSA_INSB_IiSD_SE_SE_EEEEZNS1_13binary_searchIS3_S5_PjSG_SI_NS1_16binary_search_opENS9_16wrapped_functionINS8_6system6detail7generic6detail18binary_search_lessEbEEEE10hipError_tPvRmT1_T2_T3_mmT4_T5_P12ihipStream_tbEUlRKjE_EEST_SX_SY_mSZ_S12_bEUlT_E_NS1_11comp_targetILNS1_3genE10ELNS1_11target_archE1200ELNS1_3gpuE4ELNS1_3repE0EEENS1_30default_config_static_selectorELNS0_4arch9wavefront6targetE0EEEvSW_.uses_vcc, 0
	.set _ZN7rocprim17ROCPRIM_400000_NS6detail17trampoline_kernelINS0_14default_configENS1_29binary_search_config_selectorIjiEEZNS1_14transform_implILb0ES3_S5_N6thrust23THRUST_200600_302600_NS6detail15normal_iteratorINS8_7pointerIjNS8_11hip_rocprim5par_tENS8_11use_defaultESE_EEEENSA_INSB_IiSD_SE_SE_EEEEZNS1_13binary_searchIS3_S5_PjSG_SI_NS1_16binary_search_opENS9_16wrapped_functionINS8_6system6detail7generic6detail18binary_search_lessEbEEEE10hipError_tPvRmT1_T2_T3_mmT4_T5_P12ihipStream_tbEUlRKjE_EEST_SX_SY_mSZ_S12_bEUlT_E_NS1_11comp_targetILNS1_3genE10ELNS1_11target_archE1200ELNS1_3gpuE4ELNS1_3repE0EEENS1_30default_config_static_selectorELNS0_4arch9wavefront6targetE0EEEvSW_.uses_flat_scratch, 0
	.set _ZN7rocprim17ROCPRIM_400000_NS6detail17trampoline_kernelINS0_14default_configENS1_29binary_search_config_selectorIjiEEZNS1_14transform_implILb0ES3_S5_N6thrust23THRUST_200600_302600_NS6detail15normal_iteratorINS8_7pointerIjNS8_11hip_rocprim5par_tENS8_11use_defaultESE_EEEENSA_INSB_IiSD_SE_SE_EEEEZNS1_13binary_searchIS3_S5_PjSG_SI_NS1_16binary_search_opENS9_16wrapped_functionINS8_6system6detail7generic6detail18binary_search_lessEbEEEE10hipError_tPvRmT1_T2_T3_mmT4_T5_P12ihipStream_tbEUlRKjE_EEST_SX_SY_mSZ_S12_bEUlT_E_NS1_11comp_targetILNS1_3genE10ELNS1_11target_archE1200ELNS1_3gpuE4ELNS1_3repE0EEENS1_30default_config_static_selectorELNS0_4arch9wavefront6targetE0EEEvSW_.has_dyn_sized_stack, 0
	.set _ZN7rocprim17ROCPRIM_400000_NS6detail17trampoline_kernelINS0_14default_configENS1_29binary_search_config_selectorIjiEEZNS1_14transform_implILb0ES3_S5_N6thrust23THRUST_200600_302600_NS6detail15normal_iteratorINS8_7pointerIjNS8_11hip_rocprim5par_tENS8_11use_defaultESE_EEEENSA_INSB_IiSD_SE_SE_EEEEZNS1_13binary_searchIS3_S5_PjSG_SI_NS1_16binary_search_opENS9_16wrapped_functionINS8_6system6detail7generic6detail18binary_search_lessEbEEEE10hipError_tPvRmT1_T2_T3_mmT4_T5_P12ihipStream_tbEUlRKjE_EEST_SX_SY_mSZ_S12_bEUlT_E_NS1_11comp_targetILNS1_3genE10ELNS1_11target_archE1200ELNS1_3gpuE4ELNS1_3repE0EEENS1_30default_config_static_selectorELNS0_4arch9wavefront6targetE0EEEvSW_.has_recursion, 0
	.set _ZN7rocprim17ROCPRIM_400000_NS6detail17trampoline_kernelINS0_14default_configENS1_29binary_search_config_selectorIjiEEZNS1_14transform_implILb0ES3_S5_N6thrust23THRUST_200600_302600_NS6detail15normal_iteratorINS8_7pointerIjNS8_11hip_rocprim5par_tENS8_11use_defaultESE_EEEENSA_INSB_IiSD_SE_SE_EEEEZNS1_13binary_searchIS3_S5_PjSG_SI_NS1_16binary_search_opENS9_16wrapped_functionINS8_6system6detail7generic6detail18binary_search_lessEbEEEE10hipError_tPvRmT1_T2_T3_mmT4_T5_P12ihipStream_tbEUlRKjE_EEST_SX_SY_mSZ_S12_bEUlT_E_NS1_11comp_targetILNS1_3genE10ELNS1_11target_archE1200ELNS1_3gpuE4ELNS1_3repE0EEENS1_30default_config_static_selectorELNS0_4arch9wavefront6targetE0EEEvSW_.has_indirect_call, 0
	.section	.AMDGPU.csdata,"",@progbits
; Kernel info:
; codeLenInByte = 0
; TotalNumSgprs: 0
; NumVgprs: 0
; ScratchSize: 0
; MemoryBound: 0
; FloatMode: 240
; IeeeMode: 1
; LDSByteSize: 0 bytes/workgroup (compile time only)
; SGPRBlocks: 0
; VGPRBlocks: 0
; NumSGPRsForWavesPerEU: 1
; NumVGPRsForWavesPerEU: 1
; Occupancy: 16
; WaveLimiterHint : 0
; COMPUTE_PGM_RSRC2:SCRATCH_EN: 0
; COMPUTE_PGM_RSRC2:USER_SGPR: 6
; COMPUTE_PGM_RSRC2:TRAP_HANDLER: 0
; COMPUTE_PGM_RSRC2:TGID_X_EN: 1
; COMPUTE_PGM_RSRC2:TGID_Y_EN: 0
; COMPUTE_PGM_RSRC2:TGID_Z_EN: 0
; COMPUTE_PGM_RSRC2:TIDIG_COMP_CNT: 0
	.section	.text._ZN7rocprim17ROCPRIM_400000_NS6detail17trampoline_kernelINS0_14default_configENS1_29binary_search_config_selectorIjiEEZNS1_14transform_implILb0ES3_S5_N6thrust23THRUST_200600_302600_NS6detail15normal_iteratorINS8_7pointerIjNS8_11hip_rocprim5par_tENS8_11use_defaultESE_EEEENSA_INSB_IiSD_SE_SE_EEEEZNS1_13binary_searchIS3_S5_PjSG_SI_NS1_16binary_search_opENS9_16wrapped_functionINS8_6system6detail7generic6detail18binary_search_lessEbEEEE10hipError_tPvRmT1_T2_T3_mmT4_T5_P12ihipStream_tbEUlRKjE_EEST_SX_SY_mSZ_S12_bEUlT_E_NS1_11comp_targetILNS1_3genE9ELNS1_11target_archE1100ELNS1_3gpuE3ELNS1_3repE0EEENS1_30default_config_static_selectorELNS0_4arch9wavefront6targetE0EEEvSW_,"axG",@progbits,_ZN7rocprim17ROCPRIM_400000_NS6detail17trampoline_kernelINS0_14default_configENS1_29binary_search_config_selectorIjiEEZNS1_14transform_implILb0ES3_S5_N6thrust23THRUST_200600_302600_NS6detail15normal_iteratorINS8_7pointerIjNS8_11hip_rocprim5par_tENS8_11use_defaultESE_EEEENSA_INSB_IiSD_SE_SE_EEEEZNS1_13binary_searchIS3_S5_PjSG_SI_NS1_16binary_search_opENS9_16wrapped_functionINS8_6system6detail7generic6detail18binary_search_lessEbEEEE10hipError_tPvRmT1_T2_T3_mmT4_T5_P12ihipStream_tbEUlRKjE_EEST_SX_SY_mSZ_S12_bEUlT_E_NS1_11comp_targetILNS1_3genE9ELNS1_11target_archE1100ELNS1_3gpuE3ELNS1_3repE0EEENS1_30default_config_static_selectorELNS0_4arch9wavefront6targetE0EEEvSW_,comdat
	.protected	_ZN7rocprim17ROCPRIM_400000_NS6detail17trampoline_kernelINS0_14default_configENS1_29binary_search_config_selectorIjiEEZNS1_14transform_implILb0ES3_S5_N6thrust23THRUST_200600_302600_NS6detail15normal_iteratorINS8_7pointerIjNS8_11hip_rocprim5par_tENS8_11use_defaultESE_EEEENSA_INSB_IiSD_SE_SE_EEEEZNS1_13binary_searchIS3_S5_PjSG_SI_NS1_16binary_search_opENS9_16wrapped_functionINS8_6system6detail7generic6detail18binary_search_lessEbEEEE10hipError_tPvRmT1_T2_T3_mmT4_T5_P12ihipStream_tbEUlRKjE_EEST_SX_SY_mSZ_S12_bEUlT_E_NS1_11comp_targetILNS1_3genE9ELNS1_11target_archE1100ELNS1_3gpuE3ELNS1_3repE0EEENS1_30default_config_static_selectorELNS0_4arch9wavefront6targetE0EEEvSW_ ; -- Begin function _ZN7rocprim17ROCPRIM_400000_NS6detail17trampoline_kernelINS0_14default_configENS1_29binary_search_config_selectorIjiEEZNS1_14transform_implILb0ES3_S5_N6thrust23THRUST_200600_302600_NS6detail15normal_iteratorINS8_7pointerIjNS8_11hip_rocprim5par_tENS8_11use_defaultESE_EEEENSA_INSB_IiSD_SE_SE_EEEEZNS1_13binary_searchIS3_S5_PjSG_SI_NS1_16binary_search_opENS9_16wrapped_functionINS8_6system6detail7generic6detail18binary_search_lessEbEEEE10hipError_tPvRmT1_T2_T3_mmT4_T5_P12ihipStream_tbEUlRKjE_EEST_SX_SY_mSZ_S12_bEUlT_E_NS1_11comp_targetILNS1_3genE9ELNS1_11target_archE1100ELNS1_3gpuE3ELNS1_3repE0EEENS1_30default_config_static_selectorELNS0_4arch9wavefront6targetE0EEEvSW_
	.globl	_ZN7rocprim17ROCPRIM_400000_NS6detail17trampoline_kernelINS0_14default_configENS1_29binary_search_config_selectorIjiEEZNS1_14transform_implILb0ES3_S5_N6thrust23THRUST_200600_302600_NS6detail15normal_iteratorINS8_7pointerIjNS8_11hip_rocprim5par_tENS8_11use_defaultESE_EEEENSA_INSB_IiSD_SE_SE_EEEEZNS1_13binary_searchIS3_S5_PjSG_SI_NS1_16binary_search_opENS9_16wrapped_functionINS8_6system6detail7generic6detail18binary_search_lessEbEEEE10hipError_tPvRmT1_T2_T3_mmT4_T5_P12ihipStream_tbEUlRKjE_EEST_SX_SY_mSZ_S12_bEUlT_E_NS1_11comp_targetILNS1_3genE9ELNS1_11target_archE1100ELNS1_3gpuE3ELNS1_3repE0EEENS1_30default_config_static_selectorELNS0_4arch9wavefront6targetE0EEEvSW_
	.p2align	8
	.type	_ZN7rocprim17ROCPRIM_400000_NS6detail17trampoline_kernelINS0_14default_configENS1_29binary_search_config_selectorIjiEEZNS1_14transform_implILb0ES3_S5_N6thrust23THRUST_200600_302600_NS6detail15normal_iteratorINS8_7pointerIjNS8_11hip_rocprim5par_tENS8_11use_defaultESE_EEEENSA_INSB_IiSD_SE_SE_EEEEZNS1_13binary_searchIS3_S5_PjSG_SI_NS1_16binary_search_opENS9_16wrapped_functionINS8_6system6detail7generic6detail18binary_search_lessEbEEEE10hipError_tPvRmT1_T2_T3_mmT4_T5_P12ihipStream_tbEUlRKjE_EEST_SX_SY_mSZ_S12_bEUlT_E_NS1_11comp_targetILNS1_3genE9ELNS1_11target_archE1100ELNS1_3gpuE3ELNS1_3repE0EEENS1_30default_config_static_selectorELNS0_4arch9wavefront6targetE0EEEvSW_,@function
_ZN7rocprim17ROCPRIM_400000_NS6detail17trampoline_kernelINS0_14default_configENS1_29binary_search_config_selectorIjiEEZNS1_14transform_implILb0ES3_S5_N6thrust23THRUST_200600_302600_NS6detail15normal_iteratorINS8_7pointerIjNS8_11hip_rocprim5par_tENS8_11use_defaultESE_EEEENSA_INSB_IiSD_SE_SE_EEEEZNS1_13binary_searchIS3_S5_PjSG_SI_NS1_16binary_search_opENS9_16wrapped_functionINS8_6system6detail7generic6detail18binary_search_lessEbEEEE10hipError_tPvRmT1_T2_T3_mmT4_T5_P12ihipStream_tbEUlRKjE_EEST_SX_SY_mSZ_S12_bEUlT_E_NS1_11comp_targetILNS1_3genE9ELNS1_11target_archE1100ELNS1_3gpuE3ELNS1_3repE0EEENS1_30default_config_static_selectorELNS0_4arch9wavefront6targetE0EEEvSW_: ; @_ZN7rocprim17ROCPRIM_400000_NS6detail17trampoline_kernelINS0_14default_configENS1_29binary_search_config_selectorIjiEEZNS1_14transform_implILb0ES3_S5_N6thrust23THRUST_200600_302600_NS6detail15normal_iteratorINS8_7pointerIjNS8_11hip_rocprim5par_tENS8_11use_defaultESE_EEEENSA_INSB_IiSD_SE_SE_EEEEZNS1_13binary_searchIS3_S5_PjSG_SI_NS1_16binary_search_opENS9_16wrapped_functionINS8_6system6detail7generic6detail18binary_search_lessEbEEEE10hipError_tPvRmT1_T2_T3_mmT4_T5_P12ihipStream_tbEUlRKjE_EEST_SX_SY_mSZ_S12_bEUlT_E_NS1_11comp_targetILNS1_3genE9ELNS1_11target_archE1100ELNS1_3gpuE3ELNS1_3repE0EEENS1_30default_config_static_selectorELNS0_4arch9wavefront6targetE0EEEvSW_
; %bb.0:
	.section	.rodata,"a",@progbits
	.p2align	6, 0x0
	.amdhsa_kernel _ZN7rocprim17ROCPRIM_400000_NS6detail17trampoline_kernelINS0_14default_configENS1_29binary_search_config_selectorIjiEEZNS1_14transform_implILb0ES3_S5_N6thrust23THRUST_200600_302600_NS6detail15normal_iteratorINS8_7pointerIjNS8_11hip_rocprim5par_tENS8_11use_defaultESE_EEEENSA_INSB_IiSD_SE_SE_EEEEZNS1_13binary_searchIS3_S5_PjSG_SI_NS1_16binary_search_opENS9_16wrapped_functionINS8_6system6detail7generic6detail18binary_search_lessEbEEEE10hipError_tPvRmT1_T2_T3_mmT4_T5_P12ihipStream_tbEUlRKjE_EEST_SX_SY_mSZ_S12_bEUlT_E_NS1_11comp_targetILNS1_3genE9ELNS1_11target_archE1100ELNS1_3gpuE3ELNS1_3repE0EEENS1_30default_config_static_selectorELNS0_4arch9wavefront6targetE0EEEvSW_
		.amdhsa_group_segment_fixed_size 0
		.amdhsa_private_segment_fixed_size 0
		.amdhsa_kernarg_size 56
		.amdhsa_user_sgpr_count 6
		.amdhsa_user_sgpr_private_segment_buffer 1
		.amdhsa_user_sgpr_dispatch_ptr 0
		.amdhsa_user_sgpr_queue_ptr 0
		.amdhsa_user_sgpr_kernarg_segment_ptr 1
		.amdhsa_user_sgpr_dispatch_id 0
		.amdhsa_user_sgpr_flat_scratch_init 0
		.amdhsa_user_sgpr_private_segment_size 0
		.amdhsa_wavefront_size32 1
		.amdhsa_uses_dynamic_stack 0
		.amdhsa_system_sgpr_private_segment_wavefront_offset 0
		.amdhsa_system_sgpr_workgroup_id_x 1
		.amdhsa_system_sgpr_workgroup_id_y 0
		.amdhsa_system_sgpr_workgroup_id_z 0
		.amdhsa_system_sgpr_workgroup_info 0
		.amdhsa_system_vgpr_workitem_id 0
		.amdhsa_next_free_vgpr 1
		.amdhsa_next_free_sgpr 1
		.amdhsa_reserve_vcc 0
		.amdhsa_reserve_flat_scratch 0
		.amdhsa_float_round_mode_32 0
		.amdhsa_float_round_mode_16_64 0
		.amdhsa_float_denorm_mode_32 3
		.amdhsa_float_denorm_mode_16_64 3
		.amdhsa_dx10_clamp 1
		.amdhsa_ieee_mode 1
		.amdhsa_fp16_overflow 0
		.amdhsa_workgroup_processor_mode 1
		.amdhsa_memory_ordered 1
		.amdhsa_forward_progress 1
		.amdhsa_shared_vgpr_count 0
		.amdhsa_exception_fp_ieee_invalid_op 0
		.amdhsa_exception_fp_denorm_src 0
		.amdhsa_exception_fp_ieee_div_zero 0
		.amdhsa_exception_fp_ieee_overflow 0
		.amdhsa_exception_fp_ieee_underflow 0
		.amdhsa_exception_fp_ieee_inexact 0
		.amdhsa_exception_int_div_zero 0
	.end_amdhsa_kernel
	.section	.text._ZN7rocprim17ROCPRIM_400000_NS6detail17trampoline_kernelINS0_14default_configENS1_29binary_search_config_selectorIjiEEZNS1_14transform_implILb0ES3_S5_N6thrust23THRUST_200600_302600_NS6detail15normal_iteratorINS8_7pointerIjNS8_11hip_rocprim5par_tENS8_11use_defaultESE_EEEENSA_INSB_IiSD_SE_SE_EEEEZNS1_13binary_searchIS3_S5_PjSG_SI_NS1_16binary_search_opENS9_16wrapped_functionINS8_6system6detail7generic6detail18binary_search_lessEbEEEE10hipError_tPvRmT1_T2_T3_mmT4_T5_P12ihipStream_tbEUlRKjE_EEST_SX_SY_mSZ_S12_bEUlT_E_NS1_11comp_targetILNS1_3genE9ELNS1_11target_archE1100ELNS1_3gpuE3ELNS1_3repE0EEENS1_30default_config_static_selectorELNS0_4arch9wavefront6targetE0EEEvSW_,"axG",@progbits,_ZN7rocprim17ROCPRIM_400000_NS6detail17trampoline_kernelINS0_14default_configENS1_29binary_search_config_selectorIjiEEZNS1_14transform_implILb0ES3_S5_N6thrust23THRUST_200600_302600_NS6detail15normal_iteratorINS8_7pointerIjNS8_11hip_rocprim5par_tENS8_11use_defaultESE_EEEENSA_INSB_IiSD_SE_SE_EEEEZNS1_13binary_searchIS3_S5_PjSG_SI_NS1_16binary_search_opENS9_16wrapped_functionINS8_6system6detail7generic6detail18binary_search_lessEbEEEE10hipError_tPvRmT1_T2_T3_mmT4_T5_P12ihipStream_tbEUlRKjE_EEST_SX_SY_mSZ_S12_bEUlT_E_NS1_11comp_targetILNS1_3genE9ELNS1_11target_archE1100ELNS1_3gpuE3ELNS1_3repE0EEENS1_30default_config_static_selectorELNS0_4arch9wavefront6targetE0EEEvSW_,comdat
.Lfunc_end280:
	.size	_ZN7rocprim17ROCPRIM_400000_NS6detail17trampoline_kernelINS0_14default_configENS1_29binary_search_config_selectorIjiEEZNS1_14transform_implILb0ES3_S5_N6thrust23THRUST_200600_302600_NS6detail15normal_iteratorINS8_7pointerIjNS8_11hip_rocprim5par_tENS8_11use_defaultESE_EEEENSA_INSB_IiSD_SE_SE_EEEEZNS1_13binary_searchIS3_S5_PjSG_SI_NS1_16binary_search_opENS9_16wrapped_functionINS8_6system6detail7generic6detail18binary_search_lessEbEEEE10hipError_tPvRmT1_T2_T3_mmT4_T5_P12ihipStream_tbEUlRKjE_EEST_SX_SY_mSZ_S12_bEUlT_E_NS1_11comp_targetILNS1_3genE9ELNS1_11target_archE1100ELNS1_3gpuE3ELNS1_3repE0EEENS1_30default_config_static_selectorELNS0_4arch9wavefront6targetE0EEEvSW_, .Lfunc_end280-_ZN7rocprim17ROCPRIM_400000_NS6detail17trampoline_kernelINS0_14default_configENS1_29binary_search_config_selectorIjiEEZNS1_14transform_implILb0ES3_S5_N6thrust23THRUST_200600_302600_NS6detail15normal_iteratorINS8_7pointerIjNS8_11hip_rocprim5par_tENS8_11use_defaultESE_EEEENSA_INSB_IiSD_SE_SE_EEEEZNS1_13binary_searchIS3_S5_PjSG_SI_NS1_16binary_search_opENS9_16wrapped_functionINS8_6system6detail7generic6detail18binary_search_lessEbEEEE10hipError_tPvRmT1_T2_T3_mmT4_T5_P12ihipStream_tbEUlRKjE_EEST_SX_SY_mSZ_S12_bEUlT_E_NS1_11comp_targetILNS1_3genE9ELNS1_11target_archE1100ELNS1_3gpuE3ELNS1_3repE0EEENS1_30default_config_static_selectorELNS0_4arch9wavefront6targetE0EEEvSW_
                                        ; -- End function
	.set _ZN7rocprim17ROCPRIM_400000_NS6detail17trampoline_kernelINS0_14default_configENS1_29binary_search_config_selectorIjiEEZNS1_14transform_implILb0ES3_S5_N6thrust23THRUST_200600_302600_NS6detail15normal_iteratorINS8_7pointerIjNS8_11hip_rocprim5par_tENS8_11use_defaultESE_EEEENSA_INSB_IiSD_SE_SE_EEEEZNS1_13binary_searchIS3_S5_PjSG_SI_NS1_16binary_search_opENS9_16wrapped_functionINS8_6system6detail7generic6detail18binary_search_lessEbEEEE10hipError_tPvRmT1_T2_T3_mmT4_T5_P12ihipStream_tbEUlRKjE_EEST_SX_SY_mSZ_S12_bEUlT_E_NS1_11comp_targetILNS1_3genE9ELNS1_11target_archE1100ELNS1_3gpuE3ELNS1_3repE0EEENS1_30default_config_static_selectorELNS0_4arch9wavefront6targetE0EEEvSW_.num_vgpr, 0
	.set _ZN7rocprim17ROCPRIM_400000_NS6detail17trampoline_kernelINS0_14default_configENS1_29binary_search_config_selectorIjiEEZNS1_14transform_implILb0ES3_S5_N6thrust23THRUST_200600_302600_NS6detail15normal_iteratorINS8_7pointerIjNS8_11hip_rocprim5par_tENS8_11use_defaultESE_EEEENSA_INSB_IiSD_SE_SE_EEEEZNS1_13binary_searchIS3_S5_PjSG_SI_NS1_16binary_search_opENS9_16wrapped_functionINS8_6system6detail7generic6detail18binary_search_lessEbEEEE10hipError_tPvRmT1_T2_T3_mmT4_T5_P12ihipStream_tbEUlRKjE_EEST_SX_SY_mSZ_S12_bEUlT_E_NS1_11comp_targetILNS1_3genE9ELNS1_11target_archE1100ELNS1_3gpuE3ELNS1_3repE0EEENS1_30default_config_static_selectorELNS0_4arch9wavefront6targetE0EEEvSW_.num_agpr, 0
	.set _ZN7rocprim17ROCPRIM_400000_NS6detail17trampoline_kernelINS0_14default_configENS1_29binary_search_config_selectorIjiEEZNS1_14transform_implILb0ES3_S5_N6thrust23THRUST_200600_302600_NS6detail15normal_iteratorINS8_7pointerIjNS8_11hip_rocprim5par_tENS8_11use_defaultESE_EEEENSA_INSB_IiSD_SE_SE_EEEEZNS1_13binary_searchIS3_S5_PjSG_SI_NS1_16binary_search_opENS9_16wrapped_functionINS8_6system6detail7generic6detail18binary_search_lessEbEEEE10hipError_tPvRmT1_T2_T3_mmT4_T5_P12ihipStream_tbEUlRKjE_EEST_SX_SY_mSZ_S12_bEUlT_E_NS1_11comp_targetILNS1_3genE9ELNS1_11target_archE1100ELNS1_3gpuE3ELNS1_3repE0EEENS1_30default_config_static_selectorELNS0_4arch9wavefront6targetE0EEEvSW_.numbered_sgpr, 0
	.set _ZN7rocprim17ROCPRIM_400000_NS6detail17trampoline_kernelINS0_14default_configENS1_29binary_search_config_selectorIjiEEZNS1_14transform_implILb0ES3_S5_N6thrust23THRUST_200600_302600_NS6detail15normal_iteratorINS8_7pointerIjNS8_11hip_rocprim5par_tENS8_11use_defaultESE_EEEENSA_INSB_IiSD_SE_SE_EEEEZNS1_13binary_searchIS3_S5_PjSG_SI_NS1_16binary_search_opENS9_16wrapped_functionINS8_6system6detail7generic6detail18binary_search_lessEbEEEE10hipError_tPvRmT1_T2_T3_mmT4_T5_P12ihipStream_tbEUlRKjE_EEST_SX_SY_mSZ_S12_bEUlT_E_NS1_11comp_targetILNS1_3genE9ELNS1_11target_archE1100ELNS1_3gpuE3ELNS1_3repE0EEENS1_30default_config_static_selectorELNS0_4arch9wavefront6targetE0EEEvSW_.num_named_barrier, 0
	.set _ZN7rocprim17ROCPRIM_400000_NS6detail17trampoline_kernelINS0_14default_configENS1_29binary_search_config_selectorIjiEEZNS1_14transform_implILb0ES3_S5_N6thrust23THRUST_200600_302600_NS6detail15normal_iteratorINS8_7pointerIjNS8_11hip_rocprim5par_tENS8_11use_defaultESE_EEEENSA_INSB_IiSD_SE_SE_EEEEZNS1_13binary_searchIS3_S5_PjSG_SI_NS1_16binary_search_opENS9_16wrapped_functionINS8_6system6detail7generic6detail18binary_search_lessEbEEEE10hipError_tPvRmT1_T2_T3_mmT4_T5_P12ihipStream_tbEUlRKjE_EEST_SX_SY_mSZ_S12_bEUlT_E_NS1_11comp_targetILNS1_3genE9ELNS1_11target_archE1100ELNS1_3gpuE3ELNS1_3repE0EEENS1_30default_config_static_selectorELNS0_4arch9wavefront6targetE0EEEvSW_.private_seg_size, 0
	.set _ZN7rocprim17ROCPRIM_400000_NS6detail17trampoline_kernelINS0_14default_configENS1_29binary_search_config_selectorIjiEEZNS1_14transform_implILb0ES3_S5_N6thrust23THRUST_200600_302600_NS6detail15normal_iteratorINS8_7pointerIjNS8_11hip_rocprim5par_tENS8_11use_defaultESE_EEEENSA_INSB_IiSD_SE_SE_EEEEZNS1_13binary_searchIS3_S5_PjSG_SI_NS1_16binary_search_opENS9_16wrapped_functionINS8_6system6detail7generic6detail18binary_search_lessEbEEEE10hipError_tPvRmT1_T2_T3_mmT4_T5_P12ihipStream_tbEUlRKjE_EEST_SX_SY_mSZ_S12_bEUlT_E_NS1_11comp_targetILNS1_3genE9ELNS1_11target_archE1100ELNS1_3gpuE3ELNS1_3repE0EEENS1_30default_config_static_selectorELNS0_4arch9wavefront6targetE0EEEvSW_.uses_vcc, 0
	.set _ZN7rocprim17ROCPRIM_400000_NS6detail17trampoline_kernelINS0_14default_configENS1_29binary_search_config_selectorIjiEEZNS1_14transform_implILb0ES3_S5_N6thrust23THRUST_200600_302600_NS6detail15normal_iteratorINS8_7pointerIjNS8_11hip_rocprim5par_tENS8_11use_defaultESE_EEEENSA_INSB_IiSD_SE_SE_EEEEZNS1_13binary_searchIS3_S5_PjSG_SI_NS1_16binary_search_opENS9_16wrapped_functionINS8_6system6detail7generic6detail18binary_search_lessEbEEEE10hipError_tPvRmT1_T2_T3_mmT4_T5_P12ihipStream_tbEUlRKjE_EEST_SX_SY_mSZ_S12_bEUlT_E_NS1_11comp_targetILNS1_3genE9ELNS1_11target_archE1100ELNS1_3gpuE3ELNS1_3repE0EEENS1_30default_config_static_selectorELNS0_4arch9wavefront6targetE0EEEvSW_.uses_flat_scratch, 0
	.set _ZN7rocprim17ROCPRIM_400000_NS6detail17trampoline_kernelINS0_14default_configENS1_29binary_search_config_selectorIjiEEZNS1_14transform_implILb0ES3_S5_N6thrust23THRUST_200600_302600_NS6detail15normal_iteratorINS8_7pointerIjNS8_11hip_rocprim5par_tENS8_11use_defaultESE_EEEENSA_INSB_IiSD_SE_SE_EEEEZNS1_13binary_searchIS3_S5_PjSG_SI_NS1_16binary_search_opENS9_16wrapped_functionINS8_6system6detail7generic6detail18binary_search_lessEbEEEE10hipError_tPvRmT1_T2_T3_mmT4_T5_P12ihipStream_tbEUlRKjE_EEST_SX_SY_mSZ_S12_bEUlT_E_NS1_11comp_targetILNS1_3genE9ELNS1_11target_archE1100ELNS1_3gpuE3ELNS1_3repE0EEENS1_30default_config_static_selectorELNS0_4arch9wavefront6targetE0EEEvSW_.has_dyn_sized_stack, 0
	.set _ZN7rocprim17ROCPRIM_400000_NS6detail17trampoline_kernelINS0_14default_configENS1_29binary_search_config_selectorIjiEEZNS1_14transform_implILb0ES3_S5_N6thrust23THRUST_200600_302600_NS6detail15normal_iteratorINS8_7pointerIjNS8_11hip_rocprim5par_tENS8_11use_defaultESE_EEEENSA_INSB_IiSD_SE_SE_EEEEZNS1_13binary_searchIS3_S5_PjSG_SI_NS1_16binary_search_opENS9_16wrapped_functionINS8_6system6detail7generic6detail18binary_search_lessEbEEEE10hipError_tPvRmT1_T2_T3_mmT4_T5_P12ihipStream_tbEUlRKjE_EEST_SX_SY_mSZ_S12_bEUlT_E_NS1_11comp_targetILNS1_3genE9ELNS1_11target_archE1100ELNS1_3gpuE3ELNS1_3repE0EEENS1_30default_config_static_selectorELNS0_4arch9wavefront6targetE0EEEvSW_.has_recursion, 0
	.set _ZN7rocprim17ROCPRIM_400000_NS6detail17trampoline_kernelINS0_14default_configENS1_29binary_search_config_selectorIjiEEZNS1_14transform_implILb0ES3_S5_N6thrust23THRUST_200600_302600_NS6detail15normal_iteratorINS8_7pointerIjNS8_11hip_rocprim5par_tENS8_11use_defaultESE_EEEENSA_INSB_IiSD_SE_SE_EEEEZNS1_13binary_searchIS3_S5_PjSG_SI_NS1_16binary_search_opENS9_16wrapped_functionINS8_6system6detail7generic6detail18binary_search_lessEbEEEE10hipError_tPvRmT1_T2_T3_mmT4_T5_P12ihipStream_tbEUlRKjE_EEST_SX_SY_mSZ_S12_bEUlT_E_NS1_11comp_targetILNS1_3genE9ELNS1_11target_archE1100ELNS1_3gpuE3ELNS1_3repE0EEENS1_30default_config_static_selectorELNS0_4arch9wavefront6targetE0EEEvSW_.has_indirect_call, 0
	.section	.AMDGPU.csdata,"",@progbits
; Kernel info:
; codeLenInByte = 0
; TotalNumSgprs: 0
; NumVgprs: 0
; ScratchSize: 0
; MemoryBound: 0
; FloatMode: 240
; IeeeMode: 1
; LDSByteSize: 0 bytes/workgroup (compile time only)
; SGPRBlocks: 0
; VGPRBlocks: 0
; NumSGPRsForWavesPerEU: 1
; NumVGPRsForWavesPerEU: 1
; Occupancy: 16
; WaveLimiterHint : 0
; COMPUTE_PGM_RSRC2:SCRATCH_EN: 0
; COMPUTE_PGM_RSRC2:USER_SGPR: 6
; COMPUTE_PGM_RSRC2:TRAP_HANDLER: 0
; COMPUTE_PGM_RSRC2:TGID_X_EN: 1
; COMPUTE_PGM_RSRC2:TGID_Y_EN: 0
; COMPUTE_PGM_RSRC2:TGID_Z_EN: 0
; COMPUTE_PGM_RSRC2:TIDIG_COMP_CNT: 0
	.section	.text._ZN7rocprim17ROCPRIM_400000_NS6detail17trampoline_kernelINS0_14default_configENS1_29binary_search_config_selectorIjiEEZNS1_14transform_implILb0ES3_S5_N6thrust23THRUST_200600_302600_NS6detail15normal_iteratorINS8_7pointerIjNS8_11hip_rocprim5par_tENS8_11use_defaultESE_EEEENSA_INSB_IiSD_SE_SE_EEEEZNS1_13binary_searchIS3_S5_PjSG_SI_NS1_16binary_search_opENS9_16wrapped_functionINS8_6system6detail7generic6detail18binary_search_lessEbEEEE10hipError_tPvRmT1_T2_T3_mmT4_T5_P12ihipStream_tbEUlRKjE_EEST_SX_SY_mSZ_S12_bEUlT_E_NS1_11comp_targetILNS1_3genE8ELNS1_11target_archE1030ELNS1_3gpuE2ELNS1_3repE0EEENS1_30default_config_static_selectorELNS0_4arch9wavefront6targetE0EEEvSW_,"axG",@progbits,_ZN7rocprim17ROCPRIM_400000_NS6detail17trampoline_kernelINS0_14default_configENS1_29binary_search_config_selectorIjiEEZNS1_14transform_implILb0ES3_S5_N6thrust23THRUST_200600_302600_NS6detail15normal_iteratorINS8_7pointerIjNS8_11hip_rocprim5par_tENS8_11use_defaultESE_EEEENSA_INSB_IiSD_SE_SE_EEEEZNS1_13binary_searchIS3_S5_PjSG_SI_NS1_16binary_search_opENS9_16wrapped_functionINS8_6system6detail7generic6detail18binary_search_lessEbEEEE10hipError_tPvRmT1_T2_T3_mmT4_T5_P12ihipStream_tbEUlRKjE_EEST_SX_SY_mSZ_S12_bEUlT_E_NS1_11comp_targetILNS1_3genE8ELNS1_11target_archE1030ELNS1_3gpuE2ELNS1_3repE0EEENS1_30default_config_static_selectorELNS0_4arch9wavefront6targetE0EEEvSW_,comdat
	.protected	_ZN7rocprim17ROCPRIM_400000_NS6detail17trampoline_kernelINS0_14default_configENS1_29binary_search_config_selectorIjiEEZNS1_14transform_implILb0ES3_S5_N6thrust23THRUST_200600_302600_NS6detail15normal_iteratorINS8_7pointerIjNS8_11hip_rocprim5par_tENS8_11use_defaultESE_EEEENSA_INSB_IiSD_SE_SE_EEEEZNS1_13binary_searchIS3_S5_PjSG_SI_NS1_16binary_search_opENS9_16wrapped_functionINS8_6system6detail7generic6detail18binary_search_lessEbEEEE10hipError_tPvRmT1_T2_T3_mmT4_T5_P12ihipStream_tbEUlRKjE_EEST_SX_SY_mSZ_S12_bEUlT_E_NS1_11comp_targetILNS1_3genE8ELNS1_11target_archE1030ELNS1_3gpuE2ELNS1_3repE0EEENS1_30default_config_static_selectorELNS0_4arch9wavefront6targetE0EEEvSW_ ; -- Begin function _ZN7rocprim17ROCPRIM_400000_NS6detail17trampoline_kernelINS0_14default_configENS1_29binary_search_config_selectorIjiEEZNS1_14transform_implILb0ES3_S5_N6thrust23THRUST_200600_302600_NS6detail15normal_iteratorINS8_7pointerIjNS8_11hip_rocprim5par_tENS8_11use_defaultESE_EEEENSA_INSB_IiSD_SE_SE_EEEEZNS1_13binary_searchIS3_S5_PjSG_SI_NS1_16binary_search_opENS9_16wrapped_functionINS8_6system6detail7generic6detail18binary_search_lessEbEEEE10hipError_tPvRmT1_T2_T3_mmT4_T5_P12ihipStream_tbEUlRKjE_EEST_SX_SY_mSZ_S12_bEUlT_E_NS1_11comp_targetILNS1_3genE8ELNS1_11target_archE1030ELNS1_3gpuE2ELNS1_3repE0EEENS1_30default_config_static_selectorELNS0_4arch9wavefront6targetE0EEEvSW_
	.globl	_ZN7rocprim17ROCPRIM_400000_NS6detail17trampoline_kernelINS0_14default_configENS1_29binary_search_config_selectorIjiEEZNS1_14transform_implILb0ES3_S5_N6thrust23THRUST_200600_302600_NS6detail15normal_iteratorINS8_7pointerIjNS8_11hip_rocprim5par_tENS8_11use_defaultESE_EEEENSA_INSB_IiSD_SE_SE_EEEEZNS1_13binary_searchIS3_S5_PjSG_SI_NS1_16binary_search_opENS9_16wrapped_functionINS8_6system6detail7generic6detail18binary_search_lessEbEEEE10hipError_tPvRmT1_T2_T3_mmT4_T5_P12ihipStream_tbEUlRKjE_EEST_SX_SY_mSZ_S12_bEUlT_E_NS1_11comp_targetILNS1_3genE8ELNS1_11target_archE1030ELNS1_3gpuE2ELNS1_3repE0EEENS1_30default_config_static_selectorELNS0_4arch9wavefront6targetE0EEEvSW_
	.p2align	8
	.type	_ZN7rocprim17ROCPRIM_400000_NS6detail17trampoline_kernelINS0_14default_configENS1_29binary_search_config_selectorIjiEEZNS1_14transform_implILb0ES3_S5_N6thrust23THRUST_200600_302600_NS6detail15normal_iteratorINS8_7pointerIjNS8_11hip_rocprim5par_tENS8_11use_defaultESE_EEEENSA_INSB_IiSD_SE_SE_EEEEZNS1_13binary_searchIS3_S5_PjSG_SI_NS1_16binary_search_opENS9_16wrapped_functionINS8_6system6detail7generic6detail18binary_search_lessEbEEEE10hipError_tPvRmT1_T2_T3_mmT4_T5_P12ihipStream_tbEUlRKjE_EEST_SX_SY_mSZ_S12_bEUlT_E_NS1_11comp_targetILNS1_3genE8ELNS1_11target_archE1030ELNS1_3gpuE2ELNS1_3repE0EEENS1_30default_config_static_selectorELNS0_4arch9wavefront6targetE0EEEvSW_,@function
_ZN7rocprim17ROCPRIM_400000_NS6detail17trampoline_kernelINS0_14default_configENS1_29binary_search_config_selectorIjiEEZNS1_14transform_implILb0ES3_S5_N6thrust23THRUST_200600_302600_NS6detail15normal_iteratorINS8_7pointerIjNS8_11hip_rocprim5par_tENS8_11use_defaultESE_EEEENSA_INSB_IiSD_SE_SE_EEEEZNS1_13binary_searchIS3_S5_PjSG_SI_NS1_16binary_search_opENS9_16wrapped_functionINS8_6system6detail7generic6detail18binary_search_lessEbEEEE10hipError_tPvRmT1_T2_T3_mmT4_T5_P12ihipStream_tbEUlRKjE_EEST_SX_SY_mSZ_S12_bEUlT_E_NS1_11comp_targetILNS1_3genE8ELNS1_11target_archE1030ELNS1_3gpuE2ELNS1_3repE0EEENS1_30default_config_static_selectorELNS0_4arch9wavefront6targetE0EEEvSW_: ; @_ZN7rocprim17ROCPRIM_400000_NS6detail17trampoline_kernelINS0_14default_configENS1_29binary_search_config_selectorIjiEEZNS1_14transform_implILb0ES3_S5_N6thrust23THRUST_200600_302600_NS6detail15normal_iteratorINS8_7pointerIjNS8_11hip_rocprim5par_tENS8_11use_defaultESE_EEEENSA_INSB_IiSD_SE_SE_EEEEZNS1_13binary_searchIS3_S5_PjSG_SI_NS1_16binary_search_opENS9_16wrapped_functionINS8_6system6detail7generic6detail18binary_search_lessEbEEEE10hipError_tPvRmT1_T2_T3_mmT4_T5_P12ihipStream_tbEUlRKjE_EEST_SX_SY_mSZ_S12_bEUlT_E_NS1_11comp_targetILNS1_3genE8ELNS1_11target_archE1030ELNS1_3gpuE2ELNS1_3repE0EEENS1_30default_config_static_selectorELNS0_4arch9wavefront6targetE0EEEvSW_
; %bb.0:
	s_clause 0x3
	s_load_dwordx4 s[16:19], s[4:5], 0x0
	s_load_dword s3, s[4:5], 0x38
	s_load_dwordx2 s[0:1], s[4:5], 0x28
	s_load_dwordx4 s[8:11], s[4:5], 0x18
	s_waitcnt lgkmcnt(0)
	s_lshl_b64 s[12:13], s[18:19], 2
	s_add_u32 s14, s16, s12
	s_addc_u32 s15, s17, s13
	s_add_i32 s7, s3, -1
	s_lshl_b32 s2, s6, 8
	s_mov_b32 s3, 0
	s_cmp_lg_u32 s6, s7
	s_mov_b32 s16, -1
	s_cbranch_scc0 .LBB281_6
; %bb.1:
	v_lshlrev_b32_e32 v1, 2, v0
	s_lshl_b64 s[6:7], s[2:3], 2
	s_add_u32 s6, s14, s6
	s_addc_u32 s7, s15, s7
	v_add_co_u32 v1, s6, s6, v1
	v_add_co_ci_u32_e64 v2, null, s7, 0, s6
	s_cmp_eq_u64 s[0:1], 0
	flat_load_dword v6, v[1:2]
	v_mov_b32_e32 v2, 0
	v_mov_b32_e32 v1, 0
	;; [unrolled: 1-line block ×3, first 2 shown]
	s_cbranch_scc1 .LBB281_5
; %bb.2:
	v_mov_b32_e32 v5, s1
	v_mov_b32_e32 v4, s0
	s_mov_b32 s6, 0
	s_inst_prefetch 0x1
	.p2align	6
.LBB281_3:                              ; =>This Inner Loop Header: Depth=1
	v_sub_co_u32 v7, vcc_lo, v4, v2
	v_sub_co_ci_u32_e64 v8, null, v5, v3, vcc_lo
	v_lshrrev_b64 v[9:10], 1, v[7:8]
	v_lshrrev_b64 v[7:8], 6, v[7:8]
	v_add_co_u32 v9, vcc_lo, v9, v2
	v_add_co_ci_u32_e64 v10, null, v10, v3, vcc_lo
	v_add_co_u32 v7, vcc_lo, v9, v7
	v_add_co_ci_u32_e64 v8, null, v10, v8, vcc_lo
	v_lshlrev_b64 v[9:10], 2, v[7:8]
	v_add_co_u32 v9, vcc_lo, s10, v9
	v_add_co_ci_u32_e64 v10, null, s11, v10, vcc_lo
	global_load_dword v9, v[9:10], off
	v_add_co_u32 v10, vcc_lo, v7, 1
	v_add_co_ci_u32_e64 v11, null, 0, v8, vcc_lo
	s_waitcnt vmcnt(0) lgkmcnt(0)
	v_cmp_lt_u32_e32 vcc_lo, v9, v6
	v_cndmask_b32_e32 v5, v8, v5, vcc_lo
	v_cndmask_b32_e32 v4, v7, v4, vcc_lo
	;; [unrolled: 1-line block ×4, first 2 shown]
	v_cmp_ge_u64_e32 vcc_lo, v[2:3], v[4:5]
	s_or_b32 s6, vcc_lo, s6
	s_andn2_b32 exec_lo, exec_lo, s6
	s_cbranch_execnz .LBB281_3
; %bb.4:
	s_inst_prefetch 0x2
	s_or_b32 exec_lo, exec_lo, s6
.LBB281_5:
	v_cmp_eq_u64_e64 s6, s[0:1], v[2:3]
	v_cmp_ne_u64_e64 s7, s[0:1], v[2:3]
	s_branch .LBB281_14
.LBB281_6:
	s_mov_b32 s7, s3
	s_mov_b32 s6, s3
                                        ; implicit-def: $vgpr6
                                        ; implicit-def: $vgpr2_vgpr3
	s_and_b32 vcc_lo, exec_lo, s16
	s_cbranch_vccz .LBB281_14
; %bb.7:
	s_load_dword s4, s[4:5], 0x10
                                        ; implicit-def: $vgpr6
                                        ; implicit-def: $vgpr2_vgpr3
	s_waitcnt lgkmcnt(0)
	s_sub_i32 s4, s4, s2
	v_cmp_gt_u32_e32 vcc_lo, s4, v0
	s_and_saveexec_b32 s4, vcc_lo
	s_cbranch_execz .LBB281_13
; %bb.8:
	v_lshlrev_b32_e32 v1, 2, v0
	s_lshl_b64 s[16:17], s[2:3], 2
	s_add_u32 s5, s14, s16
	s_addc_u32 s14, s15, s17
	v_add_co_u32 v1, s5, s5, v1
	v_add_co_ci_u32_e64 v2, null, s14, 0, s5
	s_cmp_eq_u64 s[0:1], 0
	s_waitcnt vmcnt(0)
	flat_load_dword v6, v[1:2]
	v_mov_b32_e32 v2, 0
	v_mov_b32_e32 v1, 0
	;; [unrolled: 1-line block ×3, first 2 shown]
	s_cbranch_scc1 .LBB281_12
; %bb.9:
	v_mov_b32_e32 v5, s1
	v_mov_b32_e32 v4, s0
	s_mov_b32 s5, 0
	s_inst_prefetch 0x1
	.p2align	6
.LBB281_10:                             ; =>This Inner Loop Header: Depth=1
	v_sub_co_u32 v7, vcc_lo, v4, v2
	v_sub_co_ci_u32_e64 v8, null, v5, v3, vcc_lo
	v_lshrrev_b64 v[9:10], 1, v[7:8]
	v_lshrrev_b64 v[7:8], 6, v[7:8]
	v_add_co_u32 v9, vcc_lo, v9, v2
	v_add_co_ci_u32_e64 v10, null, v10, v3, vcc_lo
	v_add_co_u32 v7, vcc_lo, v9, v7
	v_add_co_ci_u32_e64 v8, null, v10, v8, vcc_lo
	v_lshlrev_b64 v[9:10], 2, v[7:8]
	v_add_co_u32 v9, vcc_lo, s10, v9
	v_add_co_ci_u32_e64 v10, null, s11, v10, vcc_lo
	global_load_dword v9, v[9:10], off
	v_add_co_u32 v10, vcc_lo, v7, 1
	v_add_co_ci_u32_e64 v11, null, 0, v8, vcc_lo
	s_waitcnt vmcnt(0) lgkmcnt(0)
	v_cmp_lt_u32_e32 vcc_lo, v9, v6
	v_cndmask_b32_e32 v5, v8, v5, vcc_lo
	v_cndmask_b32_e32 v4, v7, v4, vcc_lo
	;; [unrolled: 1-line block ×4, first 2 shown]
	v_cmp_ge_u64_e32 vcc_lo, v[2:3], v[4:5]
	s_or_b32 s5, vcc_lo, s5
	s_andn2_b32 exec_lo, exec_lo, s5
	s_cbranch_execnz .LBB281_10
; %bb.11:
	s_inst_prefetch 0x2
	s_or_b32 exec_lo, exec_lo, s5
.LBB281_12:
	v_cmp_eq_u64_e32 vcc_lo, s[0:1], v[2:3]
	v_cmp_ne_u64_e64 s0, s[0:1], v[2:3]
	s_andn2_b32 s1, s6, exec_lo
	s_andn2_b32 s5, s7, exec_lo
	s_and_b32 s6, vcc_lo, exec_lo
	s_and_b32 s0, s0, exec_lo
	s_or_b32 s6, s1, s6
	s_or_b32 s7, s5, s0
.LBB281_13:
	s_or_b32 exec_lo, exec_lo, s4
.LBB281_14:
	v_mov_b32_e32 v4, 0
	s_and_saveexec_b32 s0, s7
	s_cbranch_execnz .LBB281_17
; %bb.15:
	s_or_b32 exec_lo, exec_lo, s0
	s_and_saveexec_b32 s0, s6
	s_cbranch_execnz .LBB281_18
.LBB281_16:
	s_endpgm
.LBB281_17:
	v_lshlrev_b64 v[2:3], 2, v[2:3]
	s_or_b32 s6, s6, exec_lo
	v_add_co_u32 v2, vcc_lo, s10, v2
	v_add_co_ci_u32_e64 v3, null, s11, v3, vcc_lo
	global_load_dword v2, v[2:3], off
	s_waitcnt vmcnt(0) lgkmcnt(0)
	v_cmp_ge_u32_e32 vcc_lo, v6, v2
	v_cndmask_b32_e64 v4, 0, 1, vcc_lo
	s_or_b32 exec_lo, exec_lo, s0
	s_and_saveexec_b32 s0, s6
	s_cbranch_execz .LBB281_16
.LBB281_18:
	v_lshlrev_b64 v[0:1], 2, v[0:1]
	s_add_u32 s4, s8, s12
	s_addc_u32 s5, s9, s13
	s_lshl_b64 s[0:1], s[2:3], 2
	s_add_u32 s0, s4, s0
	s_addc_u32 s1, s5, s1
	v_add_co_u32 v0, vcc_lo, s0, v0
	v_add_co_ci_u32_e64 v1, null, s1, v1, vcc_lo
	flat_store_dword v[0:1], v4
	s_endpgm
	.section	.rodata,"a",@progbits
	.p2align	6, 0x0
	.amdhsa_kernel _ZN7rocprim17ROCPRIM_400000_NS6detail17trampoline_kernelINS0_14default_configENS1_29binary_search_config_selectorIjiEEZNS1_14transform_implILb0ES3_S5_N6thrust23THRUST_200600_302600_NS6detail15normal_iteratorINS8_7pointerIjNS8_11hip_rocprim5par_tENS8_11use_defaultESE_EEEENSA_INSB_IiSD_SE_SE_EEEEZNS1_13binary_searchIS3_S5_PjSG_SI_NS1_16binary_search_opENS9_16wrapped_functionINS8_6system6detail7generic6detail18binary_search_lessEbEEEE10hipError_tPvRmT1_T2_T3_mmT4_T5_P12ihipStream_tbEUlRKjE_EEST_SX_SY_mSZ_S12_bEUlT_E_NS1_11comp_targetILNS1_3genE8ELNS1_11target_archE1030ELNS1_3gpuE2ELNS1_3repE0EEENS1_30default_config_static_selectorELNS0_4arch9wavefront6targetE0EEEvSW_
		.amdhsa_group_segment_fixed_size 0
		.amdhsa_private_segment_fixed_size 0
		.amdhsa_kernarg_size 312
		.amdhsa_user_sgpr_count 6
		.amdhsa_user_sgpr_private_segment_buffer 1
		.amdhsa_user_sgpr_dispatch_ptr 0
		.amdhsa_user_sgpr_queue_ptr 0
		.amdhsa_user_sgpr_kernarg_segment_ptr 1
		.amdhsa_user_sgpr_dispatch_id 0
		.amdhsa_user_sgpr_flat_scratch_init 0
		.amdhsa_user_sgpr_private_segment_size 0
		.amdhsa_wavefront_size32 1
		.amdhsa_uses_dynamic_stack 0
		.amdhsa_system_sgpr_private_segment_wavefront_offset 0
		.amdhsa_system_sgpr_workgroup_id_x 1
		.amdhsa_system_sgpr_workgroup_id_y 0
		.amdhsa_system_sgpr_workgroup_id_z 0
		.amdhsa_system_sgpr_workgroup_info 0
		.amdhsa_system_vgpr_workitem_id 0
		.amdhsa_next_free_vgpr 12
		.amdhsa_next_free_sgpr 20
		.amdhsa_reserve_vcc 1
		.amdhsa_reserve_flat_scratch 0
		.amdhsa_float_round_mode_32 0
		.amdhsa_float_round_mode_16_64 0
		.amdhsa_float_denorm_mode_32 3
		.amdhsa_float_denorm_mode_16_64 3
		.amdhsa_dx10_clamp 1
		.amdhsa_ieee_mode 1
		.amdhsa_fp16_overflow 0
		.amdhsa_workgroup_processor_mode 1
		.amdhsa_memory_ordered 1
		.amdhsa_forward_progress 1
		.amdhsa_shared_vgpr_count 0
		.amdhsa_exception_fp_ieee_invalid_op 0
		.amdhsa_exception_fp_denorm_src 0
		.amdhsa_exception_fp_ieee_div_zero 0
		.amdhsa_exception_fp_ieee_overflow 0
		.amdhsa_exception_fp_ieee_underflow 0
		.amdhsa_exception_fp_ieee_inexact 0
		.amdhsa_exception_int_div_zero 0
	.end_amdhsa_kernel
	.section	.text._ZN7rocprim17ROCPRIM_400000_NS6detail17trampoline_kernelINS0_14default_configENS1_29binary_search_config_selectorIjiEEZNS1_14transform_implILb0ES3_S5_N6thrust23THRUST_200600_302600_NS6detail15normal_iteratorINS8_7pointerIjNS8_11hip_rocprim5par_tENS8_11use_defaultESE_EEEENSA_INSB_IiSD_SE_SE_EEEEZNS1_13binary_searchIS3_S5_PjSG_SI_NS1_16binary_search_opENS9_16wrapped_functionINS8_6system6detail7generic6detail18binary_search_lessEbEEEE10hipError_tPvRmT1_T2_T3_mmT4_T5_P12ihipStream_tbEUlRKjE_EEST_SX_SY_mSZ_S12_bEUlT_E_NS1_11comp_targetILNS1_3genE8ELNS1_11target_archE1030ELNS1_3gpuE2ELNS1_3repE0EEENS1_30default_config_static_selectorELNS0_4arch9wavefront6targetE0EEEvSW_,"axG",@progbits,_ZN7rocprim17ROCPRIM_400000_NS6detail17trampoline_kernelINS0_14default_configENS1_29binary_search_config_selectorIjiEEZNS1_14transform_implILb0ES3_S5_N6thrust23THRUST_200600_302600_NS6detail15normal_iteratorINS8_7pointerIjNS8_11hip_rocprim5par_tENS8_11use_defaultESE_EEEENSA_INSB_IiSD_SE_SE_EEEEZNS1_13binary_searchIS3_S5_PjSG_SI_NS1_16binary_search_opENS9_16wrapped_functionINS8_6system6detail7generic6detail18binary_search_lessEbEEEE10hipError_tPvRmT1_T2_T3_mmT4_T5_P12ihipStream_tbEUlRKjE_EEST_SX_SY_mSZ_S12_bEUlT_E_NS1_11comp_targetILNS1_3genE8ELNS1_11target_archE1030ELNS1_3gpuE2ELNS1_3repE0EEENS1_30default_config_static_selectorELNS0_4arch9wavefront6targetE0EEEvSW_,comdat
.Lfunc_end281:
	.size	_ZN7rocprim17ROCPRIM_400000_NS6detail17trampoline_kernelINS0_14default_configENS1_29binary_search_config_selectorIjiEEZNS1_14transform_implILb0ES3_S5_N6thrust23THRUST_200600_302600_NS6detail15normal_iteratorINS8_7pointerIjNS8_11hip_rocprim5par_tENS8_11use_defaultESE_EEEENSA_INSB_IiSD_SE_SE_EEEEZNS1_13binary_searchIS3_S5_PjSG_SI_NS1_16binary_search_opENS9_16wrapped_functionINS8_6system6detail7generic6detail18binary_search_lessEbEEEE10hipError_tPvRmT1_T2_T3_mmT4_T5_P12ihipStream_tbEUlRKjE_EEST_SX_SY_mSZ_S12_bEUlT_E_NS1_11comp_targetILNS1_3genE8ELNS1_11target_archE1030ELNS1_3gpuE2ELNS1_3repE0EEENS1_30default_config_static_selectorELNS0_4arch9wavefront6targetE0EEEvSW_, .Lfunc_end281-_ZN7rocprim17ROCPRIM_400000_NS6detail17trampoline_kernelINS0_14default_configENS1_29binary_search_config_selectorIjiEEZNS1_14transform_implILb0ES3_S5_N6thrust23THRUST_200600_302600_NS6detail15normal_iteratorINS8_7pointerIjNS8_11hip_rocprim5par_tENS8_11use_defaultESE_EEEENSA_INSB_IiSD_SE_SE_EEEEZNS1_13binary_searchIS3_S5_PjSG_SI_NS1_16binary_search_opENS9_16wrapped_functionINS8_6system6detail7generic6detail18binary_search_lessEbEEEE10hipError_tPvRmT1_T2_T3_mmT4_T5_P12ihipStream_tbEUlRKjE_EEST_SX_SY_mSZ_S12_bEUlT_E_NS1_11comp_targetILNS1_3genE8ELNS1_11target_archE1030ELNS1_3gpuE2ELNS1_3repE0EEENS1_30default_config_static_selectorELNS0_4arch9wavefront6targetE0EEEvSW_
                                        ; -- End function
	.set _ZN7rocprim17ROCPRIM_400000_NS6detail17trampoline_kernelINS0_14default_configENS1_29binary_search_config_selectorIjiEEZNS1_14transform_implILb0ES3_S5_N6thrust23THRUST_200600_302600_NS6detail15normal_iteratorINS8_7pointerIjNS8_11hip_rocprim5par_tENS8_11use_defaultESE_EEEENSA_INSB_IiSD_SE_SE_EEEEZNS1_13binary_searchIS3_S5_PjSG_SI_NS1_16binary_search_opENS9_16wrapped_functionINS8_6system6detail7generic6detail18binary_search_lessEbEEEE10hipError_tPvRmT1_T2_T3_mmT4_T5_P12ihipStream_tbEUlRKjE_EEST_SX_SY_mSZ_S12_bEUlT_E_NS1_11comp_targetILNS1_3genE8ELNS1_11target_archE1030ELNS1_3gpuE2ELNS1_3repE0EEENS1_30default_config_static_selectorELNS0_4arch9wavefront6targetE0EEEvSW_.num_vgpr, 12
	.set _ZN7rocprim17ROCPRIM_400000_NS6detail17trampoline_kernelINS0_14default_configENS1_29binary_search_config_selectorIjiEEZNS1_14transform_implILb0ES3_S5_N6thrust23THRUST_200600_302600_NS6detail15normal_iteratorINS8_7pointerIjNS8_11hip_rocprim5par_tENS8_11use_defaultESE_EEEENSA_INSB_IiSD_SE_SE_EEEEZNS1_13binary_searchIS3_S5_PjSG_SI_NS1_16binary_search_opENS9_16wrapped_functionINS8_6system6detail7generic6detail18binary_search_lessEbEEEE10hipError_tPvRmT1_T2_T3_mmT4_T5_P12ihipStream_tbEUlRKjE_EEST_SX_SY_mSZ_S12_bEUlT_E_NS1_11comp_targetILNS1_3genE8ELNS1_11target_archE1030ELNS1_3gpuE2ELNS1_3repE0EEENS1_30default_config_static_selectorELNS0_4arch9wavefront6targetE0EEEvSW_.num_agpr, 0
	.set _ZN7rocprim17ROCPRIM_400000_NS6detail17trampoline_kernelINS0_14default_configENS1_29binary_search_config_selectorIjiEEZNS1_14transform_implILb0ES3_S5_N6thrust23THRUST_200600_302600_NS6detail15normal_iteratorINS8_7pointerIjNS8_11hip_rocprim5par_tENS8_11use_defaultESE_EEEENSA_INSB_IiSD_SE_SE_EEEEZNS1_13binary_searchIS3_S5_PjSG_SI_NS1_16binary_search_opENS9_16wrapped_functionINS8_6system6detail7generic6detail18binary_search_lessEbEEEE10hipError_tPvRmT1_T2_T3_mmT4_T5_P12ihipStream_tbEUlRKjE_EEST_SX_SY_mSZ_S12_bEUlT_E_NS1_11comp_targetILNS1_3genE8ELNS1_11target_archE1030ELNS1_3gpuE2ELNS1_3repE0EEENS1_30default_config_static_selectorELNS0_4arch9wavefront6targetE0EEEvSW_.numbered_sgpr, 20
	.set _ZN7rocprim17ROCPRIM_400000_NS6detail17trampoline_kernelINS0_14default_configENS1_29binary_search_config_selectorIjiEEZNS1_14transform_implILb0ES3_S5_N6thrust23THRUST_200600_302600_NS6detail15normal_iteratorINS8_7pointerIjNS8_11hip_rocprim5par_tENS8_11use_defaultESE_EEEENSA_INSB_IiSD_SE_SE_EEEEZNS1_13binary_searchIS3_S5_PjSG_SI_NS1_16binary_search_opENS9_16wrapped_functionINS8_6system6detail7generic6detail18binary_search_lessEbEEEE10hipError_tPvRmT1_T2_T3_mmT4_T5_P12ihipStream_tbEUlRKjE_EEST_SX_SY_mSZ_S12_bEUlT_E_NS1_11comp_targetILNS1_3genE8ELNS1_11target_archE1030ELNS1_3gpuE2ELNS1_3repE0EEENS1_30default_config_static_selectorELNS0_4arch9wavefront6targetE0EEEvSW_.num_named_barrier, 0
	.set _ZN7rocprim17ROCPRIM_400000_NS6detail17trampoline_kernelINS0_14default_configENS1_29binary_search_config_selectorIjiEEZNS1_14transform_implILb0ES3_S5_N6thrust23THRUST_200600_302600_NS6detail15normal_iteratorINS8_7pointerIjNS8_11hip_rocprim5par_tENS8_11use_defaultESE_EEEENSA_INSB_IiSD_SE_SE_EEEEZNS1_13binary_searchIS3_S5_PjSG_SI_NS1_16binary_search_opENS9_16wrapped_functionINS8_6system6detail7generic6detail18binary_search_lessEbEEEE10hipError_tPvRmT1_T2_T3_mmT4_T5_P12ihipStream_tbEUlRKjE_EEST_SX_SY_mSZ_S12_bEUlT_E_NS1_11comp_targetILNS1_3genE8ELNS1_11target_archE1030ELNS1_3gpuE2ELNS1_3repE0EEENS1_30default_config_static_selectorELNS0_4arch9wavefront6targetE0EEEvSW_.private_seg_size, 0
	.set _ZN7rocprim17ROCPRIM_400000_NS6detail17trampoline_kernelINS0_14default_configENS1_29binary_search_config_selectorIjiEEZNS1_14transform_implILb0ES3_S5_N6thrust23THRUST_200600_302600_NS6detail15normal_iteratorINS8_7pointerIjNS8_11hip_rocprim5par_tENS8_11use_defaultESE_EEEENSA_INSB_IiSD_SE_SE_EEEEZNS1_13binary_searchIS3_S5_PjSG_SI_NS1_16binary_search_opENS9_16wrapped_functionINS8_6system6detail7generic6detail18binary_search_lessEbEEEE10hipError_tPvRmT1_T2_T3_mmT4_T5_P12ihipStream_tbEUlRKjE_EEST_SX_SY_mSZ_S12_bEUlT_E_NS1_11comp_targetILNS1_3genE8ELNS1_11target_archE1030ELNS1_3gpuE2ELNS1_3repE0EEENS1_30default_config_static_selectorELNS0_4arch9wavefront6targetE0EEEvSW_.uses_vcc, 1
	.set _ZN7rocprim17ROCPRIM_400000_NS6detail17trampoline_kernelINS0_14default_configENS1_29binary_search_config_selectorIjiEEZNS1_14transform_implILb0ES3_S5_N6thrust23THRUST_200600_302600_NS6detail15normal_iteratorINS8_7pointerIjNS8_11hip_rocprim5par_tENS8_11use_defaultESE_EEEENSA_INSB_IiSD_SE_SE_EEEEZNS1_13binary_searchIS3_S5_PjSG_SI_NS1_16binary_search_opENS9_16wrapped_functionINS8_6system6detail7generic6detail18binary_search_lessEbEEEE10hipError_tPvRmT1_T2_T3_mmT4_T5_P12ihipStream_tbEUlRKjE_EEST_SX_SY_mSZ_S12_bEUlT_E_NS1_11comp_targetILNS1_3genE8ELNS1_11target_archE1030ELNS1_3gpuE2ELNS1_3repE0EEENS1_30default_config_static_selectorELNS0_4arch9wavefront6targetE0EEEvSW_.uses_flat_scratch, 0
	.set _ZN7rocprim17ROCPRIM_400000_NS6detail17trampoline_kernelINS0_14default_configENS1_29binary_search_config_selectorIjiEEZNS1_14transform_implILb0ES3_S5_N6thrust23THRUST_200600_302600_NS6detail15normal_iteratorINS8_7pointerIjNS8_11hip_rocprim5par_tENS8_11use_defaultESE_EEEENSA_INSB_IiSD_SE_SE_EEEEZNS1_13binary_searchIS3_S5_PjSG_SI_NS1_16binary_search_opENS9_16wrapped_functionINS8_6system6detail7generic6detail18binary_search_lessEbEEEE10hipError_tPvRmT1_T2_T3_mmT4_T5_P12ihipStream_tbEUlRKjE_EEST_SX_SY_mSZ_S12_bEUlT_E_NS1_11comp_targetILNS1_3genE8ELNS1_11target_archE1030ELNS1_3gpuE2ELNS1_3repE0EEENS1_30default_config_static_selectorELNS0_4arch9wavefront6targetE0EEEvSW_.has_dyn_sized_stack, 0
	.set _ZN7rocprim17ROCPRIM_400000_NS6detail17trampoline_kernelINS0_14default_configENS1_29binary_search_config_selectorIjiEEZNS1_14transform_implILb0ES3_S5_N6thrust23THRUST_200600_302600_NS6detail15normal_iteratorINS8_7pointerIjNS8_11hip_rocprim5par_tENS8_11use_defaultESE_EEEENSA_INSB_IiSD_SE_SE_EEEEZNS1_13binary_searchIS3_S5_PjSG_SI_NS1_16binary_search_opENS9_16wrapped_functionINS8_6system6detail7generic6detail18binary_search_lessEbEEEE10hipError_tPvRmT1_T2_T3_mmT4_T5_P12ihipStream_tbEUlRKjE_EEST_SX_SY_mSZ_S12_bEUlT_E_NS1_11comp_targetILNS1_3genE8ELNS1_11target_archE1030ELNS1_3gpuE2ELNS1_3repE0EEENS1_30default_config_static_selectorELNS0_4arch9wavefront6targetE0EEEvSW_.has_recursion, 0
	.set _ZN7rocprim17ROCPRIM_400000_NS6detail17trampoline_kernelINS0_14default_configENS1_29binary_search_config_selectorIjiEEZNS1_14transform_implILb0ES3_S5_N6thrust23THRUST_200600_302600_NS6detail15normal_iteratorINS8_7pointerIjNS8_11hip_rocprim5par_tENS8_11use_defaultESE_EEEENSA_INSB_IiSD_SE_SE_EEEEZNS1_13binary_searchIS3_S5_PjSG_SI_NS1_16binary_search_opENS9_16wrapped_functionINS8_6system6detail7generic6detail18binary_search_lessEbEEEE10hipError_tPvRmT1_T2_T3_mmT4_T5_P12ihipStream_tbEUlRKjE_EEST_SX_SY_mSZ_S12_bEUlT_E_NS1_11comp_targetILNS1_3genE8ELNS1_11target_archE1030ELNS1_3gpuE2ELNS1_3repE0EEENS1_30default_config_static_selectorELNS0_4arch9wavefront6targetE0EEEvSW_.has_indirect_call, 0
	.section	.AMDGPU.csdata,"",@progbits
; Kernel info:
; codeLenInByte = 860
; TotalNumSgprs: 22
; NumVgprs: 12
; ScratchSize: 0
; MemoryBound: 0
; FloatMode: 240
; IeeeMode: 1
; LDSByteSize: 0 bytes/workgroup (compile time only)
; SGPRBlocks: 0
; VGPRBlocks: 1
; NumSGPRsForWavesPerEU: 22
; NumVGPRsForWavesPerEU: 12
; Occupancy: 16
; WaveLimiterHint : 0
; COMPUTE_PGM_RSRC2:SCRATCH_EN: 0
; COMPUTE_PGM_RSRC2:USER_SGPR: 6
; COMPUTE_PGM_RSRC2:TRAP_HANDLER: 0
; COMPUTE_PGM_RSRC2:TGID_X_EN: 1
; COMPUTE_PGM_RSRC2:TGID_Y_EN: 0
; COMPUTE_PGM_RSRC2:TGID_Z_EN: 0
; COMPUTE_PGM_RSRC2:TIDIG_COMP_CNT: 0
	.section	.text._Z20binary_search_kernelItEvmPT_Pb,"axG",@progbits,_Z20binary_search_kernelItEvmPT_Pb,comdat
	.protected	_Z20binary_search_kernelItEvmPT_Pb ; -- Begin function _Z20binary_search_kernelItEvmPT_Pb
	.globl	_Z20binary_search_kernelItEvmPT_Pb
	.p2align	8
	.type	_Z20binary_search_kernelItEvmPT_Pb,@function
_Z20binary_search_kernelItEvmPT_Pb:     ; @_Z20binary_search_kernelItEvmPT_Pb
; %bb.0:
	s_clause 0x1
	s_load_dwordx4 s[0:3], s[4:5], 0x0
	s_load_dwordx2 s[4:5], s[4:5], 0x10
	s_mov_b64 s[10:11], 0
	s_waitcnt lgkmcnt(0)
	s_cmp_eq_u64 s[0:1], 0
	s_cbranch_scc1 .LBB282_2
; %bb.1:
	v_mov_b32_e32 v0, 0
	global_load_ushort v0, v0, s[2:3]
	s_waitcnt vmcnt(0)
	v_cmp_eq_u32_e64 s12, 0, v0
	s_branch .LBB282_3
.LBB282_2:
	s_mov_b32 s12, 0
.LBB282_3:
	s_lshl_b64 s[6:7], s[0:1], 1
	v_mov_b32_e32 v0, 0
	s_add_u32 s0, s2, s6
	s_addc_u32 s1, s3, s7
	s_sub_u32 s0, s0, s2
	s_subb_u32 s1, s1, s3
	v_cndmask_b32_e64 v1, 0, 1, s12
	s_ashr_i64 s[8:9], s[0:1], 1
	v_cmp_lt_i64_e64 s0, s[8:9], 1
	global_store_byte v0, v1, s[4:5]
	s_and_b32 vcc_lo, exec_lo, s0
	s_cbranch_vccnz .LBB282_7
; %bb.4:
	s_mov_b64 s[0:1], 0
	s_mov_b64 s[10:11], s[8:9]
	.p2align	6
.LBB282_5:                              ; =>This Inner Loop Header: Depth=1
	s_sub_u32 s12, s10, s0
	s_subb_u32 s13, s11, s1
	s_lshr_b64 s[12:13], s[12:13], 1
	s_add_u32 s12, s12, s0
	s_addc_u32 s13, s13, s1
	s_lshl_b64 s[14:15], s[12:13], 1
	s_add_u32 s14, s2, s14
	s_addc_u32 s15, s3, s15
	global_load_ushort v1, v0, s[14:15]
	s_waitcnt vmcnt(0)
	v_readfirstlane_b32 s14, v1
	s_and_b32 s14, 0xffff, s14
	s_add_u32 s15, s12, 1
	s_addc_u32 s16, s13, 0
	s_cmp_eq_u32 s14, 0
	s_cselect_b32 s1, s16, s1
	s_cselect_b32 s0, s15, s0
	;; [unrolled: 1-line block ×4, first 2 shown]
	v_cmp_lt_i64_e64 s12, s[0:1], s[10:11]
	s_and_b32 vcc_lo, exec_lo, s12
	s_cbranch_vccnz .LBB282_5
; %bb.6:
	s_lshl_b64 s[10:11], s[0:1], 1
.LBB282_7:
	v_cmp_gt_i64_e64 s1, s[8:9], 0
	s_cmp_eq_u64 s[10:11], s[6:7]
	s_mov_b32 s12, 0
	s_cbranch_scc1 .LBB282_9
; %bb.8:
	v_mov_b32_e32 v0, 0
	s_add_u32 s10, s2, s10
	s_addc_u32 s11, s3, s11
	global_load_ushort v0, v0, s[10:11]
	s_waitcnt vmcnt(0)
	v_cmp_gt_u32_e64 s12, 2, v0
.LBB282_9:
	v_cndmask_b32_e64 v0, 0, 1, s1
	v_cndmask_b32_e64 v1, 0, 1, s12
	s_andn2_b32 vcc_lo, exec_lo, s1
	s_mov_b64 s[10:11], 0
	v_cmp_ne_u32_e64 s0, 1, v0
	v_mov_b32_e32 v0, 0
	global_store_byte v0, v1, s[4:5] offset:1
	s_cbranch_vccnz .LBB282_13
; %bb.10:
	s_mov_b64 s[12:13], s[8:9]
	.p2align	6
.LBB282_11:                             ; =>This Inner Loop Header: Depth=1
	s_sub_u32 s14, s12, s10
	s_subb_u32 s15, s13, s11
	s_lshr_b64 s[14:15], s[14:15], 1
	s_add_u32 s14, s14, s10
	s_addc_u32 s15, s15, s11
	s_lshl_b64 s[16:17], s[14:15], 1
	s_add_u32 s16, s2, s16
	s_addc_u32 s17, s3, s17
	global_load_ushort v1, v0, s[16:17]
	s_waitcnt vmcnt(0)
	v_readfirstlane_b32 s1, v1
	s_and_b32 s1, 0xffff, s1
	s_add_u32 s16, s14, 1
	s_addc_u32 s17, s15, 0
	s_cmp_lt_u32 s1, 2
	s_cselect_b32 s11, s17, s11
	s_cselect_b32 s10, s16, s10
	;; [unrolled: 1-line block ×4, first 2 shown]
	v_cmp_lt_i64_e64 s1, s[10:11], s[12:13]
	s_and_b32 vcc_lo, exec_lo, s1
	s_cbranch_vccnz .LBB282_11
; %bb.12:
	s_lshl_b64 s[10:11], s[10:11], 1
.LBB282_13:
	s_cmp_eq_u64 s[10:11], s[6:7]
	s_mov_b32 s1, 0
	s_cbranch_scc1 .LBB282_15
; %bb.14:
	v_mov_b32_e32 v0, 0
	s_add_u32 s10, s2, s10
	s_addc_u32 s11, s3, s11
	global_load_ushort v0, v0, s[10:11]
	s_waitcnt vmcnt(0)
	v_cmp_gt_u32_e64 s1, 3, v0
.LBB282_15:
	v_mov_b32_e32 v0, 0
	v_cndmask_b32_e64 v1, 0, 1, s1
	s_and_b32 vcc_lo, exec_lo, s0
	s_mov_b64 s[10:11], 0
	global_store_byte v0, v1, s[4:5] offset:2
	s_cbranch_vccnz .LBB282_19
; %bb.16:
	s_mov_b64 s[12:13], s[8:9]
	.p2align	6
.LBB282_17:                             ; =>This Inner Loop Header: Depth=1
	s_sub_u32 s14, s12, s10
	s_subb_u32 s15, s13, s11
	s_lshr_b64 s[14:15], s[14:15], 1
	s_add_u32 s14, s14, s10
	s_addc_u32 s15, s15, s11
	s_lshl_b64 s[16:17], s[14:15], 1
	s_add_u32 s16, s2, s16
	s_addc_u32 s17, s3, s17
	global_load_ushort v1, v0, s[16:17]
	s_waitcnt vmcnt(0)
	v_readfirstlane_b32 s1, v1
	s_and_b32 s1, 0xffff, s1
	s_add_u32 s16, s14, 1
	s_addc_u32 s17, s15, 0
	s_cmp_lt_u32 s1, 3
	s_cselect_b32 s11, s17, s11
	s_cselect_b32 s10, s16, s10
	;; [unrolled: 1-line block ×4, first 2 shown]
	v_cmp_lt_i64_e64 s1, s[10:11], s[12:13]
	s_and_b32 vcc_lo, exec_lo, s1
	s_cbranch_vccnz .LBB282_17
; %bb.18:
	s_lshl_b64 s[10:11], s[10:11], 1
.LBB282_19:
	s_cmp_eq_u64 s[10:11], s[6:7]
	s_mov_b32 s1, 0
	s_cbranch_scc1 .LBB282_21
; %bb.20:
	v_mov_b32_e32 v0, 0
	s_add_u32 s10, s2, s10
	s_addc_u32 s11, s3, s11
	global_load_ushort v0, v0, s[10:11]
	s_waitcnt vmcnt(0)
	v_cmp_gt_u32_e64 s1, 4, v0
.LBB282_21:
	v_mov_b32_e32 v0, 0
	v_cndmask_b32_e64 v1, 0, 1, s1
	s_and_b32 vcc_lo, exec_lo, s0
	s_mov_b64 s[10:11], 0
	global_store_byte v0, v1, s[4:5] offset:3
	s_cbranch_vccnz .LBB282_25
; %bb.22:
	s_mov_b64 s[12:13], s[8:9]
	.p2align	6
.LBB282_23:                             ; =>This Inner Loop Header: Depth=1
	s_sub_u32 s14, s12, s10
	s_subb_u32 s15, s13, s11
	s_lshr_b64 s[14:15], s[14:15], 1
	s_add_u32 s14, s14, s10
	s_addc_u32 s15, s15, s11
	s_lshl_b64 s[16:17], s[14:15], 1
	s_add_u32 s16, s2, s16
	s_addc_u32 s17, s3, s17
	global_load_ushort v1, v0, s[16:17]
	s_waitcnt vmcnt(0)
	v_readfirstlane_b32 s1, v1
	s_and_b32 s1, 0xffff, s1
	s_add_u32 s16, s14, 1
	s_addc_u32 s17, s15, 0
	s_cmp_lt_u32 s1, 4
	s_cselect_b32 s11, s17, s11
	s_cselect_b32 s10, s16, s10
	;; [unrolled: 1-line block ×4, first 2 shown]
	v_cmp_lt_i64_e64 s1, s[10:11], s[12:13]
	s_and_b32 vcc_lo, exec_lo, s1
	s_cbranch_vccnz .LBB282_23
; %bb.24:
	s_lshl_b64 s[10:11], s[10:11], 1
.LBB282_25:
	s_cmp_eq_u64 s[10:11], s[6:7]
	s_mov_b32 s1, 0
	s_cbranch_scc1 .LBB282_27
; %bb.26:
	v_mov_b32_e32 v0, 0
	s_add_u32 s10, s2, s10
	s_addc_u32 s11, s3, s11
	global_load_ushort v0, v0, s[10:11]
	s_waitcnt vmcnt(0)
	v_cmp_gt_u32_e64 s1, 5, v0
.LBB282_27:
	v_mov_b32_e32 v0, 0
	v_cndmask_b32_e64 v1, 0, 1, s1
	s_and_b32 vcc_lo, exec_lo, s0
	s_mov_b64 s[10:11], 0
	global_store_byte v0, v1, s[4:5] offset:4
	s_cbranch_vccnz .LBB282_31
; %bb.28:
	s_mov_b64 s[12:13], s[8:9]
	.p2align	6
.LBB282_29:                             ; =>This Inner Loop Header: Depth=1
	s_sub_u32 s14, s12, s10
	s_subb_u32 s15, s13, s11
	s_lshr_b64 s[14:15], s[14:15], 1
	s_add_u32 s14, s14, s10
	s_addc_u32 s15, s15, s11
	s_lshl_b64 s[16:17], s[14:15], 1
	s_add_u32 s16, s2, s16
	s_addc_u32 s17, s3, s17
	global_load_ushort v1, v0, s[16:17]
	s_waitcnt vmcnt(0)
	v_readfirstlane_b32 s1, v1
	s_and_b32 s1, 0xffff, s1
	s_add_u32 s16, s14, 1
	s_addc_u32 s17, s15, 0
	s_cmp_lt_u32 s1, 5
	s_cselect_b32 s11, s17, s11
	s_cselect_b32 s10, s16, s10
	;; [unrolled: 1-line block ×4, first 2 shown]
	v_cmp_lt_i64_e64 s1, s[10:11], s[12:13]
	s_and_b32 vcc_lo, exec_lo, s1
	s_cbranch_vccnz .LBB282_29
; %bb.30:
	s_lshl_b64 s[10:11], s[10:11], 1
.LBB282_31:
	s_cmp_eq_u64 s[10:11], s[6:7]
	s_mov_b32 s1, 0
	s_cbranch_scc1 .LBB282_33
; %bb.32:
	v_mov_b32_e32 v0, 0
	s_add_u32 s10, s2, s10
	s_addc_u32 s11, s3, s11
	global_load_ushort v0, v0, s[10:11]
	s_waitcnt vmcnt(0)
	v_cmp_gt_u32_e64 s1, 6, v0
.LBB282_33:
	v_mov_b32_e32 v0, 0
	v_cndmask_b32_e64 v1, 0, 1, s1
	s_and_b32 vcc_lo, exec_lo, s0
	s_mov_b64 s[10:11], 0
	global_store_byte v0, v1, s[4:5] offset:5
	s_cbranch_vccnz .LBB282_37
; %bb.34:
	s_mov_b64 s[12:13], s[8:9]
	.p2align	6
.LBB282_35:                             ; =>This Inner Loop Header: Depth=1
	s_sub_u32 s14, s12, s10
	s_subb_u32 s15, s13, s11
	s_lshr_b64 s[14:15], s[14:15], 1
	s_add_u32 s14, s14, s10
	s_addc_u32 s15, s15, s11
	s_lshl_b64 s[16:17], s[14:15], 1
	s_add_u32 s16, s2, s16
	s_addc_u32 s17, s3, s17
	global_load_ushort v1, v0, s[16:17]
	s_waitcnt vmcnt(0)
	v_readfirstlane_b32 s1, v1
	s_and_b32 s1, 0xffff, s1
	s_add_u32 s16, s14, 1
	s_addc_u32 s17, s15, 0
	s_cmp_lt_u32 s1, 6
	s_cselect_b32 s11, s17, s11
	s_cselect_b32 s10, s16, s10
	;; [unrolled: 1-line block ×4, first 2 shown]
	v_cmp_lt_i64_e64 s1, s[10:11], s[12:13]
	s_and_b32 vcc_lo, exec_lo, s1
	s_cbranch_vccnz .LBB282_35
; %bb.36:
	s_lshl_b64 s[10:11], s[10:11], 1
.LBB282_37:
	s_cmp_eq_u64 s[10:11], s[6:7]
	s_mov_b32 s1, 0
	s_cbranch_scc1 .LBB282_39
; %bb.38:
	v_mov_b32_e32 v0, 0
	s_add_u32 s10, s2, s10
	s_addc_u32 s11, s3, s11
	global_load_ushort v0, v0, s[10:11]
	s_waitcnt vmcnt(0)
	v_cmp_gt_u32_e64 s1, 7, v0
.LBB282_39:
	v_mov_b32_e32 v0, 0
	v_cndmask_b32_e64 v1, 0, 1, s1
	s_and_b32 vcc_lo, exec_lo, s0
	s_mov_b64 s[10:11], 0
	global_store_byte v0, v1, s[4:5] offset:6
	s_cbranch_vccnz .LBB282_43
; %bb.40:
	s_mov_b64 s[12:13], s[8:9]
	.p2align	6
.LBB282_41:                             ; =>This Inner Loop Header: Depth=1
	s_sub_u32 s14, s12, s10
	s_subb_u32 s15, s13, s11
	s_lshr_b64 s[14:15], s[14:15], 1
	s_add_u32 s14, s14, s10
	s_addc_u32 s15, s15, s11
	s_lshl_b64 s[16:17], s[14:15], 1
	s_add_u32 s16, s2, s16
	s_addc_u32 s17, s3, s17
	global_load_ushort v1, v0, s[16:17]
	s_waitcnt vmcnt(0)
	v_readfirstlane_b32 s1, v1
	s_and_b32 s1, 0xffff, s1
	s_add_u32 s16, s14, 1
	s_addc_u32 s17, s15, 0
	s_cmp_lt_u32 s1, 7
	s_cselect_b32 s11, s17, s11
	s_cselect_b32 s10, s16, s10
	;; [unrolled: 1-line block ×4, first 2 shown]
	v_cmp_lt_i64_e64 s1, s[10:11], s[12:13]
	s_and_b32 vcc_lo, exec_lo, s1
	s_cbranch_vccnz .LBB282_41
; %bb.42:
	s_lshl_b64 s[10:11], s[10:11], 1
.LBB282_43:
	s_cmp_eq_u64 s[10:11], s[6:7]
	s_mov_b32 s1, 0
	s_cbranch_scc1 .LBB282_45
; %bb.44:
	v_mov_b32_e32 v0, 0
	s_add_u32 s10, s2, s10
	s_addc_u32 s11, s3, s11
	global_load_ushort v0, v0, s[10:11]
	s_waitcnt vmcnt(0)
	v_cmp_gt_u32_e64 s1, 8, v0
.LBB282_45:
	v_mov_b32_e32 v0, 0
	v_cndmask_b32_e64 v1, 0, 1, s1
	s_and_b32 vcc_lo, exec_lo, s0
	s_mov_b64 s[10:11], 0
	global_store_byte v0, v1, s[4:5] offset:7
	s_cbranch_vccnz .LBB282_49
; %bb.46:
	s_mov_b64 s[12:13], s[8:9]
	.p2align	6
.LBB282_47:                             ; =>This Inner Loop Header: Depth=1
	s_sub_u32 s14, s12, s10
	s_subb_u32 s15, s13, s11
	s_lshr_b64 s[14:15], s[14:15], 1
	s_add_u32 s14, s14, s10
	s_addc_u32 s15, s15, s11
	s_lshl_b64 s[16:17], s[14:15], 1
	s_add_u32 s16, s2, s16
	s_addc_u32 s17, s3, s17
	global_load_ushort v1, v0, s[16:17]
	s_waitcnt vmcnt(0)
	v_readfirstlane_b32 s1, v1
	s_and_b32 s1, 0xffff, s1
	s_add_u32 s16, s14, 1
	s_addc_u32 s17, s15, 0
	s_cmp_lt_u32 s1, 8
	s_cselect_b32 s11, s17, s11
	s_cselect_b32 s10, s16, s10
	;; [unrolled: 1-line block ×4, first 2 shown]
	v_cmp_lt_i64_e64 s1, s[10:11], s[12:13]
	s_and_b32 vcc_lo, exec_lo, s1
	s_cbranch_vccnz .LBB282_47
; %bb.48:
	s_lshl_b64 s[10:11], s[10:11], 1
.LBB282_49:
	s_cmp_eq_u64 s[10:11], s[6:7]
	s_mov_b32 s1, 0
	s_cbranch_scc1 .LBB282_51
; %bb.50:
	v_mov_b32_e32 v0, 0
	s_add_u32 s10, s2, s10
	s_addc_u32 s11, s3, s11
	global_load_ushort v0, v0, s[10:11]
	s_waitcnt vmcnt(0)
	v_cmp_gt_u32_e64 s1, 9, v0
.LBB282_51:
	v_mov_b32_e32 v0, 0
	v_cndmask_b32_e64 v1, 0, 1, s1
	s_and_b32 vcc_lo, exec_lo, s0
	s_mov_b64 s[0:1], 0
	global_store_byte v0, v1, s[4:5] offset:8
	s_cbranch_vccnz .LBB282_54
	.p2align	6
.LBB282_52:                             ; =>This Inner Loop Header: Depth=1
	s_sub_u32 s10, s8, s0
	s_subb_u32 s11, s9, s1
	s_lshr_b64 s[10:11], s[10:11], 1
	s_add_u32 s10, s10, s0
	s_addc_u32 s11, s11, s1
	s_lshl_b64 s[12:13], s[10:11], 1
	s_add_u32 s12, s2, s12
	s_addc_u32 s13, s3, s13
	global_load_ushort v1, v0, s[12:13]
	s_waitcnt vmcnt(0)
	v_readfirstlane_b32 s12, v1
	s_and_b32 s12, 0xffff, s12
	s_add_u32 s13, s10, 1
	s_addc_u32 s14, s11, 0
	s_cmp_lt_u32 s12, 9
	s_cselect_b32 s1, s14, s1
	s_cselect_b32 s0, s13, s0
	s_cselect_b32 s9, s9, s11
	s_cselect_b32 s8, s8, s10
	v_cmp_lt_i64_e64 s10, s[0:1], s[8:9]
	s_and_b32 vcc_lo, exec_lo, s10
	s_cbranch_vccnz .LBB282_52
; %bb.53:
	s_lshl_b64 s[0:1], s[0:1], 1
.LBB282_54:
	s_cmp_eq_u64 s[0:1], s[6:7]
	s_mov_b32 s6, 0
	s_cbranch_scc1 .LBB282_56
; %bb.55:
	v_mov_b32_e32 v0, 0
	s_add_u32 s0, s2, s0
	s_addc_u32 s1, s3, s1
	global_load_ushort v0, v0, s[0:1]
	s_waitcnt vmcnt(0)
	v_cmp_gt_u32_e64 s6, 10, v0
.LBB282_56:
	v_mov_b32_e32 v0, 0
	v_cndmask_b32_e64 v1, 0, 1, s6
	global_store_byte v0, v1, s[4:5] offset:9
	s_endpgm
	.section	.rodata,"a",@progbits
	.p2align	6, 0x0
	.amdhsa_kernel _Z20binary_search_kernelItEvmPT_Pb
		.amdhsa_group_segment_fixed_size 0
		.amdhsa_private_segment_fixed_size 0
		.amdhsa_kernarg_size 24
		.amdhsa_user_sgpr_count 6
		.amdhsa_user_sgpr_private_segment_buffer 1
		.amdhsa_user_sgpr_dispatch_ptr 0
		.amdhsa_user_sgpr_queue_ptr 0
		.amdhsa_user_sgpr_kernarg_segment_ptr 1
		.amdhsa_user_sgpr_dispatch_id 0
		.amdhsa_user_sgpr_flat_scratch_init 0
		.amdhsa_user_sgpr_private_segment_size 0
		.amdhsa_wavefront_size32 1
		.amdhsa_uses_dynamic_stack 0
		.amdhsa_system_sgpr_private_segment_wavefront_offset 0
		.amdhsa_system_sgpr_workgroup_id_x 1
		.amdhsa_system_sgpr_workgroup_id_y 0
		.amdhsa_system_sgpr_workgroup_id_z 0
		.amdhsa_system_sgpr_workgroup_info 0
		.amdhsa_system_vgpr_workitem_id 0
		.amdhsa_next_free_vgpr 2
		.amdhsa_next_free_sgpr 18
		.amdhsa_reserve_vcc 1
		.amdhsa_reserve_flat_scratch 0
		.amdhsa_float_round_mode_32 0
		.amdhsa_float_round_mode_16_64 0
		.amdhsa_float_denorm_mode_32 3
		.amdhsa_float_denorm_mode_16_64 3
		.amdhsa_dx10_clamp 1
		.amdhsa_ieee_mode 1
		.amdhsa_fp16_overflow 0
		.amdhsa_workgroup_processor_mode 1
		.amdhsa_memory_ordered 1
		.amdhsa_forward_progress 1
		.amdhsa_shared_vgpr_count 0
		.amdhsa_exception_fp_ieee_invalid_op 0
		.amdhsa_exception_fp_denorm_src 0
		.amdhsa_exception_fp_ieee_div_zero 0
		.amdhsa_exception_fp_ieee_overflow 0
		.amdhsa_exception_fp_ieee_underflow 0
		.amdhsa_exception_fp_ieee_inexact 0
		.amdhsa_exception_int_div_zero 0
	.end_amdhsa_kernel
	.section	.text._Z20binary_search_kernelItEvmPT_Pb,"axG",@progbits,_Z20binary_search_kernelItEvmPT_Pb,comdat
.Lfunc_end282:
	.size	_Z20binary_search_kernelItEvmPT_Pb, .Lfunc_end282-_Z20binary_search_kernelItEvmPT_Pb
                                        ; -- End function
	.set _Z20binary_search_kernelItEvmPT_Pb.num_vgpr, 2
	.set _Z20binary_search_kernelItEvmPT_Pb.num_agpr, 0
	.set _Z20binary_search_kernelItEvmPT_Pb.numbered_sgpr, 18
	.set _Z20binary_search_kernelItEvmPT_Pb.num_named_barrier, 0
	.set _Z20binary_search_kernelItEvmPT_Pb.private_seg_size, 0
	.set _Z20binary_search_kernelItEvmPT_Pb.uses_vcc, 1
	.set _Z20binary_search_kernelItEvmPT_Pb.uses_flat_scratch, 0
	.set _Z20binary_search_kernelItEvmPT_Pb.has_dyn_sized_stack, 0
	.set _Z20binary_search_kernelItEvmPT_Pb.has_recursion, 0
	.set _Z20binary_search_kernelItEvmPT_Pb.has_indirect_call, 0
	.section	.AMDGPU.csdata,"",@progbits
; Kernel info:
; codeLenInByte = 1964
; TotalNumSgprs: 20
; NumVgprs: 2
; ScratchSize: 0
; MemoryBound: 0
; FloatMode: 240
; IeeeMode: 1
; LDSByteSize: 0 bytes/workgroup (compile time only)
; SGPRBlocks: 0
; VGPRBlocks: 0
; NumSGPRsForWavesPerEU: 20
; NumVGPRsForWavesPerEU: 2
; Occupancy: 16
; WaveLimiterHint : 0
; COMPUTE_PGM_RSRC2:SCRATCH_EN: 0
; COMPUTE_PGM_RSRC2:USER_SGPR: 6
; COMPUTE_PGM_RSRC2:TRAP_HANDLER: 0
; COMPUTE_PGM_RSRC2:TGID_X_EN: 1
; COMPUTE_PGM_RSRC2:TGID_Y_EN: 0
; COMPUTE_PGM_RSRC2:TGID_Z_EN: 0
; COMPUTE_PGM_RSRC2:TIDIG_COMP_CNT: 0
	.section	.text._ZN7rocprim17ROCPRIM_400000_NS6detail17trampoline_kernelINS0_14default_configENS1_29binary_search_config_selectorItiEEZNS1_14transform_implILb0ES3_S5_N6thrust23THRUST_200600_302600_NS6detail15normal_iteratorINS8_7pointerItNS8_11hip_rocprim5par_tENS8_11use_defaultESE_EEEENSA_INSB_IiSD_SE_SE_EEEEZNS1_13binary_searchIS3_S5_PtSG_SI_NS1_16binary_search_opENS9_16wrapped_functionINS8_6system6detail7generic6detail18binary_search_lessEbEEEE10hipError_tPvRmT1_T2_T3_mmT4_T5_P12ihipStream_tbEUlRKtE_EEST_SX_SY_mSZ_S12_bEUlT_E_NS1_11comp_targetILNS1_3genE0ELNS1_11target_archE4294967295ELNS1_3gpuE0ELNS1_3repE0EEENS1_30default_config_static_selectorELNS0_4arch9wavefront6targetE0EEEvSW_,"axG",@progbits,_ZN7rocprim17ROCPRIM_400000_NS6detail17trampoline_kernelINS0_14default_configENS1_29binary_search_config_selectorItiEEZNS1_14transform_implILb0ES3_S5_N6thrust23THRUST_200600_302600_NS6detail15normal_iteratorINS8_7pointerItNS8_11hip_rocprim5par_tENS8_11use_defaultESE_EEEENSA_INSB_IiSD_SE_SE_EEEEZNS1_13binary_searchIS3_S5_PtSG_SI_NS1_16binary_search_opENS9_16wrapped_functionINS8_6system6detail7generic6detail18binary_search_lessEbEEEE10hipError_tPvRmT1_T2_T3_mmT4_T5_P12ihipStream_tbEUlRKtE_EEST_SX_SY_mSZ_S12_bEUlT_E_NS1_11comp_targetILNS1_3genE0ELNS1_11target_archE4294967295ELNS1_3gpuE0ELNS1_3repE0EEENS1_30default_config_static_selectorELNS0_4arch9wavefront6targetE0EEEvSW_,comdat
	.protected	_ZN7rocprim17ROCPRIM_400000_NS6detail17trampoline_kernelINS0_14default_configENS1_29binary_search_config_selectorItiEEZNS1_14transform_implILb0ES3_S5_N6thrust23THRUST_200600_302600_NS6detail15normal_iteratorINS8_7pointerItNS8_11hip_rocprim5par_tENS8_11use_defaultESE_EEEENSA_INSB_IiSD_SE_SE_EEEEZNS1_13binary_searchIS3_S5_PtSG_SI_NS1_16binary_search_opENS9_16wrapped_functionINS8_6system6detail7generic6detail18binary_search_lessEbEEEE10hipError_tPvRmT1_T2_T3_mmT4_T5_P12ihipStream_tbEUlRKtE_EEST_SX_SY_mSZ_S12_bEUlT_E_NS1_11comp_targetILNS1_3genE0ELNS1_11target_archE4294967295ELNS1_3gpuE0ELNS1_3repE0EEENS1_30default_config_static_selectorELNS0_4arch9wavefront6targetE0EEEvSW_ ; -- Begin function _ZN7rocprim17ROCPRIM_400000_NS6detail17trampoline_kernelINS0_14default_configENS1_29binary_search_config_selectorItiEEZNS1_14transform_implILb0ES3_S5_N6thrust23THRUST_200600_302600_NS6detail15normal_iteratorINS8_7pointerItNS8_11hip_rocprim5par_tENS8_11use_defaultESE_EEEENSA_INSB_IiSD_SE_SE_EEEEZNS1_13binary_searchIS3_S5_PtSG_SI_NS1_16binary_search_opENS9_16wrapped_functionINS8_6system6detail7generic6detail18binary_search_lessEbEEEE10hipError_tPvRmT1_T2_T3_mmT4_T5_P12ihipStream_tbEUlRKtE_EEST_SX_SY_mSZ_S12_bEUlT_E_NS1_11comp_targetILNS1_3genE0ELNS1_11target_archE4294967295ELNS1_3gpuE0ELNS1_3repE0EEENS1_30default_config_static_selectorELNS0_4arch9wavefront6targetE0EEEvSW_
	.globl	_ZN7rocprim17ROCPRIM_400000_NS6detail17trampoline_kernelINS0_14default_configENS1_29binary_search_config_selectorItiEEZNS1_14transform_implILb0ES3_S5_N6thrust23THRUST_200600_302600_NS6detail15normal_iteratorINS8_7pointerItNS8_11hip_rocprim5par_tENS8_11use_defaultESE_EEEENSA_INSB_IiSD_SE_SE_EEEEZNS1_13binary_searchIS3_S5_PtSG_SI_NS1_16binary_search_opENS9_16wrapped_functionINS8_6system6detail7generic6detail18binary_search_lessEbEEEE10hipError_tPvRmT1_T2_T3_mmT4_T5_P12ihipStream_tbEUlRKtE_EEST_SX_SY_mSZ_S12_bEUlT_E_NS1_11comp_targetILNS1_3genE0ELNS1_11target_archE4294967295ELNS1_3gpuE0ELNS1_3repE0EEENS1_30default_config_static_selectorELNS0_4arch9wavefront6targetE0EEEvSW_
	.p2align	8
	.type	_ZN7rocprim17ROCPRIM_400000_NS6detail17trampoline_kernelINS0_14default_configENS1_29binary_search_config_selectorItiEEZNS1_14transform_implILb0ES3_S5_N6thrust23THRUST_200600_302600_NS6detail15normal_iteratorINS8_7pointerItNS8_11hip_rocprim5par_tENS8_11use_defaultESE_EEEENSA_INSB_IiSD_SE_SE_EEEEZNS1_13binary_searchIS3_S5_PtSG_SI_NS1_16binary_search_opENS9_16wrapped_functionINS8_6system6detail7generic6detail18binary_search_lessEbEEEE10hipError_tPvRmT1_T2_T3_mmT4_T5_P12ihipStream_tbEUlRKtE_EEST_SX_SY_mSZ_S12_bEUlT_E_NS1_11comp_targetILNS1_3genE0ELNS1_11target_archE4294967295ELNS1_3gpuE0ELNS1_3repE0EEENS1_30default_config_static_selectorELNS0_4arch9wavefront6targetE0EEEvSW_,@function
_ZN7rocprim17ROCPRIM_400000_NS6detail17trampoline_kernelINS0_14default_configENS1_29binary_search_config_selectorItiEEZNS1_14transform_implILb0ES3_S5_N6thrust23THRUST_200600_302600_NS6detail15normal_iteratorINS8_7pointerItNS8_11hip_rocprim5par_tENS8_11use_defaultESE_EEEENSA_INSB_IiSD_SE_SE_EEEEZNS1_13binary_searchIS3_S5_PtSG_SI_NS1_16binary_search_opENS9_16wrapped_functionINS8_6system6detail7generic6detail18binary_search_lessEbEEEE10hipError_tPvRmT1_T2_T3_mmT4_T5_P12ihipStream_tbEUlRKtE_EEST_SX_SY_mSZ_S12_bEUlT_E_NS1_11comp_targetILNS1_3genE0ELNS1_11target_archE4294967295ELNS1_3gpuE0ELNS1_3repE0EEENS1_30default_config_static_selectorELNS0_4arch9wavefront6targetE0EEEvSW_: ; @_ZN7rocprim17ROCPRIM_400000_NS6detail17trampoline_kernelINS0_14default_configENS1_29binary_search_config_selectorItiEEZNS1_14transform_implILb0ES3_S5_N6thrust23THRUST_200600_302600_NS6detail15normal_iteratorINS8_7pointerItNS8_11hip_rocprim5par_tENS8_11use_defaultESE_EEEENSA_INSB_IiSD_SE_SE_EEEEZNS1_13binary_searchIS3_S5_PtSG_SI_NS1_16binary_search_opENS9_16wrapped_functionINS8_6system6detail7generic6detail18binary_search_lessEbEEEE10hipError_tPvRmT1_T2_T3_mmT4_T5_P12ihipStream_tbEUlRKtE_EEST_SX_SY_mSZ_S12_bEUlT_E_NS1_11comp_targetILNS1_3genE0ELNS1_11target_archE4294967295ELNS1_3gpuE0ELNS1_3repE0EEENS1_30default_config_static_selectorELNS0_4arch9wavefront6targetE0EEEvSW_
; %bb.0:
	.section	.rodata,"a",@progbits
	.p2align	6, 0x0
	.amdhsa_kernel _ZN7rocprim17ROCPRIM_400000_NS6detail17trampoline_kernelINS0_14default_configENS1_29binary_search_config_selectorItiEEZNS1_14transform_implILb0ES3_S5_N6thrust23THRUST_200600_302600_NS6detail15normal_iteratorINS8_7pointerItNS8_11hip_rocprim5par_tENS8_11use_defaultESE_EEEENSA_INSB_IiSD_SE_SE_EEEEZNS1_13binary_searchIS3_S5_PtSG_SI_NS1_16binary_search_opENS9_16wrapped_functionINS8_6system6detail7generic6detail18binary_search_lessEbEEEE10hipError_tPvRmT1_T2_T3_mmT4_T5_P12ihipStream_tbEUlRKtE_EEST_SX_SY_mSZ_S12_bEUlT_E_NS1_11comp_targetILNS1_3genE0ELNS1_11target_archE4294967295ELNS1_3gpuE0ELNS1_3repE0EEENS1_30default_config_static_selectorELNS0_4arch9wavefront6targetE0EEEvSW_
		.amdhsa_group_segment_fixed_size 0
		.amdhsa_private_segment_fixed_size 0
		.amdhsa_kernarg_size 56
		.amdhsa_user_sgpr_count 6
		.amdhsa_user_sgpr_private_segment_buffer 1
		.amdhsa_user_sgpr_dispatch_ptr 0
		.amdhsa_user_sgpr_queue_ptr 0
		.amdhsa_user_sgpr_kernarg_segment_ptr 1
		.amdhsa_user_sgpr_dispatch_id 0
		.amdhsa_user_sgpr_flat_scratch_init 0
		.amdhsa_user_sgpr_private_segment_size 0
		.amdhsa_wavefront_size32 1
		.amdhsa_uses_dynamic_stack 0
		.amdhsa_system_sgpr_private_segment_wavefront_offset 0
		.amdhsa_system_sgpr_workgroup_id_x 1
		.amdhsa_system_sgpr_workgroup_id_y 0
		.amdhsa_system_sgpr_workgroup_id_z 0
		.amdhsa_system_sgpr_workgroup_info 0
		.amdhsa_system_vgpr_workitem_id 0
		.amdhsa_next_free_vgpr 1
		.amdhsa_next_free_sgpr 1
		.amdhsa_reserve_vcc 0
		.amdhsa_reserve_flat_scratch 0
		.amdhsa_float_round_mode_32 0
		.amdhsa_float_round_mode_16_64 0
		.amdhsa_float_denorm_mode_32 3
		.amdhsa_float_denorm_mode_16_64 3
		.amdhsa_dx10_clamp 1
		.amdhsa_ieee_mode 1
		.amdhsa_fp16_overflow 0
		.amdhsa_workgroup_processor_mode 1
		.amdhsa_memory_ordered 1
		.amdhsa_forward_progress 1
		.amdhsa_shared_vgpr_count 0
		.amdhsa_exception_fp_ieee_invalid_op 0
		.amdhsa_exception_fp_denorm_src 0
		.amdhsa_exception_fp_ieee_div_zero 0
		.amdhsa_exception_fp_ieee_overflow 0
		.amdhsa_exception_fp_ieee_underflow 0
		.amdhsa_exception_fp_ieee_inexact 0
		.amdhsa_exception_int_div_zero 0
	.end_amdhsa_kernel
	.section	.text._ZN7rocprim17ROCPRIM_400000_NS6detail17trampoline_kernelINS0_14default_configENS1_29binary_search_config_selectorItiEEZNS1_14transform_implILb0ES3_S5_N6thrust23THRUST_200600_302600_NS6detail15normal_iteratorINS8_7pointerItNS8_11hip_rocprim5par_tENS8_11use_defaultESE_EEEENSA_INSB_IiSD_SE_SE_EEEEZNS1_13binary_searchIS3_S5_PtSG_SI_NS1_16binary_search_opENS9_16wrapped_functionINS8_6system6detail7generic6detail18binary_search_lessEbEEEE10hipError_tPvRmT1_T2_T3_mmT4_T5_P12ihipStream_tbEUlRKtE_EEST_SX_SY_mSZ_S12_bEUlT_E_NS1_11comp_targetILNS1_3genE0ELNS1_11target_archE4294967295ELNS1_3gpuE0ELNS1_3repE0EEENS1_30default_config_static_selectorELNS0_4arch9wavefront6targetE0EEEvSW_,"axG",@progbits,_ZN7rocprim17ROCPRIM_400000_NS6detail17trampoline_kernelINS0_14default_configENS1_29binary_search_config_selectorItiEEZNS1_14transform_implILb0ES3_S5_N6thrust23THRUST_200600_302600_NS6detail15normal_iteratorINS8_7pointerItNS8_11hip_rocprim5par_tENS8_11use_defaultESE_EEEENSA_INSB_IiSD_SE_SE_EEEEZNS1_13binary_searchIS3_S5_PtSG_SI_NS1_16binary_search_opENS9_16wrapped_functionINS8_6system6detail7generic6detail18binary_search_lessEbEEEE10hipError_tPvRmT1_T2_T3_mmT4_T5_P12ihipStream_tbEUlRKtE_EEST_SX_SY_mSZ_S12_bEUlT_E_NS1_11comp_targetILNS1_3genE0ELNS1_11target_archE4294967295ELNS1_3gpuE0ELNS1_3repE0EEENS1_30default_config_static_selectorELNS0_4arch9wavefront6targetE0EEEvSW_,comdat
.Lfunc_end283:
	.size	_ZN7rocprim17ROCPRIM_400000_NS6detail17trampoline_kernelINS0_14default_configENS1_29binary_search_config_selectorItiEEZNS1_14transform_implILb0ES3_S5_N6thrust23THRUST_200600_302600_NS6detail15normal_iteratorINS8_7pointerItNS8_11hip_rocprim5par_tENS8_11use_defaultESE_EEEENSA_INSB_IiSD_SE_SE_EEEEZNS1_13binary_searchIS3_S5_PtSG_SI_NS1_16binary_search_opENS9_16wrapped_functionINS8_6system6detail7generic6detail18binary_search_lessEbEEEE10hipError_tPvRmT1_T2_T3_mmT4_T5_P12ihipStream_tbEUlRKtE_EEST_SX_SY_mSZ_S12_bEUlT_E_NS1_11comp_targetILNS1_3genE0ELNS1_11target_archE4294967295ELNS1_3gpuE0ELNS1_3repE0EEENS1_30default_config_static_selectorELNS0_4arch9wavefront6targetE0EEEvSW_, .Lfunc_end283-_ZN7rocprim17ROCPRIM_400000_NS6detail17trampoline_kernelINS0_14default_configENS1_29binary_search_config_selectorItiEEZNS1_14transform_implILb0ES3_S5_N6thrust23THRUST_200600_302600_NS6detail15normal_iteratorINS8_7pointerItNS8_11hip_rocprim5par_tENS8_11use_defaultESE_EEEENSA_INSB_IiSD_SE_SE_EEEEZNS1_13binary_searchIS3_S5_PtSG_SI_NS1_16binary_search_opENS9_16wrapped_functionINS8_6system6detail7generic6detail18binary_search_lessEbEEEE10hipError_tPvRmT1_T2_T3_mmT4_T5_P12ihipStream_tbEUlRKtE_EEST_SX_SY_mSZ_S12_bEUlT_E_NS1_11comp_targetILNS1_3genE0ELNS1_11target_archE4294967295ELNS1_3gpuE0ELNS1_3repE0EEENS1_30default_config_static_selectorELNS0_4arch9wavefront6targetE0EEEvSW_
                                        ; -- End function
	.set _ZN7rocprim17ROCPRIM_400000_NS6detail17trampoline_kernelINS0_14default_configENS1_29binary_search_config_selectorItiEEZNS1_14transform_implILb0ES3_S5_N6thrust23THRUST_200600_302600_NS6detail15normal_iteratorINS8_7pointerItNS8_11hip_rocprim5par_tENS8_11use_defaultESE_EEEENSA_INSB_IiSD_SE_SE_EEEEZNS1_13binary_searchIS3_S5_PtSG_SI_NS1_16binary_search_opENS9_16wrapped_functionINS8_6system6detail7generic6detail18binary_search_lessEbEEEE10hipError_tPvRmT1_T2_T3_mmT4_T5_P12ihipStream_tbEUlRKtE_EEST_SX_SY_mSZ_S12_bEUlT_E_NS1_11comp_targetILNS1_3genE0ELNS1_11target_archE4294967295ELNS1_3gpuE0ELNS1_3repE0EEENS1_30default_config_static_selectorELNS0_4arch9wavefront6targetE0EEEvSW_.num_vgpr, 0
	.set _ZN7rocprim17ROCPRIM_400000_NS6detail17trampoline_kernelINS0_14default_configENS1_29binary_search_config_selectorItiEEZNS1_14transform_implILb0ES3_S5_N6thrust23THRUST_200600_302600_NS6detail15normal_iteratorINS8_7pointerItNS8_11hip_rocprim5par_tENS8_11use_defaultESE_EEEENSA_INSB_IiSD_SE_SE_EEEEZNS1_13binary_searchIS3_S5_PtSG_SI_NS1_16binary_search_opENS9_16wrapped_functionINS8_6system6detail7generic6detail18binary_search_lessEbEEEE10hipError_tPvRmT1_T2_T3_mmT4_T5_P12ihipStream_tbEUlRKtE_EEST_SX_SY_mSZ_S12_bEUlT_E_NS1_11comp_targetILNS1_3genE0ELNS1_11target_archE4294967295ELNS1_3gpuE0ELNS1_3repE0EEENS1_30default_config_static_selectorELNS0_4arch9wavefront6targetE0EEEvSW_.num_agpr, 0
	.set _ZN7rocprim17ROCPRIM_400000_NS6detail17trampoline_kernelINS0_14default_configENS1_29binary_search_config_selectorItiEEZNS1_14transform_implILb0ES3_S5_N6thrust23THRUST_200600_302600_NS6detail15normal_iteratorINS8_7pointerItNS8_11hip_rocprim5par_tENS8_11use_defaultESE_EEEENSA_INSB_IiSD_SE_SE_EEEEZNS1_13binary_searchIS3_S5_PtSG_SI_NS1_16binary_search_opENS9_16wrapped_functionINS8_6system6detail7generic6detail18binary_search_lessEbEEEE10hipError_tPvRmT1_T2_T3_mmT4_T5_P12ihipStream_tbEUlRKtE_EEST_SX_SY_mSZ_S12_bEUlT_E_NS1_11comp_targetILNS1_3genE0ELNS1_11target_archE4294967295ELNS1_3gpuE0ELNS1_3repE0EEENS1_30default_config_static_selectorELNS0_4arch9wavefront6targetE0EEEvSW_.numbered_sgpr, 0
	.set _ZN7rocprim17ROCPRIM_400000_NS6detail17trampoline_kernelINS0_14default_configENS1_29binary_search_config_selectorItiEEZNS1_14transform_implILb0ES3_S5_N6thrust23THRUST_200600_302600_NS6detail15normal_iteratorINS8_7pointerItNS8_11hip_rocprim5par_tENS8_11use_defaultESE_EEEENSA_INSB_IiSD_SE_SE_EEEEZNS1_13binary_searchIS3_S5_PtSG_SI_NS1_16binary_search_opENS9_16wrapped_functionINS8_6system6detail7generic6detail18binary_search_lessEbEEEE10hipError_tPvRmT1_T2_T3_mmT4_T5_P12ihipStream_tbEUlRKtE_EEST_SX_SY_mSZ_S12_bEUlT_E_NS1_11comp_targetILNS1_3genE0ELNS1_11target_archE4294967295ELNS1_3gpuE0ELNS1_3repE0EEENS1_30default_config_static_selectorELNS0_4arch9wavefront6targetE0EEEvSW_.num_named_barrier, 0
	.set _ZN7rocprim17ROCPRIM_400000_NS6detail17trampoline_kernelINS0_14default_configENS1_29binary_search_config_selectorItiEEZNS1_14transform_implILb0ES3_S5_N6thrust23THRUST_200600_302600_NS6detail15normal_iteratorINS8_7pointerItNS8_11hip_rocprim5par_tENS8_11use_defaultESE_EEEENSA_INSB_IiSD_SE_SE_EEEEZNS1_13binary_searchIS3_S5_PtSG_SI_NS1_16binary_search_opENS9_16wrapped_functionINS8_6system6detail7generic6detail18binary_search_lessEbEEEE10hipError_tPvRmT1_T2_T3_mmT4_T5_P12ihipStream_tbEUlRKtE_EEST_SX_SY_mSZ_S12_bEUlT_E_NS1_11comp_targetILNS1_3genE0ELNS1_11target_archE4294967295ELNS1_3gpuE0ELNS1_3repE0EEENS1_30default_config_static_selectorELNS0_4arch9wavefront6targetE0EEEvSW_.private_seg_size, 0
	.set _ZN7rocprim17ROCPRIM_400000_NS6detail17trampoline_kernelINS0_14default_configENS1_29binary_search_config_selectorItiEEZNS1_14transform_implILb0ES3_S5_N6thrust23THRUST_200600_302600_NS6detail15normal_iteratorINS8_7pointerItNS8_11hip_rocprim5par_tENS8_11use_defaultESE_EEEENSA_INSB_IiSD_SE_SE_EEEEZNS1_13binary_searchIS3_S5_PtSG_SI_NS1_16binary_search_opENS9_16wrapped_functionINS8_6system6detail7generic6detail18binary_search_lessEbEEEE10hipError_tPvRmT1_T2_T3_mmT4_T5_P12ihipStream_tbEUlRKtE_EEST_SX_SY_mSZ_S12_bEUlT_E_NS1_11comp_targetILNS1_3genE0ELNS1_11target_archE4294967295ELNS1_3gpuE0ELNS1_3repE0EEENS1_30default_config_static_selectorELNS0_4arch9wavefront6targetE0EEEvSW_.uses_vcc, 0
	.set _ZN7rocprim17ROCPRIM_400000_NS6detail17trampoline_kernelINS0_14default_configENS1_29binary_search_config_selectorItiEEZNS1_14transform_implILb0ES3_S5_N6thrust23THRUST_200600_302600_NS6detail15normal_iteratorINS8_7pointerItNS8_11hip_rocprim5par_tENS8_11use_defaultESE_EEEENSA_INSB_IiSD_SE_SE_EEEEZNS1_13binary_searchIS3_S5_PtSG_SI_NS1_16binary_search_opENS9_16wrapped_functionINS8_6system6detail7generic6detail18binary_search_lessEbEEEE10hipError_tPvRmT1_T2_T3_mmT4_T5_P12ihipStream_tbEUlRKtE_EEST_SX_SY_mSZ_S12_bEUlT_E_NS1_11comp_targetILNS1_3genE0ELNS1_11target_archE4294967295ELNS1_3gpuE0ELNS1_3repE0EEENS1_30default_config_static_selectorELNS0_4arch9wavefront6targetE0EEEvSW_.uses_flat_scratch, 0
	.set _ZN7rocprim17ROCPRIM_400000_NS6detail17trampoline_kernelINS0_14default_configENS1_29binary_search_config_selectorItiEEZNS1_14transform_implILb0ES3_S5_N6thrust23THRUST_200600_302600_NS6detail15normal_iteratorINS8_7pointerItNS8_11hip_rocprim5par_tENS8_11use_defaultESE_EEEENSA_INSB_IiSD_SE_SE_EEEEZNS1_13binary_searchIS3_S5_PtSG_SI_NS1_16binary_search_opENS9_16wrapped_functionINS8_6system6detail7generic6detail18binary_search_lessEbEEEE10hipError_tPvRmT1_T2_T3_mmT4_T5_P12ihipStream_tbEUlRKtE_EEST_SX_SY_mSZ_S12_bEUlT_E_NS1_11comp_targetILNS1_3genE0ELNS1_11target_archE4294967295ELNS1_3gpuE0ELNS1_3repE0EEENS1_30default_config_static_selectorELNS0_4arch9wavefront6targetE0EEEvSW_.has_dyn_sized_stack, 0
	.set _ZN7rocprim17ROCPRIM_400000_NS6detail17trampoline_kernelINS0_14default_configENS1_29binary_search_config_selectorItiEEZNS1_14transform_implILb0ES3_S5_N6thrust23THRUST_200600_302600_NS6detail15normal_iteratorINS8_7pointerItNS8_11hip_rocprim5par_tENS8_11use_defaultESE_EEEENSA_INSB_IiSD_SE_SE_EEEEZNS1_13binary_searchIS3_S5_PtSG_SI_NS1_16binary_search_opENS9_16wrapped_functionINS8_6system6detail7generic6detail18binary_search_lessEbEEEE10hipError_tPvRmT1_T2_T3_mmT4_T5_P12ihipStream_tbEUlRKtE_EEST_SX_SY_mSZ_S12_bEUlT_E_NS1_11comp_targetILNS1_3genE0ELNS1_11target_archE4294967295ELNS1_3gpuE0ELNS1_3repE0EEENS1_30default_config_static_selectorELNS0_4arch9wavefront6targetE0EEEvSW_.has_recursion, 0
	.set _ZN7rocprim17ROCPRIM_400000_NS6detail17trampoline_kernelINS0_14default_configENS1_29binary_search_config_selectorItiEEZNS1_14transform_implILb0ES3_S5_N6thrust23THRUST_200600_302600_NS6detail15normal_iteratorINS8_7pointerItNS8_11hip_rocprim5par_tENS8_11use_defaultESE_EEEENSA_INSB_IiSD_SE_SE_EEEEZNS1_13binary_searchIS3_S5_PtSG_SI_NS1_16binary_search_opENS9_16wrapped_functionINS8_6system6detail7generic6detail18binary_search_lessEbEEEE10hipError_tPvRmT1_T2_T3_mmT4_T5_P12ihipStream_tbEUlRKtE_EEST_SX_SY_mSZ_S12_bEUlT_E_NS1_11comp_targetILNS1_3genE0ELNS1_11target_archE4294967295ELNS1_3gpuE0ELNS1_3repE0EEENS1_30default_config_static_selectorELNS0_4arch9wavefront6targetE0EEEvSW_.has_indirect_call, 0
	.section	.AMDGPU.csdata,"",@progbits
; Kernel info:
; codeLenInByte = 0
; TotalNumSgprs: 0
; NumVgprs: 0
; ScratchSize: 0
; MemoryBound: 0
; FloatMode: 240
; IeeeMode: 1
; LDSByteSize: 0 bytes/workgroup (compile time only)
; SGPRBlocks: 0
; VGPRBlocks: 0
; NumSGPRsForWavesPerEU: 1
; NumVGPRsForWavesPerEU: 1
; Occupancy: 16
; WaveLimiterHint : 0
; COMPUTE_PGM_RSRC2:SCRATCH_EN: 0
; COMPUTE_PGM_RSRC2:USER_SGPR: 6
; COMPUTE_PGM_RSRC2:TRAP_HANDLER: 0
; COMPUTE_PGM_RSRC2:TGID_X_EN: 1
; COMPUTE_PGM_RSRC2:TGID_Y_EN: 0
; COMPUTE_PGM_RSRC2:TGID_Z_EN: 0
; COMPUTE_PGM_RSRC2:TIDIG_COMP_CNT: 0
	.section	.text._ZN7rocprim17ROCPRIM_400000_NS6detail17trampoline_kernelINS0_14default_configENS1_29binary_search_config_selectorItiEEZNS1_14transform_implILb0ES3_S5_N6thrust23THRUST_200600_302600_NS6detail15normal_iteratorINS8_7pointerItNS8_11hip_rocprim5par_tENS8_11use_defaultESE_EEEENSA_INSB_IiSD_SE_SE_EEEEZNS1_13binary_searchIS3_S5_PtSG_SI_NS1_16binary_search_opENS9_16wrapped_functionINS8_6system6detail7generic6detail18binary_search_lessEbEEEE10hipError_tPvRmT1_T2_T3_mmT4_T5_P12ihipStream_tbEUlRKtE_EEST_SX_SY_mSZ_S12_bEUlT_E_NS1_11comp_targetILNS1_3genE5ELNS1_11target_archE942ELNS1_3gpuE9ELNS1_3repE0EEENS1_30default_config_static_selectorELNS0_4arch9wavefront6targetE0EEEvSW_,"axG",@progbits,_ZN7rocprim17ROCPRIM_400000_NS6detail17trampoline_kernelINS0_14default_configENS1_29binary_search_config_selectorItiEEZNS1_14transform_implILb0ES3_S5_N6thrust23THRUST_200600_302600_NS6detail15normal_iteratorINS8_7pointerItNS8_11hip_rocprim5par_tENS8_11use_defaultESE_EEEENSA_INSB_IiSD_SE_SE_EEEEZNS1_13binary_searchIS3_S5_PtSG_SI_NS1_16binary_search_opENS9_16wrapped_functionINS8_6system6detail7generic6detail18binary_search_lessEbEEEE10hipError_tPvRmT1_T2_T3_mmT4_T5_P12ihipStream_tbEUlRKtE_EEST_SX_SY_mSZ_S12_bEUlT_E_NS1_11comp_targetILNS1_3genE5ELNS1_11target_archE942ELNS1_3gpuE9ELNS1_3repE0EEENS1_30default_config_static_selectorELNS0_4arch9wavefront6targetE0EEEvSW_,comdat
	.protected	_ZN7rocprim17ROCPRIM_400000_NS6detail17trampoline_kernelINS0_14default_configENS1_29binary_search_config_selectorItiEEZNS1_14transform_implILb0ES3_S5_N6thrust23THRUST_200600_302600_NS6detail15normal_iteratorINS8_7pointerItNS8_11hip_rocprim5par_tENS8_11use_defaultESE_EEEENSA_INSB_IiSD_SE_SE_EEEEZNS1_13binary_searchIS3_S5_PtSG_SI_NS1_16binary_search_opENS9_16wrapped_functionINS8_6system6detail7generic6detail18binary_search_lessEbEEEE10hipError_tPvRmT1_T2_T3_mmT4_T5_P12ihipStream_tbEUlRKtE_EEST_SX_SY_mSZ_S12_bEUlT_E_NS1_11comp_targetILNS1_3genE5ELNS1_11target_archE942ELNS1_3gpuE9ELNS1_3repE0EEENS1_30default_config_static_selectorELNS0_4arch9wavefront6targetE0EEEvSW_ ; -- Begin function _ZN7rocprim17ROCPRIM_400000_NS6detail17trampoline_kernelINS0_14default_configENS1_29binary_search_config_selectorItiEEZNS1_14transform_implILb0ES3_S5_N6thrust23THRUST_200600_302600_NS6detail15normal_iteratorINS8_7pointerItNS8_11hip_rocprim5par_tENS8_11use_defaultESE_EEEENSA_INSB_IiSD_SE_SE_EEEEZNS1_13binary_searchIS3_S5_PtSG_SI_NS1_16binary_search_opENS9_16wrapped_functionINS8_6system6detail7generic6detail18binary_search_lessEbEEEE10hipError_tPvRmT1_T2_T3_mmT4_T5_P12ihipStream_tbEUlRKtE_EEST_SX_SY_mSZ_S12_bEUlT_E_NS1_11comp_targetILNS1_3genE5ELNS1_11target_archE942ELNS1_3gpuE9ELNS1_3repE0EEENS1_30default_config_static_selectorELNS0_4arch9wavefront6targetE0EEEvSW_
	.globl	_ZN7rocprim17ROCPRIM_400000_NS6detail17trampoline_kernelINS0_14default_configENS1_29binary_search_config_selectorItiEEZNS1_14transform_implILb0ES3_S5_N6thrust23THRUST_200600_302600_NS6detail15normal_iteratorINS8_7pointerItNS8_11hip_rocprim5par_tENS8_11use_defaultESE_EEEENSA_INSB_IiSD_SE_SE_EEEEZNS1_13binary_searchIS3_S5_PtSG_SI_NS1_16binary_search_opENS9_16wrapped_functionINS8_6system6detail7generic6detail18binary_search_lessEbEEEE10hipError_tPvRmT1_T2_T3_mmT4_T5_P12ihipStream_tbEUlRKtE_EEST_SX_SY_mSZ_S12_bEUlT_E_NS1_11comp_targetILNS1_3genE5ELNS1_11target_archE942ELNS1_3gpuE9ELNS1_3repE0EEENS1_30default_config_static_selectorELNS0_4arch9wavefront6targetE0EEEvSW_
	.p2align	8
	.type	_ZN7rocprim17ROCPRIM_400000_NS6detail17trampoline_kernelINS0_14default_configENS1_29binary_search_config_selectorItiEEZNS1_14transform_implILb0ES3_S5_N6thrust23THRUST_200600_302600_NS6detail15normal_iteratorINS8_7pointerItNS8_11hip_rocprim5par_tENS8_11use_defaultESE_EEEENSA_INSB_IiSD_SE_SE_EEEEZNS1_13binary_searchIS3_S5_PtSG_SI_NS1_16binary_search_opENS9_16wrapped_functionINS8_6system6detail7generic6detail18binary_search_lessEbEEEE10hipError_tPvRmT1_T2_T3_mmT4_T5_P12ihipStream_tbEUlRKtE_EEST_SX_SY_mSZ_S12_bEUlT_E_NS1_11comp_targetILNS1_3genE5ELNS1_11target_archE942ELNS1_3gpuE9ELNS1_3repE0EEENS1_30default_config_static_selectorELNS0_4arch9wavefront6targetE0EEEvSW_,@function
_ZN7rocprim17ROCPRIM_400000_NS6detail17trampoline_kernelINS0_14default_configENS1_29binary_search_config_selectorItiEEZNS1_14transform_implILb0ES3_S5_N6thrust23THRUST_200600_302600_NS6detail15normal_iteratorINS8_7pointerItNS8_11hip_rocprim5par_tENS8_11use_defaultESE_EEEENSA_INSB_IiSD_SE_SE_EEEEZNS1_13binary_searchIS3_S5_PtSG_SI_NS1_16binary_search_opENS9_16wrapped_functionINS8_6system6detail7generic6detail18binary_search_lessEbEEEE10hipError_tPvRmT1_T2_T3_mmT4_T5_P12ihipStream_tbEUlRKtE_EEST_SX_SY_mSZ_S12_bEUlT_E_NS1_11comp_targetILNS1_3genE5ELNS1_11target_archE942ELNS1_3gpuE9ELNS1_3repE0EEENS1_30default_config_static_selectorELNS0_4arch9wavefront6targetE0EEEvSW_: ; @_ZN7rocprim17ROCPRIM_400000_NS6detail17trampoline_kernelINS0_14default_configENS1_29binary_search_config_selectorItiEEZNS1_14transform_implILb0ES3_S5_N6thrust23THRUST_200600_302600_NS6detail15normal_iteratorINS8_7pointerItNS8_11hip_rocprim5par_tENS8_11use_defaultESE_EEEENSA_INSB_IiSD_SE_SE_EEEEZNS1_13binary_searchIS3_S5_PtSG_SI_NS1_16binary_search_opENS9_16wrapped_functionINS8_6system6detail7generic6detail18binary_search_lessEbEEEE10hipError_tPvRmT1_T2_T3_mmT4_T5_P12ihipStream_tbEUlRKtE_EEST_SX_SY_mSZ_S12_bEUlT_E_NS1_11comp_targetILNS1_3genE5ELNS1_11target_archE942ELNS1_3gpuE9ELNS1_3repE0EEENS1_30default_config_static_selectorELNS0_4arch9wavefront6targetE0EEEvSW_
; %bb.0:
	.section	.rodata,"a",@progbits
	.p2align	6, 0x0
	.amdhsa_kernel _ZN7rocprim17ROCPRIM_400000_NS6detail17trampoline_kernelINS0_14default_configENS1_29binary_search_config_selectorItiEEZNS1_14transform_implILb0ES3_S5_N6thrust23THRUST_200600_302600_NS6detail15normal_iteratorINS8_7pointerItNS8_11hip_rocprim5par_tENS8_11use_defaultESE_EEEENSA_INSB_IiSD_SE_SE_EEEEZNS1_13binary_searchIS3_S5_PtSG_SI_NS1_16binary_search_opENS9_16wrapped_functionINS8_6system6detail7generic6detail18binary_search_lessEbEEEE10hipError_tPvRmT1_T2_T3_mmT4_T5_P12ihipStream_tbEUlRKtE_EEST_SX_SY_mSZ_S12_bEUlT_E_NS1_11comp_targetILNS1_3genE5ELNS1_11target_archE942ELNS1_3gpuE9ELNS1_3repE0EEENS1_30default_config_static_selectorELNS0_4arch9wavefront6targetE0EEEvSW_
		.amdhsa_group_segment_fixed_size 0
		.amdhsa_private_segment_fixed_size 0
		.amdhsa_kernarg_size 56
		.amdhsa_user_sgpr_count 6
		.amdhsa_user_sgpr_private_segment_buffer 1
		.amdhsa_user_sgpr_dispatch_ptr 0
		.amdhsa_user_sgpr_queue_ptr 0
		.amdhsa_user_sgpr_kernarg_segment_ptr 1
		.amdhsa_user_sgpr_dispatch_id 0
		.amdhsa_user_sgpr_flat_scratch_init 0
		.amdhsa_user_sgpr_private_segment_size 0
		.amdhsa_wavefront_size32 1
		.amdhsa_uses_dynamic_stack 0
		.amdhsa_system_sgpr_private_segment_wavefront_offset 0
		.amdhsa_system_sgpr_workgroup_id_x 1
		.amdhsa_system_sgpr_workgroup_id_y 0
		.amdhsa_system_sgpr_workgroup_id_z 0
		.amdhsa_system_sgpr_workgroup_info 0
		.amdhsa_system_vgpr_workitem_id 0
		.amdhsa_next_free_vgpr 1
		.amdhsa_next_free_sgpr 1
		.amdhsa_reserve_vcc 0
		.amdhsa_reserve_flat_scratch 0
		.amdhsa_float_round_mode_32 0
		.amdhsa_float_round_mode_16_64 0
		.amdhsa_float_denorm_mode_32 3
		.amdhsa_float_denorm_mode_16_64 3
		.amdhsa_dx10_clamp 1
		.amdhsa_ieee_mode 1
		.amdhsa_fp16_overflow 0
		.amdhsa_workgroup_processor_mode 1
		.amdhsa_memory_ordered 1
		.amdhsa_forward_progress 1
		.amdhsa_shared_vgpr_count 0
		.amdhsa_exception_fp_ieee_invalid_op 0
		.amdhsa_exception_fp_denorm_src 0
		.amdhsa_exception_fp_ieee_div_zero 0
		.amdhsa_exception_fp_ieee_overflow 0
		.amdhsa_exception_fp_ieee_underflow 0
		.amdhsa_exception_fp_ieee_inexact 0
		.amdhsa_exception_int_div_zero 0
	.end_amdhsa_kernel
	.section	.text._ZN7rocprim17ROCPRIM_400000_NS6detail17trampoline_kernelINS0_14default_configENS1_29binary_search_config_selectorItiEEZNS1_14transform_implILb0ES3_S5_N6thrust23THRUST_200600_302600_NS6detail15normal_iteratorINS8_7pointerItNS8_11hip_rocprim5par_tENS8_11use_defaultESE_EEEENSA_INSB_IiSD_SE_SE_EEEEZNS1_13binary_searchIS3_S5_PtSG_SI_NS1_16binary_search_opENS9_16wrapped_functionINS8_6system6detail7generic6detail18binary_search_lessEbEEEE10hipError_tPvRmT1_T2_T3_mmT4_T5_P12ihipStream_tbEUlRKtE_EEST_SX_SY_mSZ_S12_bEUlT_E_NS1_11comp_targetILNS1_3genE5ELNS1_11target_archE942ELNS1_3gpuE9ELNS1_3repE0EEENS1_30default_config_static_selectorELNS0_4arch9wavefront6targetE0EEEvSW_,"axG",@progbits,_ZN7rocprim17ROCPRIM_400000_NS6detail17trampoline_kernelINS0_14default_configENS1_29binary_search_config_selectorItiEEZNS1_14transform_implILb0ES3_S5_N6thrust23THRUST_200600_302600_NS6detail15normal_iteratorINS8_7pointerItNS8_11hip_rocprim5par_tENS8_11use_defaultESE_EEEENSA_INSB_IiSD_SE_SE_EEEEZNS1_13binary_searchIS3_S5_PtSG_SI_NS1_16binary_search_opENS9_16wrapped_functionINS8_6system6detail7generic6detail18binary_search_lessEbEEEE10hipError_tPvRmT1_T2_T3_mmT4_T5_P12ihipStream_tbEUlRKtE_EEST_SX_SY_mSZ_S12_bEUlT_E_NS1_11comp_targetILNS1_3genE5ELNS1_11target_archE942ELNS1_3gpuE9ELNS1_3repE0EEENS1_30default_config_static_selectorELNS0_4arch9wavefront6targetE0EEEvSW_,comdat
.Lfunc_end284:
	.size	_ZN7rocprim17ROCPRIM_400000_NS6detail17trampoline_kernelINS0_14default_configENS1_29binary_search_config_selectorItiEEZNS1_14transform_implILb0ES3_S5_N6thrust23THRUST_200600_302600_NS6detail15normal_iteratorINS8_7pointerItNS8_11hip_rocprim5par_tENS8_11use_defaultESE_EEEENSA_INSB_IiSD_SE_SE_EEEEZNS1_13binary_searchIS3_S5_PtSG_SI_NS1_16binary_search_opENS9_16wrapped_functionINS8_6system6detail7generic6detail18binary_search_lessEbEEEE10hipError_tPvRmT1_T2_T3_mmT4_T5_P12ihipStream_tbEUlRKtE_EEST_SX_SY_mSZ_S12_bEUlT_E_NS1_11comp_targetILNS1_3genE5ELNS1_11target_archE942ELNS1_3gpuE9ELNS1_3repE0EEENS1_30default_config_static_selectorELNS0_4arch9wavefront6targetE0EEEvSW_, .Lfunc_end284-_ZN7rocprim17ROCPRIM_400000_NS6detail17trampoline_kernelINS0_14default_configENS1_29binary_search_config_selectorItiEEZNS1_14transform_implILb0ES3_S5_N6thrust23THRUST_200600_302600_NS6detail15normal_iteratorINS8_7pointerItNS8_11hip_rocprim5par_tENS8_11use_defaultESE_EEEENSA_INSB_IiSD_SE_SE_EEEEZNS1_13binary_searchIS3_S5_PtSG_SI_NS1_16binary_search_opENS9_16wrapped_functionINS8_6system6detail7generic6detail18binary_search_lessEbEEEE10hipError_tPvRmT1_T2_T3_mmT4_T5_P12ihipStream_tbEUlRKtE_EEST_SX_SY_mSZ_S12_bEUlT_E_NS1_11comp_targetILNS1_3genE5ELNS1_11target_archE942ELNS1_3gpuE9ELNS1_3repE0EEENS1_30default_config_static_selectorELNS0_4arch9wavefront6targetE0EEEvSW_
                                        ; -- End function
	.set _ZN7rocprim17ROCPRIM_400000_NS6detail17trampoline_kernelINS0_14default_configENS1_29binary_search_config_selectorItiEEZNS1_14transform_implILb0ES3_S5_N6thrust23THRUST_200600_302600_NS6detail15normal_iteratorINS8_7pointerItNS8_11hip_rocprim5par_tENS8_11use_defaultESE_EEEENSA_INSB_IiSD_SE_SE_EEEEZNS1_13binary_searchIS3_S5_PtSG_SI_NS1_16binary_search_opENS9_16wrapped_functionINS8_6system6detail7generic6detail18binary_search_lessEbEEEE10hipError_tPvRmT1_T2_T3_mmT4_T5_P12ihipStream_tbEUlRKtE_EEST_SX_SY_mSZ_S12_bEUlT_E_NS1_11comp_targetILNS1_3genE5ELNS1_11target_archE942ELNS1_3gpuE9ELNS1_3repE0EEENS1_30default_config_static_selectorELNS0_4arch9wavefront6targetE0EEEvSW_.num_vgpr, 0
	.set _ZN7rocprim17ROCPRIM_400000_NS6detail17trampoline_kernelINS0_14default_configENS1_29binary_search_config_selectorItiEEZNS1_14transform_implILb0ES3_S5_N6thrust23THRUST_200600_302600_NS6detail15normal_iteratorINS8_7pointerItNS8_11hip_rocprim5par_tENS8_11use_defaultESE_EEEENSA_INSB_IiSD_SE_SE_EEEEZNS1_13binary_searchIS3_S5_PtSG_SI_NS1_16binary_search_opENS9_16wrapped_functionINS8_6system6detail7generic6detail18binary_search_lessEbEEEE10hipError_tPvRmT1_T2_T3_mmT4_T5_P12ihipStream_tbEUlRKtE_EEST_SX_SY_mSZ_S12_bEUlT_E_NS1_11comp_targetILNS1_3genE5ELNS1_11target_archE942ELNS1_3gpuE9ELNS1_3repE0EEENS1_30default_config_static_selectorELNS0_4arch9wavefront6targetE0EEEvSW_.num_agpr, 0
	.set _ZN7rocprim17ROCPRIM_400000_NS6detail17trampoline_kernelINS0_14default_configENS1_29binary_search_config_selectorItiEEZNS1_14transform_implILb0ES3_S5_N6thrust23THRUST_200600_302600_NS6detail15normal_iteratorINS8_7pointerItNS8_11hip_rocprim5par_tENS8_11use_defaultESE_EEEENSA_INSB_IiSD_SE_SE_EEEEZNS1_13binary_searchIS3_S5_PtSG_SI_NS1_16binary_search_opENS9_16wrapped_functionINS8_6system6detail7generic6detail18binary_search_lessEbEEEE10hipError_tPvRmT1_T2_T3_mmT4_T5_P12ihipStream_tbEUlRKtE_EEST_SX_SY_mSZ_S12_bEUlT_E_NS1_11comp_targetILNS1_3genE5ELNS1_11target_archE942ELNS1_3gpuE9ELNS1_3repE0EEENS1_30default_config_static_selectorELNS0_4arch9wavefront6targetE0EEEvSW_.numbered_sgpr, 0
	.set _ZN7rocprim17ROCPRIM_400000_NS6detail17trampoline_kernelINS0_14default_configENS1_29binary_search_config_selectorItiEEZNS1_14transform_implILb0ES3_S5_N6thrust23THRUST_200600_302600_NS6detail15normal_iteratorINS8_7pointerItNS8_11hip_rocprim5par_tENS8_11use_defaultESE_EEEENSA_INSB_IiSD_SE_SE_EEEEZNS1_13binary_searchIS3_S5_PtSG_SI_NS1_16binary_search_opENS9_16wrapped_functionINS8_6system6detail7generic6detail18binary_search_lessEbEEEE10hipError_tPvRmT1_T2_T3_mmT4_T5_P12ihipStream_tbEUlRKtE_EEST_SX_SY_mSZ_S12_bEUlT_E_NS1_11comp_targetILNS1_3genE5ELNS1_11target_archE942ELNS1_3gpuE9ELNS1_3repE0EEENS1_30default_config_static_selectorELNS0_4arch9wavefront6targetE0EEEvSW_.num_named_barrier, 0
	.set _ZN7rocprim17ROCPRIM_400000_NS6detail17trampoline_kernelINS0_14default_configENS1_29binary_search_config_selectorItiEEZNS1_14transform_implILb0ES3_S5_N6thrust23THRUST_200600_302600_NS6detail15normal_iteratorINS8_7pointerItNS8_11hip_rocprim5par_tENS8_11use_defaultESE_EEEENSA_INSB_IiSD_SE_SE_EEEEZNS1_13binary_searchIS3_S5_PtSG_SI_NS1_16binary_search_opENS9_16wrapped_functionINS8_6system6detail7generic6detail18binary_search_lessEbEEEE10hipError_tPvRmT1_T2_T3_mmT4_T5_P12ihipStream_tbEUlRKtE_EEST_SX_SY_mSZ_S12_bEUlT_E_NS1_11comp_targetILNS1_3genE5ELNS1_11target_archE942ELNS1_3gpuE9ELNS1_3repE0EEENS1_30default_config_static_selectorELNS0_4arch9wavefront6targetE0EEEvSW_.private_seg_size, 0
	.set _ZN7rocprim17ROCPRIM_400000_NS6detail17trampoline_kernelINS0_14default_configENS1_29binary_search_config_selectorItiEEZNS1_14transform_implILb0ES3_S5_N6thrust23THRUST_200600_302600_NS6detail15normal_iteratorINS8_7pointerItNS8_11hip_rocprim5par_tENS8_11use_defaultESE_EEEENSA_INSB_IiSD_SE_SE_EEEEZNS1_13binary_searchIS3_S5_PtSG_SI_NS1_16binary_search_opENS9_16wrapped_functionINS8_6system6detail7generic6detail18binary_search_lessEbEEEE10hipError_tPvRmT1_T2_T3_mmT4_T5_P12ihipStream_tbEUlRKtE_EEST_SX_SY_mSZ_S12_bEUlT_E_NS1_11comp_targetILNS1_3genE5ELNS1_11target_archE942ELNS1_3gpuE9ELNS1_3repE0EEENS1_30default_config_static_selectorELNS0_4arch9wavefront6targetE0EEEvSW_.uses_vcc, 0
	.set _ZN7rocprim17ROCPRIM_400000_NS6detail17trampoline_kernelINS0_14default_configENS1_29binary_search_config_selectorItiEEZNS1_14transform_implILb0ES3_S5_N6thrust23THRUST_200600_302600_NS6detail15normal_iteratorINS8_7pointerItNS8_11hip_rocprim5par_tENS8_11use_defaultESE_EEEENSA_INSB_IiSD_SE_SE_EEEEZNS1_13binary_searchIS3_S5_PtSG_SI_NS1_16binary_search_opENS9_16wrapped_functionINS8_6system6detail7generic6detail18binary_search_lessEbEEEE10hipError_tPvRmT1_T2_T3_mmT4_T5_P12ihipStream_tbEUlRKtE_EEST_SX_SY_mSZ_S12_bEUlT_E_NS1_11comp_targetILNS1_3genE5ELNS1_11target_archE942ELNS1_3gpuE9ELNS1_3repE0EEENS1_30default_config_static_selectorELNS0_4arch9wavefront6targetE0EEEvSW_.uses_flat_scratch, 0
	.set _ZN7rocprim17ROCPRIM_400000_NS6detail17trampoline_kernelINS0_14default_configENS1_29binary_search_config_selectorItiEEZNS1_14transform_implILb0ES3_S5_N6thrust23THRUST_200600_302600_NS6detail15normal_iteratorINS8_7pointerItNS8_11hip_rocprim5par_tENS8_11use_defaultESE_EEEENSA_INSB_IiSD_SE_SE_EEEEZNS1_13binary_searchIS3_S5_PtSG_SI_NS1_16binary_search_opENS9_16wrapped_functionINS8_6system6detail7generic6detail18binary_search_lessEbEEEE10hipError_tPvRmT1_T2_T3_mmT4_T5_P12ihipStream_tbEUlRKtE_EEST_SX_SY_mSZ_S12_bEUlT_E_NS1_11comp_targetILNS1_3genE5ELNS1_11target_archE942ELNS1_3gpuE9ELNS1_3repE0EEENS1_30default_config_static_selectorELNS0_4arch9wavefront6targetE0EEEvSW_.has_dyn_sized_stack, 0
	.set _ZN7rocprim17ROCPRIM_400000_NS6detail17trampoline_kernelINS0_14default_configENS1_29binary_search_config_selectorItiEEZNS1_14transform_implILb0ES3_S5_N6thrust23THRUST_200600_302600_NS6detail15normal_iteratorINS8_7pointerItNS8_11hip_rocprim5par_tENS8_11use_defaultESE_EEEENSA_INSB_IiSD_SE_SE_EEEEZNS1_13binary_searchIS3_S5_PtSG_SI_NS1_16binary_search_opENS9_16wrapped_functionINS8_6system6detail7generic6detail18binary_search_lessEbEEEE10hipError_tPvRmT1_T2_T3_mmT4_T5_P12ihipStream_tbEUlRKtE_EEST_SX_SY_mSZ_S12_bEUlT_E_NS1_11comp_targetILNS1_3genE5ELNS1_11target_archE942ELNS1_3gpuE9ELNS1_3repE0EEENS1_30default_config_static_selectorELNS0_4arch9wavefront6targetE0EEEvSW_.has_recursion, 0
	.set _ZN7rocprim17ROCPRIM_400000_NS6detail17trampoline_kernelINS0_14default_configENS1_29binary_search_config_selectorItiEEZNS1_14transform_implILb0ES3_S5_N6thrust23THRUST_200600_302600_NS6detail15normal_iteratorINS8_7pointerItNS8_11hip_rocprim5par_tENS8_11use_defaultESE_EEEENSA_INSB_IiSD_SE_SE_EEEEZNS1_13binary_searchIS3_S5_PtSG_SI_NS1_16binary_search_opENS9_16wrapped_functionINS8_6system6detail7generic6detail18binary_search_lessEbEEEE10hipError_tPvRmT1_T2_T3_mmT4_T5_P12ihipStream_tbEUlRKtE_EEST_SX_SY_mSZ_S12_bEUlT_E_NS1_11comp_targetILNS1_3genE5ELNS1_11target_archE942ELNS1_3gpuE9ELNS1_3repE0EEENS1_30default_config_static_selectorELNS0_4arch9wavefront6targetE0EEEvSW_.has_indirect_call, 0
	.section	.AMDGPU.csdata,"",@progbits
; Kernel info:
; codeLenInByte = 0
; TotalNumSgprs: 0
; NumVgprs: 0
; ScratchSize: 0
; MemoryBound: 0
; FloatMode: 240
; IeeeMode: 1
; LDSByteSize: 0 bytes/workgroup (compile time only)
; SGPRBlocks: 0
; VGPRBlocks: 0
; NumSGPRsForWavesPerEU: 1
; NumVGPRsForWavesPerEU: 1
; Occupancy: 16
; WaveLimiterHint : 0
; COMPUTE_PGM_RSRC2:SCRATCH_EN: 0
; COMPUTE_PGM_RSRC2:USER_SGPR: 6
; COMPUTE_PGM_RSRC2:TRAP_HANDLER: 0
; COMPUTE_PGM_RSRC2:TGID_X_EN: 1
; COMPUTE_PGM_RSRC2:TGID_Y_EN: 0
; COMPUTE_PGM_RSRC2:TGID_Z_EN: 0
; COMPUTE_PGM_RSRC2:TIDIG_COMP_CNT: 0
	.section	.text._ZN7rocprim17ROCPRIM_400000_NS6detail17trampoline_kernelINS0_14default_configENS1_29binary_search_config_selectorItiEEZNS1_14transform_implILb0ES3_S5_N6thrust23THRUST_200600_302600_NS6detail15normal_iteratorINS8_7pointerItNS8_11hip_rocprim5par_tENS8_11use_defaultESE_EEEENSA_INSB_IiSD_SE_SE_EEEEZNS1_13binary_searchIS3_S5_PtSG_SI_NS1_16binary_search_opENS9_16wrapped_functionINS8_6system6detail7generic6detail18binary_search_lessEbEEEE10hipError_tPvRmT1_T2_T3_mmT4_T5_P12ihipStream_tbEUlRKtE_EEST_SX_SY_mSZ_S12_bEUlT_E_NS1_11comp_targetILNS1_3genE4ELNS1_11target_archE910ELNS1_3gpuE8ELNS1_3repE0EEENS1_30default_config_static_selectorELNS0_4arch9wavefront6targetE0EEEvSW_,"axG",@progbits,_ZN7rocprim17ROCPRIM_400000_NS6detail17trampoline_kernelINS0_14default_configENS1_29binary_search_config_selectorItiEEZNS1_14transform_implILb0ES3_S5_N6thrust23THRUST_200600_302600_NS6detail15normal_iteratorINS8_7pointerItNS8_11hip_rocprim5par_tENS8_11use_defaultESE_EEEENSA_INSB_IiSD_SE_SE_EEEEZNS1_13binary_searchIS3_S5_PtSG_SI_NS1_16binary_search_opENS9_16wrapped_functionINS8_6system6detail7generic6detail18binary_search_lessEbEEEE10hipError_tPvRmT1_T2_T3_mmT4_T5_P12ihipStream_tbEUlRKtE_EEST_SX_SY_mSZ_S12_bEUlT_E_NS1_11comp_targetILNS1_3genE4ELNS1_11target_archE910ELNS1_3gpuE8ELNS1_3repE0EEENS1_30default_config_static_selectorELNS0_4arch9wavefront6targetE0EEEvSW_,comdat
	.protected	_ZN7rocprim17ROCPRIM_400000_NS6detail17trampoline_kernelINS0_14default_configENS1_29binary_search_config_selectorItiEEZNS1_14transform_implILb0ES3_S5_N6thrust23THRUST_200600_302600_NS6detail15normal_iteratorINS8_7pointerItNS8_11hip_rocprim5par_tENS8_11use_defaultESE_EEEENSA_INSB_IiSD_SE_SE_EEEEZNS1_13binary_searchIS3_S5_PtSG_SI_NS1_16binary_search_opENS9_16wrapped_functionINS8_6system6detail7generic6detail18binary_search_lessEbEEEE10hipError_tPvRmT1_T2_T3_mmT4_T5_P12ihipStream_tbEUlRKtE_EEST_SX_SY_mSZ_S12_bEUlT_E_NS1_11comp_targetILNS1_3genE4ELNS1_11target_archE910ELNS1_3gpuE8ELNS1_3repE0EEENS1_30default_config_static_selectorELNS0_4arch9wavefront6targetE0EEEvSW_ ; -- Begin function _ZN7rocprim17ROCPRIM_400000_NS6detail17trampoline_kernelINS0_14default_configENS1_29binary_search_config_selectorItiEEZNS1_14transform_implILb0ES3_S5_N6thrust23THRUST_200600_302600_NS6detail15normal_iteratorINS8_7pointerItNS8_11hip_rocprim5par_tENS8_11use_defaultESE_EEEENSA_INSB_IiSD_SE_SE_EEEEZNS1_13binary_searchIS3_S5_PtSG_SI_NS1_16binary_search_opENS9_16wrapped_functionINS8_6system6detail7generic6detail18binary_search_lessEbEEEE10hipError_tPvRmT1_T2_T3_mmT4_T5_P12ihipStream_tbEUlRKtE_EEST_SX_SY_mSZ_S12_bEUlT_E_NS1_11comp_targetILNS1_3genE4ELNS1_11target_archE910ELNS1_3gpuE8ELNS1_3repE0EEENS1_30default_config_static_selectorELNS0_4arch9wavefront6targetE0EEEvSW_
	.globl	_ZN7rocprim17ROCPRIM_400000_NS6detail17trampoline_kernelINS0_14default_configENS1_29binary_search_config_selectorItiEEZNS1_14transform_implILb0ES3_S5_N6thrust23THRUST_200600_302600_NS6detail15normal_iteratorINS8_7pointerItNS8_11hip_rocprim5par_tENS8_11use_defaultESE_EEEENSA_INSB_IiSD_SE_SE_EEEEZNS1_13binary_searchIS3_S5_PtSG_SI_NS1_16binary_search_opENS9_16wrapped_functionINS8_6system6detail7generic6detail18binary_search_lessEbEEEE10hipError_tPvRmT1_T2_T3_mmT4_T5_P12ihipStream_tbEUlRKtE_EEST_SX_SY_mSZ_S12_bEUlT_E_NS1_11comp_targetILNS1_3genE4ELNS1_11target_archE910ELNS1_3gpuE8ELNS1_3repE0EEENS1_30default_config_static_selectorELNS0_4arch9wavefront6targetE0EEEvSW_
	.p2align	8
	.type	_ZN7rocprim17ROCPRIM_400000_NS6detail17trampoline_kernelINS0_14default_configENS1_29binary_search_config_selectorItiEEZNS1_14transform_implILb0ES3_S5_N6thrust23THRUST_200600_302600_NS6detail15normal_iteratorINS8_7pointerItNS8_11hip_rocprim5par_tENS8_11use_defaultESE_EEEENSA_INSB_IiSD_SE_SE_EEEEZNS1_13binary_searchIS3_S5_PtSG_SI_NS1_16binary_search_opENS9_16wrapped_functionINS8_6system6detail7generic6detail18binary_search_lessEbEEEE10hipError_tPvRmT1_T2_T3_mmT4_T5_P12ihipStream_tbEUlRKtE_EEST_SX_SY_mSZ_S12_bEUlT_E_NS1_11comp_targetILNS1_3genE4ELNS1_11target_archE910ELNS1_3gpuE8ELNS1_3repE0EEENS1_30default_config_static_selectorELNS0_4arch9wavefront6targetE0EEEvSW_,@function
_ZN7rocprim17ROCPRIM_400000_NS6detail17trampoline_kernelINS0_14default_configENS1_29binary_search_config_selectorItiEEZNS1_14transform_implILb0ES3_S5_N6thrust23THRUST_200600_302600_NS6detail15normal_iteratorINS8_7pointerItNS8_11hip_rocprim5par_tENS8_11use_defaultESE_EEEENSA_INSB_IiSD_SE_SE_EEEEZNS1_13binary_searchIS3_S5_PtSG_SI_NS1_16binary_search_opENS9_16wrapped_functionINS8_6system6detail7generic6detail18binary_search_lessEbEEEE10hipError_tPvRmT1_T2_T3_mmT4_T5_P12ihipStream_tbEUlRKtE_EEST_SX_SY_mSZ_S12_bEUlT_E_NS1_11comp_targetILNS1_3genE4ELNS1_11target_archE910ELNS1_3gpuE8ELNS1_3repE0EEENS1_30default_config_static_selectorELNS0_4arch9wavefront6targetE0EEEvSW_: ; @_ZN7rocprim17ROCPRIM_400000_NS6detail17trampoline_kernelINS0_14default_configENS1_29binary_search_config_selectorItiEEZNS1_14transform_implILb0ES3_S5_N6thrust23THRUST_200600_302600_NS6detail15normal_iteratorINS8_7pointerItNS8_11hip_rocprim5par_tENS8_11use_defaultESE_EEEENSA_INSB_IiSD_SE_SE_EEEEZNS1_13binary_searchIS3_S5_PtSG_SI_NS1_16binary_search_opENS9_16wrapped_functionINS8_6system6detail7generic6detail18binary_search_lessEbEEEE10hipError_tPvRmT1_T2_T3_mmT4_T5_P12ihipStream_tbEUlRKtE_EEST_SX_SY_mSZ_S12_bEUlT_E_NS1_11comp_targetILNS1_3genE4ELNS1_11target_archE910ELNS1_3gpuE8ELNS1_3repE0EEENS1_30default_config_static_selectorELNS0_4arch9wavefront6targetE0EEEvSW_
; %bb.0:
	.section	.rodata,"a",@progbits
	.p2align	6, 0x0
	.amdhsa_kernel _ZN7rocprim17ROCPRIM_400000_NS6detail17trampoline_kernelINS0_14default_configENS1_29binary_search_config_selectorItiEEZNS1_14transform_implILb0ES3_S5_N6thrust23THRUST_200600_302600_NS6detail15normal_iteratorINS8_7pointerItNS8_11hip_rocprim5par_tENS8_11use_defaultESE_EEEENSA_INSB_IiSD_SE_SE_EEEEZNS1_13binary_searchIS3_S5_PtSG_SI_NS1_16binary_search_opENS9_16wrapped_functionINS8_6system6detail7generic6detail18binary_search_lessEbEEEE10hipError_tPvRmT1_T2_T3_mmT4_T5_P12ihipStream_tbEUlRKtE_EEST_SX_SY_mSZ_S12_bEUlT_E_NS1_11comp_targetILNS1_3genE4ELNS1_11target_archE910ELNS1_3gpuE8ELNS1_3repE0EEENS1_30default_config_static_selectorELNS0_4arch9wavefront6targetE0EEEvSW_
		.amdhsa_group_segment_fixed_size 0
		.amdhsa_private_segment_fixed_size 0
		.amdhsa_kernarg_size 56
		.amdhsa_user_sgpr_count 6
		.amdhsa_user_sgpr_private_segment_buffer 1
		.amdhsa_user_sgpr_dispatch_ptr 0
		.amdhsa_user_sgpr_queue_ptr 0
		.amdhsa_user_sgpr_kernarg_segment_ptr 1
		.amdhsa_user_sgpr_dispatch_id 0
		.amdhsa_user_sgpr_flat_scratch_init 0
		.amdhsa_user_sgpr_private_segment_size 0
		.amdhsa_wavefront_size32 1
		.amdhsa_uses_dynamic_stack 0
		.amdhsa_system_sgpr_private_segment_wavefront_offset 0
		.amdhsa_system_sgpr_workgroup_id_x 1
		.amdhsa_system_sgpr_workgroup_id_y 0
		.amdhsa_system_sgpr_workgroup_id_z 0
		.amdhsa_system_sgpr_workgroup_info 0
		.amdhsa_system_vgpr_workitem_id 0
		.amdhsa_next_free_vgpr 1
		.amdhsa_next_free_sgpr 1
		.amdhsa_reserve_vcc 0
		.amdhsa_reserve_flat_scratch 0
		.amdhsa_float_round_mode_32 0
		.amdhsa_float_round_mode_16_64 0
		.amdhsa_float_denorm_mode_32 3
		.amdhsa_float_denorm_mode_16_64 3
		.amdhsa_dx10_clamp 1
		.amdhsa_ieee_mode 1
		.amdhsa_fp16_overflow 0
		.amdhsa_workgroup_processor_mode 1
		.amdhsa_memory_ordered 1
		.amdhsa_forward_progress 1
		.amdhsa_shared_vgpr_count 0
		.amdhsa_exception_fp_ieee_invalid_op 0
		.amdhsa_exception_fp_denorm_src 0
		.amdhsa_exception_fp_ieee_div_zero 0
		.amdhsa_exception_fp_ieee_overflow 0
		.amdhsa_exception_fp_ieee_underflow 0
		.amdhsa_exception_fp_ieee_inexact 0
		.amdhsa_exception_int_div_zero 0
	.end_amdhsa_kernel
	.section	.text._ZN7rocprim17ROCPRIM_400000_NS6detail17trampoline_kernelINS0_14default_configENS1_29binary_search_config_selectorItiEEZNS1_14transform_implILb0ES3_S5_N6thrust23THRUST_200600_302600_NS6detail15normal_iteratorINS8_7pointerItNS8_11hip_rocprim5par_tENS8_11use_defaultESE_EEEENSA_INSB_IiSD_SE_SE_EEEEZNS1_13binary_searchIS3_S5_PtSG_SI_NS1_16binary_search_opENS9_16wrapped_functionINS8_6system6detail7generic6detail18binary_search_lessEbEEEE10hipError_tPvRmT1_T2_T3_mmT4_T5_P12ihipStream_tbEUlRKtE_EEST_SX_SY_mSZ_S12_bEUlT_E_NS1_11comp_targetILNS1_3genE4ELNS1_11target_archE910ELNS1_3gpuE8ELNS1_3repE0EEENS1_30default_config_static_selectorELNS0_4arch9wavefront6targetE0EEEvSW_,"axG",@progbits,_ZN7rocprim17ROCPRIM_400000_NS6detail17trampoline_kernelINS0_14default_configENS1_29binary_search_config_selectorItiEEZNS1_14transform_implILb0ES3_S5_N6thrust23THRUST_200600_302600_NS6detail15normal_iteratorINS8_7pointerItNS8_11hip_rocprim5par_tENS8_11use_defaultESE_EEEENSA_INSB_IiSD_SE_SE_EEEEZNS1_13binary_searchIS3_S5_PtSG_SI_NS1_16binary_search_opENS9_16wrapped_functionINS8_6system6detail7generic6detail18binary_search_lessEbEEEE10hipError_tPvRmT1_T2_T3_mmT4_T5_P12ihipStream_tbEUlRKtE_EEST_SX_SY_mSZ_S12_bEUlT_E_NS1_11comp_targetILNS1_3genE4ELNS1_11target_archE910ELNS1_3gpuE8ELNS1_3repE0EEENS1_30default_config_static_selectorELNS0_4arch9wavefront6targetE0EEEvSW_,comdat
.Lfunc_end285:
	.size	_ZN7rocprim17ROCPRIM_400000_NS6detail17trampoline_kernelINS0_14default_configENS1_29binary_search_config_selectorItiEEZNS1_14transform_implILb0ES3_S5_N6thrust23THRUST_200600_302600_NS6detail15normal_iteratorINS8_7pointerItNS8_11hip_rocprim5par_tENS8_11use_defaultESE_EEEENSA_INSB_IiSD_SE_SE_EEEEZNS1_13binary_searchIS3_S5_PtSG_SI_NS1_16binary_search_opENS9_16wrapped_functionINS8_6system6detail7generic6detail18binary_search_lessEbEEEE10hipError_tPvRmT1_T2_T3_mmT4_T5_P12ihipStream_tbEUlRKtE_EEST_SX_SY_mSZ_S12_bEUlT_E_NS1_11comp_targetILNS1_3genE4ELNS1_11target_archE910ELNS1_3gpuE8ELNS1_3repE0EEENS1_30default_config_static_selectorELNS0_4arch9wavefront6targetE0EEEvSW_, .Lfunc_end285-_ZN7rocprim17ROCPRIM_400000_NS6detail17trampoline_kernelINS0_14default_configENS1_29binary_search_config_selectorItiEEZNS1_14transform_implILb0ES3_S5_N6thrust23THRUST_200600_302600_NS6detail15normal_iteratorINS8_7pointerItNS8_11hip_rocprim5par_tENS8_11use_defaultESE_EEEENSA_INSB_IiSD_SE_SE_EEEEZNS1_13binary_searchIS3_S5_PtSG_SI_NS1_16binary_search_opENS9_16wrapped_functionINS8_6system6detail7generic6detail18binary_search_lessEbEEEE10hipError_tPvRmT1_T2_T3_mmT4_T5_P12ihipStream_tbEUlRKtE_EEST_SX_SY_mSZ_S12_bEUlT_E_NS1_11comp_targetILNS1_3genE4ELNS1_11target_archE910ELNS1_3gpuE8ELNS1_3repE0EEENS1_30default_config_static_selectorELNS0_4arch9wavefront6targetE0EEEvSW_
                                        ; -- End function
	.set _ZN7rocprim17ROCPRIM_400000_NS6detail17trampoline_kernelINS0_14default_configENS1_29binary_search_config_selectorItiEEZNS1_14transform_implILb0ES3_S5_N6thrust23THRUST_200600_302600_NS6detail15normal_iteratorINS8_7pointerItNS8_11hip_rocprim5par_tENS8_11use_defaultESE_EEEENSA_INSB_IiSD_SE_SE_EEEEZNS1_13binary_searchIS3_S5_PtSG_SI_NS1_16binary_search_opENS9_16wrapped_functionINS8_6system6detail7generic6detail18binary_search_lessEbEEEE10hipError_tPvRmT1_T2_T3_mmT4_T5_P12ihipStream_tbEUlRKtE_EEST_SX_SY_mSZ_S12_bEUlT_E_NS1_11comp_targetILNS1_3genE4ELNS1_11target_archE910ELNS1_3gpuE8ELNS1_3repE0EEENS1_30default_config_static_selectorELNS0_4arch9wavefront6targetE0EEEvSW_.num_vgpr, 0
	.set _ZN7rocprim17ROCPRIM_400000_NS6detail17trampoline_kernelINS0_14default_configENS1_29binary_search_config_selectorItiEEZNS1_14transform_implILb0ES3_S5_N6thrust23THRUST_200600_302600_NS6detail15normal_iteratorINS8_7pointerItNS8_11hip_rocprim5par_tENS8_11use_defaultESE_EEEENSA_INSB_IiSD_SE_SE_EEEEZNS1_13binary_searchIS3_S5_PtSG_SI_NS1_16binary_search_opENS9_16wrapped_functionINS8_6system6detail7generic6detail18binary_search_lessEbEEEE10hipError_tPvRmT1_T2_T3_mmT4_T5_P12ihipStream_tbEUlRKtE_EEST_SX_SY_mSZ_S12_bEUlT_E_NS1_11comp_targetILNS1_3genE4ELNS1_11target_archE910ELNS1_3gpuE8ELNS1_3repE0EEENS1_30default_config_static_selectorELNS0_4arch9wavefront6targetE0EEEvSW_.num_agpr, 0
	.set _ZN7rocprim17ROCPRIM_400000_NS6detail17trampoline_kernelINS0_14default_configENS1_29binary_search_config_selectorItiEEZNS1_14transform_implILb0ES3_S5_N6thrust23THRUST_200600_302600_NS6detail15normal_iteratorINS8_7pointerItNS8_11hip_rocprim5par_tENS8_11use_defaultESE_EEEENSA_INSB_IiSD_SE_SE_EEEEZNS1_13binary_searchIS3_S5_PtSG_SI_NS1_16binary_search_opENS9_16wrapped_functionINS8_6system6detail7generic6detail18binary_search_lessEbEEEE10hipError_tPvRmT1_T2_T3_mmT4_T5_P12ihipStream_tbEUlRKtE_EEST_SX_SY_mSZ_S12_bEUlT_E_NS1_11comp_targetILNS1_3genE4ELNS1_11target_archE910ELNS1_3gpuE8ELNS1_3repE0EEENS1_30default_config_static_selectorELNS0_4arch9wavefront6targetE0EEEvSW_.numbered_sgpr, 0
	.set _ZN7rocprim17ROCPRIM_400000_NS6detail17trampoline_kernelINS0_14default_configENS1_29binary_search_config_selectorItiEEZNS1_14transform_implILb0ES3_S5_N6thrust23THRUST_200600_302600_NS6detail15normal_iteratorINS8_7pointerItNS8_11hip_rocprim5par_tENS8_11use_defaultESE_EEEENSA_INSB_IiSD_SE_SE_EEEEZNS1_13binary_searchIS3_S5_PtSG_SI_NS1_16binary_search_opENS9_16wrapped_functionINS8_6system6detail7generic6detail18binary_search_lessEbEEEE10hipError_tPvRmT1_T2_T3_mmT4_T5_P12ihipStream_tbEUlRKtE_EEST_SX_SY_mSZ_S12_bEUlT_E_NS1_11comp_targetILNS1_3genE4ELNS1_11target_archE910ELNS1_3gpuE8ELNS1_3repE0EEENS1_30default_config_static_selectorELNS0_4arch9wavefront6targetE0EEEvSW_.num_named_barrier, 0
	.set _ZN7rocprim17ROCPRIM_400000_NS6detail17trampoline_kernelINS0_14default_configENS1_29binary_search_config_selectorItiEEZNS1_14transform_implILb0ES3_S5_N6thrust23THRUST_200600_302600_NS6detail15normal_iteratorINS8_7pointerItNS8_11hip_rocprim5par_tENS8_11use_defaultESE_EEEENSA_INSB_IiSD_SE_SE_EEEEZNS1_13binary_searchIS3_S5_PtSG_SI_NS1_16binary_search_opENS9_16wrapped_functionINS8_6system6detail7generic6detail18binary_search_lessEbEEEE10hipError_tPvRmT1_T2_T3_mmT4_T5_P12ihipStream_tbEUlRKtE_EEST_SX_SY_mSZ_S12_bEUlT_E_NS1_11comp_targetILNS1_3genE4ELNS1_11target_archE910ELNS1_3gpuE8ELNS1_3repE0EEENS1_30default_config_static_selectorELNS0_4arch9wavefront6targetE0EEEvSW_.private_seg_size, 0
	.set _ZN7rocprim17ROCPRIM_400000_NS6detail17trampoline_kernelINS0_14default_configENS1_29binary_search_config_selectorItiEEZNS1_14transform_implILb0ES3_S5_N6thrust23THRUST_200600_302600_NS6detail15normal_iteratorINS8_7pointerItNS8_11hip_rocprim5par_tENS8_11use_defaultESE_EEEENSA_INSB_IiSD_SE_SE_EEEEZNS1_13binary_searchIS3_S5_PtSG_SI_NS1_16binary_search_opENS9_16wrapped_functionINS8_6system6detail7generic6detail18binary_search_lessEbEEEE10hipError_tPvRmT1_T2_T3_mmT4_T5_P12ihipStream_tbEUlRKtE_EEST_SX_SY_mSZ_S12_bEUlT_E_NS1_11comp_targetILNS1_3genE4ELNS1_11target_archE910ELNS1_3gpuE8ELNS1_3repE0EEENS1_30default_config_static_selectorELNS0_4arch9wavefront6targetE0EEEvSW_.uses_vcc, 0
	.set _ZN7rocprim17ROCPRIM_400000_NS6detail17trampoline_kernelINS0_14default_configENS1_29binary_search_config_selectorItiEEZNS1_14transform_implILb0ES3_S5_N6thrust23THRUST_200600_302600_NS6detail15normal_iteratorINS8_7pointerItNS8_11hip_rocprim5par_tENS8_11use_defaultESE_EEEENSA_INSB_IiSD_SE_SE_EEEEZNS1_13binary_searchIS3_S5_PtSG_SI_NS1_16binary_search_opENS9_16wrapped_functionINS8_6system6detail7generic6detail18binary_search_lessEbEEEE10hipError_tPvRmT1_T2_T3_mmT4_T5_P12ihipStream_tbEUlRKtE_EEST_SX_SY_mSZ_S12_bEUlT_E_NS1_11comp_targetILNS1_3genE4ELNS1_11target_archE910ELNS1_3gpuE8ELNS1_3repE0EEENS1_30default_config_static_selectorELNS0_4arch9wavefront6targetE0EEEvSW_.uses_flat_scratch, 0
	.set _ZN7rocprim17ROCPRIM_400000_NS6detail17trampoline_kernelINS0_14default_configENS1_29binary_search_config_selectorItiEEZNS1_14transform_implILb0ES3_S5_N6thrust23THRUST_200600_302600_NS6detail15normal_iteratorINS8_7pointerItNS8_11hip_rocprim5par_tENS8_11use_defaultESE_EEEENSA_INSB_IiSD_SE_SE_EEEEZNS1_13binary_searchIS3_S5_PtSG_SI_NS1_16binary_search_opENS9_16wrapped_functionINS8_6system6detail7generic6detail18binary_search_lessEbEEEE10hipError_tPvRmT1_T2_T3_mmT4_T5_P12ihipStream_tbEUlRKtE_EEST_SX_SY_mSZ_S12_bEUlT_E_NS1_11comp_targetILNS1_3genE4ELNS1_11target_archE910ELNS1_3gpuE8ELNS1_3repE0EEENS1_30default_config_static_selectorELNS0_4arch9wavefront6targetE0EEEvSW_.has_dyn_sized_stack, 0
	.set _ZN7rocprim17ROCPRIM_400000_NS6detail17trampoline_kernelINS0_14default_configENS1_29binary_search_config_selectorItiEEZNS1_14transform_implILb0ES3_S5_N6thrust23THRUST_200600_302600_NS6detail15normal_iteratorINS8_7pointerItNS8_11hip_rocprim5par_tENS8_11use_defaultESE_EEEENSA_INSB_IiSD_SE_SE_EEEEZNS1_13binary_searchIS3_S5_PtSG_SI_NS1_16binary_search_opENS9_16wrapped_functionINS8_6system6detail7generic6detail18binary_search_lessEbEEEE10hipError_tPvRmT1_T2_T3_mmT4_T5_P12ihipStream_tbEUlRKtE_EEST_SX_SY_mSZ_S12_bEUlT_E_NS1_11comp_targetILNS1_3genE4ELNS1_11target_archE910ELNS1_3gpuE8ELNS1_3repE0EEENS1_30default_config_static_selectorELNS0_4arch9wavefront6targetE0EEEvSW_.has_recursion, 0
	.set _ZN7rocprim17ROCPRIM_400000_NS6detail17trampoline_kernelINS0_14default_configENS1_29binary_search_config_selectorItiEEZNS1_14transform_implILb0ES3_S5_N6thrust23THRUST_200600_302600_NS6detail15normal_iteratorINS8_7pointerItNS8_11hip_rocprim5par_tENS8_11use_defaultESE_EEEENSA_INSB_IiSD_SE_SE_EEEEZNS1_13binary_searchIS3_S5_PtSG_SI_NS1_16binary_search_opENS9_16wrapped_functionINS8_6system6detail7generic6detail18binary_search_lessEbEEEE10hipError_tPvRmT1_T2_T3_mmT4_T5_P12ihipStream_tbEUlRKtE_EEST_SX_SY_mSZ_S12_bEUlT_E_NS1_11comp_targetILNS1_3genE4ELNS1_11target_archE910ELNS1_3gpuE8ELNS1_3repE0EEENS1_30default_config_static_selectorELNS0_4arch9wavefront6targetE0EEEvSW_.has_indirect_call, 0
	.section	.AMDGPU.csdata,"",@progbits
; Kernel info:
; codeLenInByte = 0
; TotalNumSgprs: 0
; NumVgprs: 0
; ScratchSize: 0
; MemoryBound: 0
; FloatMode: 240
; IeeeMode: 1
; LDSByteSize: 0 bytes/workgroup (compile time only)
; SGPRBlocks: 0
; VGPRBlocks: 0
; NumSGPRsForWavesPerEU: 1
; NumVGPRsForWavesPerEU: 1
; Occupancy: 16
; WaveLimiterHint : 0
; COMPUTE_PGM_RSRC2:SCRATCH_EN: 0
; COMPUTE_PGM_RSRC2:USER_SGPR: 6
; COMPUTE_PGM_RSRC2:TRAP_HANDLER: 0
; COMPUTE_PGM_RSRC2:TGID_X_EN: 1
; COMPUTE_PGM_RSRC2:TGID_Y_EN: 0
; COMPUTE_PGM_RSRC2:TGID_Z_EN: 0
; COMPUTE_PGM_RSRC2:TIDIG_COMP_CNT: 0
	.section	.text._ZN7rocprim17ROCPRIM_400000_NS6detail17trampoline_kernelINS0_14default_configENS1_29binary_search_config_selectorItiEEZNS1_14transform_implILb0ES3_S5_N6thrust23THRUST_200600_302600_NS6detail15normal_iteratorINS8_7pointerItNS8_11hip_rocprim5par_tENS8_11use_defaultESE_EEEENSA_INSB_IiSD_SE_SE_EEEEZNS1_13binary_searchIS3_S5_PtSG_SI_NS1_16binary_search_opENS9_16wrapped_functionINS8_6system6detail7generic6detail18binary_search_lessEbEEEE10hipError_tPvRmT1_T2_T3_mmT4_T5_P12ihipStream_tbEUlRKtE_EEST_SX_SY_mSZ_S12_bEUlT_E_NS1_11comp_targetILNS1_3genE3ELNS1_11target_archE908ELNS1_3gpuE7ELNS1_3repE0EEENS1_30default_config_static_selectorELNS0_4arch9wavefront6targetE0EEEvSW_,"axG",@progbits,_ZN7rocprim17ROCPRIM_400000_NS6detail17trampoline_kernelINS0_14default_configENS1_29binary_search_config_selectorItiEEZNS1_14transform_implILb0ES3_S5_N6thrust23THRUST_200600_302600_NS6detail15normal_iteratorINS8_7pointerItNS8_11hip_rocprim5par_tENS8_11use_defaultESE_EEEENSA_INSB_IiSD_SE_SE_EEEEZNS1_13binary_searchIS3_S5_PtSG_SI_NS1_16binary_search_opENS9_16wrapped_functionINS8_6system6detail7generic6detail18binary_search_lessEbEEEE10hipError_tPvRmT1_T2_T3_mmT4_T5_P12ihipStream_tbEUlRKtE_EEST_SX_SY_mSZ_S12_bEUlT_E_NS1_11comp_targetILNS1_3genE3ELNS1_11target_archE908ELNS1_3gpuE7ELNS1_3repE0EEENS1_30default_config_static_selectorELNS0_4arch9wavefront6targetE0EEEvSW_,comdat
	.protected	_ZN7rocprim17ROCPRIM_400000_NS6detail17trampoline_kernelINS0_14default_configENS1_29binary_search_config_selectorItiEEZNS1_14transform_implILb0ES3_S5_N6thrust23THRUST_200600_302600_NS6detail15normal_iteratorINS8_7pointerItNS8_11hip_rocprim5par_tENS8_11use_defaultESE_EEEENSA_INSB_IiSD_SE_SE_EEEEZNS1_13binary_searchIS3_S5_PtSG_SI_NS1_16binary_search_opENS9_16wrapped_functionINS8_6system6detail7generic6detail18binary_search_lessEbEEEE10hipError_tPvRmT1_T2_T3_mmT4_T5_P12ihipStream_tbEUlRKtE_EEST_SX_SY_mSZ_S12_bEUlT_E_NS1_11comp_targetILNS1_3genE3ELNS1_11target_archE908ELNS1_3gpuE7ELNS1_3repE0EEENS1_30default_config_static_selectorELNS0_4arch9wavefront6targetE0EEEvSW_ ; -- Begin function _ZN7rocprim17ROCPRIM_400000_NS6detail17trampoline_kernelINS0_14default_configENS1_29binary_search_config_selectorItiEEZNS1_14transform_implILb0ES3_S5_N6thrust23THRUST_200600_302600_NS6detail15normal_iteratorINS8_7pointerItNS8_11hip_rocprim5par_tENS8_11use_defaultESE_EEEENSA_INSB_IiSD_SE_SE_EEEEZNS1_13binary_searchIS3_S5_PtSG_SI_NS1_16binary_search_opENS9_16wrapped_functionINS8_6system6detail7generic6detail18binary_search_lessEbEEEE10hipError_tPvRmT1_T2_T3_mmT4_T5_P12ihipStream_tbEUlRKtE_EEST_SX_SY_mSZ_S12_bEUlT_E_NS1_11comp_targetILNS1_3genE3ELNS1_11target_archE908ELNS1_3gpuE7ELNS1_3repE0EEENS1_30default_config_static_selectorELNS0_4arch9wavefront6targetE0EEEvSW_
	.globl	_ZN7rocprim17ROCPRIM_400000_NS6detail17trampoline_kernelINS0_14default_configENS1_29binary_search_config_selectorItiEEZNS1_14transform_implILb0ES3_S5_N6thrust23THRUST_200600_302600_NS6detail15normal_iteratorINS8_7pointerItNS8_11hip_rocprim5par_tENS8_11use_defaultESE_EEEENSA_INSB_IiSD_SE_SE_EEEEZNS1_13binary_searchIS3_S5_PtSG_SI_NS1_16binary_search_opENS9_16wrapped_functionINS8_6system6detail7generic6detail18binary_search_lessEbEEEE10hipError_tPvRmT1_T2_T3_mmT4_T5_P12ihipStream_tbEUlRKtE_EEST_SX_SY_mSZ_S12_bEUlT_E_NS1_11comp_targetILNS1_3genE3ELNS1_11target_archE908ELNS1_3gpuE7ELNS1_3repE0EEENS1_30default_config_static_selectorELNS0_4arch9wavefront6targetE0EEEvSW_
	.p2align	8
	.type	_ZN7rocprim17ROCPRIM_400000_NS6detail17trampoline_kernelINS0_14default_configENS1_29binary_search_config_selectorItiEEZNS1_14transform_implILb0ES3_S5_N6thrust23THRUST_200600_302600_NS6detail15normal_iteratorINS8_7pointerItNS8_11hip_rocprim5par_tENS8_11use_defaultESE_EEEENSA_INSB_IiSD_SE_SE_EEEEZNS1_13binary_searchIS3_S5_PtSG_SI_NS1_16binary_search_opENS9_16wrapped_functionINS8_6system6detail7generic6detail18binary_search_lessEbEEEE10hipError_tPvRmT1_T2_T3_mmT4_T5_P12ihipStream_tbEUlRKtE_EEST_SX_SY_mSZ_S12_bEUlT_E_NS1_11comp_targetILNS1_3genE3ELNS1_11target_archE908ELNS1_3gpuE7ELNS1_3repE0EEENS1_30default_config_static_selectorELNS0_4arch9wavefront6targetE0EEEvSW_,@function
_ZN7rocprim17ROCPRIM_400000_NS6detail17trampoline_kernelINS0_14default_configENS1_29binary_search_config_selectorItiEEZNS1_14transform_implILb0ES3_S5_N6thrust23THRUST_200600_302600_NS6detail15normal_iteratorINS8_7pointerItNS8_11hip_rocprim5par_tENS8_11use_defaultESE_EEEENSA_INSB_IiSD_SE_SE_EEEEZNS1_13binary_searchIS3_S5_PtSG_SI_NS1_16binary_search_opENS9_16wrapped_functionINS8_6system6detail7generic6detail18binary_search_lessEbEEEE10hipError_tPvRmT1_T2_T3_mmT4_T5_P12ihipStream_tbEUlRKtE_EEST_SX_SY_mSZ_S12_bEUlT_E_NS1_11comp_targetILNS1_3genE3ELNS1_11target_archE908ELNS1_3gpuE7ELNS1_3repE0EEENS1_30default_config_static_selectorELNS0_4arch9wavefront6targetE0EEEvSW_: ; @_ZN7rocprim17ROCPRIM_400000_NS6detail17trampoline_kernelINS0_14default_configENS1_29binary_search_config_selectorItiEEZNS1_14transform_implILb0ES3_S5_N6thrust23THRUST_200600_302600_NS6detail15normal_iteratorINS8_7pointerItNS8_11hip_rocprim5par_tENS8_11use_defaultESE_EEEENSA_INSB_IiSD_SE_SE_EEEEZNS1_13binary_searchIS3_S5_PtSG_SI_NS1_16binary_search_opENS9_16wrapped_functionINS8_6system6detail7generic6detail18binary_search_lessEbEEEE10hipError_tPvRmT1_T2_T3_mmT4_T5_P12ihipStream_tbEUlRKtE_EEST_SX_SY_mSZ_S12_bEUlT_E_NS1_11comp_targetILNS1_3genE3ELNS1_11target_archE908ELNS1_3gpuE7ELNS1_3repE0EEENS1_30default_config_static_selectorELNS0_4arch9wavefront6targetE0EEEvSW_
; %bb.0:
	.section	.rodata,"a",@progbits
	.p2align	6, 0x0
	.amdhsa_kernel _ZN7rocprim17ROCPRIM_400000_NS6detail17trampoline_kernelINS0_14default_configENS1_29binary_search_config_selectorItiEEZNS1_14transform_implILb0ES3_S5_N6thrust23THRUST_200600_302600_NS6detail15normal_iteratorINS8_7pointerItNS8_11hip_rocprim5par_tENS8_11use_defaultESE_EEEENSA_INSB_IiSD_SE_SE_EEEEZNS1_13binary_searchIS3_S5_PtSG_SI_NS1_16binary_search_opENS9_16wrapped_functionINS8_6system6detail7generic6detail18binary_search_lessEbEEEE10hipError_tPvRmT1_T2_T3_mmT4_T5_P12ihipStream_tbEUlRKtE_EEST_SX_SY_mSZ_S12_bEUlT_E_NS1_11comp_targetILNS1_3genE3ELNS1_11target_archE908ELNS1_3gpuE7ELNS1_3repE0EEENS1_30default_config_static_selectorELNS0_4arch9wavefront6targetE0EEEvSW_
		.amdhsa_group_segment_fixed_size 0
		.amdhsa_private_segment_fixed_size 0
		.amdhsa_kernarg_size 56
		.amdhsa_user_sgpr_count 6
		.amdhsa_user_sgpr_private_segment_buffer 1
		.amdhsa_user_sgpr_dispatch_ptr 0
		.amdhsa_user_sgpr_queue_ptr 0
		.amdhsa_user_sgpr_kernarg_segment_ptr 1
		.amdhsa_user_sgpr_dispatch_id 0
		.amdhsa_user_sgpr_flat_scratch_init 0
		.amdhsa_user_sgpr_private_segment_size 0
		.amdhsa_wavefront_size32 1
		.amdhsa_uses_dynamic_stack 0
		.amdhsa_system_sgpr_private_segment_wavefront_offset 0
		.amdhsa_system_sgpr_workgroup_id_x 1
		.amdhsa_system_sgpr_workgroup_id_y 0
		.amdhsa_system_sgpr_workgroup_id_z 0
		.amdhsa_system_sgpr_workgroup_info 0
		.amdhsa_system_vgpr_workitem_id 0
		.amdhsa_next_free_vgpr 1
		.amdhsa_next_free_sgpr 1
		.amdhsa_reserve_vcc 0
		.amdhsa_reserve_flat_scratch 0
		.amdhsa_float_round_mode_32 0
		.amdhsa_float_round_mode_16_64 0
		.amdhsa_float_denorm_mode_32 3
		.amdhsa_float_denorm_mode_16_64 3
		.amdhsa_dx10_clamp 1
		.amdhsa_ieee_mode 1
		.amdhsa_fp16_overflow 0
		.amdhsa_workgroup_processor_mode 1
		.amdhsa_memory_ordered 1
		.amdhsa_forward_progress 1
		.amdhsa_shared_vgpr_count 0
		.amdhsa_exception_fp_ieee_invalid_op 0
		.amdhsa_exception_fp_denorm_src 0
		.amdhsa_exception_fp_ieee_div_zero 0
		.amdhsa_exception_fp_ieee_overflow 0
		.amdhsa_exception_fp_ieee_underflow 0
		.amdhsa_exception_fp_ieee_inexact 0
		.amdhsa_exception_int_div_zero 0
	.end_amdhsa_kernel
	.section	.text._ZN7rocprim17ROCPRIM_400000_NS6detail17trampoline_kernelINS0_14default_configENS1_29binary_search_config_selectorItiEEZNS1_14transform_implILb0ES3_S5_N6thrust23THRUST_200600_302600_NS6detail15normal_iteratorINS8_7pointerItNS8_11hip_rocprim5par_tENS8_11use_defaultESE_EEEENSA_INSB_IiSD_SE_SE_EEEEZNS1_13binary_searchIS3_S5_PtSG_SI_NS1_16binary_search_opENS9_16wrapped_functionINS8_6system6detail7generic6detail18binary_search_lessEbEEEE10hipError_tPvRmT1_T2_T3_mmT4_T5_P12ihipStream_tbEUlRKtE_EEST_SX_SY_mSZ_S12_bEUlT_E_NS1_11comp_targetILNS1_3genE3ELNS1_11target_archE908ELNS1_3gpuE7ELNS1_3repE0EEENS1_30default_config_static_selectorELNS0_4arch9wavefront6targetE0EEEvSW_,"axG",@progbits,_ZN7rocprim17ROCPRIM_400000_NS6detail17trampoline_kernelINS0_14default_configENS1_29binary_search_config_selectorItiEEZNS1_14transform_implILb0ES3_S5_N6thrust23THRUST_200600_302600_NS6detail15normal_iteratorINS8_7pointerItNS8_11hip_rocprim5par_tENS8_11use_defaultESE_EEEENSA_INSB_IiSD_SE_SE_EEEEZNS1_13binary_searchIS3_S5_PtSG_SI_NS1_16binary_search_opENS9_16wrapped_functionINS8_6system6detail7generic6detail18binary_search_lessEbEEEE10hipError_tPvRmT1_T2_T3_mmT4_T5_P12ihipStream_tbEUlRKtE_EEST_SX_SY_mSZ_S12_bEUlT_E_NS1_11comp_targetILNS1_3genE3ELNS1_11target_archE908ELNS1_3gpuE7ELNS1_3repE0EEENS1_30default_config_static_selectorELNS0_4arch9wavefront6targetE0EEEvSW_,comdat
.Lfunc_end286:
	.size	_ZN7rocprim17ROCPRIM_400000_NS6detail17trampoline_kernelINS0_14default_configENS1_29binary_search_config_selectorItiEEZNS1_14transform_implILb0ES3_S5_N6thrust23THRUST_200600_302600_NS6detail15normal_iteratorINS8_7pointerItNS8_11hip_rocprim5par_tENS8_11use_defaultESE_EEEENSA_INSB_IiSD_SE_SE_EEEEZNS1_13binary_searchIS3_S5_PtSG_SI_NS1_16binary_search_opENS9_16wrapped_functionINS8_6system6detail7generic6detail18binary_search_lessEbEEEE10hipError_tPvRmT1_T2_T3_mmT4_T5_P12ihipStream_tbEUlRKtE_EEST_SX_SY_mSZ_S12_bEUlT_E_NS1_11comp_targetILNS1_3genE3ELNS1_11target_archE908ELNS1_3gpuE7ELNS1_3repE0EEENS1_30default_config_static_selectorELNS0_4arch9wavefront6targetE0EEEvSW_, .Lfunc_end286-_ZN7rocprim17ROCPRIM_400000_NS6detail17trampoline_kernelINS0_14default_configENS1_29binary_search_config_selectorItiEEZNS1_14transform_implILb0ES3_S5_N6thrust23THRUST_200600_302600_NS6detail15normal_iteratorINS8_7pointerItNS8_11hip_rocprim5par_tENS8_11use_defaultESE_EEEENSA_INSB_IiSD_SE_SE_EEEEZNS1_13binary_searchIS3_S5_PtSG_SI_NS1_16binary_search_opENS9_16wrapped_functionINS8_6system6detail7generic6detail18binary_search_lessEbEEEE10hipError_tPvRmT1_T2_T3_mmT4_T5_P12ihipStream_tbEUlRKtE_EEST_SX_SY_mSZ_S12_bEUlT_E_NS1_11comp_targetILNS1_3genE3ELNS1_11target_archE908ELNS1_3gpuE7ELNS1_3repE0EEENS1_30default_config_static_selectorELNS0_4arch9wavefront6targetE0EEEvSW_
                                        ; -- End function
	.set _ZN7rocprim17ROCPRIM_400000_NS6detail17trampoline_kernelINS0_14default_configENS1_29binary_search_config_selectorItiEEZNS1_14transform_implILb0ES3_S5_N6thrust23THRUST_200600_302600_NS6detail15normal_iteratorINS8_7pointerItNS8_11hip_rocprim5par_tENS8_11use_defaultESE_EEEENSA_INSB_IiSD_SE_SE_EEEEZNS1_13binary_searchIS3_S5_PtSG_SI_NS1_16binary_search_opENS9_16wrapped_functionINS8_6system6detail7generic6detail18binary_search_lessEbEEEE10hipError_tPvRmT1_T2_T3_mmT4_T5_P12ihipStream_tbEUlRKtE_EEST_SX_SY_mSZ_S12_bEUlT_E_NS1_11comp_targetILNS1_3genE3ELNS1_11target_archE908ELNS1_3gpuE7ELNS1_3repE0EEENS1_30default_config_static_selectorELNS0_4arch9wavefront6targetE0EEEvSW_.num_vgpr, 0
	.set _ZN7rocprim17ROCPRIM_400000_NS6detail17trampoline_kernelINS0_14default_configENS1_29binary_search_config_selectorItiEEZNS1_14transform_implILb0ES3_S5_N6thrust23THRUST_200600_302600_NS6detail15normal_iteratorINS8_7pointerItNS8_11hip_rocprim5par_tENS8_11use_defaultESE_EEEENSA_INSB_IiSD_SE_SE_EEEEZNS1_13binary_searchIS3_S5_PtSG_SI_NS1_16binary_search_opENS9_16wrapped_functionINS8_6system6detail7generic6detail18binary_search_lessEbEEEE10hipError_tPvRmT1_T2_T3_mmT4_T5_P12ihipStream_tbEUlRKtE_EEST_SX_SY_mSZ_S12_bEUlT_E_NS1_11comp_targetILNS1_3genE3ELNS1_11target_archE908ELNS1_3gpuE7ELNS1_3repE0EEENS1_30default_config_static_selectorELNS0_4arch9wavefront6targetE0EEEvSW_.num_agpr, 0
	.set _ZN7rocprim17ROCPRIM_400000_NS6detail17trampoline_kernelINS0_14default_configENS1_29binary_search_config_selectorItiEEZNS1_14transform_implILb0ES3_S5_N6thrust23THRUST_200600_302600_NS6detail15normal_iteratorINS8_7pointerItNS8_11hip_rocprim5par_tENS8_11use_defaultESE_EEEENSA_INSB_IiSD_SE_SE_EEEEZNS1_13binary_searchIS3_S5_PtSG_SI_NS1_16binary_search_opENS9_16wrapped_functionINS8_6system6detail7generic6detail18binary_search_lessEbEEEE10hipError_tPvRmT1_T2_T3_mmT4_T5_P12ihipStream_tbEUlRKtE_EEST_SX_SY_mSZ_S12_bEUlT_E_NS1_11comp_targetILNS1_3genE3ELNS1_11target_archE908ELNS1_3gpuE7ELNS1_3repE0EEENS1_30default_config_static_selectorELNS0_4arch9wavefront6targetE0EEEvSW_.numbered_sgpr, 0
	.set _ZN7rocprim17ROCPRIM_400000_NS6detail17trampoline_kernelINS0_14default_configENS1_29binary_search_config_selectorItiEEZNS1_14transform_implILb0ES3_S5_N6thrust23THRUST_200600_302600_NS6detail15normal_iteratorINS8_7pointerItNS8_11hip_rocprim5par_tENS8_11use_defaultESE_EEEENSA_INSB_IiSD_SE_SE_EEEEZNS1_13binary_searchIS3_S5_PtSG_SI_NS1_16binary_search_opENS9_16wrapped_functionINS8_6system6detail7generic6detail18binary_search_lessEbEEEE10hipError_tPvRmT1_T2_T3_mmT4_T5_P12ihipStream_tbEUlRKtE_EEST_SX_SY_mSZ_S12_bEUlT_E_NS1_11comp_targetILNS1_3genE3ELNS1_11target_archE908ELNS1_3gpuE7ELNS1_3repE0EEENS1_30default_config_static_selectorELNS0_4arch9wavefront6targetE0EEEvSW_.num_named_barrier, 0
	.set _ZN7rocprim17ROCPRIM_400000_NS6detail17trampoline_kernelINS0_14default_configENS1_29binary_search_config_selectorItiEEZNS1_14transform_implILb0ES3_S5_N6thrust23THRUST_200600_302600_NS6detail15normal_iteratorINS8_7pointerItNS8_11hip_rocprim5par_tENS8_11use_defaultESE_EEEENSA_INSB_IiSD_SE_SE_EEEEZNS1_13binary_searchIS3_S5_PtSG_SI_NS1_16binary_search_opENS9_16wrapped_functionINS8_6system6detail7generic6detail18binary_search_lessEbEEEE10hipError_tPvRmT1_T2_T3_mmT4_T5_P12ihipStream_tbEUlRKtE_EEST_SX_SY_mSZ_S12_bEUlT_E_NS1_11comp_targetILNS1_3genE3ELNS1_11target_archE908ELNS1_3gpuE7ELNS1_3repE0EEENS1_30default_config_static_selectorELNS0_4arch9wavefront6targetE0EEEvSW_.private_seg_size, 0
	.set _ZN7rocprim17ROCPRIM_400000_NS6detail17trampoline_kernelINS0_14default_configENS1_29binary_search_config_selectorItiEEZNS1_14transform_implILb0ES3_S5_N6thrust23THRUST_200600_302600_NS6detail15normal_iteratorINS8_7pointerItNS8_11hip_rocprim5par_tENS8_11use_defaultESE_EEEENSA_INSB_IiSD_SE_SE_EEEEZNS1_13binary_searchIS3_S5_PtSG_SI_NS1_16binary_search_opENS9_16wrapped_functionINS8_6system6detail7generic6detail18binary_search_lessEbEEEE10hipError_tPvRmT1_T2_T3_mmT4_T5_P12ihipStream_tbEUlRKtE_EEST_SX_SY_mSZ_S12_bEUlT_E_NS1_11comp_targetILNS1_3genE3ELNS1_11target_archE908ELNS1_3gpuE7ELNS1_3repE0EEENS1_30default_config_static_selectorELNS0_4arch9wavefront6targetE0EEEvSW_.uses_vcc, 0
	.set _ZN7rocprim17ROCPRIM_400000_NS6detail17trampoline_kernelINS0_14default_configENS1_29binary_search_config_selectorItiEEZNS1_14transform_implILb0ES3_S5_N6thrust23THRUST_200600_302600_NS6detail15normal_iteratorINS8_7pointerItNS8_11hip_rocprim5par_tENS8_11use_defaultESE_EEEENSA_INSB_IiSD_SE_SE_EEEEZNS1_13binary_searchIS3_S5_PtSG_SI_NS1_16binary_search_opENS9_16wrapped_functionINS8_6system6detail7generic6detail18binary_search_lessEbEEEE10hipError_tPvRmT1_T2_T3_mmT4_T5_P12ihipStream_tbEUlRKtE_EEST_SX_SY_mSZ_S12_bEUlT_E_NS1_11comp_targetILNS1_3genE3ELNS1_11target_archE908ELNS1_3gpuE7ELNS1_3repE0EEENS1_30default_config_static_selectorELNS0_4arch9wavefront6targetE0EEEvSW_.uses_flat_scratch, 0
	.set _ZN7rocprim17ROCPRIM_400000_NS6detail17trampoline_kernelINS0_14default_configENS1_29binary_search_config_selectorItiEEZNS1_14transform_implILb0ES3_S5_N6thrust23THRUST_200600_302600_NS6detail15normal_iteratorINS8_7pointerItNS8_11hip_rocprim5par_tENS8_11use_defaultESE_EEEENSA_INSB_IiSD_SE_SE_EEEEZNS1_13binary_searchIS3_S5_PtSG_SI_NS1_16binary_search_opENS9_16wrapped_functionINS8_6system6detail7generic6detail18binary_search_lessEbEEEE10hipError_tPvRmT1_T2_T3_mmT4_T5_P12ihipStream_tbEUlRKtE_EEST_SX_SY_mSZ_S12_bEUlT_E_NS1_11comp_targetILNS1_3genE3ELNS1_11target_archE908ELNS1_3gpuE7ELNS1_3repE0EEENS1_30default_config_static_selectorELNS0_4arch9wavefront6targetE0EEEvSW_.has_dyn_sized_stack, 0
	.set _ZN7rocprim17ROCPRIM_400000_NS6detail17trampoline_kernelINS0_14default_configENS1_29binary_search_config_selectorItiEEZNS1_14transform_implILb0ES3_S5_N6thrust23THRUST_200600_302600_NS6detail15normal_iteratorINS8_7pointerItNS8_11hip_rocprim5par_tENS8_11use_defaultESE_EEEENSA_INSB_IiSD_SE_SE_EEEEZNS1_13binary_searchIS3_S5_PtSG_SI_NS1_16binary_search_opENS9_16wrapped_functionINS8_6system6detail7generic6detail18binary_search_lessEbEEEE10hipError_tPvRmT1_T2_T3_mmT4_T5_P12ihipStream_tbEUlRKtE_EEST_SX_SY_mSZ_S12_bEUlT_E_NS1_11comp_targetILNS1_3genE3ELNS1_11target_archE908ELNS1_3gpuE7ELNS1_3repE0EEENS1_30default_config_static_selectorELNS0_4arch9wavefront6targetE0EEEvSW_.has_recursion, 0
	.set _ZN7rocprim17ROCPRIM_400000_NS6detail17trampoline_kernelINS0_14default_configENS1_29binary_search_config_selectorItiEEZNS1_14transform_implILb0ES3_S5_N6thrust23THRUST_200600_302600_NS6detail15normal_iteratorINS8_7pointerItNS8_11hip_rocprim5par_tENS8_11use_defaultESE_EEEENSA_INSB_IiSD_SE_SE_EEEEZNS1_13binary_searchIS3_S5_PtSG_SI_NS1_16binary_search_opENS9_16wrapped_functionINS8_6system6detail7generic6detail18binary_search_lessEbEEEE10hipError_tPvRmT1_T2_T3_mmT4_T5_P12ihipStream_tbEUlRKtE_EEST_SX_SY_mSZ_S12_bEUlT_E_NS1_11comp_targetILNS1_3genE3ELNS1_11target_archE908ELNS1_3gpuE7ELNS1_3repE0EEENS1_30default_config_static_selectorELNS0_4arch9wavefront6targetE0EEEvSW_.has_indirect_call, 0
	.section	.AMDGPU.csdata,"",@progbits
; Kernel info:
; codeLenInByte = 0
; TotalNumSgprs: 0
; NumVgprs: 0
; ScratchSize: 0
; MemoryBound: 0
; FloatMode: 240
; IeeeMode: 1
; LDSByteSize: 0 bytes/workgroup (compile time only)
; SGPRBlocks: 0
; VGPRBlocks: 0
; NumSGPRsForWavesPerEU: 1
; NumVGPRsForWavesPerEU: 1
; Occupancy: 16
; WaveLimiterHint : 0
; COMPUTE_PGM_RSRC2:SCRATCH_EN: 0
; COMPUTE_PGM_RSRC2:USER_SGPR: 6
; COMPUTE_PGM_RSRC2:TRAP_HANDLER: 0
; COMPUTE_PGM_RSRC2:TGID_X_EN: 1
; COMPUTE_PGM_RSRC2:TGID_Y_EN: 0
; COMPUTE_PGM_RSRC2:TGID_Z_EN: 0
; COMPUTE_PGM_RSRC2:TIDIG_COMP_CNT: 0
	.section	.text._ZN7rocprim17ROCPRIM_400000_NS6detail17trampoline_kernelINS0_14default_configENS1_29binary_search_config_selectorItiEEZNS1_14transform_implILb0ES3_S5_N6thrust23THRUST_200600_302600_NS6detail15normal_iteratorINS8_7pointerItNS8_11hip_rocprim5par_tENS8_11use_defaultESE_EEEENSA_INSB_IiSD_SE_SE_EEEEZNS1_13binary_searchIS3_S5_PtSG_SI_NS1_16binary_search_opENS9_16wrapped_functionINS8_6system6detail7generic6detail18binary_search_lessEbEEEE10hipError_tPvRmT1_T2_T3_mmT4_T5_P12ihipStream_tbEUlRKtE_EEST_SX_SY_mSZ_S12_bEUlT_E_NS1_11comp_targetILNS1_3genE2ELNS1_11target_archE906ELNS1_3gpuE6ELNS1_3repE0EEENS1_30default_config_static_selectorELNS0_4arch9wavefront6targetE0EEEvSW_,"axG",@progbits,_ZN7rocprim17ROCPRIM_400000_NS6detail17trampoline_kernelINS0_14default_configENS1_29binary_search_config_selectorItiEEZNS1_14transform_implILb0ES3_S5_N6thrust23THRUST_200600_302600_NS6detail15normal_iteratorINS8_7pointerItNS8_11hip_rocprim5par_tENS8_11use_defaultESE_EEEENSA_INSB_IiSD_SE_SE_EEEEZNS1_13binary_searchIS3_S5_PtSG_SI_NS1_16binary_search_opENS9_16wrapped_functionINS8_6system6detail7generic6detail18binary_search_lessEbEEEE10hipError_tPvRmT1_T2_T3_mmT4_T5_P12ihipStream_tbEUlRKtE_EEST_SX_SY_mSZ_S12_bEUlT_E_NS1_11comp_targetILNS1_3genE2ELNS1_11target_archE906ELNS1_3gpuE6ELNS1_3repE0EEENS1_30default_config_static_selectorELNS0_4arch9wavefront6targetE0EEEvSW_,comdat
	.protected	_ZN7rocprim17ROCPRIM_400000_NS6detail17trampoline_kernelINS0_14default_configENS1_29binary_search_config_selectorItiEEZNS1_14transform_implILb0ES3_S5_N6thrust23THRUST_200600_302600_NS6detail15normal_iteratorINS8_7pointerItNS8_11hip_rocprim5par_tENS8_11use_defaultESE_EEEENSA_INSB_IiSD_SE_SE_EEEEZNS1_13binary_searchIS3_S5_PtSG_SI_NS1_16binary_search_opENS9_16wrapped_functionINS8_6system6detail7generic6detail18binary_search_lessEbEEEE10hipError_tPvRmT1_T2_T3_mmT4_T5_P12ihipStream_tbEUlRKtE_EEST_SX_SY_mSZ_S12_bEUlT_E_NS1_11comp_targetILNS1_3genE2ELNS1_11target_archE906ELNS1_3gpuE6ELNS1_3repE0EEENS1_30default_config_static_selectorELNS0_4arch9wavefront6targetE0EEEvSW_ ; -- Begin function _ZN7rocprim17ROCPRIM_400000_NS6detail17trampoline_kernelINS0_14default_configENS1_29binary_search_config_selectorItiEEZNS1_14transform_implILb0ES3_S5_N6thrust23THRUST_200600_302600_NS6detail15normal_iteratorINS8_7pointerItNS8_11hip_rocprim5par_tENS8_11use_defaultESE_EEEENSA_INSB_IiSD_SE_SE_EEEEZNS1_13binary_searchIS3_S5_PtSG_SI_NS1_16binary_search_opENS9_16wrapped_functionINS8_6system6detail7generic6detail18binary_search_lessEbEEEE10hipError_tPvRmT1_T2_T3_mmT4_T5_P12ihipStream_tbEUlRKtE_EEST_SX_SY_mSZ_S12_bEUlT_E_NS1_11comp_targetILNS1_3genE2ELNS1_11target_archE906ELNS1_3gpuE6ELNS1_3repE0EEENS1_30default_config_static_selectorELNS0_4arch9wavefront6targetE0EEEvSW_
	.globl	_ZN7rocprim17ROCPRIM_400000_NS6detail17trampoline_kernelINS0_14default_configENS1_29binary_search_config_selectorItiEEZNS1_14transform_implILb0ES3_S5_N6thrust23THRUST_200600_302600_NS6detail15normal_iteratorINS8_7pointerItNS8_11hip_rocprim5par_tENS8_11use_defaultESE_EEEENSA_INSB_IiSD_SE_SE_EEEEZNS1_13binary_searchIS3_S5_PtSG_SI_NS1_16binary_search_opENS9_16wrapped_functionINS8_6system6detail7generic6detail18binary_search_lessEbEEEE10hipError_tPvRmT1_T2_T3_mmT4_T5_P12ihipStream_tbEUlRKtE_EEST_SX_SY_mSZ_S12_bEUlT_E_NS1_11comp_targetILNS1_3genE2ELNS1_11target_archE906ELNS1_3gpuE6ELNS1_3repE0EEENS1_30default_config_static_selectorELNS0_4arch9wavefront6targetE0EEEvSW_
	.p2align	8
	.type	_ZN7rocprim17ROCPRIM_400000_NS6detail17trampoline_kernelINS0_14default_configENS1_29binary_search_config_selectorItiEEZNS1_14transform_implILb0ES3_S5_N6thrust23THRUST_200600_302600_NS6detail15normal_iteratorINS8_7pointerItNS8_11hip_rocprim5par_tENS8_11use_defaultESE_EEEENSA_INSB_IiSD_SE_SE_EEEEZNS1_13binary_searchIS3_S5_PtSG_SI_NS1_16binary_search_opENS9_16wrapped_functionINS8_6system6detail7generic6detail18binary_search_lessEbEEEE10hipError_tPvRmT1_T2_T3_mmT4_T5_P12ihipStream_tbEUlRKtE_EEST_SX_SY_mSZ_S12_bEUlT_E_NS1_11comp_targetILNS1_3genE2ELNS1_11target_archE906ELNS1_3gpuE6ELNS1_3repE0EEENS1_30default_config_static_selectorELNS0_4arch9wavefront6targetE0EEEvSW_,@function
_ZN7rocprim17ROCPRIM_400000_NS6detail17trampoline_kernelINS0_14default_configENS1_29binary_search_config_selectorItiEEZNS1_14transform_implILb0ES3_S5_N6thrust23THRUST_200600_302600_NS6detail15normal_iteratorINS8_7pointerItNS8_11hip_rocprim5par_tENS8_11use_defaultESE_EEEENSA_INSB_IiSD_SE_SE_EEEEZNS1_13binary_searchIS3_S5_PtSG_SI_NS1_16binary_search_opENS9_16wrapped_functionINS8_6system6detail7generic6detail18binary_search_lessEbEEEE10hipError_tPvRmT1_T2_T3_mmT4_T5_P12ihipStream_tbEUlRKtE_EEST_SX_SY_mSZ_S12_bEUlT_E_NS1_11comp_targetILNS1_3genE2ELNS1_11target_archE906ELNS1_3gpuE6ELNS1_3repE0EEENS1_30default_config_static_selectorELNS0_4arch9wavefront6targetE0EEEvSW_: ; @_ZN7rocprim17ROCPRIM_400000_NS6detail17trampoline_kernelINS0_14default_configENS1_29binary_search_config_selectorItiEEZNS1_14transform_implILb0ES3_S5_N6thrust23THRUST_200600_302600_NS6detail15normal_iteratorINS8_7pointerItNS8_11hip_rocprim5par_tENS8_11use_defaultESE_EEEENSA_INSB_IiSD_SE_SE_EEEEZNS1_13binary_searchIS3_S5_PtSG_SI_NS1_16binary_search_opENS9_16wrapped_functionINS8_6system6detail7generic6detail18binary_search_lessEbEEEE10hipError_tPvRmT1_T2_T3_mmT4_T5_P12ihipStream_tbEUlRKtE_EEST_SX_SY_mSZ_S12_bEUlT_E_NS1_11comp_targetILNS1_3genE2ELNS1_11target_archE906ELNS1_3gpuE6ELNS1_3repE0EEENS1_30default_config_static_selectorELNS0_4arch9wavefront6targetE0EEEvSW_
; %bb.0:
	.section	.rodata,"a",@progbits
	.p2align	6, 0x0
	.amdhsa_kernel _ZN7rocprim17ROCPRIM_400000_NS6detail17trampoline_kernelINS0_14default_configENS1_29binary_search_config_selectorItiEEZNS1_14transform_implILb0ES3_S5_N6thrust23THRUST_200600_302600_NS6detail15normal_iteratorINS8_7pointerItNS8_11hip_rocprim5par_tENS8_11use_defaultESE_EEEENSA_INSB_IiSD_SE_SE_EEEEZNS1_13binary_searchIS3_S5_PtSG_SI_NS1_16binary_search_opENS9_16wrapped_functionINS8_6system6detail7generic6detail18binary_search_lessEbEEEE10hipError_tPvRmT1_T2_T3_mmT4_T5_P12ihipStream_tbEUlRKtE_EEST_SX_SY_mSZ_S12_bEUlT_E_NS1_11comp_targetILNS1_3genE2ELNS1_11target_archE906ELNS1_3gpuE6ELNS1_3repE0EEENS1_30default_config_static_selectorELNS0_4arch9wavefront6targetE0EEEvSW_
		.amdhsa_group_segment_fixed_size 0
		.amdhsa_private_segment_fixed_size 0
		.amdhsa_kernarg_size 56
		.amdhsa_user_sgpr_count 6
		.amdhsa_user_sgpr_private_segment_buffer 1
		.amdhsa_user_sgpr_dispatch_ptr 0
		.amdhsa_user_sgpr_queue_ptr 0
		.amdhsa_user_sgpr_kernarg_segment_ptr 1
		.amdhsa_user_sgpr_dispatch_id 0
		.amdhsa_user_sgpr_flat_scratch_init 0
		.amdhsa_user_sgpr_private_segment_size 0
		.amdhsa_wavefront_size32 1
		.amdhsa_uses_dynamic_stack 0
		.amdhsa_system_sgpr_private_segment_wavefront_offset 0
		.amdhsa_system_sgpr_workgroup_id_x 1
		.amdhsa_system_sgpr_workgroup_id_y 0
		.amdhsa_system_sgpr_workgroup_id_z 0
		.amdhsa_system_sgpr_workgroup_info 0
		.amdhsa_system_vgpr_workitem_id 0
		.amdhsa_next_free_vgpr 1
		.amdhsa_next_free_sgpr 1
		.amdhsa_reserve_vcc 0
		.amdhsa_reserve_flat_scratch 0
		.amdhsa_float_round_mode_32 0
		.amdhsa_float_round_mode_16_64 0
		.amdhsa_float_denorm_mode_32 3
		.amdhsa_float_denorm_mode_16_64 3
		.amdhsa_dx10_clamp 1
		.amdhsa_ieee_mode 1
		.amdhsa_fp16_overflow 0
		.amdhsa_workgroup_processor_mode 1
		.amdhsa_memory_ordered 1
		.amdhsa_forward_progress 1
		.amdhsa_shared_vgpr_count 0
		.amdhsa_exception_fp_ieee_invalid_op 0
		.amdhsa_exception_fp_denorm_src 0
		.amdhsa_exception_fp_ieee_div_zero 0
		.amdhsa_exception_fp_ieee_overflow 0
		.amdhsa_exception_fp_ieee_underflow 0
		.amdhsa_exception_fp_ieee_inexact 0
		.amdhsa_exception_int_div_zero 0
	.end_amdhsa_kernel
	.section	.text._ZN7rocprim17ROCPRIM_400000_NS6detail17trampoline_kernelINS0_14default_configENS1_29binary_search_config_selectorItiEEZNS1_14transform_implILb0ES3_S5_N6thrust23THRUST_200600_302600_NS6detail15normal_iteratorINS8_7pointerItNS8_11hip_rocprim5par_tENS8_11use_defaultESE_EEEENSA_INSB_IiSD_SE_SE_EEEEZNS1_13binary_searchIS3_S5_PtSG_SI_NS1_16binary_search_opENS9_16wrapped_functionINS8_6system6detail7generic6detail18binary_search_lessEbEEEE10hipError_tPvRmT1_T2_T3_mmT4_T5_P12ihipStream_tbEUlRKtE_EEST_SX_SY_mSZ_S12_bEUlT_E_NS1_11comp_targetILNS1_3genE2ELNS1_11target_archE906ELNS1_3gpuE6ELNS1_3repE0EEENS1_30default_config_static_selectorELNS0_4arch9wavefront6targetE0EEEvSW_,"axG",@progbits,_ZN7rocprim17ROCPRIM_400000_NS6detail17trampoline_kernelINS0_14default_configENS1_29binary_search_config_selectorItiEEZNS1_14transform_implILb0ES3_S5_N6thrust23THRUST_200600_302600_NS6detail15normal_iteratorINS8_7pointerItNS8_11hip_rocprim5par_tENS8_11use_defaultESE_EEEENSA_INSB_IiSD_SE_SE_EEEEZNS1_13binary_searchIS3_S5_PtSG_SI_NS1_16binary_search_opENS9_16wrapped_functionINS8_6system6detail7generic6detail18binary_search_lessEbEEEE10hipError_tPvRmT1_T2_T3_mmT4_T5_P12ihipStream_tbEUlRKtE_EEST_SX_SY_mSZ_S12_bEUlT_E_NS1_11comp_targetILNS1_3genE2ELNS1_11target_archE906ELNS1_3gpuE6ELNS1_3repE0EEENS1_30default_config_static_selectorELNS0_4arch9wavefront6targetE0EEEvSW_,comdat
.Lfunc_end287:
	.size	_ZN7rocprim17ROCPRIM_400000_NS6detail17trampoline_kernelINS0_14default_configENS1_29binary_search_config_selectorItiEEZNS1_14transform_implILb0ES3_S5_N6thrust23THRUST_200600_302600_NS6detail15normal_iteratorINS8_7pointerItNS8_11hip_rocprim5par_tENS8_11use_defaultESE_EEEENSA_INSB_IiSD_SE_SE_EEEEZNS1_13binary_searchIS3_S5_PtSG_SI_NS1_16binary_search_opENS9_16wrapped_functionINS8_6system6detail7generic6detail18binary_search_lessEbEEEE10hipError_tPvRmT1_T2_T3_mmT4_T5_P12ihipStream_tbEUlRKtE_EEST_SX_SY_mSZ_S12_bEUlT_E_NS1_11comp_targetILNS1_3genE2ELNS1_11target_archE906ELNS1_3gpuE6ELNS1_3repE0EEENS1_30default_config_static_selectorELNS0_4arch9wavefront6targetE0EEEvSW_, .Lfunc_end287-_ZN7rocprim17ROCPRIM_400000_NS6detail17trampoline_kernelINS0_14default_configENS1_29binary_search_config_selectorItiEEZNS1_14transform_implILb0ES3_S5_N6thrust23THRUST_200600_302600_NS6detail15normal_iteratorINS8_7pointerItNS8_11hip_rocprim5par_tENS8_11use_defaultESE_EEEENSA_INSB_IiSD_SE_SE_EEEEZNS1_13binary_searchIS3_S5_PtSG_SI_NS1_16binary_search_opENS9_16wrapped_functionINS8_6system6detail7generic6detail18binary_search_lessEbEEEE10hipError_tPvRmT1_T2_T3_mmT4_T5_P12ihipStream_tbEUlRKtE_EEST_SX_SY_mSZ_S12_bEUlT_E_NS1_11comp_targetILNS1_3genE2ELNS1_11target_archE906ELNS1_3gpuE6ELNS1_3repE0EEENS1_30default_config_static_selectorELNS0_4arch9wavefront6targetE0EEEvSW_
                                        ; -- End function
	.set _ZN7rocprim17ROCPRIM_400000_NS6detail17trampoline_kernelINS0_14default_configENS1_29binary_search_config_selectorItiEEZNS1_14transform_implILb0ES3_S5_N6thrust23THRUST_200600_302600_NS6detail15normal_iteratorINS8_7pointerItNS8_11hip_rocprim5par_tENS8_11use_defaultESE_EEEENSA_INSB_IiSD_SE_SE_EEEEZNS1_13binary_searchIS3_S5_PtSG_SI_NS1_16binary_search_opENS9_16wrapped_functionINS8_6system6detail7generic6detail18binary_search_lessEbEEEE10hipError_tPvRmT1_T2_T3_mmT4_T5_P12ihipStream_tbEUlRKtE_EEST_SX_SY_mSZ_S12_bEUlT_E_NS1_11comp_targetILNS1_3genE2ELNS1_11target_archE906ELNS1_3gpuE6ELNS1_3repE0EEENS1_30default_config_static_selectorELNS0_4arch9wavefront6targetE0EEEvSW_.num_vgpr, 0
	.set _ZN7rocprim17ROCPRIM_400000_NS6detail17trampoline_kernelINS0_14default_configENS1_29binary_search_config_selectorItiEEZNS1_14transform_implILb0ES3_S5_N6thrust23THRUST_200600_302600_NS6detail15normal_iteratorINS8_7pointerItNS8_11hip_rocprim5par_tENS8_11use_defaultESE_EEEENSA_INSB_IiSD_SE_SE_EEEEZNS1_13binary_searchIS3_S5_PtSG_SI_NS1_16binary_search_opENS9_16wrapped_functionINS8_6system6detail7generic6detail18binary_search_lessEbEEEE10hipError_tPvRmT1_T2_T3_mmT4_T5_P12ihipStream_tbEUlRKtE_EEST_SX_SY_mSZ_S12_bEUlT_E_NS1_11comp_targetILNS1_3genE2ELNS1_11target_archE906ELNS1_3gpuE6ELNS1_3repE0EEENS1_30default_config_static_selectorELNS0_4arch9wavefront6targetE0EEEvSW_.num_agpr, 0
	.set _ZN7rocprim17ROCPRIM_400000_NS6detail17trampoline_kernelINS0_14default_configENS1_29binary_search_config_selectorItiEEZNS1_14transform_implILb0ES3_S5_N6thrust23THRUST_200600_302600_NS6detail15normal_iteratorINS8_7pointerItNS8_11hip_rocprim5par_tENS8_11use_defaultESE_EEEENSA_INSB_IiSD_SE_SE_EEEEZNS1_13binary_searchIS3_S5_PtSG_SI_NS1_16binary_search_opENS9_16wrapped_functionINS8_6system6detail7generic6detail18binary_search_lessEbEEEE10hipError_tPvRmT1_T2_T3_mmT4_T5_P12ihipStream_tbEUlRKtE_EEST_SX_SY_mSZ_S12_bEUlT_E_NS1_11comp_targetILNS1_3genE2ELNS1_11target_archE906ELNS1_3gpuE6ELNS1_3repE0EEENS1_30default_config_static_selectorELNS0_4arch9wavefront6targetE0EEEvSW_.numbered_sgpr, 0
	.set _ZN7rocprim17ROCPRIM_400000_NS6detail17trampoline_kernelINS0_14default_configENS1_29binary_search_config_selectorItiEEZNS1_14transform_implILb0ES3_S5_N6thrust23THRUST_200600_302600_NS6detail15normal_iteratorINS8_7pointerItNS8_11hip_rocprim5par_tENS8_11use_defaultESE_EEEENSA_INSB_IiSD_SE_SE_EEEEZNS1_13binary_searchIS3_S5_PtSG_SI_NS1_16binary_search_opENS9_16wrapped_functionINS8_6system6detail7generic6detail18binary_search_lessEbEEEE10hipError_tPvRmT1_T2_T3_mmT4_T5_P12ihipStream_tbEUlRKtE_EEST_SX_SY_mSZ_S12_bEUlT_E_NS1_11comp_targetILNS1_3genE2ELNS1_11target_archE906ELNS1_3gpuE6ELNS1_3repE0EEENS1_30default_config_static_selectorELNS0_4arch9wavefront6targetE0EEEvSW_.num_named_barrier, 0
	.set _ZN7rocprim17ROCPRIM_400000_NS6detail17trampoline_kernelINS0_14default_configENS1_29binary_search_config_selectorItiEEZNS1_14transform_implILb0ES3_S5_N6thrust23THRUST_200600_302600_NS6detail15normal_iteratorINS8_7pointerItNS8_11hip_rocprim5par_tENS8_11use_defaultESE_EEEENSA_INSB_IiSD_SE_SE_EEEEZNS1_13binary_searchIS3_S5_PtSG_SI_NS1_16binary_search_opENS9_16wrapped_functionINS8_6system6detail7generic6detail18binary_search_lessEbEEEE10hipError_tPvRmT1_T2_T3_mmT4_T5_P12ihipStream_tbEUlRKtE_EEST_SX_SY_mSZ_S12_bEUlT_E_NS1_11comp_targetILNS1_3genE2ELNS1_11target_archE906ELNS1_3gpuE6ELNS1_3repE0EEENS1_30default_config_static_selectorELNS0_4arch9wavefront6targetE0EEEvSW_.private_seg_size, 0
	.set _ZN7rocprim17ROCPRIM_400000_NS6detail17trampoline_kernelINS0_14default_configENS1_29binary_search_config_selectorItiEEZNS1_14transform_implILb0ES3_S5_N6thrust23THRUST_200600_302600_NS6detail15normal_iteratorINS8_7pointerItNS8_11hip_rocprim5par_tENS8_11use_defaultESE_EEEENSA_INSB_IiSD_SE_SE_EEEEZNS1_13binary_searchIS3_S5_PtSG_SI_NS1_16binary_search_opENS9_16wrapped_functionINS8_6system6detail7generic6detail18binary_search_lessEbEEEE10hipError_tPvRmT1_T2_T3_mmT4_T5_P12ihipStream_tbEUlRKtE_EEST_SX_SY_mSZ_S12_bEUlT_E_NS1_11comp_targetILNS1_3genE2ELNS1_11target_archE906ELNS1_3gpuE6ELNS1_3repE0EEENS1_30default_config_static_selectorELNS0_4arch9wavefront6targetE0EEEvSW_.uses_vcc, 0
	.set _ZN7rocprim17ROCPRIM_400000_NS6detail17trampoline_kernelINS0_14default_configENS1_29binary_search_config_selectorItiEEZNS1_14transform_implILb0ES3_S5_N6thrust23THRUST_200600_302600_NS6detail15normal_iteratorINS8_7pointerItNS8_11hip_rocprim5par_tENS8_11use_defaultESE_EEEENSA_INSB_IiSD_SE_SE_EEEEZNS1_13binary_searchIS3_S5_PtSG_SI_NS1_16binary_search_opENS9_16wrapped_functionINS8_6system6detail7generic6detail18binary_search_lessEbEEEE10hipError_tPvRmT1_T2_T3_mmT4_T5_P12ihipStream_tbEUlRKtE_EEST_SX_SY_mSZ_S12_bEUlT_E_NS1_11comp_targetILNS1_3genE2ELNS1_11target_archE906ELNS1_3gpuE6ELNS1_3repE0EEENS1_30default_config_static_selectorELNS0_4arch9wavefront6targetE0EEEvSW_.uses_flat_scratch, 0
	.set _ZN7rocprim17ROCPRIM_400000_NS6detail17trampoline_kernelINS0_14default_configENS1_29binary_search_config_selectorItiEEZNS1_14transform_implILb0ES3_S5_N6thrust23THRUST_200600_302600_NS6detail15normal_iteratorINS8_7pointerItNS8_11hip_rocprim5par_tENS8_11use_defaultESE_EEEENSA_INSB_IiSD_SE_SE_EEEEZNS1_13binary_searchIS3_S5_PtSG_SI_NS1_16binary_search_opENS9_16wrapped_functionINS8_6system6detail7generic6detail18binary_search_lessEbEEEE10hipError_tPvRmT1_T2_T3_mmT4_T5_P12ihipStream_tbEUlRKtE_EEST_SX_SY_mSZ_S12_bEUlT_E_NS1_11comp_targetILNS1_3genE2ELNS1_11target_archE906ELNS1_3gpuE6ELNS1_3repE0EEENS1_30default_config_static_selectorELNS0_4arch9wavefront6targetE0EEEvSW_.has_dyn_sized_stack, 0
	.set _ZN7rocprim17ROCPRIM_400000_NS6detail17trampoline_kernelINS0_14default_configENS1_29binary_search_config_selectorItiEEZNS1_14transform_implILb0ES3_S5_N6thrust23THRUST_200600_302600_NS6detail15normal_iteratorINS8_7pointerItNS8_11hip_rocprim5par_tENS8_11use_defaultESE_EEEENSA_INSB_IiSD_SE_SE_EEEEZNS1_13binary_searchIS3_S5_PtSG_SI_NS1_16binary_search_opENS9_16wrapped_functionINS8_6system6detail7generic6detail18binary_search_lessEbEEEE10hipError_tPvRmT1_T2_T3_mmT4_T5_P12ihipStream_tbEUlRKtE_EEST_SX_SY_mSZ_S12_bEUlT_E_NS1_11comp_targetILNS1_3genE2ELNS1_11target_archE906ELNS1_3gpuE6ELNS1_3repE0EEENS1_30default_config_static_selectorELNS0_4arch9wavefront6targetE0EEEvSW_.has_recursion, 0
	.set _ZN7rocprim17ROCPRIM_400000_NS6detail17trampoline_kernelINS0_14default_configENS1_29binary_search_config_selectorItiEEZNS1_14transform_implILb0ES3_S5_N6thrust23THRUST_200600_302600_NS6detail15normal_iteratorINS8_7pointerItNS8_11hip_rocprim5par_tENS8_11use_defaultESE_EEEENSA_INSB_IiSD_SE_SE_EEEEZNS1_13binary_searchIS3_S5_PtSG_SI_NS1_16binary_search_opENS9_16wrapped_functionINS8_6system6detail7generic6detail18binary_search_lessEbEEEE10hipError_tPvRmT1_T2_T3_mmT4_T5_P12ihipStream_tbEUlRKtE_EEST_SX_SY_mSZ_S12_bEUlT_E_NS1_11comp_targetILNS1_3genE2ELNS1_11target_archE906ELNS1_3gpuE6ELNS1_3repE0EEENS1_30default_config_static_selectorELNS0_4arch9wavefront6targetE0EEEvSW_.has_indirect_call, 0
	.section	.AMDGPU.csdata,"",@progbits
; Kernel info:
; codeLenInByte = 0
; TotalNumSgprs: 0
; NumVgprs: 0
; ScratchSize: 0
; MemoryBound: 0
; FloatMode: 240
; IeeeMode: 1
; LDSByteSize: 0 bytes/workgroup (compile time only)
; SGPRBlocks: 0
; VGPRBlocks: 0
; NumSGPRsForWavesPerEU: 1
; NumVGPRsForWavesPerEU: 1
; Occupancy: 16
; WaveLimiterHint : 0
; COMPUTE_PGM_RSRC2:SCRATCH_EN: 0
; COMPUTE_PGM_RSRC2:USER_SGPR: 6
; COMPUTE_PGM_RSRC2:TRAP_HANDLER: 0
; COMPUTE_PGM_RSRC2:TGID_X_EN: 1
; COMPUTE_PGM_RSRC2:TGID_Y_EN: 0
; COMPUTE_PGM_RSRC2:TGID_Z_EN: 0
; COMPUTE_PGM_RSRC2:TIDIG_COMP_CNT: 0
	.section	.text._ZN7rocprim17ROCPRIM_400000_NS6detail17trampoline_kernelINS0_14default_configENS1_29binary_search_config_selectorItiEEZNS1_14transform_implILb0ES3_S5_N6thrust23THRUST_200600_302600_NS6detail15normal_iteratorINS8_7pointerItNS8_11hip_rocprim5par_tENS8_11use_defaultESE_EEEENSA_INSB_IiSD_SE_SE_EEEEZNS1_13binary_searchIS3_S5_PtSG_SI_NS1_16binary_search_opENS9_16wrapped_functionINS8_6system6detail7generic6detail18binary_search_lessEbEEEE10hipError_tPvRmT1_T2_T3_mmT4_T5_P12ihipStream_tbEUlRKtE_EEST_SX_SY_mSZ_S12_bEUlT_E_NS1_11comp_targetILNS1_3genE10ELNS1_11target_archE1201ELNS1_3gpuE5ELNS1_3repE0EEENS1_30default_config_static_selectorELNS0_4arch9wavefront6targetE0EEEvSW_,"axG",@progbits,_ZN7rocprim17ROCPRIM_400000_NS6detail17trampoline_kernelINS0_14default_configENS1_29binary_search_config_selectorItiEEZNS1_14transform_implILb0ES3_S5_N6thrust23THRUST_200600_302600_NS6detail15normal_iteratorINS8_7pointerItNS8_11hip_rocprim5par_tENS8_11use_defaultESE_EEEENSA_INSB_IiSD_SE_SE_EEEEZNS1_13binary_searchIS3_S5_PtSG_SI_NS1_16binary_search_opENS9_16wrapped_functionINS8_6system6detail7generic6detail18binary_search_lessEbEEEE10hipError_tPvRmT1_T2_T3_mmT4_T5_P12ihipStream_tbEUlRKtE_EEST_SX_SY_mSZ_S12_bEUlT_E_NS1_11comp_targetILNS1_3genE10ELNS1_11target_archE1201ELNS1_3gpuE5ELNS1_3repE0EEENS1_30default_config_static_selectorELNS0_4arch9wavefront6targetE0EEEvSW_,comdat
	.protected	_ZN7rocprim17ROCPRIM_400000_NS6detail17trampoline_kernelINS0_14default_configENS1_29binary_search_config_selectorItiEEZNS1_14transform_implILb0ES3_S5_N6thrust23THRUST_200600_302600_NS6detail15normal_iteratorINS8_7pointerItNS8_11hip_rocprim5par_tENS8_11use_defaultESE_EEEENSA_INSB_IiSD_SE_SE_EEEEZNS1_13binary_searchIS3_S5_PtSG_SI_NS1_16binary_search_opENS9_16wrapped_functionINS8_6system6detail7generic6detail18binary_search_lessEbEEEE10hipError_tPvRmT1_T2_T3_mmT4_T5_P12ihipStream_tbEUlRKtE_EEST_SX_SY_mSZ_S12_bEUlT_E_NS1_11comp_targetILNS1_3genE10ELNS1_11target_archE1201ELNS1_3gpuE5ELNS1_3repE0EEENS1_30default_config_static_selectorELNS0_4arch9wavefront6targetE0EEEvSW_ ; -- Begin function _ZN7rocprim17ROCPRIM_400000_NS6detail17trampoline_kernelINS0_14default_configENS1_29binary_search_config_selectorItiEEZNS1_14transform_implILb0ES3_S5_N6thrust23THRUST_200600_302600_NS6detail15normal_iteratorINS8_7pointerItNS8_11hip_rocprim5par_tENS8_11use_defaultESE_EEEENSA_INSB_IiSD_SE_SE_EEEEZNS1_13binary_searchIS3_S5_PtSG_SI_NS1_16binary_search_opENS9_16wrapped_functionINS8_6system6detail7generic6detail18binary_search_lessEbEEEE10hipError_tPvRmT1_T2_T3_mmT4_T5_P12ihipStream_tbEUlRKtE_EEST_SX_SY_mSZ_S12_bEUlT_E_NS1_11comp_targetILNS1_3genE10ELNS1_11target_archE1201ELNS1_3gpuE5ELNS1_3repE0EEENS1_30default_config_static_selectorELNS0_4arch9wavefront6targetE0EEEvSW_
	.globl	_ZN7rocprim17ROCPRIM_400000_NS6detail17trampoline_kernelINS0_14default_configENS1_29binary_search_config_selectorItiEEZNS1_14transform_implILb0ES3_S5_N6thrust23THRUST_200600_302600_NS6detail15normal_iteratorINS8_7pointerItNS8_11hip_rocprim5par_tENS8_11use_defaultESE_EEEENSA_INSB_IiSD_SE_SE_EEEEZNS1_13binary_searchIS3_S5_PtSG_SI_NS1_16binary_search_opENS9_16wrapped_functionINS8_6system6detail7generic6detail18binary_search_lessEbEEEE10hipError_tPvRmT1_T2_T3_mmT4_T5_P12ihipStream_tbEUlRKtE_EEST_SX_SY_mSZ_S12_bEUlT_E_NS1_11comp_targetILNS1_3genE10ELNS1_11target_archE1201ELNS1_3gpuE5ELNS1_3repE0EEENS1_30default_config_static_selectorELNS0_4arch9wavefront6targetE0EEEvSW_
	.p2align	8
	.type	_ZN7rocprim17ROCPRIM_400000_NS6detail17trampoline_kernelINS0_14default_configENS1_29binary_search_config_selectorItiEEZNS1_14transform_implILb0ES3_S5_N6thrust23THRUST_200600_302600_NS6detail15normal_iteratorINS8_7pointerItNS8_11hip_rocprim5par_tENS8_11use_defaultESE_EEEENSA_INSB_IiSD_SE_SE_EEEEZNS1_13binary_searchIS3_S5_PtSG_SI_NS1_16binary_search_opENS9_16wrapped_functionINS8_6system6detail7generic6detail18binary_search_lessEbEEEE10hipError_tPvRmT1_T2_T3_mmT4_T5_P12ihipStream_tbEUlRKtE_EEST_SX_SY_mSZ_S12_bEUlT_E_NS1_11comp_targetILNS1_3genE10ELNS1_11target_archE1201ELNS1_3gpuE5ELNS1_3repE0EEENS1_30default_config_static_selectorELNS0_4arch9wavefront6targetE0EEEvSW_,@function
_ZN7rocprim17ROCPRIM_400000_NS6detail17trampoline_kernelINS0_14default_configENS1_29binary_search_config_selectorItiEEZNS1_14transform_implILb0ES3_S5_N6thrust23THRUST_200600_302600_NS6detail15normal_iteratorINS8_7pointerItNS8_11hip_rocprim5par_tENS8_11use_defaultESE_EEEENSA_INSB_IiSD_SE_SE_EEEEZNS1_13binary_searchIS3_S5_PtSG_SI_NS1_16binary_search_opENS9_16wrapped_functionINS8_6system6detail7generic6detail18binary_search_lessEbEEEE10hipError_tPvRmT1_T2_T3_mmT4_T5_P12ihipStream_tbEUlRKtE_EEST_SX_SY_mSZ_S12_bEUlT_E_NS1_11comp_targetILNS1_3genE10ELNS1_11target_archE1201ELNS1_3gpuE5ELNS1_3repE0EEENS1_30default_config_static_selectorELNS0_4arch9wavefront6targetE0EEEvSW_: ; @_ZN7rocprim17ROCPRIM_400000_NS6detail17trampoline_kernelINS0_14default_configENS1_29binary_search_config_selectorItiEEZNS1_14transform_implILb0ES3_S5_N6thrust23THRUST_200600_302600_NS6detail15normal_iteratorINS8_7pointerItNS8_11hip_rocprim5par_tENS8_11use_defaultESE_EEEENSA_INSB_IiSD_SE_SE_EEEEZNS1_13binary_searchIS3_S5_PtSG_SI_NS1_16binary_search_opENS9_16wrapped_functionINS8_6system6detail7generic6detail18binary_search_lessEbEEEE10hipError_tPvRmT1_T2_T3_mmT4_T5_P12ihipStream_tbEUlRKtE_EEST_SX_SY_mSZ_S12_bEUlT_E_NS1_11comp_targetILNS1_3genE10ELNS1_11target_archE1201ELNS1_3gpuE5ELNS1_3repE0EEENS1_30default_config_static_selectorELNS0_4arch9wavefront6targetE0EEEvSW_
; %bb.0:
	.section	.rodata,"a",@progbits
	.p2align	6, 0x0
	.amdhsa_kernel _ZN7rocprim17ROCPRIM_400000_NS6detail17trampoline_kernelINS0_14default_configENS1_29binary_search_config_selectorItiEEZNS1_14transform_implILb0ES3_S5_N6thrust23THRUST_200600_302600_NS6detail15normal_iteratorINS8_7pointerItNS8_11hip_rocprim5par_tENS8_11use_defaultESE_EEEENSA_INSB_IiSD_SE_SE_EEEEZNS1_13binary_searchIS3_S5_PtSG_SI_NS1_16binary_search_opENS9_16wrapped_functionINS8_6system6detail7generic6detail18binary_search_lessEbEEEE10hipError_tPvRmT1_T2_T3_mmT4_T5_P12ihipStream_tbEUlRKtE_EEST_SX_SY_mSZ_S12_bEUlT_E_NS1_11comp_targetILNS1_3genE10ELNS1_11target_archE1201ELNS1_3gpuE5ELNS1_3repE0EEENS1_30default_config_static_selectorELNS0_4arch9wavefront6targetE0EEEvSW_
		.amdhsa_group_segment_fixed_size 0
		.amdhsa_private_segment_fixed_size 0
		.amdhsa_kernarg_size 56
		.amdhsa_user_sgpr_count 6
		.amdhsa_user_sgpr_private_segment_buffer 1
		.amdhsa_user_sgpr_dispatch_ptr 0
		.amdhsa_user_sgpr_queue_ptr 0
		.amdhsa_user_sgpr_kernarg_segment_ptr 1
		.amdhsa_user_sgpr_dispatch_id 0
		.amdhsa_user_sgpr_flat_scratch_init 0
		.amdhsa_user_sgpr_private_segment_size 0
		.amdhsa_wavefront_size32 1
		.amdhsa_uses_dynamic_stack 0
		.amdhsa_system_sgpr_private_segment_wavefront_offset 0
		.amdhsa_system_sgpr_workgroup_id_x 1
		.amdhsa_system_sgpr_workgroup_id_y 0
		.amdhsa_system_sgpr_workgroup_id_z 0
		.amdhsa_system_sgpr_workgroup_info 0
		.amdhsa_system_vgpr_workitem_id 0
		.amdhsa_next_free_vgpr 1
		.amdhsa_next_free_sgpr 1
		.amdhsa_reserve_vcc 0
		.amdhsa_reserve_flat_scratch 0
		.amdhsa_float_round_mode_32 0
		.amdhsa_float_round_mode_16_64 0
		.amdhsa_float_denorm_mode_32 3
		.amdhsa_float_denorm_mode_16_64 3
		.amdhsa_dx10_clamp 1
		.amdhsa_ieee_mode 1
		.amdhsa_fp16_overflow 0
		.amdhsa_workgroup_processor_mode 1
		.amdhsa_memory_ordered 1
		.amdhsa_forward_progress 1
		.amdhsa_shared_vgpr_count 0
		.amdhsa_exception_fp_ieee_invalid_op 0
		.amdhsa_exception_fp_denorm_src 0
		.amdhsa_exception_fp_ieee_div_zero 0
		.amdhsa_exception_fp_ieee_overflow 0
		.amdhsa_exception_fp_ieee_underflow 0
		.amdhsa_exception_fp_ieee_inexact 0
		.amdhsa_exception_int_div_zero 0
	.end_amdhsa_kernel
	.section	.text._ZN7rocprim17ROCPRIM_400000_NS6detail17trampoline_kernelINS0_14default_configENS1_29binary_search_config_selectorItiEEZNS1_14transform_implILb0ES3_S5_N6thrust23THRUST_200600_302600_NS6detail15normal_iteratorINS8_7pointerItNS8_11hip_rocprim5par_tENS8_11use_defaultESE_EEEENSA_INSB_IiSD_SE_SE_EEEEZNS1_13binary_searchIS3_S5_PtSG_SI_NS1_16binary_search_opENS9_16wrapped_functionINS8_6system6detail7generic6detail18binary_search_lessEbEEEE10hipError_tPvRmT1_T2_T3_mmT4_T5_P12ihipStream_tbEUlRKtE_EEST_SX_SY_mSZ_S12_bEUlT_E_NS1_11comp_targetILNS1_3genE10ELNS1_11target_archE1201ELNS1_3gpuE5ELNS1_3repE0EEENS1_30default_config_static_selectorELNS0_4arch9wavefront6targetE0EEEvSW_,"axG",@progbits,_ZN7rocprim17ROCPRIM_400000_NS6detail17trampoline_kernelINS0_14default_configENS1_29binary_search_config_selectorItiEEZNS1_14transform_implILb0ES3_S5_N6thrust23THRUST_200600_302600_NS6detail15normal_iteratorINS8_7pointerItNS8_11hip_rocprim5par_tENS8_11use_defaultESE_EEEENSA_INSB_IiSD_SE_SE_EEEEZNS1_13binary_searchIS3_S5_PtSG_SI_NS1_16binary_search_opENS9_16wrapped_functionINS8_6system6detail7generic6detail18binary_search_lessEbEEEE10hipError_tPvRmT1_T2_T3_mmT4_T5_P12ihipStream_tbEUlRKtE_EEST_SX_SY_mSZ_S12_bEUlT_E_NS1_11comp_targetILNS1_3genE10ELNS1_11target_archE1201ELNS1_3gpuE5ELNS1_3repE0EEENS1_30default_config_static_selectorELNS0_4arch9wavefront6targetE0EEEvSW_,comdat
.Lfunc_end288:
	.size	_ZN7rocprim17ROCPRIM_400000_NS6detail17trampoline_kernelINS0_14default_configENS1_29binary_search_config_selectorItiEEZNS1_14transform_implILb0ES3_S5_N6thrust23THRUST_200600_302600_NS6detail15normal_iteratorINS8_7pointerItNS8_11hip_rocprim5par_tENS8_11use_defaultESE_EEEENSA_INSB_IiSD_SE_SE_EEEEZNS1_13binary_searchIS3_S5_PtSG_SI_NS1_16binary_search_opENS9_16wrapped_functionINS8_6system6detail7generic6detail18binary_search_lessEbEEEE10hipError_tPvRmT1_T2_T3_mmT4_T5_P12ihipStream_tbEUlRKtE_EEST_SX_SY_mSZ_S12_bEUlT_E_NS1_11comp_targetILNS1_3genE10ELNS1_11target_archE1201ELNS1_3gpuE5ELNS1_3repE0EEENS1_30default_config_static_selectorELNS0_4arch9wavefront6targetE0EEEvSW_, .Lfunc_end288-_ZN7rocprim17ROCPRIM_400000_NS6detail17trampoline_kernelINS0_14default_configENS1_29binary_search_config_selectorItiEEZNS1_14transform_implILb0ES3_S5_N6thrust23THRUST_200600_302600_NS6detail15normal_iteratorINS8_7pointerItNS8_11hip_rocprim5par_tENS8_11use_defaultESE_EEEENSA_INSB_IiSD_SE_SE_EEEEZNS1_13binary_searchIS3_S5_PtSG_SI_NS1_16binary_search_opENS9_16wrapped_functionINS8_6system6detail7generic6detail18binary_search_lessEbEEEE10hipError_tPvRmT1_T2_T3_mmT4_T5_P12ihipStream_tbEUlRKtE_EEST_SX_SY_mSZ_S12_bEUlT_E_NS1_11comp_targetILNS1_3genE10ELNS1_11target_archE1201ELNS1_3gpuE5ELNS1_3repE0EEENS1_30default_config_static_selectorELNS0_4arch9wavefront6targetE0EEEvSW_
                                        ; -- End function
	.set _ZN7rocprim17ROCPRIM_400000_NS6detail17trampoline_kernelINS0_14default_configENS1_29binary_search_config_selectorItiEEZNS1_14transform_implILb0ES3_S5_N6thrust23THRUST_200600_302600_NS6detail15normal_iteratorINS8_7pointerItNS8_11hip_rocprim5par_tENS8_11use_defaultESE_EEEENSA_INSB_IiSD_SE_SE_EEEEZNS1_13binary_searchIS3_S5_PtSG_SI_NS1_16binary_search_opENS9_16wrapped_functionINS8_6system6detail7generic6detail18binary_search_lessEbEEEE10hipError_tPvRmT1_T2_T3_mmT4_T5_P12ihipStream_tbEUlRKtE_EEST_SX_SY_mSZ_S12_bEUlT_E_NS1_11comp_targetILNS1_3genE10ELNS1_11target_archE1201ELNS1_3gpuE5ELNS1_3repE0EEENS1_30default_config_static_selectorELNS0_4arch9wavefront6targetE0EEEvSW_.num_vgpr, 0
	.set _ZN7rocprim17ROCPRIM_400000_NS6detail17trampoline_kernelINS0_14default_configENS1_29binary_search_config_selectorItiEEZNS1_14transform_implILb0ES3_S5_N6thrust23THRUST_200600_302600_NS6detail15normal_iteratorINS8_7pointerItNS8_11hip_rocprim5par_tENS8_11use_defaultESE_EEEENSA_INSB_IiSD_SE_SE_EEEEZNS1_13binary_searchIS3_S5_PtSG_SI_NS1_16binary_search_opENS9_16wrapped_functionINS8_6system6detail7generic6detail18binary_search_lessEbEEEE10hipError_tPvRmT1_T2_T3_mmT4_T5_P12ihipStream_tbEUlRKtE_EEST_SX_SY_mSZ_S12_bEUlT_E_NS1_11comp_targetILNS1_3genE10ELNS1_11target_archE1201ELNS1_3gpuE5ELNS1_3repE0EEENS1_30default_config_static_selectorELNS0_4arch9wavefront6targetE0EEEvSW_.num_agpr, 0
	.set _ZN7rocprim17ROCPRIM_400000_NS6detail17trampoline_kernelINS0_14default_configENS1_29binary_search_config_selectorItiEEZNS1_14transform_implILb0ES3_S5_N6thrust23THRUST_200600_302600_NS6detail15normal_iteratorINS8_7pointerItNS8_11hip_rocprim5par_tENS8_11use_defaultESE_EEEENSA_INSB_IiSD_SE_SE_EEEEZNS1_13binary_searchIS3_S5_PtSG_SI_NS1_16binary_search_opENS9_16wrapped_functionINS8_6system6detail7generic6detail18binary_search_lessEbEEEE10hipError_tPvRmT1_T2_T3_mmT4_T5_P12ihipStream_tbEUlRKtE_EEST_SX_SY_mSZ_S12_bEUlT_E_NS1_11comp_targetILNS1_3genE10ELNS1_11target_archE1201ELNS1_3gpuE5ELNS1_3repE0EEENS1_30default_config_static_selectorELNS0_4arch9wavefront6targetE0EEEvSW_.numbered_sgpr, 0
	.set _ZN7rocprim17ROCPRIM_400000_NS6detail17trampoline_kernelINS0_14default_configENS1_29binary_search_config_selectorItiEEZNS1_14transform_implILb0ES3_S5_N6thrust23THRUST_200600_302600_NS6detail15normal_iteratorINS8_7pointerItNS8_11hip_rocprim5par_tENS8_11use_defaultESE_EEEENSA_INSB_IiSD_SE_SE_EEEEZNS1_13binary_searchIS3_S5_PtSG_SI_NS1_16binary_search_opENS9_16wrapped_functionINS8_6system6detail7generic6detail18binary_search_lessEbEEEE10hipError_tPvRmT1_T2_T3_mmT4_T5_P12ihipStream_tbEUlRKtE_EEST_SX_SY_mSZ_S12_bEUlT_E_NS1_11comp_targetILNS1_3genE10ELNS1_11target_archE1201ELNS1_3gpuE5ELNS1_3repE0EEENS1_30default_config_static_selectorELNS0_4arch9wavefront6targetE0EEEvSW_.num_named_barrier, 0
	.set _ZN7rocprim17ROCPRIM_400000_NS6detail17trampoline_kernelINS0_14default_configENS1_29binary_search_config_selectorItiEEZNS1_14transform_implILb0ES3_S5_N6thrust23THRUST_200600_302600_NS6detail15normal_iteratorINS8_7pointerItNS8_11hip_rocprim5par_tENS8_11use_defaultESE_EEEENSA_INSB_IiSD_SE_SE_EEEEZNS1_13binary_searchIS3_S5_PtSG_SI_NS1_16binary_search_opENS9_16wrapped_functionINS8_6system6detail7generic6detail18binary_search_lessEbEEEE10hipError_tPvRmT1_T2_T3_mmT4_T5_P12ihipStream_tbEUlRKtE_EEST_SX_SY_mSZ_S12_bEUlT_E_NS1_11comp_targetILNS1_3genE10ELNS1_11target_archE1201ELNS1_3gpuE5ELNS1_3repE0EEENS1_30default_config_static_selectorELNS0_4arch9wavefront6targetE0EEEvSW_.private_seg_size, 0
	.set _ZN7rocprim17ROCPRIM_400000_NS6detail17trampoline_kernelINS0_14default_configENS1_29binary_search_config_selectorItiEEZNS1_14transform_implILb0ES3_S5_N6thrust23THRUST_200600_302600_NS6detail15normal_iteratorINS8_7pointerItNS8_11hip_rocprim5par_tENS8_11use_defaultESE_EEEENSA_INSB_IiSD_SE_SE_EEEEZNS1_13binary_searchIS3_S5_PtSG_SI_NS1_16binary_search_opENS9_16wrapped_functionINS8_6system6detail7generic6detail18binary_search_lessEbEEEE10hipError_tPvRmT1_T2_T3_mmT4_T5_P12ihipStream_tbEUlRKtE_EEST_SX_SY_mSZ_S12_bEUlT_E_NS1_11comp_targetILNS1_3genE10ELNS1_11target_archE1201ELNS1_3gpuE5ELNS1_3repE0EEENS1_30default_config_static_selectorELNS0_4arch9wavefront6targetE0EEEvSW_.uses_vcc, 0
	.set _ZN7rocprim17ROCPRIM_400000_NS6detail17trampoline_kernelINS0_14default_configENS1_29binary_search_config_selectorItiEEZNS1_14transform_implILb0ES3_S5_N6thrust23THRUST_200600_302600_NS6detail15normal_iteratorINS8_7pointerItNS8_11hip_rocprim5par_tENS8_11use_defaultESE_EEEENSA_INSB_IiSD_SE_SE_EEEEZNS1_13binary_searchIS3_S5_PtSG_SI_NS1_16binary_search_opENS9_16wrapped_functionINS8_6system6detail7generic6detail18binary_search_lessEbEEEE10hipError_tPvRmT1_T2_T3_mmT4_T5_P12ihipStream_tbEUlRKtE_EEST_SX_SY_mSZ_S12_bEUlT_E_NS1_11comp_targetILNS1_3genE10ELNS1_11target_archE1201ELNS1_3gpuE5ELNS1_3repE0EEENS1_30default_config_static_selectorELNS0_4arch9wavefront6targetE0EEEvSW_.uses_flat_scratch, 0
	.set _ZN7rocprim17ROCPRIM_400000_NS6detail17trampoline_kernelINS0_14default_configENS1_29binary_search_config_selectorItiEEZNS1_14transform_implILb0ES3_S5_N6thrust23THRUST_200600_302600_NS6detail15normal_iteratorINS8_7pointerItNS8_11hip_rocprim5par_tENS8_11use_defaultESE_EEEENSA_INSB_IiSD_SE_SE_EEEEZNS1_13binary_searchIS3_S5_PtSG_SI_NS1_16binary_search_opENS9_16wrapped_functionINS8_6system6detail7generic6detail18binary_search_lessEbEEEE10hipError_tPvRmT1_T2_T3_mmT4_T5_P12ihipStream_tbEUlRKtE_EEST_SX_SY_mSZ_S12_bEUlT_E_NS1_11comp_targetILNS1_3genE10ELNS1_11target_archE1201ELNS1_3gpuE5ELNS1_3repE0EEENS1_30default_config_static_selectorELNS0_4arch9wavefront6targetE0EEEvSW_.has_dyn_sized_stack, 0
	.set _ZN7rocprim17ROCPRIM_400000_NS6detail17trampoline_kernelINS0_14default_configENS1_29binary_search_config_selectorItiEEZNS1_14transform_implILb0ES3_S5_N6thrust23THRUST_200600_302600_NS6detail15normal_iteratorINS8_7pointerItNS8_11hip_rocprim5par_tENS8_11use_defaultESE_EEEENSA_INSB_IiSD_SE_SE_EEEEZNS1_13binary_searchIS3_S5_PtSG_SI_NS1_16binary_search_opENS9_16wrapped_functionINS8_6system6detail7generic6detail18binary_search_lessEbEEEE10hipError_tPvRmT1_T2_T3_mmT4_T5_P12ihipStream_tbEUlRKtE_EEST_SX_SY_mSZ_S12_bEUlT_E_NS1_11comp_targetILNS1_3genE10ELNS1_11target_archE1201ELNS1_3gpuE5ELNS1_3repE0EEENS1_30default_config_static_selectorELNS0_4arch9wavefront6targetE0EEEvSW_.has_recursion, 0
	.set _ZN7rocprim17ROCPRIM_400000_NS6detail17trampoline_kernelINS0_14default_configENS1_29binary_search_config_selectorItiEEZNS1_14transform_implILb0ES3_S5_N6thrust23THRUST_200600_302600_NS6detail15normal_iteratorINS8_7pointerItNS8_11hip_rocprim5par_tENS8_11use_defaultESE_EEEENSA_INSB_IiSD_SE_SE_EEEEZNS1_13binary_searchIS3_S5_PtSG_SI_NS1_16binary_search_opENS9_16wrapped_functionINS8_6system6detail7generic6detail18binary_search_lessEbEEEE10hipError_tPvRmT1_T2_T3_mmT4_T5_P12ihipStream_tbEUlRKtE_EEST_SX_SY_mSZ_S12_bEUlT_E_NS1_11comp_targetILNS1_3genE10ELNS1_11target_archE1201ELNS1_3gpuE5ELNS1_3repE0EEENS1_30default_config_static_selectorELNS0_4arch9wavefront6targetE0EEEvSW_.has_indirect_call, 0
	.section	.AMDGPU.csdata,"",@progbits
; Kernel info:
; codeLenInByte = 0
; TotalNumSgprs: 0
; NumVgprs: 0
; ScratchSize: 0
; MemoryBound: 0
; FloatMode: 240
; IeeeMode: 1
; LDSByteSize: 0 bytes/workgroup (compile time only)
; SGPRBlocks: 0
; VGPRBlocks: 0
; NumSGPRsForWavesPerEU: 1
; NumVGPRsForWavesPerEU: 1
; Occupancy: 16
; WaveLimiterHint : 0
; COMPUTE_PGM_RSRC2:SCRATCH_EN: 0
; COMPUTE_PGM_RSRC2:USER_SGPR: 6
; COMPUTE_PGM_RSRC2:TRAP_HANDLER: 0
; COMPUTE_PGM_RSRC2:TGID_X_EN: 1
; COMPUTE_PGM_RSRC2:TGID_Y_EN: 0
; COMPUTE_PGM_RSRC2:TGID_Z_EN: 0
; COMPUTE_PGM_RSRC2:TIDIG_COMP_CNT: 0
	.section	.text._ZN7rocprim17ROCPRIM_400000_NS6detail17trampoline_kernelINS0_14default_configENS1_29binary_search_config_selectorItiEEZNS1_14transform_implILb0ES3_S5_N6thrust23THRUST_200600_302600_NS6detail15normal_iteratorINS8_7pointerItNS8_11hip_rocprim5par_tENS8_11use_defaultESE_EEEENSA_INSB_IiSD_SE_SE_EEEEZNS1_13binary_searchIS3_S5_PtSG_SI_NS1_16binary_search_opENS9_16wrapped_functionINS8_6system6detail7generic6detail18binary_search_lessEbEEEE10hipError_tPvRmT1_T2_T3_mmT4_T5_P12ihipStream_tbEUlRKtE_EEST_SX_SY_mSZ_S12_bEUlT_E_NS1_11comp_targetILNS1_3genE10ELNS1_11target_archE1200ELNS1_3gpuE4ELNS1_3repE0EEENS1_30default_config_static_selectorELNS0_4arch9wavefront6targetE0EEEvSW_,"axG",@progbits,_ZN7rocprim17ROCPRIM_400000_NS6detail17trampoline_kernelINS0_14default_configENS1_29binary_search_config_selectorItiEEZNS1_14transform_implILb0ES3_S5_N6thrust23THRUST_200600_302600_NS6detail15normal_iteratorINS8_7pointerItNS8_11hip_rocprim5par_tENS8_11use_defaultESE_EEEENSA_INSB_IiSD_SE_SE_EEEEZNS1_13binary_searchIS3_S5_PtSG_SI_NS1_16binary_search_opENS9_16wrapped_functionINS8_6system6detail7generic6detail18binary_search_lessEbEEEE10hipError_tPvRmT1_T2_T3_mmT4_T5_P12ihipStream_tbEUlRKtE_EEST_SX_SY_mSZ_S12_bEUlT_E_NS1_11comp_targetILNS1_3genE10ELNS1_11target_archE1200ELNS1_3gpuE4ELNS1_3repE0EEENS1_30default_config_static_selectorELNS0_4arch9wavefront6targetE0EEEvSW_,comdat
	.protected	_ZN7rocprim17ROCPRIM_400000_NS6detail17trampoline_kernelINS0_14default_configENS1_29binary_search_config_selectorItiEEZNS1_14transform_implILb0ES3_S5_N6thrust23THRUST_200600_302600_NS6detail15normal_iteratorINS8_7pointerItNS8_11hip_rocprim5par_tENS8_11use_defaultESE_EEEENSA_INSB_IiSD_SE_SE_EEEEZNS1_13binary_searchIS3_S5_PtSG_SI_NS1_16binary_search_opENS9_16wrapped_functionINS8_6system6detail7generic6detail18binary_search_lessEbEEEE10hipError_tPvRmT1_T2_T3_mmT4_T5_P12ihipStream_tbEUlRKtE_EEST_SX_SY_mSZ_S12_bEUlT_E_NS1_11comp_targetILNS1_3genE10ELNS1_11target_archE1200ELNS1_3gpuE4ELNS1_3repE0EEENS1_30default_config_static_selectorELNS0_4arch9wavefront6targetE0EEEvSW_ ; -- Begin function _ZN7rocprim17ROCPRIM_400000_NS6detail17trampoline_kernelINS0_14default_configENS1_29binary_search_config_selectorItiEEZNS1_14transform_implILb0ES3_S5_N6thrust23THRUST_200600_302600_NS6detail15normal_iteratorINS8_7pointerItNS8_11hip_rocprim5par_tENS8_11use_defaultESE_EEEENSA_INSB_IiSD_SE_SE_EEEEZNS1_13binary_searchIS3_S5_PtSG_SI_NS1_16binary_search_opENS9_16wrapped_functionINS8_6system6detail7generic6detail18binary_search_lessEbEEEE10hipError_tPvRmT1_T2_T3_mmT4_T5_P12ihipStream_tbEUlRKtE_EEST_SX_SY_mSZ_S12_bEUlT_E_NS1_11comp_targetILNS1_3genE10ELNS1_11target_archE1200ELNS1_3gpuE4ELNS1_3repE0EEENS1_30default_config_static_selectorELNS0_4arch9wavefront6targetE0EEEvSW_
	.globl	_ZN7rocprim17ROCPRIM_400000_NS6detail17trampoline_kernelINS0_14default_configENS1_29binary_search_config_selectorItiEEZNS1_14transform_implILb0ES3_S5_N6thrust23THRUST_200600_302600_NS6detail15normal_iteratorINS8_7pointerItNS8_11hip_rocprim5par_tENS8_11use_defaultESE_EEEENSA_INSB_IiSD_SE_SE_EEEEZNS1_13binary_searchIS3_S5_PtSG_SI_NS1_16binary_search_opENS9_16wrapped_functionINS8_6system6detail7generic6detail18binary_search_lessEbEEEE10hipError_tPvRmT1_T2_T3_mmT4_T5_P12ihipStream_tbEUlRKtE_EEST_SX_SY_mSZ_S12_bEUlT_E_NS1_11comp_targetILNS1_3genE10ELNS1_11target_archE1200ELNS1_3gpuE4ELNS1_3repE0EEENS1_30default_config_static_selectorELNS0_4arch9wavefront6targetE0EEEvSW_
	.p2align	8
	.type	_ZN7rocprim17ROCPRIM_400000_NS6detail17trampoline_kernelINS0_14default_configENS1_29binary_search_config_selectorItiEEZNS1_14transform_implILb0ES3_S5_N6thrust23THRUST_200600_302600_NS6detail15normal_iteratorINS8_7pointerItNS8_11hip_rocprim5par_tENS8_11use_defaultESE_EEEENSA_INSB_IiSD_SE_SE_EEEEZNS1_13binary_searchIS3_S5_PtSG_SI_NS1_16binary_search_opENS9_16wrapped_functionINS8_6system6detail7generic6detail18binary_search_lessEbEEEE10hipError_tPvRmT1_T2_T3_mmT4_T5_P12ihipStream_tbEUlRKtE_EEST_SX_SY_mSZ_S12_bEUlT_E_NS1_11comp_targetILNS1_3genE10ELNS1_11target_archE1200ELNS1_3gpuE4ELNS1_3repE0EEENS1_30default_config_static_selectorELNS0_4arch9wavefront6targetE0EEEvSW_,@function
_ZN7rocprim17ROCPRIM_400000_NS6detail17trampoline_kernelINS0_14default_configENS1_29binary_search_config_selectorItiEEZNS1_14transform_implILb0ES3_S5_N6thrust23THRUST_200600_302600_NS6detail15normal_iteratorINS8_7pointerItNS8_11hip_rocprim5par_tENS8_11use_defaultESE_EEEENSA_INSB_IiSD_SE_SE_EEEEZNS1_13binary_searchIS3_S5_PtSG_SI_NS1_16binary_search_opENS9_16wrapped_functionINS8_6system6detail7generic6detail18binary_search_lessEbEEEE10hipError_tPvRmT1_T2_T3_mmT4_T5_P12ihipStream_tbEUlRKtE_EEST_SX_SY_mSZ_S12_bEUlT_E_NS1_11comp_targetILNS1_3genE10ELNS1_11target_archE1200ELNS1_3gpuE4ELNS1_3repE0EEENS1_30default_config_static_selectorELNS0_4arch9wavefront6targetE0EEEvSW_: ; @_ZN7rocprim17ROCPRIM_400000_NS6detail17trampoline_kernelINS0_14default_configENS1_29binary_search_config_selectorItiEEZNS1_14transform_implILb0ES3_S5_N6thrust23THRUST_200600_302600_NS6detail15normal_iteratorINS8_7pointerItNS8_11hip_rocprim5par_tENS8_11use_defaultESE_EEEENSA_INSB_IiSD_SE_SE_EEEEZNS1_13binary_searchIS3_S5_PtSG_SI_NS1_16binary_search_opENS9_16wrapped_functionINS8_6system6detail7generic6detail18binary_search_lessEbEEEE10hipError_tPvRmT1_T2_T3_mmT4_T5_P12ihipStream_tbEUlRKtE_EEST_SX_SY_mSZ_S12_bEUlT_E_NS1_11comp_targetILNS1_3genE10ELNS1_11target_archE1200ELNS1_3gpuE4ELNS1_3repE0EEENS1_30default_config_static_selectorELNS0_4arch9wavefront6targetE0EEEvSW_
; %bb.0:
	.section	.rodata,"a",@progbits
	.p2align	6, 0x0
	.amdhsa_kernel _ZN7rocprim17ROCPRIM_400000_NS6detail17trampoline_kernelINS0_14default_configENS1_29binary_search_config_selectorItiEEZNS1_14transform_implILb0ES3_S5_N6thrust23THRUST_200600_302600_NS6detail15normal_iteratorINS8_7pointerItNS8_11hip_rocprim5par_tENS8_11use_defaultESE_EEEENSA_INSB_IiSD_SE_SE_EEEEZNS1_13binary_searchIS3_S5_PtSG_SI_NS1_16binary_search_opENS9_16wrapped_functionINS8_6system6detail7generic6detail18binary_search_lessEbEEEE10hipError_tPvRmT1_T2_T3_mmT4_T5_P12ihipStream_tbEUlRKtE_EEST_SX_SY_mSZ_S12_bEUlT_E_NS1_11comp_targetILNS1_3genE10ELNS1_11target_archE1200ELNS1_3gpuE4ELNS1_3repE0EEENS1_30default_config_static_selectorELNS0_4arch9wavefront6targetE0EEEvSW_
		.amdhsa_group_segment_fixed_size 0
		.amdhsa_private_segment_fixed_size 0
		.amdhsa_kernarg_size 56
		.amdhsa_user_sgpr_count 6
		.amdhsa_user_sgpr_private_segment_buffer 1
		.amdhsa_user_sgpr_dispatch_ptr 0
		.amdhsa_user_sgpr_queue_ptr 0
		.amdhsa_user_sgpr_kernarg_segment_ptr 1
		.amdhsa_user_sgpr_dispatch_id 0
		.amdhsa_user_sgpr_flat_scratch_init 0
		.amdhsa_user_sgpr_private_segment_size 0
		.amdhsa_wavefront_size32 1
		.amdhsa_uses_dynamic_stack 0
		.amdhsa_system_sgpr_private_segment_wavefront_offset 0
		.amdhsa_system_sgpr_workgroup_id_x 1
		.amdhsa_system_sgpr_workgroup_id_y 0
		.amdhsa_system_sgpr_workgroup_id_z 0
		.amdhsa_system_sgpr_workgroup_info 0
		.amdhsa_system_vgpr_workitem_id 0
		.amdhsa_next_free_vgpr 1
		.amdhsa_next_free_sgpr 1
		.amdhsa_reserve_vcc 0
		.amdhsa_reserve_flat_scratch 0
		.amdhsa_float_round_mode_32 0
		.amdhsa_float_round_mode_16_64 0
		.amdhsa_float_denorm_mode_32 3
		.amdhsa_float_denorm_mode_16_64 3
		.amdhsa_dx10_clamp 1
		.amdhsa_ieee_mode 1
		.amdhsa_fp16_overflow 0
		.amdhsa_workgroup_processor_mode 1
		.amdhsa_memory_ordered 1
		.amdhsa_forward_progress 1
		.amdhsa_shared_vgpr_count 0
		.amdhsa_exception_fp_ieee_invalid_op 0
		.amdhsa_exception_fp_denorm_src 0
		.amdhsa_exception_fp_ieee_div_zero 0
		.amdhsa_exception_fp_ieee_overflow 0
		.amdhsa_exception_fp_ieee_underflow 0
		.amdhsa_exception_fp_ieee_inexact 0
		.amdhsa_exception_int_div_zero 0
	.end_amdhsa_kernel
	.section	.text._ZN7rocprim17ROCPRIM_400000_NS6detail17trampoline_kernelINS0_14default_configENS1_29binary_search_config_selectorItiEEZNS1_14transform_implILb0ES3_S5_N6thrust23THRUST_200600_302600_NS6detail15normal_iteratorINS8_7pointerItNS8_11hip_rocprim5par_tENS8_11use_defaultESE_EEEENSA_INSB_IiSD_SE_SE_EEEEZNS1_13binary_searchIS3_S5_PtSG_SI_NS1_16binary_search_opENS9_16wrapped_functionINS8_6system6detail7generic6detail18binary_search_lessEbEEEE10hipError_tPvRmT1_T2_T3_mmT4_T5_P12ihipStream_tbEUlRKtE_EEST_SX_SY_mSZ_S12_bEUlT_E_NS1_11comp_targetILNS1_3genE10ELNS1_11target_archE1200ELNS1_3gpuE4ELNS1_3repE0EEENS1_30default_config_static_selectorELNS0_4arch9wavefront6targetE0EEEvSW_,"axG",@progbits,_ZN7rocprim17ROCPRIM_400000_NS6detail17trampoline_kernelINS0_14default_configENS1_29binary_search_config_selectorItiEEZNS1_14transform_implILb0ES3_S5_N6thrust23THRUST_200600_302600_NS6detail15normal_iteratorINS8_7pointerItNS8_11hip_rocprim5par_tENS8_11use_defaultESE_EEEENSA_INSB_IiSD_SE_SE_EEEEZNS1_13binary_searchIS3_S5_PtSG_SI_NS1_16binary_search_opENS9_16wrapped_functionINS8_6system6detail7generic6detail18binary_search_lessEbEEEE10hipError_tPvRmT1_T2_T3_mmT4_T5_P12ihipStream_tbEUlRKtE_EEST_SX_SY_mSZ_S12_bEUlT_E_NS1_11comp_targetILNS1_3genE10ELNS1_11target_archE1200ELNS1_3gpuE4ELNS1_3repE0EEENS1_30default_config_static_selectorELNS0_4arch9wavefront6targetE0EEEvSW_,comdat
.Lfunc_end289:
	.size	_ZN7rocprim17ROCPRIM_400000_NS6detail17trampoline_kernelINS0_14default_configENS1_29binary_search_config_selectorItiEEZNS1_14transform_implILb0ES3_S5_N6thrust23THRUST_200600_302600_NS6detail15normal_iteratorINS8_7pointerItNS8_11hip_rocprim5par_tENS8_11use_defaultESE_EEEENSA_INSB_IiSD_SE_SE_EEEEZNS1_13binary_searchIS3_S5_PtSG_SI_NS1_16binary_search_opENS9_16wrapped_functionINS8_6system6detail7generic6detail18binary_search_lessEbEEEE10hipError_tPvRmT1_T2_T3_mmT4_T5_P12ihipStream_tbEUlRKtE_EEST_SX_SY_mSZ_S12_bEUlT_E_NS1_11comp_targetILNS1_3genE10ELNS1_11target_archE1200ELNS1_3gpuE4ELNS1_3repE0EEENS1_30default_config_static_selectorELNS0_4arch9wavefront6targetE0EEEvSW_, .Lfunc_end289-_ZN7rocprim17ROCPRIM_400000_NS6detail17trampoline_kernelINS0_14default_configENS1_29binary_search_config_selectorItiEEZNS1_14transform_implILb0ES3_S5_N6thrust23THRUST_200600_302600_NS6detail15normal_iteratorINS8_7pointerItNS8_11hip_rocprim5par_tENS8_11use_defaultESE_EEEENSA_INSB_IiSD_SE_SE_EEEEZNS1_13binary_searchIS3_S5_PtSG_SI_NS1_16binary_search_opENS9_16wrapped_functionINS8_6system6detail7generic6detail18binary_search_lessEbEEEE10hipError_tPvRmT1_T2_T3_mmT4_T5_P12ihipStream_tbEUlRKtE_EEST_SX_SY_mSZ_S12_bEUlT_E_NS1_11comp_targetILNS1_3genE10ELNS1_11target_archE1200ELNS1_3gpuE4ELNS1_3repE0EEENS1_30default_config_static_selectorELNS0_4arch9wavefront6targetE0EEEvSW_
                                        ; -- End function
	.set _ZN7rocprim17ROCPRIM_400000_NS6detail17trampoline_kernelINS0_14default_configENS1_29binary_search_config_selectorItiEEZNS1_14transform_implILb0ES3_S5_N6thrust23THRUST_200600_302600_NS6detail15normal_iteratorINS8_7pointerItNS8_11hip_rocprim5par_tENS8_11use_defaultESE_EEEENSA_INSB_IiSD_SE_SE_EEEEZNS1_13binary_searchIS3_S5_PtSG_SI_NS1_16binary_search_opENS9_16wrapped_functionINS8_6system6detail7generic6detail18binary_search_lessEbEEEE10hipError_tPvRmT1_T2_T3_mmT4_T5_P12ihipStream_tbEUlRKtE_EEST_SX_SY_mSZ_S12_bEUlT_E_NS1_11comp_targetILNS1_3genE10ELNS1_11target_archE1200ELNS1_3gpuE4ELNS1_3repE0EEENS1_30default_config_static_selectorELNS0_4arch9wavefront6targetE0EEEvSW_.num_vgpr, 0
	.set _ZN7rocprim17ROCPRIM_400000_NS6detail17trampoline_kernelINS0_14default_configENS1_29binary_search_config_selectorItiEEZNS1_14transform_implILb0ES3_S5_N6thrust23THRUST_200600_302600_NS6detail15normal_iteratorINS8_7pointerItNS8_11hip_rocprim5par_tENS8_11use_defaultESE_EEEENSA_INSB_IiSD_SE_SE_EEEEZNS1_13binary_searchIS3_S5_PtSG_SI_NS1_16binary_search_opENS9_16wrapped_functionINS8_6system6detail7generic6detail18binary_search_lessEbEEEE10hipError_tPvRmT1_T2_T3_mmT4_T5_P12ihipStream_tbEUlRKtE_EEST_SX_SY_mSZ_S12_bEUlT_E_NS1_11comp_targetILNS1_3genE10ELNS1_11target_archE1200ELNS1_3gpuE4ELNS1_3repE0EEENS1_30default_config_static_selectorELNS0_4arch9wavefront6targetE0EEEvSW_.num_agpr, 0
	.set _ZN7rocprim17ROCPRIM_400000_NS6detail17trampoline_kernelINS0_14default_configENS1_29binary_search_config_selectorItiEEZNS1_14transform_implILb0ES3_S5_N6thrust23THRUST_200600_302600_NS6detail15normal_iteratorINS8_7pointerItNS8_11hip_rocprim5par_tENS8_11use_defaultESE_EEEENSA_INSB_IiSD_SE_SE_EEEEZNS1_13binary_searchIS3_S5_PtSG_SI_NS1_16binary_search_opENS9_16wrapped_functionINS8_6system6detail7generic6detail18binary_search_lessEbEEEE10hipError_tPvRmT1_T2_T3_mmT4_T5_P12ihipStream_tbEUlRKtE_EEST_SX_SY_mSZ_S12_bEUlT_E_NS1_11comp_targetILNS1_3genE10ELNS1_11target_archE1200ELNS1_3gpuE4ELNS1_3repE0EEENS1_30default_config_static_selectorELNS0_4arch9wavefront6targetE0EEEvSW_.numbered_sgpr, 0
	.set _ZN7rocprim17ROCPRIM_400000_NS6detail17trampoline_kernelINS0_14default_configENS1_29binary_search_config_selectorItiEEZNS1_14transform_implILb0ES3_S5_N6thrust23THRUST_200600_302600_NS6detail15normal_iteratorINS8_7pointerItNS8_11hip_rocprim5par_tENS8_11use_defaultESE_EEEENSA_INSB_IiSD_SE_SE_EEEEZNS1_13binary_searchIS3_S5_PtSG_SI_NS1_16binary_search_opENS9_16wrapped_functionINS8_6system6detail7generic6detail18binary_search_lessEbEEEE10hipError_tPvRmT1_T2_T3_mmT4_T5_P12ihipStream_tbEUlRKtE_EEST_SX_SY_mSZ_S12_bEUlT_E_NS1_11comp_targetILNS1_3genE10ELNS1_11target_archE1200ELNS1_3gpuE4ELNS1_3repE0EEENS1_30default_config_static_selectorELNS0_4arch9wavefront6targetE0EEEvSW_.num_named_barrier, 0
	.set _ZN7rocprim17ROCPRIM_400000_NS6detail17trampoline_kernelINS0_14default_configENS1_29binary_search_config_selectorItiEEZNS1_14transform_implILb0ES3_S5_N6thrust23THRUST_200600_302600_NS6detail15normal_iteratorINS8_7pointerItNS8_11hip_rocprim5par_tENS8_11use_defaultESE_EEEENSA_INSB_IiSD_SE_SE_EEEEZNS1_13binary_searchIS3_S5_PtSG_SI_NS1_16binary_search_opENS9_16wrapped_functionINS8_6system6detail7generic6detail18binary_search_lessEbEEEE10hipError_tPvRmT1_T2_T3_mmT4_T5_P12ihipStream_tbEUlRKtE_EEST_SX_SY_mSZ_S12_bEUlT_E_NS1_11comp_targetILNS1_3genE10ELNS1_11target_archE1200ELNS1_3gpuE4ELNS1_3repE0EEENS1_30default_config_static_selectorELNS0_4arch9wavefront6targetE0EEEvSW_.private_seg_size, 0
	.set _ZN7rocprim17ROCPRIM_400000_NS6detail17trampoline_kernelINS0_14default_configENS1_29binary_search_config_selectorItiEEZNS1_14transform_implILb0ES3_S5_N6thrust23THRUST_200600_302600_NS6detail15normal_iteratorINS8_7pointerItNS8_11hip_rocprim5par_tENS8_11use_defaultESE_EEEENSA_INSB_IiSD_SE_SE_EEEEZNS1_13binary_searchIS3_S5_PtSG_SI_NS1_16binary_search_opENS9_16wrapped_functionINS8_6system6detail7generic6detail18binary_search_lessEbEEEE10hipError_tPvRmT1_T2_T3_mmT4_T5_P12ihipStream_tbEUlRKtE_EEST_SX_SY_mSZ_S12_bEUlT_E_NS1_11comp_targetILNS1_3genE10ELNS1_11target_archE1200ELNS1_3gpuE4ELNS1_3repE0EEENS1_30default_config_static_selectorELNS0_4arch9wavefront6targetE0EEEvSW_.uses_vcc, 0
	.set _ZN7rocprim17ROCPRIM_400000_NS6detail17trampoline_kernelINS0_14default_configENS1_29binary_search_config_selectorItiEEZNS1_14transform_implILb0ES3_S5_N6thrust23THRUST_200600_302600_NS6detail15normal_iteratorINS8_7pointerItNS8_11hip_rocprim5par_tENS8_11use_defaultESE_EEEENSA_INSB_IiSD_SE_SE_EEEEZNS1_13binary_searchIS3_S5_PtSG_SI_NS1_16binary_search_opENS9_16wrapped_functionINS8_6system6detail7generic6detail18binary_search_lessEbEEEE10hipError_tPvRmT1_T2_T3_mmT4_T5_P12ihipStream_tbEUlRKtE_EEST_SX_SY_mSZ_S12_bEUlT_E_NS1_11comp_targetILNS1_3genE10ELNS1_11target_archE1200ELNS1_3gpuE4ELNS1_3repE0EEENS1_30default_config_static_selectorELNS0_4arch9wavefront6targetE0EEEvSW_.uses_flat_scratch, 0
	.set _ZN7rocprim17ROCPRIM_400000_NS6detail17trampoline_kernelINS0_14default_configENS1_29binary_search_config_selectorItiEEZNS1_14transform_implILb0ES3_S5_N6thrust23THRUST_200600_302600_NS6detail15normal_iteratorINS8_7pointerItNS8_11hip_rocprim5par_tENS8_11use_defaultESE_EEEENSA_INSB_IiSD_SE_SE_EEEEZNS1_13binary_searchIS3_S5_PtSG_SI_NS1_16binary_search_opENS9_16wrapped_functionINS8_6system6detail7generic6detail18binary_search_lessEbEEEE10hipError_tPvRmT1_T2_T3_mmT4_T5_P12ihipStream_tbEUlRKtE_EEST_SX_SY_mSZ_S12_bEUlT_E_NS1_11comp_targetILNS1_3genE10ELNS1_11target_archE1200ELNS1_3gpuE4ELNS1_3repE0EEENS1_30default_config_static_selectorELNS0_4arch9wavefront6targetE0EEEvSW_.has_dyn_sized_stack, 0
	.set _ZN7rocprim17ROCPRIM_400000_NS6detail17trampoline_kernelINS0_14default_configENS1_29binary_search_config_selectorItiEEZNS1_14transform_implILb0ES3_S5_N6thrust23THRUST_200600_302600_NS6detail15normal_iteratorINS8_7pointerItNS8_11hip_rocprim5par_tENS8_11use_defaultESE_EEEENSA_INSB_IiSD_SE_SE_EEEEZNS1_13binary_searchIS3_S5_PtSG_SI_NS1_16binary_search_opENS9_16wrapped_functionINS8_6system6detail7generic6detail18binary_search_lessEbEEEE10hipError_tPvRmT1_T2_T3_mmT4_T5_P12ihipStream_tbEUlRKtE_EEST_SX_SY_mSZ_S12_bEUlT_E_NS1_11comp_targetILNS1_3genE10ELNS1_11target_archE1200ELNS1_3gpuE4ELNS1_3repE0EEENS1_30default_config_static_selectorELNS0_4arch9wavefront6targetE0EEEvSW_.has_recursion, 0
	.set _ZN7rocprim17ROCPRIM_400000_NS6detail17trampoline_kernelINS0_14default_configENS1_29binary_search_config_selectorItiEEZNS1_14transform_implILb0ES3_S5_N6thrust23THRUST_200600_302600_NS6detail15normal_iteratorINS8_7pointerItNS8_11hip_rocprim5par_tENS8_11use_defaultESE_EEEENSA_INSB_IiSD_SE_SE_EEEEZNS1_13binary_searchIS3_S5_PtSG_SI_NS1_16binary_search_opENS9_16wrapped_functionINS8_6system6detail7generic6detail18binary_search_lessEbEEEE10hipError_tPvRmT1_T2_T3_mmT4_T5_P12ihipStream_tbEUlRKtE_EEST_SX_SY_mSZ_S12_bEUlT_E_NS1_11comp_targetILNS1_3genE10ELNS1_11target_archE1200ELNS1_3gpuE4ELNS1_3repE0EEENS1_30default_config_static_selectorELNS0_4arch9wavefront6targetE0EEEvSW_.has_indirect_call, 0
	.section	.AMDGPU.csdata,"",@progbits
; Kernel info:
; codeLenInByte = 0
; TotalNumSgprs: 0
; NumVgprs: 0
; ScratchSize: 0
; MemoryBound: 0
; FloatMode: 240
; IeeeMode: 1
; LDSByteSize: 0 bytes/workgroup (compile time only)
; SGPRBlocks: 0
; VGPRBlocks: 0
; NumSGPRsForWavesPerEU: 1
; NumVGPRsForWavesPerEU: 1
; Occupancy: 16
; WaveLimiterHint : 0
; COMPUTE_PGM_RSRC2:SCRATCH_EN: 0
; COMPUTE_PGM_RSRC2:USER_SGPR: 6
; COMPUTE_PGM_RSRC2:TRAP_HANDLER: 0
; COMPUTE_PGM_RSRC2:TGID_X_EN: 1
; COMPUTE_PGM_RSRC2:TGID_Y_EN: 0
; COMPUTE_PGM_RSRC2:TGID_Z_EN: 0
; COMPUTE_PGM_RSRC2:TIDIG_COMP_CNT: 0
	.section	.text._ZN7rocprim17ROCPRIM_400000_NS6detail17trampoline_kernelINS0_14default_configENS1_29binary_search_config_selectorItiEEZNS1_14transform_implILb0ES3_S5_N6thrust23THRUST_200600_302600_NS6detail15normal_iteratorINS8_7pointerItNS8_11hip_rocprim5par_tENS8_11use_defaultESE_EEEENSA_INSB_IiSD_SE_SE_EEEEZNS1_13binary_searchIS3_S5_PtSG_SI_NS1_16binary_search_opENS9_16wrapped_functionINS8_6system6detail7generic6detail18binary_search_lessEbEEEE10hipError_tPvRmT1_T2_T3_mmT4_T5_P12ihipStream_tbEUlRKtE_EEST_SX_SY_mSZ_S12_bEUlT_E_NS1_11comp_targetILNS1_3genE9ELNS1_11target_archE1100ELNS1_3gpuE3ELNS1_3repE0EEENS1_30default_config_static_selectorELNS0_4arch9wavefront6targetE0EEEvSW_,"axG",@progbits,_ZN7rocprim17ROCPRIM_400000_NS6detail17trampoline_kernelINS0_14default_configENS1_29binary_search_config_selectorItiEEZNS1_14transform_implILb0ES3_S5_N6thrust23THRUST_200600_302600_NS6detail15normal_iteratorINS8_7pointerItNS8_11hip_rocprim5par_tENS8_11use_defaultESE_EEEENSA_INSB_IiSD_SE_SE_EEEEZNS1_13binary_searchIS3_S5_PtSG_SI_NS1_16binary_search_opENS9_16wrapped_functionINS8_6system6detail7generic6detail18binary_search_lessEbEEEE10hipError_tPvRmT1_T2_T3_mmT4_T5_P12ihipStream_tbEUlRKtE_EEST_SX_SY_mSZ_S12_bEUlT_E_NS1_11comp_targetILNS1_3genE9ELNS1_11target_archE1100ELNS1_3gpuE3ELNS1_3repE0EEENS1_30default_config_static_selectorELNS0_4arch9wavefront6targetE0EEEvSW_,comdat
	.protected	_ZN7rocprim17ROCPRIM_400000_NS6detail17trampoline_kernelINS0_14default_configENS1_29binary_search_config_selectorItiEEZNS1_14transform_implILb0ES3_S5_N6thrust23THRUST_200600_302600_NS6detail15normal_iteratorINS8_7pointerItNS8_11hip_rocprim5par_tENS8_11use_defaultESE_EEEENSA_INSB_IiSD_SE_SE_EEEEZNS1_13binary_searchIS3_S5_PtSG_SI_NS1_16binary_search_opENS9_16wrapped_functionINS8_6system6detail7generic6detail18binary_search_lessEbEEEE10hipError_tPvRmT1_T2_T3_mmT4_T5_P12ihipStream_tbEUlRKtE_EEST_SX_SY_mSZ_S12_bEUlT_E_NS1_11comp_targetILNS1_3genE9ELNS1_11target_archE1100ELNS1_3gpuE3ELNS1_3repE0EEENS1_30default_config_static_selectorELNS0_4arch9wavefront6targetE0EEEvSW_ ; -- Begin function _ZN7rocprim17ROCPRIM_400000_NS6detail17trampoline_kernelINS0_14default_configENS1_29binary_search_config_selectorItiEEZNS1_14transform_implILb0ES3_S5_N6thrust23THRUST_200600_302600_NS6detail15normal_iteratorINS8_7pointerItNS8_11hip_rocprim5par_tENS8_11use_defaultESE_EEEENSA_INSB_IiSD_SE_SE_EEEEZNS1_13binary_searchIS3_S5_PtSG_SI_NS1_16binary_search_opENS9_16wrapped_functionINS8_6system6detail7generic6detail18binary_search_lessEbEEEE10hipError_tPvRmT1_T2_T3_mmT4_T5_P12ihipStream_tbEUlRKtE_EEST_SX_SY_mSZ_S12_bEUlT_E_NS1_11comp_targetILNS1_3genE9ELNS1_11target_archE1100ELNS1_3gpuE3ELNS1_3repE0EEENS1_30default_config_static_selectorELNS0_4arch9wavefront6targetE0EEEvSW_
	.globl	_ZN7rocprim17ROCPRIM_400000_NS6detail17trampoline_kernelINS0_14default_configENS1_29binary_search_config_selectorItiEEZNS1_14transform_implILb0ES3_S5_N6thrust23THRUST_200600_302600_NS6detail15normal_iteratorINS8_7pointerItNS8_11hip_rocprim5par_tENS8_11use_defaultESE_EEEENSA_INSB_IiSD_SE_SE_EEEEZNS1_13binary_searchIS3_S5_PtSG_SI_NS1_16binary_search_opENS9_16wrapped_functionINS8_6system6detail7generic6detail18binary_search_lessEbEEEE10hipError_tPvRmT1_T2_T3_mmT4_T5_P12ihipStream_tbEUlRKtE_EEST_SX_SY_mSZ_S12_bEUlT_E_NS1_11comp_targetILNS1_3genE9ELNS1_11target_archE1100ELNS1_3gpuE3ELNS1_3repE0EEENS1_30default_config_static_selectorELNS0_4arch9wavefront6targetE0EEEvSW_
	.p2align	8
	.type	_ZN7rocprim17ROCPRIM_400000_NS6detail17trampoline_kernelINS0_14default_configENS1_29binary_search_config_selectorItiEEZNS1_14transform_implILb0ES3_S5_N6thrust23THRUST_200600_302600_NS6detail15normal_iteratorINS8_7pointerItNS8_11hip_rocprim5par_tENS8_11use_defaultESE_EEEENSA_INSB_IiSD_SE_SE_EEEEZNS1_13binary_searchIS3_S5_PtSG_SI_NS1_16binary_search_opENS9_16wrapped_functionINS8_6system6detail7generic6detail18binary_search_lessEbEEEE10hipError_tPvRmT1_T2_T3_mmT4_T5_P12ihipStream_tbEUlRKtE_EEST_SX_SY_mSZ_S12_bEUlT_E_NS1_11comp_targetILNS1_3genE9ELNS1_11target_archE1100ELNS1_3gpuE3ELNS1_3repE0EEENS1_30default_config_static_selectorELNS0_4arch9wavefront6targetE0EEEvSW_,@function
_ZN7rocprim17ROCPRIM_400000_NS6detail17trampoline_kernelINS0_14default_configENS1_29binary_search_config_selectorItiEEZNS1_14transform_implILb0ES3_S5_N6thrust23THRUST_200600_302600_NS6detail15normal_iteratorINS8_7pointerItNS8_11hip_rocprim5par_tENS8_11use_defaultESE_EEEENSA_INSB_IiSD_SE_SE_EEEEZNS1_13binary_searchIS3_S5_PtSG_SI_NS1_16binary_search_opENS9_16wrapped_functionINS8_6system6detail7generic6detail18binary_search_lessEbEEEE10hipError_tPvRmT1_T2_T3_mmT4_T5_P12ihipStream_tbEUlRKtE_EEST_SX_SY_mSZ_S12_bEUlT_E_NS1_11comp_targetILNS1_3genE9ELNS1_11target_archE1100ELNS1_3gpuE3ELNS1_3repE0EEENS1_30default_config_static_selectorELNS0_4arch9wavefront6targetE0EEEvSW_: ; @_ZN7rocprim17ROCPRIM_400000_NS6detail17trampoline_kernelINS0_14default_configENS1_29binary_search_config_selectorItiEEZNS1_14transform_implILb0ES3_S5_N6thrust23THRUST_200600_302600_NS6detail15normal_iteratorINS8_7pointerItNS8_11hip_rocprim5par_tENS8_11use_defaultESE_EEEENSA_INSB_IiSD_SE_SE_EEEEZNS1_13binary_searchIS3_S5_PtSG_SI_NS1_16binary_search_opENS9_16wrapped_functionINS8_6system6detail7generic6detail18binary_search_lessEbEEEE10hipError_tPvRmT1_T2_T3_mmT4_T5_P12ihipStream_tbEUlRKtE_EEST_SX_SY_mSZ_S12_bEUlT_E_NS1_11comp_targetILNS1_3genE9ELNS1_11target_archE1100ELNS1_3gpuE3ELNS1_3repE0EEENS1_30default_config_static_selectorELNS0_4arch9wavefront6targetE0EEEvSW_
; %bb.0:
	.section	.rodata,"a",@progbits
	.p2align	6, 0x0
	.amdhsa_kernel _ZN7rocprim17ROCPRIM_400000_NS6detail17trampoline_kernelINS0_14default_configENS1_29binary_search_config_selectorItiEEZNS1_14transform_implILb0ES3_S5_N6thrust23THRUST_200600_302600_NS6detail15normal_iteratorINS8_7pointerItNS8_11hip_rocprim5par_tENS8_11use_defaultESE_EEEENSA_INSB_IiSD_SE_SE_EEEEZNS1_13binary_searchIS3_S5_PtSG_SI_NS1_16binary_search_opENS9_16wrapped_functionINS8_6system6detail7generic6detail18binary_search_lessEbEEEE10hipError_tPvRmT1_T2_T3_mmT4_T5_P12ihipStream_tbEUlRKtE_EEST_SX_SY_mSZ_S12_bEUlT_E_NS1_11comp_targetILNS1_3genE9ELNS1_11target_archE1100ELNS1_3gpuE3ELNS1_3repE0EEENS1_30default_config_static_selectorELNS0_4arch9wavefront6targetE0EEEvSW_
		.amdhsa_group_segment_fixed_size 0
		.amdhsa_private_segment_fixed_size 0
		.amdhsa_kernarg_size 56
		.amdhsa_user_sgpr_count 6
		.amdhsa_user_sgpr_private_segment_buffer 1
		.amdhsa_user_sgpr_dispatch_ptr 0
		.amdhsa_user_sgpr_queue_ptr 0
		.amdhsa_user_sgpr_kernarg_segment_ptr 1
		.amdhsa_user_sgpr_dispatch_id 0
		.amdhsa_user_sgpr_flat_scratch_init 0
		.amdhsa_user_sgpr_private_segment_size 0
		.amdhsa_wavefront_size32 1
		.amdhsa_uses_dynamic_stack 0
		.amdhsa_system_sgpr_private_segment_wavefront_offset 0
		.amdhsa_system_sgpr_workgroup_id_x 1
		.amdhsa_system_sgpr_workgroup_id_y 0
		.amdhsa_system_sgpr_workgroup_id_z 0
		.amdhsa_system_sgpr_workgroup_info 0
		.amdhsa_system_vgpr_workitem_id 0
		.amdhsa_next_free_vgpr 1
		.amdhsa_next_free_sgpr 1
		.amdhsa_reserve_vcc 0
		.amdhsa_reserve_flat_scratch 0
		.amdhsa_float_round_mode_32 0
		.amdhsa_float_round_mode_16_64 0
		.amdhsa_float_denorm_mode_32 3
		.amdhsa_float_denorm_mode_16_64 3
		.amdhsa_dx10_clamp 1
		.amdhsa_ieee_mode 1
		.amdhsa_fp16_overflow 0
		.amdhsa_workgroup_processor_mode 1
		.amdhsa_memory_ordered 1
		.amdhsa_forward_progress 1
		.amdhsa_shared_vgpr_count 0
		.amdhsa_exception_fp_ieee_invalid_op 0
		.amdhsa_exception_fp_denorm_src 0
		.amdhsa_exception_fp_ieee_div_zero 0
		.amdhsa_exception_fp_ieee_overflow 0
		.amdhsa_exception_fp_ieee_underflow 0
		.amdhsa_exception_fp_ieee_inexact 0
		.amdhsa_exception_int_div_zero 0
	.end_amdhsa_kernel
	.section	.text._ZN7rocprim17ROCPRIM_400000_NS6detail17trampoline_kernelINS0_14default_configENS1_29binary_search_config_selectorItiEEZNS1_14transform_implILb0ES3_S5_N6thrust23THRUST_200600_302600_NS6detail15normal_iteratorINS8_7pointerItNS8_11hip_rocprim5par_tENS8_11use_defaultESE_EEEENSA_INSB_IiSD_SE_SE_EEEEZNS1_13binary_searchIS3_S5_PtSG_SI_NS1_16binary_search_opENS9_16wrapped_functionINS8_6system6detail7generic6detail18binary_search_lessEbEEEE10hipError_tPvRmT1_T2_T3_mmT4_T5_P12ihipStream_tbEUlRKtE_EEST_SX_SY_mSZ_S12_bEUlT_E_NS1_11comp_targetILNS1_3genE9ELNS1_11target_archE1100ELNS1_3gpuE3ELNS1_3repE0EEENS1_30default_config_static_selectorELNS0_4arch9wavefront6targetE0EEEvSW_,"axG",@progbits,_ZN7rocprim17ROCPRIM_400000_NS6detail17trampoline_kernelINS0_14default_configENS1_29binary_search_config_selectorItiEEZNS1_14transform_implILb0ES3_S5_N6thrust23THRUST_200600_302600_NS6detail15normal_iteratorINS8_7pointerItNS8_11hip_rocprim5par_tENS8_11use_defaultESE_EEEENSA_INSB_IiSD_SE_SE_EEEEZNS1_13binary_searchIS3_S5_PtSG_SI_NS1_16binary_search_opENS9_16wrapped_functionINS8_6system6detail7generic6detail18binary_search_lessEbEEEE10hipError_tPvRmT1_T2_T3_mmT4_T5_P12ihipStream_tbEUlRKtE_EEST_SX_SY_mSZ_S12_bEUlT_E_NS1_11comp_targetILNS1_3genE9ELNS1_11target_archE1100ELNS1_3gpuE3ELNS1_3repE0EEENS1_30default_config_static_selectorELNS0_4arch9wavefront6targetE0EEEvSW_,comdat
.Lfunc_end290:
	.size	_ZN7rocprim17ROCPRIM_400000_NS6detail17trampoline_kernelINS0_14default_configENS1_29binary_search_config_selectorItiEEZNS1_14transform_implILb0ES3_S5_N6thrust23THRUST_200600_302600_NS6detail15normal_iteratorINS8_7pointerItNS8_11hip_rocprim5par_tENS8_11use_defaultESE_EEEENSA_INSB_IiSD_SE_SE_EEEEZNS1_13binary_searchIS3_S5_PtSG_SI_NS1_16binary_search_opENS9_16wrapped_functionINS8_6system6detail7generic6detail18binary_search_lessEbEEEE10hipError_tPvRmT1_T2_T3_mmT4_T5_P12ihipStream_tbEUlRKtE_EEST_SX_SY_mSZ_S12_bEUlT_E_NS1_11comp_targetILNS1_3genE9ELNS1_11target_archE1100ELNS1_3gpuE3ELNS1_3repE0EEENS1_30default_config_static_selectorELNS0_4arch9wavefront6targetE0EEEvSW_, .Lfunc_end290-_ZN7rocprim17ROCPRIM_400000_NS6detail17trampoline_kernelINS0_14default_configENS1_29binary_search_config_selectorItiEEZNS1_14transform_implILb0ES3_S5_N6thrust23THRUST_200600_302600_NS6detail15normal_iteratorINS8_7pointerItNS8_11hip_rocprim5par_tENS8_11use_defaultESE_EEEENSA_INSB_IiSD_SE_SE_EEEEZNS1_13binary_searchIS3_S5_PtSG_SI_NS1_16binary_search_opENS9_16wrapped_functionINS8_6system6detail7generic6detail18binary_search_lessEbEEEE10hipError_tPvRmT1_T2_T3_mmT4_T5_P12ihipStream_tbEUlRKtE_EEST_SX_SY_mSZ_S12_bEUlT_E_NS1_11comp_targetILNS1_3genE9ELNS1_11target_archE1100ELNS1_3gpuE3ELNS1_3repE0EEENS1_30default_config_static_selectorELNS0_4arch9wavefront6targetE0EEEvSW_
                                        ; -- End function
	.set _ZN7rocprim17ROCPRIM_400000_NS6detail17trampoline_kernelINS0_14default_configENS1_29binary_search_config_selectorItiEEZNS1_14transform_implILb0ES3_S5_N6thrust23THRUST_200600_302600_NS6detail15normal_iteratorINS8_7pointerItNS8_11hip_rocprim5par_tENS8_11use_defaultESE_EEEENSA_INSB_IiSD_SE_SE_EEEEZNS1_13binary_searchIS3_S5_PtSG_SI_NS1_16binary_search_opENS9_16wrapped_functionINS8_6system6detail7generic6detail18binary_search_lessEbEEEE10hipError_tPvRmT1_T2_T3_mmT4_T5_P12ihipStream_tbEUlRKtE_EEST_SX_SY_mSZ_S12_bEUlT_E_NS1_11comp_targetILNS1_3genE9ELNS1_11target_archE1100ELNS1_3gpuE3ELNS1_3repE0EEENS1_30default_config_static_selectorELNS0_4arch9wavefront6targetE0EEEvSW_.num_vgpr, 0
	.set _ZN7rocprim17ROCPRIM_400000_NS6detail17trampoline_kernelINS0_14default_configENS1_29binary_search_config_selectorItiEEZNS1_14transform_implILb0ES3_S5_N6thrust23THRUST_200600_302600_NS6detail15normal_iteratorINS8_7pointerItNS8_11hip_rocprim5par_tENS8_11use_defaultESE_EEEENSA_INSB_IiSD_SE_SE_EEEEZNS1_13binary_searchIS3_S5_PtSG_SI_NS1_16binary_search_opENS9_16wrapped_functionINS8_6system6detail7generic6detail18binary_search_lessEbEEEE10hipError_tPvRmT1_T2_T3_mmT4_T5_P12ihipStream_tbEUlRKtE_EEST_SX_SY_mSZ_S12_bEUlT_E_NS1_11comp_targetILNS1_3genE9ELNS1_11target_archE1100ELNS1_3gpuE3ELNS1_3repE0EEENS1_30default_config_static_selectorELNS0_4arch9wavefront6targetE0EEEvSW_.num_agpr, 0
	.set _ZN7rocprim17ROCPRIM_400000_NS6detail17trampoline_kernelINS0_14default_configENS1_29binary_search_config_selectorItiEEZNS1_14transform_implILb0ES3_S5_N6thrust23THRUST_200600_302600_NS6detail15normal_iteratorINS8_7pointerItNS8_11hip_rocprim5par_tENS8_11use_defaultESE_EEEENSA_INSB_IiSD_SE_SE_EEEEZNS1_13binary_searchIS3_S5_PtSG_SI_NS1_16binary_search_opENS9_16wrapped_functionINS8_6system6detail7generic6detail18binary_search_lessEbEEEE10hipError_tPvRmT1_T2_T3_mmT4_T5_P12ihipStream_tbEUlRKtE_EEST_SX_SY_mSZ_S12_bEUlT_E_NS1_11comp_targetILNS1_3genE9ELNS1_11target_archE1100ELNS1_3gpuE3ELNS1_3repE0EEENS1_30default_config_static_selectorELNS0_4arch9wavefront6targetE0EEEvSW_.numbered_sgpr, 0
	.set _ZN7rocprim17ROCPRIM_400000_NS6detail17trampoline_kernelINS0_14default_configENS1_29binary_search_config_selectorItiEEZNS1_14transform_implILb0ES3_S5_N6thrust23THRUST_200600_302600_NS6detail15normal_iteratorINS8_7pointerItNS8_11hip_rocprim5par_tENS8_11use_defaultESE_EEEENSA_INSB_IiSD_SE_SE_EEEEZNS1_13binary_searchIS3_S5_PtSG_SI_NS1_16binary_search_opENS9_16wrapped_functionINS8_6system6detail7generic6detail18binary_search_lessEbEEEE10hipError_tPvRmT1_T2_T3_mmT4_T5_P12ihipStream_tbEUlRKtE_EEST_SX_SY_mSZ_S12_bEUlT_E_NS1_11comp_targetILNS1_3genE9ELNS1_11target_archE1100ELNS1_3gpuE3ELNS1_3repE0EEENS1_30default_config_static_selectorELNS0_4arch9wavefront6targetE0EEEvSW_.num_named_barrier, 0
	.set _ZN7rocprim17ROCPRIM_400000_NS6detail17trampoline_kernelINS0_14default_configENS1_29binary_search_config_selectorItiEEZNS1_14transform_implILb0ES3_S5_N6thrust23THRUST_200600_302600_NS6detail15normal_iteratorINS8_7pointerItNS8_11hip_rocprim5par_tENS8_11use_defaultESE_EEEENSA_INSB_IiSD_SE_SE_EEEEZNS1_13binary_searchIS3_S5_PtSG_SI_NS1_16binary_search_opENS9_16wrapped_functionINS8_6system6detail7generic6detail18binary_search_lessEbEEEE10hipError_tPvRmT1_T2_T3_mmT4_T5_P12ihipStream_tbEUlRKtE_EEST_SX_SY_mSZ_S12_bEUlT_E_NS1_11comp_targetILNS1_3genE9ELNS1_11target_archE1100ELNS1_3gpuE3ELNS1_3repE0EEENS1_30default_config_static_selectorELNS0_4arch9wavefront6targetE0EEEvSW_.private_seg_size, 0
	.set _ZN7rocprim17ROCPRIM_400000_NS6detail17trampoline_kernelINS0_14default_configENS1_29binary_search_config_selectorItiEEZNS1_14transform_implILb0ES3_S5_N6thrust23THRUST_200600_302600_NS6detail15normal_iteratorINS8_7pointerItNS8_11hip_rocprim5par_tENS8_11use_defaultESE_EEEENSA_INSB_IiSD_SE_SE_EEEEZNS1_13binary_searchIS3_S5_PtSG_SI_NS1_16binary_search_opENS9_16wrapped_functionINS8_6system6detail7generic6detail18binary_search_lessEbEEEE10hipError_tPvRmT1_T2_T3_mmT4_T5_P12ihipStream_tbEUlRKtE_EEST_SX_SY_mSZ_S12_bEUlT_E_NS1_11comp_targetILNS1_3genE9ELNS1_11target_archE1100ELNS1_3gpuE3ELNS1_3repE0EEENS1_30default_config_static_selectorELNS0_4arch9wavefront6targetE0EEEvSW_.uses_vcc, 0
	.set _ZN7rocprim17ROCPRIM_400000_NS6detail17trampoline_kernelINS0_14default_configENS1_29binary_search_config_selectorItiEEZNS1_14transform_implILb0ES3_S5_N6thrust23THRUST_200600_302600_NS6detail15normal_iteratorINS8_7pointerItNS8_11hip_rocprim5par_tENS8_11use_defaultESE_EEEENSA_INSB_IiSD_SE_SE_EEEEZNS1_13binary_searchIS3_S5_PtSG_SI_NS1_16binary_search_opENS9_16wrapped_functionINS8_6system6detail7generic6detail18binary_search_lessEbEEEE10hipError_tPvRmT1_T2_T3_mmT4_T5_P12ihipStream_tbEUlRKtE_EEST_SX_SY_mSZ_S12_bEUlT_E_NS1_11comp_targetILNS1_3genE9ELNS1_11target_archE1100ELNS1_3gpuE3ELNS1_3repE0EEENS1_30default_config_static_selectorELNS0_4arch9wavefront6targetE0EEEvSW_.uses_flat_scratch, 0
	.set _ZN7rocprim17ROCPRIM_400000_NS6detail17trampoline_kernelINS0_14default_configENS1_29binary_search_config_selectorItiEEZNS1_14transform_implILb0ES3_S5_N6thrust23THRUST_200600_302600_NS6detail15normal_iteratorINS8_7pointerItNS8_11hip_rocprim5par_tENS8_11use_defaultESE_EEEENSA_INSB_IiSD_SE_SE_EEEEZNS1_13binary_searchIS3_S5_PtSG_SI_NS1_16binary_search_opENS9_16wrapped_functionINS8_6system6detail7generic6detail18binary_search_lessEbEEEE10hipError_tPvRmT1_T2_T3_mmT4_T5_P12ihipStream_tbEUlRKtE_EEST_SX_SY_mSZ_S12_bEUlT_E_NS1_11comp_targetILNS1_3genE9ELNS1_11target_archE1100ELNS1_3gpuE3ELNS1_3repE0EEENS1_30default_config_static_selectorELNS0_4arch9wavefront6targetE0EEEvSW_.has_dyn_sized_stack, 0
	.set _ZN7rocprim17ROCPRIM_400000_NS6detail17trampoline_kernelINS0_14default_configENS1_29binary_search_config_selectorItiEEZNS1_14transform_implILb0ES3_S5_N6thrust23THRUST_200600_302600_NS6detail15normal_iteratorINS8_7pointerItNS8_11hip_rocprim5par_tENS8_11use_defaultESE_EEEENSA_INSB_IiSD_SE_SE_EEEEZNS1_13binary_searchIS3_S5_PtSG_SI_NS1_16binary_search_opENS9_16wrapped_functionINS8_6system6detail7generic6detail18binary_search_lessEbEEEE10hipError_tPvRmT1_T2_T3_mmT4_T5_P12ihipStream_tbEUlRKtE_EEST_SX_SY_mSZ_S12_bEUlT_E_NS1_11comp_targetILNS1_3genE9ELNS1_11target_archE1100ELNS1_3gpuE3ELNS1_3repE0EEENS1_30default_config_static_selectorELNS0_4arch9wavefront6targetE0EEEvSW_.has_recursion, 0
	.set _ZN7rocprim17ROCPRIM_400000_NS6detail17trampoline_kernelINS0_14default_configENS1_29binary_search_config_selectorItiEEZNS1_14transform_implILb0ES3_S5_N6thrust23THRUST_200600_302600_NS6detail15normal_iteratorINS8_7pointerItNS8_11hip_rocprim5par_tENS8_11use_defaultESE_EEEENSA_INSB_IiSD_SE_SE_EEEEZNS1_13binary_searchIS3_S5_PtSG_SI_NS1_16binary_search_opENS9_16wrapped_functionINS8_6system6detail7generic6detail18binary_search_lessEbEEEE10hipError_tPvRmT1_T2_T3_mmT4_T5_P12ihipStream_tbEUlRKtE_EEST_SX_SY_mSZ_S12_bEUlT_E_NS1_11comp_targetILNS1_3genE9ELNS1_11target_archE1100ELNS1_3gpuE3ELNS1_3repE0EEENS1_30default_config_static_selectorELNS0_4arch9wavefront6targetE0EEEvSW_.has_indirect_call, 0
	.section	.AMDGPU.csdata,"",@progbits
; Kernel info:
; codeLenInByte = 0
; TotalNumSgprs: 0
; NumVgprs: 0
; ScratchSize: 0
; MemoryBound: 0
; FloatMode: 240
; IeeeMode: 1
; LDSByteSize: 0 bytes/workgroup (compile time only)
; SGPRBlocks: 0
; VGPRBlocks: 0
; NumSGPRsForWavesPerEU: 1
; NumVGPRsForWavesPerEU: 1
; Occupancy: 16
; WaveLimiterHint : 0
; COMPUTE_PGM_RSRC2:SCRATCH_EN: 0
; COMPUTE_PGM_RSRC2:USER_SGPR: 6
; COMPUTE_PGM_RSRC2:TRAP_HANDLER: 0
; COMPUTE_PGM_RSRC2:TGID_X_EN: 1
; COMPUTE_PGM_RSRC2:TGID_Y_EN: 0
; COMPUTE_PGM_RSRC2:TGID_Z_EN: 0
; COMPUTE_PGM_RSRC2:TIDIG_COMP_CNT: 0
	.section	.text._ZN7rocprim17ROCPRIM_400000_NS6detail17trampoline_kernelINS0_14default_configENS1_29binary_search_config_selectorItiEEZNS1_14transform_implILb0ES3_S5_N6thrust23THRUST_200600_302600_NS6detail15normal_iteratorINS8_7pointerItNS8_11hip_rocprim5par_tENS8_11use_defaultESE_EEEENSA_INSB_IiSD_SE_SE_EEEEZNS1_13binary_searchIS3_S5_PtSG_SI_NS1_16binary_search_opENS9_16wrapped_functionINS8_6system6detail7generic6detail18binary_search_lessEbEEEE10hipError_tPvRmT1_T2_T3_mmT4_T5_P12ihipStream_tbEUlRKtE_EEST_SX_SY_mSZ_S12_bEUlT_E_NS1_11comp_targetILNS1_3genE8ELNS1_11target_archE1030ELNS1_3gpuE2ELNS1_3repE0EEENS1_30default_config_static_selectorELNS0_4arch9wavefront6targetE0EEEvSW_,"axG",@progbits,_ZN7rocprim17ROCPRIM_400000_NS6detail17trampoline_kernelINS0_14default_configENS1_29binary_search_config_selectorItiEEZNS1_14transform_implILb0ES3_S5_N6thrust23THRUST_200600_302600_NS6detail15normal_iteratorINS8_7pointerItNS8_11hip_rocprim5par_tENS8_11use_defaultESE_EEEENSA_INSB_IiSD_SE_SE_EEEEZNS1_13binary_searchIS3_S5_PtSG_SI_NS1_16binary_search_opENS9_16wrapped_functionINS8_6system6detail7generic6detail18binary_search_lessEbEEEE10hipError_tPvRmT1_T2_T3_mmT4_T5_P12ihipStream_tbEUlRKtE_EEST_SX_SY_mSZ_S12_bEUlT_E_NS1_11comp_targetILNS1_3genE8ELNS1_11target_archE1030ELNS1_3gpuE2ELNS1_3repE0EEENS1_30default_config_static_selectorELNS0_4arch9wavefront6targetE0EEEvSW_,comdat
	.protected	_ZN7rocprim17ROCPRIM_400000_NS6detail17trampoline_kernelINS0_14default_configENS1_29binary_search_config_selectorItiEEZNS1_14transform_implILb0ES3_S5_N6thrust23THRUST_200600_302600_NS6detail15normal_iteratorINS8_7pointerItNS8_11hip_rocprim5par_tENS8_11use_defaultESE_EEEENSA_INSB_IiSD_SE_SE_EEEEZNS1_13binary_searchIS3_S5_PtSG_SI_NS1_16binary_search_opENS9_16wrapped_functionINS8_6system6detail7generic6detail18binary_search_lessEbEEEE10hipError_tPvRmT1_T2_T3_mmT4_T5_P12ihipStream_tbEUlRKtE_EEST_SX_SY_mSZ_S12_bEUlT_E_NS1_11comp_targetILNS1_3genE8ELNS1_11target_archE1030ELNS1_3gpuE2ELNS1_3repE0EEENS1_30default_config_static_selectorELNS0_4arch9wavefront6targetE0EEEvSW_ ; -- Begin function _ZN7rocprim17ROCPRIM_400000_NS6detail17trampoline_kernelINS0_14default_configENS1_29binary_search_config_selectorItiEEZNS1_14transform_implILb0ES3_S5_N6thrust23THRUST_200600_302600_NS6detail15normal_iteratorINS8_7pointerItNS8_11hip_rocprim5par_tENS8_11use_defaultESE_EEEENSA_INSB_IiSD_SE_SE_EEEEZNS1_13binary_searchIS3_S5_PtSG_SI_NS1_16binary_search_opENS9_16wrapped_functionINS8_6system6detail7generic6detail18binary_search_lessEbEEEE10hipError_tPvRmT1_T2_T3_mmT4_T5_P12ihipStream_tbEUlRKtE_EEST_SX_SY_mSZ_S12_bEUlT_E_NS1_11comp_targetILNS1_3genE8ELNS1_11target_archE1030ELNS1_3gpuE2ELNS1_3repE0EEENS1_30default_config_static_selectorELNS0_4arch9wavefront6targetE0EEEvSW_
	.globl	_ZN7rocprim17ROCPRIM_400000_NS6detail17trampoline_kernelINS0_14default_configENS1_29binary_search_config_selectorItiEEZNS1_14transform_implILb0ES3_S5_N6thrust23THRUST_200600_302600_NS6detail15normal_iteratorINS8_7pointerItNS8_11hip_rocprim5par_tENS8_11use_defaultESE_EEEENSA_INSB_IiSD_SE_SE_EEEEZNS1_13binary_searchIS3_S5_PtSG_SI_NS1_16binary_search_opENS9_16wrapped_functionINS8_6system6detail7generic6detail18binary_search_lessEbEEEE10hipError_tPvRmT1_T2_T3_mmT4_T5_P12ihipStream_tbEUlRKtE_EEST_SX_SY_mSZ_S12_bEUlT_E_NS1_11comp_targetILNS1_3genE8ELNS1_11target_archE1030ELNS1_3gpuE2ELNS1_3repE0EEENS1_30default_config_static_selectorELNS0_4arch9wavefront6targetE0EEEvSW_
	.p2align	8
	.type	_ZN7rocprim17ROCPRIM_400000_NS6detail17trampoline_kernelINS0_14default_configENS1_29binary_search_config_selectorItiEEZNS1_14transform_implILb0ES3_S5_N6thrust23THRUST_200600_302600_NS6detail15normal_iteratorINS8_7pointerItNS8_11hip_rocprim5par_tENS8_11use_defaultESE_EEEENSA_INSB_IiSD_SE_SE_EEEEZNS1_13binary_searchIS3_S5_PtSG_SI_NS1_16binary_search_opENS9_16wrapped_functionINS8_6system6detail7generic6detail18binary_search_lessEbEEEE10hipError_tPvRmT1_T2_T3_mmT4_T5_P12ihipStream_tbEUlRKtE_EEST_SX_SY_mSZ_S12_bEUlT_E_NS1_11comp_targetILNS1_3genE8ELNS1_11target_archE1030ELNS1_3gpuE2ELNS1_3repE0EEENS1_30default_config_static_selectorELNS0_4arch9wavefront6targetE0EEEvSW_,@function
_ZN7rocprim17ROCPRIM_400000_NS6detail17trampoline_kernelINS0_14default_configENS1_29binary_search_config_selectorItiEEZNS1_14transform_implILb0ES3_S5_N6thrust23THRUST_200600_302600_NS6detail15normal_iteratorINS8_7pointerItNS8_11hip_rocprim5par_tENS8_11use_defaultESE_EEEENSA_INSB_IiSD_SE_SE_EEEEZNS1_13binary_searchIS3_S5_PtSG_SI_NS1_16binary_search_opENS9_16wrapped_functionINS8_6system6detail7generic6detail18binary_search_lessEbEEEE10hipError_tPvRmT1_T2_T3_mmT4_T5_P12ihipStream_tbEUlRKtE_EEST_SX_SY_mSZ_S12_bEUlT_E_NS1_11comp_targetILNS1_3genE8ELNS1_11target_archE1030ELNS1_3gpuE2ELNS1_3repE0EEENS1_30default_config_static_selectorELNS0_4arch9wavefront6targetE0EEEvSW_: ; @_ZN7rocprim17ROCPRIM_400000_NS6detail17trampoline_kernelINS0_14default_configENS1_29binary_search_config_selectorItiEEZNS1_14transform_implILb0ES3_S5_N6thrust23THRUST_200600_302600_NS6detail15normal_iteratorINS8_7pointerItNS8_11hip_rocprim5par_tENS8_11use_defaultESE_EEEENSA_INSB_IiSD_SE_SE_EEEEZNS1_13binary_searchIS3_S5_PtSG_SI_NS1_16binary_search_opENS9_16wrapped_functionINS8_6system6detail7generic6detail18binary_search_lessEbEEEE10hipError_tPvRmT1_T2_T3_mmT4_T5_P12ihipStream_tbEUlRKtE_EEST_SX_SY_mSZ_S12_bEUlT_E_NS1_11comp_targetILNS1_3genE8ELNS1_11target_archE1030ELNS1_3gpuE2ELNS1_3repE0EEENS1_30default_config_static_selectorELNS0_4arch9wavefront6targetE0EEEvSW_
; %bb.0:
	s_clause 0x2
	s_load_dwordx8 s[8:15], s[4:5], 0x0
	s_load_dword s2, s[4:5], 0x38
	s_load_dwordx4 s[16:19], s[4:5], 0x20
	s_mov_b32 s5, 0
	s_waitcnt lgkmcnt(0)
	s_lshl_b64 s[0:1], s[10:11], 1
	s_add_u32 s3, s8, s0
	s_addc_u32 s13, s9, s1
	s_lshl_b64 s[0:1], s[10:11], 2
	s_add_u32 s7, s14, s0
	s_addc_u32 s8, s15, s1
	s_lshl_b32 s4, s6, 9
	s_add_i32 s2, s2, -1
	s_lshl_b64 s[0:1], s[4:5], 1
	s_add_u32 s9, s3, s0
	s_addc_u32 s10, s13, s1
	s_cmp_lg_u32 s6, s2
	s_mov_b32 s0, -1
	s_cbranch_scc0 .LBB291_26
; %bb.1:
	v_lshlrev_b32_e32 v1, 1, v0
	s_cmp_lg_u64 s[18:19], 0
	v_add_co_u32 v1, s0, s9, v1
	v_add_co_ci_u32_e64 v2, null, s10, 0, s0
	s_cselect_b32 s0, -1, 0
	s_cmp_eq_u64 s[18:19], 0
	s_clause 0x3
	flat_load_ushort v8, v[1:2]
	flat_load_ushort v10, v[1:2] offset:256
	flat_load_ushort v7, v[1:2] offset:512
	;; [unrolled: 1-line block ×3, first 2 shown]
	v_mov_b32_e32 v1, 0
	v_mov_b32_e32 v2, 0
	s_cbranch_scc1 .LBB291_5
; %bb.2:
	v_mov_b32_e32 v3, s18
	v_mov_b32_e32 v4, s19
	s_mov_b32 s1, 0
	s_inst_prefetch 0x1
	.p2align	6
.LBB291_3:                              ; =>This Inner Loop Header: Depth=1
	v_sub_co_u32 v11, vcc_lo, v3, v1
	v_sub_co_ci_u32_e64 v12, null, v4, v2, vcc_lo
	v_lshrrev_b64 v[13:14], 1, v[11:12]
	v_lshrrev_b64 v[11:12], 6, v[11:12]
	v_add_co_u32 v6, vcc_lo, v13, v1
	v_add_co_ci_u32_e64 v9, null, v14, v2, vcc_lo
	v_add_co_u32 v11, vcc_lo, v6, v11
	v_add_co_ci_u32_e64 v12, null, v9, v12, vcc_lo
	v_lshlrev_b64 v[13:14], 1, v[11:12]
	v_add_co_u32 v13, vcc_lo, s16, v13
	v_add_co_ci_u32_e64 v14, null, s17, v14, vcc_lo
	v_add_co_u32 v9, vcc_lo, v11, 1
	global_load_ushort v6, v[13:14], off
	v_add_co_ci_u32_e64 v13, null, 0, v12, vcc_lo
	s_waitcnt vmcnt(0) lgkmcnt(3)
	v_cmp_lt_u16_e32 vcc_lo, v6, v8
	v_cndmask_b32_e32 v4, v12, v4, vcc_lo
	v_cndmask_b32_e32 v3, v11, v3, vcc_lo
	;; [unrolled: 1-line block ×4, first 2 shown]
	v_cmp_ge_u64_e32 vcc_lo, v[1:2], v[3:4]
	s_or_b32 s1, vcc_lo, s1
	s_andn2_b32 exec_lo, exec_lo, s1
	s_cbranch_execnz .LBB291_3
; %bb.4:
	s_inst_prefetch 0x2
	s_or_b32 exec_lo, exec_lo, s1
.LBB291_5:
	v_mov_b32_e32 v6, 0
	s_mov_b32 s1, exec_lo
	v_cmpx_ne_u64_e64 s[18:19], v[1:2]
	s_cbranch_execz .LBB291_7
; %bb.6:
	v_lshlrev_b64 v[1:2], 1, v[1:2]
	v_add_co_u32 v1, vcc_lo, s16, v1
	v_add_co_ci_u32_e64 v2, null, s17, v2, vcc_lo
	global_load_ushort v1, v[1:2], off
	s_waitcnt vmcnt(0) lgkmcnt(3)
	v_cmp_ge_u16_e32 vcc_lo, v8, v1
	v_cndmask_b32_e64 v6, 0, 1, vcc_lo
.LBB291_7:
	s_or_b32 exec_lo, exec_lo, s1
	v_mov_b32_e32 v1, 0
	v_cndmask_b32_e64 v9, 0, 1, s0
	v_mov_b32_e32 v2, 0
	s_andn2_b32 vcc_lo, exec_lo, s0
	s_cbranch_vccnz .LBB291_11
; %bb.8:
	v_mov_b32_e32 v3, s18
	v_mov_b32_e32 v4, s19
	s_mov_b32 s0, 0
	s_inst_prefetch 0x1
	.p2align	6
.LBB291_9:                              ; =>This Inner Loop Header: Depth=1
	v_sub_co_u32 v11, vcc_lo, v3, v1
	v_sub_co_ci_u32_e64 v12, null, v4, v2, vcc_lo
	v_lshrrev_b64 v[13:14], 1, v[11:12]
	v_lshrrev_b64 v[11:12], 6, v[11:12]
	s_waitcnt vmcnt(3) lgkmcnt(3)
	v_add_co_u32 v8, vcc_lo, v13, v1
	v_add_co_ci_u32_e64 v13, null, v14, v2, vcc_lo
	v_add_co_u32 v11, vcc_lo, v8, v11
	v_add_co_ci_u32_e64 v12, null, v13, v12, vcc_lo
	v_lshlrev_b64 v[13:14], 1, v[11:12]
	v_add_co_u32 v13, vcc_lo, s16, v13
	v_add_co_ci_u32_e64 v14, null, s17, v14, vcc_lo
	global_load_ushort v8, v[13:14], off
	v_add_co_u32 v13, vcc_lo, v11, 1
	v_add_co_ci_u32_e64 v14, null, 0, v12, vcc_lo
	s_waitcnt vmcnt(0) lgkmcnt(2)
	v_cmp_lt_u16_e32 vcc_lo, v8, v10
	v_cndmask_b32_e32 v4, v12, v4, vcc_lo
	v_cndmask_b32_e32 v3, v11, v3, vcc_lo
	;; [unrolled: 1-line block ×4, first 2 shown]
	v_cmp_ge_u64_e32 vcc_lo, v[1:2], v[3:4]
	s_or_b32 s0, vcc_lo, s0
	s_andn2_b32 exec_lo, exec_lo, s0
	s_cbranch_execnz .LBB291_9
; %bb.10:
	s_inst_prefetch 0x2
	s_or_b32 exec_lo, exec_lo, s0
.LBB291_11:
	s_waitcnt vmcnt(3) lgkmcnt(3)
	v_mov_b32_e32 v8, 0
	s_mov_b32 s0, exec_lo
	v_cmpx_ne_u64_e64 s[18:19], v[1:2]
	s_cbranch_execz .LBB291_13
; %bb.12:
	v_lshlrev_b64 v[1:2], 1, v[1:2]
	v_add_co_u32 v1, vcc_lo, s16, v1
	v_add_co_ci_u32_e64 v2, null, s17, v2, vcc_lo
	global_load_ushort v1, v[1:2], off
	s_waitcnt vmcnt(0) lgkmcnt(2)
	v_cmp_ge_u16_e32 vcc_lo, v10, v1
	v_cndmask_b32_e64 v8, 0, 1, vcc_lo
.LBB291_13:
	s_or_b32 exec_lo, exec_lo, s0
	v_cmp_ne_u32_e32 vcc_lo, 1, v9
	v_mov_b32_e32 v1, 0
	v_mov_b32_e32 v2, 0
	s_cbranch_vccnz .LBB291_17
; %bb.14:
	v_mov_b32_e32 v3, s18
	v_mov_b32_e32 v4, s19
	s_mov_b32 s0, 0
	s_inst_prefetch 0x1
	.p2align	6
.LBB291_15:                             ; =>This Inner Loop Header: Depth=1
	s_waitcnt vmcnt(2) lgkmcnt(2)
	v_sub_co_u32 v10, vcc_lo, v3, v1
	v_sub_co_ci_u32_e64 v11, null, v4, v2, vcc_lo
	v_lshrrev_b64 v[12:13], 1, v[10:11]
	v_lshrrev_b64 v[10:11], 6, v[10:11]
	v_add_co_u32 v12, vcc_lo, v12, v1
	v_add_co_ci_u32_e64 v13, null, v13, v2, vcc_lo
	v_add_co_u32 v10, vcc_lo, v12, v10
	v_add_co_ci_u32_e64 v11, null, v13, v11, vcc_lo
	v_lshlrev_b64 v[12:13], 1, v[10:11]
	v_add_co_u32 v12, vcc_lo, s16, v12
	v_add_co_ci_u32_e64 v13, null, s17, v13, vcc_lo
	global_load_ushort v12, v[12:13], off
	v_add_co_u32 v13, vcc_lo, v10, 1
	v_add_co_ci_u32_e64 v14, null, 0, v11, vcc_lo
	s_waitcnt vmcnt(0) lgkmcnt(1)
	v_cmp_lt_u16_e32 vcc_lo, v12, v7
	v_cndmask_b32_e32 v4, v11, v4, vcc_lo
	v_cndmask_b32_e32 v3, v10, v3, vcc_lo
	;; [unrolled: 1-line block ×4, first 2 shown]
	v_cmp_ge_u64_e32 vcc_lo, v[1:2], v[3:4]
	s_or_b32 s0, vcc_lo, s0
	s_andn2_b32 exec_lo, exec_lo, s0
	s_cbranch_execnz .LBB291_15
; %bb.16:
	s_inst_prefetch 0x2
	s_or_b32 exec_lo, exec_lo, s0
.LBB291_17:
	s_waitcnt vmcnt(2) lgkmcnt(2)
	v_mov_b32_e32 v10, 0
	s_mov_b32 s0, exec_lo
	v_cmpx_ne_u64_e64 s[18:19], v[1:2]
	s_cbranch_execz .LBB291_19
; %bb.18:
	v_lshlrev_b64 v[1:2], 1, v[1:2]
	v_add_co_u32 v1, vcc_lo, s16, v1
	v_add_co_ci_u32_e64 v2, null, s17, v2, vcc_lo
	global_load_ushort v1, v[1:2], off
	s_waitcnt vmcnt(0) lgkmcnt(1)
	v_cmp_ge_u16_e32 vcc_lo, v7, v1
	v_cndmask_b32_e64 v10, 0, 1, vcc_lo
.LBB291_19:
	s_or_b32 exec_lo, exec_lo, s0
	v_cmp_ne_u32_e32 vcc_lo, 1, v9
	v_mov_b32_e32 v1, 0
	v_mov_b32_e32 v2, 0
	s_cbranch_vccnz .LBB291_23
; %bb.20:
	v_mov_b32_e32 v3, s18
	v_mov_b32_e32 v4, s19
	s_mov_b32 s0, 0
	s_inst_prefetch 0x1
	.p2align	6
.LBB291_21:                             ; =>This Inner Loop Header: Depth=1
	v_sub_co_u32 v11, vcc_lo, v3, v1
	v_sub_co_ci_u32_e64 v12, null, v4, v2, vcc_lo
	v_lshrrev_b64 v[13:14], 1, v[11:12]
	v_lshrrev_b64 v[11:12], 6, v[11:12]
	s_waitcnt vmcnt(1) lgkmcnt(1)
	v_add_co_u32 v7, vcc_lo, v13, v1
	v_add_co_ci_u32_e64 v9, null, v14, v2, vcc_lo
	v_add_co_u32 v11, vcc_lo, v7, v11
	v_add_co_ci_u32_e64 v12, null, v9, v12, vcc_lo
	v_lshlrev_b64 v[13:14], 1, v[11:12]
	v_add_co_u32 v13, vcc_lo, s16, v13
	v_add_co_ci_u32_e64 v14, null, s17, v14, vcc_lo
	v_add_co_u32 v9, vcc_lo, v11, 1
	global_load_ushort v7, v[13:14], off
	v_add_co_ci_u32_e64 v13, null, 0, v12, vcc_lo
	s_waitcnt vmcnt(0) lgkmcnt(0)
	v_cmp_lt_u16_e32 vcc_lo, v7, v5
	v_cndmask_b32_e32 v4, v12, v4, vcc_lo
	v_cndmask_b32_e32 v3, v11, v3, vcc_lo
	;; [unrolled: 1-line block ×4, first 2 shown]
	v_cmp_ge_u64_e32 vcc_lo, v[1:2], v[3:4]
	s_or_b32 s0, vcc_lo, s0
	s_andn2_b32 exec_lo, exec_lo, s0
	s_cbranch_execnz .LBB291_21
; %bb.22:
	s_inst_prefetch 0x2
	s_or_b32 exec_lo, exec_lo, s0
.LBB291_23:
	s_waitcnt vmcnt(1) lgkmcnt(1)
	v_mov_b32_e32 v7, 0
	s_mov_b32 s0, exec_lo
	v_cmpx_ne_u64_e64 s[18:19], v[1:2]
	s_cbranch_execz .LBB291_25
; %bb.24:
	v_lshlrev_b64 v[1:2], 1, v[1:2]
	v_add_co_u32 v1, vcc_lo, s16, v1
	v_add_co_ci_u32_e64 v2, null, s17, v2, vcc_lo
	global_load_ushort v1, v[1:2], off
	s_waitcnt vmcnt(0) lgkmcnt(0)
	v_cmp_ge_u16_e32 vcc_lo, v5, v1
	v_cndmask_b32_e64 v7, 0, 1, vcc_lo
.LBB291_25:
	s_or_b32 exec_lo, exec_lo, s0
	v_lshlrev_b32_e32 v1, 2, v0
	s_lshl_b64 s[0:1], s[4:5], 2
	s_mov_b32 s6, -1
	s_add_u32 s0, s7, s0
	s_addc_u32 s1, s8, s1
	v_add_co_u32 v1, s0, s0, v1
	v_add_co_ci_u32_e64 v2, null, s1, 0, s0
	flat_store_dword v[1:2], v6
	flat_store_dword v[1:2], v8 offset:512
	flat_store_dword v[1:2], v10 offset:1024
	s_branch .LBB291_73
.LBB291_26:
	s_mov_b32 s6, s5
                                        ; implicit-def: $vgpr7
                                        ; implicit-def: $vgpr1_vgpr2
	s_and_b32 vcc_lo, exec_lo, s0
	s_cbranch_vccz .LBB291_73
; %bb.27:
	v_mov_b32_e32 v1, 0
	s_sub_i32 s3, s12, s4
	v_cmp_gt_u32_e64 s0, s3, v0
	v_mov_b32_e32 v2, v1
	s_and_saveexec_b32 s1, s0
	s_cbranch_execz .LBB291_29
; %bb.28:
	v_lshlrev_b32_e32 v2, 1, v0
	v_mov_b32_e32 v4, v1
	s_waitcnt vmcnt(0) lgkmcnt(3)
	v_mov_b32_e32 v5, v1
	v_add_co_u32 v2, s2, s9, v2
	v_add_co_ci_u32_e64 v3, null, s10, 0, s2
	flat_load_short_d16 v4, v[2:3]
	s_waitcnt vmcnt(0) lgkmcnt(0)
	v_mov_b32_e32 v1, v4
	v_mov_b32_e32 v2, v5
.LBB291_29:
	s_or_b32 exec_lo, exec_lo, s1
	v_or_b32_e32 v3, 0x80, v0
	v_cmp_gt_u32_e64 s1, s3, v3
	s_and_saveexec_b32 s2, s1
	s_cbranch_execz .LBB291_31
; %bb.30:
	v_lshlrev_b32_e32 v3, 1, v0
	v_add_co_u32 v3, s11, s9, v3
	v_add_co_ci_u32_e64 v4, null, s10, 0, s11
	flat_load_short_d16_hi v1, v[3:4] offset:256
.LBB291_31:
	s_or_b32 exec_lo, exec_lo, s2
	v_or_b32_e32 v3, 0x100, v0
	v_cmp_gt_u32_e64 s2, s3, v3
	s_and_saveexec_b32 s11, s2
	s_cbranch_execz .LBB291_33
; %bb.32:
	v_lshlrev_b32_e32 v3, 1, v0
	v_add_co_u32 v3, s12, s9, v3
	v_add_co_ci_u32_e64 v4, null, s10, 0, s12
	flat_load_short_d16 v2, v[3:4] offset:512
.LBB291_33:
	s_or_b32 exec_lo, exec_lo, s11
	v_or_b32_e32 v3, 0x180, v0
	v_cmp_gt_u32_e64 s3, s3, v3
	s_and_saveexec_b32 s11, s3
	s_cbranch_execz .LBB291_35
; %bb.34:
	v_lshlrev_b32_e32 v3, 1, v0
	v_add_co_u32 v3, s9, s9, v3
	v_add_co_ci_u32_e64 v4, null, s10, 0, s9
	s_waitcnt vmcnt(0) lgkmcnt(0)
	flat_load_short_d16_hi v2, v[3:4] offset:768
.LBB291_35:
	s_or_b32 exec_lo, exec_lo, s11
	v_mov_b32_e32 v8, 0
	s_cmp_lg_u64 s[18:19], 0
	s_cselect_b32 s9, -1, 0
	v_mov_b32_e32 v9, v8
	v_mov_b32_e32 v10, v8
	;; [unrolled: 1-line block ×3, first 2 shown]
	s_and_saveexec_b32 s10, s0
	s_cbranch_execnz .LBB291_39
; %bb.36:
	s_or_b32 exec_lo, exec_lo, s10
	s_and_saveexec_b32 s10, s1
	s_cbranch_execnz .LBB291_46
.LBB291_37:
	s_or_b32 exec_lo, exec_lo, s10
	s_and_saveexec_b32 s10, s2
	s_cbranch_execnz .LBB291_53
.LBB291_38:
	s_or_b32 exec_lo, exec_lo, s10
	s_and_saveexec_b32 s10, s3
	s_cbranch_execnz .LBB291_60
	s_branch .LBB291_67
.LBB291_39:
	v_mov_b32_e32 v3, 0
	v_mov_b32_e32 v4, 0
	s_andn2_b32 vcc_lo, exec_lo, s9
	s_cbranch_vccnz .LBB291_43
; %bb.40:
	s_waitcnt vmcnt(0) lgkmcnt(3)
	v_mov_b32_e32 v5, s18
	v_mov_b32_e32 v6, s19
	s_mov_b32 s11, 0
	s_inst_prefetch 0x1
	.p2align	6
.LBB291_41:                             ; =>This Inner Loop Header: Depth=1
	v_sub_co_u32 v7, vcc_lo, v5, v3
	v_sub_co_ci_u32_e64 v8, null, v6, v4, vcc_lo
	v_lshrrev_b64 v[9:10], 1, v[7:8]
	v_lshrrev_b64 v[7:8], 6, v[7:8]
	v_add_co_u32 v9, vcc_lo, v9, v3
	v_add_co_ci_u32_e64 v10, null, v10, v4, vcc_lo
	v_add_co_u32 v7, vcc_lo, v9, v7
	v_add_co_ci_u32_e64 v8, null, v10, v8, vcc_lo
	v_lshlrev_b64 v[9:10], 1, v[7:8]
	v_add_co_u32 v9, vcc_lo, s16, v9
	v_add_co_ci_u32_e64 v10, null, s17, v10, vcc_lo
	global_load_ushort v9, v[9:10], off
	v_add_co_u32 v10, vcc_lo, v7, 1
	v_add_co_ci_u32_e64 v11, null, 0, v8, vcc_lo
	s_waitcnt vmcnt(0) lgkmcnt(0)
	v_cmp_lt_u16_e32 vcc_lo, v9, v1
	v_cndmask_b32_e32 v6, v8, v6, vcc_lo
	v_cndmask_b32_e32 v5, v7, v5, vcc_lo
	;; [unrolled: 1-line block ×4, first 2 shown]
	v_cmp_ge_u64_e32 vcc_lo, v[3:4], v[5:6]
	s_or_b32 s11, vcc_lo, s11
	s_andn2_b32 exec_lo, exec_lo, s11
	s_cbranch_execnz .LBB291_41
; %bb.42:
	s_inst_prefetch 0x2
	s_or_b32 exec_lo, exec_lo, s11
.LBB291_43:
	v_mov_b32_e32 v9, 0
	v_mov_b32_e32 v8, 0
	s_mov_b32 s11, exec_lo
	v_cmpx_ne_u64_e64 s[18:19], v[3:4]
	s_cbranch_execz .LBB291_45
; %bb.44:
	v_lshlrev_b64 v[3:4], 1, v[3:4]
	v_add_co_u32 v3, vcc_lo, s16, v3
	v_add_co_ci_u32_e64 v4, null, s17, v4, vcc_lo
	global_load_ushort v3, v[3:4], off
	s_waitcnt vmcnt(0) lgkmcnt(0)
	v_cmp_ge_u16_e32 vcc_lo, v1, v3
	v_cndmask_b32_e64 v8, 0, 1, vcc_lo
.LBB291_45:
	s_or_b32 exec_lo, exec_lo, s11
	v_mov_b32_e32 v10, v9
	v_mov_b32_e32 v7, v9
	s_or_b32 exec_lo, exec_lo, s10
	s_and_saveexec_b32 s10, s1
	s_cbranch_execz .LBB291_37
.LBB291_46:
	v_mov_b32_e32 v3, 0
	v_mov_b32_e32 v4, 0
	s_andn2_b32 vcc_lo, exec_lo, s9
	s_cbranch_vccnz .LBB291_50
; %bb.47:
	s_waitcnt vmcnt(0) lgkmcnt(3)
	v_mov_b32_e32 v5, s18
	v_mov_b32_e32 v6, s19
	s_mov_b32 s11, 0
	s_inst_prefetch 0x1
	.p2align	6
.LBB291_48:                             ; =>This Inner Loop Header: Depth=1
	v_sub_co_u32 v11, vcc_lo, v5, v3
	v_sub_co_ci_u32_e64 v12, null, v6, v4, vcc_lo
	v_lshrrev_b64 v[13:14], 1, v[11:12]
	v_lshrrev_b64 v[11:12], 6, v[11:12]
	v_add_co_u32 v9, vcc_lo, v13, v3
	v_add_co_ci_u32_e64 v13, null, v14, v4, vcc_lo
	v_add_co_u32 v11, vcc_lo, v9, v11
	v_add_co_ci_u32_e64 v12, null, v13, v12, vcc_lo
	v_lshlrev_b64 v[13:14], 1, v[11:12]
	v_add_co_u32 v13, vcc_lo, s16, v13
	v_add_co_ci_u32_e64 v14, null, s17, v14, vcc_lo
	global_load_ushort v9, v[13:14], off
	v_add_co_u32 v13, vcc_lo, v11, 1
	v_add_co_ci_u32_e64 v14, null, 0, v12, vcc_lo
	s_waitcnt vmcnt(0) lgkmcnt(0)
	v_cmp_lt_u16_sdwa vcc_lo, v9, v1 src0_sel:DWORD src1_sel:WORD_1
	v_cndmask_b32_e32 v6, v12, v6, vcc_lo
	v_cndmask_b32_e32 v5, v11, v5, vcc_lo
	;; [unrolled: 1-line block ×4, first 2 shown]
	v_cmp_ge_u64_e32 vcc_lo, v[3:4], v[5:6]
	s_or_b32 s11, vcc_lo, s11
	s_andn2_b32 exec_lo, exec_lo, s11
	s_cbranch_execnz .LBB291_48
; %bb.49:
	s_inst_prefetch 0x2
	s_or_b32 exec_lo, exec_lo, s11
.LBB291_50:
	v_mov_b32_e32 v9, 0
	s_mov_b32 s11, exec_lo
	v_cmpx_ne_u64_e64 s[18:19], v[3:4]
	s_cbranch_execz .LBB291_52
; %bb.51:
	v_lshlrev_b64 v[3:4], 1, v[3:4]
	v_add_co_u32 v3, vcc_lo, s16, v3
	v_add_co_ci_u32_e64 v4, null, s17, v4, vcc_lo
	global_load_ushort v3, v[3:4], off
	s_waitcnt vmcnt(0) lgkmcnt(0)
	v_cmp_ge_u16_sdwa s12, v1, v3 src0_sel:WORD_1 src1_sel:DWORD
	v_cndmask_b32_e64 v9, 0, 1, s12
.LBB291_52:
	s_or_b32 exec_lo, exec_lo, s11
	s_or_b32 exec_lo, exec_lo, s10
	s_and_saveexec_b32 s10, s2
	s_cbranch_execz .LBB291_38
.LBB291_53:
	v_mov_b32_e32 v3, 0
	v_mov_b32_e32 v4, 0
	s_andn2_b32 vcc_lo, exec_lo, s9
	s_cbranch_vccnz .LBB291_57
; %bb.54:
	s_waitcnt vmcnt(0) lgkmcnt(3)
	v_mov_b32_e32 v5, s18
	v_mov_b32_e32 v6, s19
	s_mov_b32 s11, 0
	s_inst_prefetch 0x1
	.p2align	6
.LBB291_55:                             ; =>This Inner Loop Header: Depth=1
	v_sub_co_u32 v10, vcc_lo, v5, v3
	v_sub_co_ci_u32_e64 v11, null, v6, v4, vcc_lo
	v_lshrrev_b64 v[12:13], 1, v[10:11]
	v_lshrrev_b64 v[10:11], 6, v[10:11]
	s_waitcnt lgkmcnt(0)
	v_add_co_u32 v1, vcc_lo, v12, v3
	v_add_co_ci_u32_e64 v12, null, v13, v4, vcc_lo
	v_add_co_u32 v10, vcc_lo, v1, v10
	v_add_co_ci_u32_e64 v11, null, v12, v11, vcc_lo
	v_lshlrev_b64 v[12:13], 1, v[10:11]
	v_add_co_u32 v12, vcc_lo, s16, v12
	v_add_co_ci_u32_e64 v13, null, s17, v13, vcc_lo
	global_load_ushort v1, v[12:13], off
	v_add_co_u32 v12, vcc_lo, v10, 1
	v_add_co_ci_u32_e64 v13, null, 0, v11, vcc_lo
	s_waitcnt vmcnt(0)
	v_cmp_lt_u16_e32 vcc_lo, v1, v2
	v_cndmask_b32_e32 v6, v11, v6, vcc_lo
	v_cndmask_b32_e32 v5, v10, v5, vcc_lo
	v_cndmask_b32_e32 v4, v4, v13, vcc_lo
	v_cndmask_b32_e32 v3, v3, v12, vcc_lo
	v_cmp_ge_u64_e32 vcc_lo, v[3:4], v[5:6]
	s_or_b32 s11, vcc_lo, s11
	s_andn2_b32 exec_lo, exec_lo, s11
	s_cbranch_execnz .LBB291_55
; %bb.56:
	s_inst_prefetch 0x2
	s_or_b32 exec_lo, exec_lo, s11
.LBB291_57:
	v_mov_b32_e32 v10, 0
	s_mov_b32 s11, exec_lo
	v_cmpx_ne_u64_e64 s[18:19], v[3:4]
	s_cbranch_execz .LBB291_59
; %bb.58:
	v_lshlrev_b64 v[3:4], 1, v[3:4]
	v_add_co_u32 v3, vcc_lo, s16, v3
	v_add_co_ci_u32_e64 v4, null, s17, v4, vcc_lo
	s_waitcnt lgkmcnt(0)
	global_load_ushort v1, v[3:4], off
	s_waitcnt vmcnt(0)
	v_cmp_ge_u16_e32 vcc_lo, v2, v1
	v_cndmask_b32_e64 v10, 0, 1, vcc_lo
.LBB291_59:
	s_or_b32 exec_lo, exec_lo, s11
	s_or_b32 exec_lo, exec_lo, s10
	s_and_saveexec_b32 s10, s3
	s_cbranch_execz .LBB291_67
.LBB291_60:
	v_mov_b32_e32 v3, 0
	v_mov_b32_e32 v4, 0
	s_andn2_b32 vcc_lo, exec_lo, s9
	s_cbranch_vccnz .LBB291_64
; %bb.61:
	s_waitcnt vmcnt(0) lgkmcnt(3)
	v_mov_b32_e32 v5, s18
	v_mov_b32_e32 v6, s19
	s_mov_b32 s9, 0
	s_inst_prefetch 0x1
	.p2align	6
.LBB291_62:                             ; =>This Inner Loop Header: Depth=1
	v_sub_co_u32 v11, vcc_lo, v5, v3
	v_sub_co_ci_u32_e64 v12, null, v6, v4, vcc_lo
	v_lshrrev_b64 v[13:14], 1, v[11:12]
	v_lshrrev_b64 v[11:12], 6, v[11:12]
	s_waitcnt lgkmcnt(0)
	v_add_co_u32 v1, vcc_lo, v13, v3
	v_add_co_ci_u32_e64 v7, null, v14, v4, vcc_lo
	v_add_co_u32 v11, vcc_lo, v1, v11
	v_add_co_ci_u32_e64 v12, null, v7, v12, vcc_lo
	v_lshlrev_b64 v[13:14], 1, v[11:12]
	v_add_co_u32 v13, vcc_lo, s16, v13
	v_add_co_ci_u32_e64 v14, null, s17, v14, vcc_lo
	v_add_co_u32 v7, vcc_lo, v11, 1
	global_load_ushort v1, v[13:14], off
	v_add_co_ci_u32_e64 v13, null, 0, v12, vcc_lo
	s_waitcnt vmcnt(0)
	v_cmp_lt_u16_sdwa vcc_lo, v1, v2 src0_sel:DWORD src1_sel:WORD_1
	v_cndmask_b32_e32 v6, v12, v6, vcc_lo
	v_cndmask_b32_e32 v5, v11, v5, vcc_lo
	;; [unrolled: 1-line block ×4, first 2 shown]
	v_cmp_ge_u64_e32 vcc_lo, v[3:4], v[5:6]
	s_or_b32 s9, vcc_lo, s9
	s_andn2_b32 exec_lo, exec_lo, s9
	s_cbranch_execnz .LBB291_62
; %bb.63:
	s_inst_prefetch 0x2
	s_or_b32 exec_lo, exec_lo, s9
.LBB291_64:
	v_mov_b32_e32 v7, 0
	s_mov_b32 s9, exec_lo
	v_cmpx_ne_u64_e64 s[18:19], v[3:4]
	s_cbranch_execz .LBB291_66
; %bb.65:
	v_lshlrev_b64 v[3:4], 1, v[3:4]
	v_add_co_u32 v3, vcc_lo, s16, v3
	v_add_co_ci_u32_e64 v4, null, s17, v4, vcc_lo
	s_waitcnt lgkmcnt(0)
	global_load_ushort v1, v[3:4], off
	s_waitcnt vmcnt(0)
	v_cmp_ge_u16_sdwa s11, v2, v1 src0_sel:WORD_1 src1_sel:DWORD
	v_cndmask_b32_e64 v7, 0, 1, s11
.LBB291_66:
	s_or_b32 exec_lo, exec_lo, s9
.LBB291_67:
	s_or_b32 exec_lo, exec_lo, s10
	v_lshlrev_b32_e32 v0, 2, v0
	s_lshl_b64 s[4:5], s[4:5], 2
	s_add_u32 s4, s7, s4
	s_addc_u32 s5, s8, s5
	s_waitcnt vmcnt(0) lgkmcnt(0)
	v_add_co_u32 v1, s4, s4, v0
	v_add_co_ci_u32_e64 v2, null, s5, 0, s4
	s_and_saveexec_b32 s4, s0
	s_xor_b32 s0, exec_lo, s4
	s_cbranch_execnz .LBB291_76
; %bb.68:
	s_or_b32 exec_lo, exec_lo, s0
	s_and_saveexec_b32 s0, s1
	s_cbranch_execnz .LBB291_77
.LBB291_69:
	s_or_b32 exec_lo, exec_lo, s0
	s_and_saveexec_b32 s0, s2
	s_cbranch_execnz .LBB291_78
.LBB291_70:
	s_or_b32 exec_lo, exec_lo, s0
	s_and_saveexec_b32 s0, s3
.LBB291_71:
	s_or_b32 s6, s6, exec_lo
.LBB291_72:
	s_or_b32 exec_lo, exec_lo, s0
.LBB291_73:
	s_and_saveexec_b32 s0, s6
	s_cbranch_execnz .LBB291_75
; %bb.74:
	s_endpgm
.LBB291_75:
	flat_store_dword v[1:2], v7 offset:1536
	s_endpgm
.LBB291_76:
	flat_store_dword v[1:2], v8
	s_or_b32 exec_lo, exec_lo, s0
	s_and_saveexec_b32 s0, s1
	s_cbranch_execz .LBB291_69
.LBB291_77:
	flat_store_dword v[1:2], v9 offset:512
	s_or_b32 exec_lo, exec_lo, s0
	s_and_saveexec_b32 s0, s2
	s_cbranch_execz .LBB291_70
.LBB291_78:
	flat_store_dword v[1:2], v10 offset:1024
	s_or_b32 exec_lo, exec_lo, s0
	s_and_saveexec_b32 s0, s3
	s_cbranch_execnz .LBB291_71
	s_branch .LBB291_72
	.section	.rodata,"a",@progbits
	.p2align	6, 0x0
	.amdhsa_kernel _ZN7rocprim17ROCPRIM_400000_NS6detail17trampoline_kernelINS0_14default_configENS1_29binary_search_config_selectorItiEEZNS1_14transform_implILb0ES3_S5_N6thrust23THRUST_200600_302600_NS6detail15normal_iteratorINS8_7pointerItNS8_11hip_rocprim5par_tENS8_11use_defaultESE_EEEENSA_INSB_IiSD_SE_SE_EEEEZNS1_13binary_searchIS3_S5_PtSG_SI_NS1_16binary_search_opENS9_16wrapped_functionINS8_6system6detail7generic6detail18binary_search_lessEbEEEE10hipError_tPvRmT1_T2_T3_mmT4_T5_P12ihipStream_tbEUlRKtE_EEST_SX_SY_mSZ_S12_bEUlT_E_NS1_11comp_targetILNS1_3genE8ELNS1_11target_archE1030ELNS1_3gpuE2ELNS1_3repE0EEENS1_30default_config_static_selectorELNS0_4arch9wavefront6targetE0EEEvSW_
		.amdhsa_group_segment_fixed_size 0
		.amdhsa_private_segment_fixed_size 0
		.amdhsa_kernarg_size 312
		.amdhsa_user_sgpr_count 6
		.amdhsa_user_sgpr_private_segment_buffer 1
		.amdhsa_user_sgpr_dispatch_ptr 0
		.amdhsa_user_sgpr_queue_ptr 0
		.amdhsa_user_sgpr_kernarg_segment_ptr 1
		.amdhsa_user_sgpr_dispatch_id 0
		.amdhsa_user_sgpr_flat_scratch_init 0
		.amdhsa_user_sgpr_private_segment_size 0
		.amdhsa_wavefront_size32 1
		.amdhsa_uses_dynamic_stack 0
		.amdhsa_system_sgpr_private_segment_wavefront_offset 0
		.amdhsa_system_sgpr_workgroup_id_x 1
		.amdhsa_system_sgpr_workgroup_id_y 0
		.amdhsa_system_sgpr_workgroup_id_z 0
		.amdhsa_system_sgpr_workgroup_info 0
		.amdhsa_system_vgpr_workitem_id 0
		.amdhsa_next_free_vgpr 15
		.amdhsa_next_free_sgpr 20
		.amdhsa_reserve_vcc 1
		.amdhsa_reserve_flat_scratch 1
		.amdhsa_float_round_mode_32 0
		.amdhsa_float_round_mode_16_64 0
		.amdhsa_float_denorm_mode_32 3
		.amdhsa_float_denorm_mode_16_64 3
		.amdhsa_dx10_clamp 1
		.amdhsa_ieee_mode 1
		.amdhsa_fp16_overflow 0
		.amdhsa_workgroup_processor_mode 1
		.amdhsa_memory_ordered 1
		.amdhsa_forward_progress 1
		.amdhsa_shared_vgpr_count 0
		.amdhsa_exception_fp_ieee_invalid_op 0
		.amdhsa_exception_fp_denorm_src 0
		.amdhsa_exception_fp_ieee_div_zero 0
		.amdhsa_exception_fp_ieee_overflow 0
		.amdhsa_exception_fp_ieee_underflow 0
		.amdhsa_exception_fp_ieee_inexact 0
		.amdhsa_exception_int_div_zero 0
	.end_amdhsa_kernel
	.section	.text._ZN7rocprim17ROCPRIM_400000_NS6detail17trampoline_kernelINS0_14default_configENS1_29binary_search_config_selectorItiEEZNS1_14transform_implILb0ES3_S5_N6thrust23THRUST_200600_302600_NS6detail15normal_iteratorINS8_7pointerItNS8_11hip_rocprim5par_tENS8_11use_defaultESE_EEEENSA_INSB_IiSD_SE_SE_EEEEZNS1_13binary_searchIS3_S5_PtSG_SI_NS1_16binary_search_opENS9_16wrapped_functionINS8_6system6detail7generic6detail18binary_search_lessEbEEEE10hipError_tPvRmT1_T2_T3_mmT4_T5_P12ihipStream_tbEUlRKtE_EEST_SX_SY_mSZ_S12_bEUlT_E_NS1_11comp_targetILNS1_3genE8ELNS1_11target_archE1030ELNS1_3gpuE2ELNS1_3repE0EEENS1_30default_config_static_selectorELNS0_4arch9wavefront6targetE0EEEvSW_,"axG",@progbits,_ZN7rocprim17ROCPRIM_400000_NS6detail17trampoline_kernelINS0_14default_configENS1_29binary_search_config_selectorItiEEZNS1_14transform_implILb0ES3_S5_N6thrust23THRUST_200600_302600_NS6detail15normal_iteratorINS8_7pointerItNS8_11hip_rocprim5par_tENS8_11use_defaultESE_EEEENSA_INSB_IiSD_SE_SE_EEEEZNS1_13binary_searchIS3_S5_PtSG_SI_NS1_16binary_search_opENS9_16wrapped_functionINS8_6system6detail7generic6detail18binary_search_lessEbEEEE10hipError_tPvRmT1_T2_T3_mmT4_T5_P12ihipStream_tbEUlRKtE_EEST_SX_SY_mSZ_S12_bEUlT_E_NS1_11comp_targetILNS1_3genE8ELNS1_11target_archE1030ELNS1_3gpuE2ELNS1_3repE0EEENS1_30default_config_static_selectorELNS0_4arch9wavefront6targetE0EEEvSW_,comdat
.Lfunc_end291:
	.size	_ZN7rocprim17ROCPRIM_400000_NS6detail17trampoline_kernelINS0_14default_configENS1_29binary_search_config_selectorItiEEZNS1_14transform_implILb0ES3_S5_N6thrust23THRUST_200600_302600_NS6detail15normal_iteratorINS8_7pointerItNS8_11hip_rocprim5par_tENS8_11use_defaultESE_EEEENSA_INSB_IiSD_SE_SE_EEEEZNS1_13binary_searchIS3_S5_PtSG_SI_NS1_16binary_search_opENS9_16wrapped_functionINS8_6system6detail7generic6detail18binary_search_lessEbEEEE10hipError_tPvRmT1_T2_T3_mmT4_T5_P12ihipStream_tbEUlRKtE_EEST_SX_SY_mSZ_S12_bEUlT_E_NS1_11comp_targetILNS1_3genE8ELNS1_11target_archE1030ELNS1_3gpuE2ELNS1_3repE0EEENS1_30default_config_static_selectorELNS0_4arch9wavefront6targetE0EEEvSW_, .Lfunc_end291-_ZN7rocprim17ROCPRIM_400000_NS6detail17trampoline_kernelINS0_14default_configENS1_29binary_search_config_selectorItiEEZNS1_14transform_implILb0ES3_S5_N6thrust23THRUST_200600_302600_NS6detail15normal_iteratorINS8_7pointerItNS8_11hip_rocprim5par_tENS8_11use_defaultESE_EEEENSA_INSB_IiSD_SE_SE_EEEEZNS1_13binary_searchIS3_S5_PtSG_SI_NS1_16binary_search_opENS9_16wrapped_functionINS8_6system6detail7generic6detail18binary_search_lessEbEEEE10hipError_tPvRmT1_T2_T3_mmT4_T5_P12ihipStream_tbEUlRKtE_EEST_SX_SY_mSZ_S12_bEUlT_E_NS1_11comp_targetILNS1_3genE8ELNS1_11target_archE1030ELNS1_3gpuE2ELNS1_3repE0EEENS1_30default_config_static_selectorELNS0_4arch9wavefront6targetE0EEEvSW_
                                        ; -- End function
	.set _ZN7rocprim17ROCPRIM_400000_NS6detail17trampoline_kernelINS0_14default_configENS1_29binary_search_config_selectorItiEEZNS1_14transform_implILb0ES3_S5_N6thrust23THRUST_200600_302600_NS6detail15normal_iteratorINS8_7pointerItNS8_11hip_rocprim5par_tENS8_11use_defaultESE_EEEENSA_INSB_IiSD_SE_SE_EEEEZNS1_13binary_searchIS3_S5_PtSG_SI_NS1_16binary_search_opENS9_16wrapped_functionINS8_6system6detail7generic6detail18binary_search_lessEbEEEE10hipError_tPvRmT1_T2_T3_mmT4_T5_P12ihipStream_tbEUlRKtE_EEST_SX_SY_mSZ_S12_bEUlT_E_NS1_11comp_targetILNS1_3genE8ELNS1_11target_archE1030ELNS1_3gpuE2ELNS1_3repE0EEENS1_30default_config_static_selectorELNS0_4arch9wavefront6targetE0EEEvSW_.num_vgpr, 15
	.set _ZN7rocprim17ROCPRIM_400000_NS6detail17trampoline_kernelINS0_14default_configENS1_29binary_search_config_selectorItiEEZNS1_14transform_implILb0ES3_S5_N6thrust23THRUST_200600_302600_NS6detail15normal_iteratorINS8_7pointerItNS8_11hip_rocprim5par_tENS8_11use_defaultESE_EEEENSA_INSB_IiSD_SE_SE_EEEEZNS1_13binary_searchIS3_S5_PtSG_SI_NS1_16binary_search_opENS9_16wrapped_functionINS8_6system6detail7generic6detail18binary_search_lessEbEEEE10hipError_tPvRmT1_T2_T3_mmT4_T5_P12ihipStream_tbEUlRKtE_EEST_SX_SY_mSZ_S12_bEUlT_E_NS1_11comp_targetILNS1_3genE8ELNS1_11target_archE1030ELNS1_3gpuE2ELNS1_3repE0EEENS1_30default_config_static_selectorELNS0_4arch9wavefront6targetE0EEEvSW_.num_agpr, 0
	.set _ZN7rocprim17ROCPRIM_400000_NS6detail17trampoline_kernelINS0_14default_configENS1_29binary_search_config_selectorItiEEZNS1_14transform_implILb0ES3_S5_N6thrust23THRUST_200600_302600_NS6detail15normal_iteratorINS8_7pointerItNS8_11hip_rocprim5par_tENS8_11use_defaultESE_EEEENSA_INSB_IiSD_SE_SE_EEEEZNS1_13binary_searchIS3_S5_PtSG_SI_NS1_16binary_search_opENS9_16wrapped_functionINS8_6system6detail7generic6detail18binary_search_lessEbEEEE10hipError_tPvRmT1_T2_T3_mmT4_T5_P12ihipStream_tbEUlRKtE_EEST_SX_SY_mSZ_S12_bEUlT_E_NS1_11comp_targetILNS1_3genE8ELNS1_11target_archE1030ELNS1_3gpuE2ELNS1_3repE0EEENS1_30default_config_static_selectorELNS0_4arch9wavefront6targetE0EEEvSW_.numbered_sgpr, 20
	.set _ZN7rocprim17ROCPRIM_400000_NS6detail17trampoline_kernelINS0_14default_configENS1_29binary_search_config_selectorItiEEZNS1_14transform_implILb0ES3_S5_N6thrust23THRUST_200600_302600_NS6detail15normal_iteratorINS8_7pointerItNS8_11hip_rocprim5par_tENS8_11use_defaultESE_EEEENSA_INSB_IiSD_SE_SE_EEEEZNS1_13binary_searchIS3_S5_PtSG_SI_NS1_16binary_search_opENS9_16wrapped_functionINS8_6system6detail7generic6detail18binary_search_lessEbEEEE10hipError_tPvRmT1_T2_T3_mmT4_T5_P12ihipStream_tbEUlRKtE_EEST_SX_SY_mSZ_S12_bEUlT_E_NS1_11comp_targetILNS1_3genE8ELNS1_11target_archE1030ELNS1_3gpuE2ELNS1_3repE0EEENS1_30default_config_static_selectorELNS0_4arch9wavefront6targetE0EEEvSW_.num_named_barrier, 0
	.set _ZN7rocprim17ROCPRIM_400000_NS6detail17trampoline_kernelINS0_14default_configENS1_29binary_search_config_selectorItiEEZNS1_14transform_implILb0ES3_S5_N6thrust23THRUST_200600_302600_NS6detail15normal_iteratorINS8_7pointerItNS8_11hip_rocprim5par_tENS8_11use_defaultESE_EEEENSA_INSB_IiSD_SE_SE_EEEEZNS1_13binary_searchIS3_S5_PtSG_SI_NS1_16binary_search_opENS9_16wrapped_functionINS8_6system6detail7generic6detail18binary_search_lessEbEEEE10hipError_tPvRmT1_T2_T3_mmT4_T5_P12ihipStream_tbEUlRKtE_EEST_SX_SY_mSZ_S12_bEUlT_E_NS1_11comp_targetILNS1_3genE8ELNS1_11target_archE1030ELNS1_3gpuE2ELNS1_3repE0EEENS1_30default_config_static_selectorELNS0_4arch9wavefront6targetE0EEEvSW_.private_seg_size, 0
	.set _ZN7rocprim17ROCPRIM_400000_NS6detail17trampoline_kernelINS0_14default_configENS1_29binary_search_config_selectorItiEEZNS1_14transform_implILb0ES3_S5_N6thrust23THRUST_200600_302600_NS6detail15normal_iteratorINS8_7pointerItNS8_11hip_rocprim5par_tENS8_11use_defaultESE_EEEENSA_INSB_IiSD_SE_SE_EEEEZNS1_13binary_searchIS3_S5_PtSG_SI_NS1_16binary_search_opENS9_16wrapped_functionINS8_6system6detail7generic6detail18binary_search_lessEbEEEE10hipError_tPvRmT1_T2_T3_mmT4_T5_P12ihipStream_tbEUlRKtE_EEST_SX_SY_mSZ_S12_bEUlT_E_NS1_11comp_targetILNS1_3genE8ELNS1_11target_archE1030ELNS1_3gpuE2ELNS1_3repE0EEENS1_30default_config_static_selectorELNS0_4arch9wavefront6targetE0EEEvSW_.uses_vcc, 1
	.set _ZN7rocprim17ROCPRIM_400000_NS6detail17trampoline_kernelINS0_14default_configENS1_29binary_search_config_selectorItiEEZNS1_14transform_implILb0ES3_S5_N6thrust23THRUST_200600_302600_NS6detail15normal_iteratorINS8_7pointerItNS8_11hip_rocprim5par_tENS8_11use_defaultESE_EEEENSA_INSB_IiSD_SE_SE_EEEEZNS1_13binary_searchIS3_S5_PtSG_SI_NS1_16binary_search_opENS9_16wrapped_functionINS8_6system6detail7generic6detail18binary_search_lessEbEEEE10hipError_tPvRmT1_T2_T3_mmT4_T5_P12ihipStream_tbEUlRKtE_EEST_SX_SY_mSZ_S12_bEUlT_E_NS1_11comp_targetILNS1_3genE8ELNS1_11target_archE1030ELNS1_3gpuE2ELNS1_3repE0EEENS1_30default_config_static_selectorELNS0_4arch9wavefront6targetE0EEEvSW_.uses_flat_scratch, 1
	.set _ZN7rocprim17ROCPRIM_400000_NS6detail17trampoline_kernelINS0_14default_configENS1_29binary_search_config_selectorItiEEZNS1_14transform_implILb0ES3_S5_N6thrust23THRUST_200600_302600_NS6detail15normal_iteratorINS8_7pointerItNS8_11hip_rocprim5par_tENS8_11use_defaultESE_EEEENSA_INSB_IiSD_SE_SE_EEEEZNS1_13binary_searchIS3_S5_PtSG_SI_NS1_16binary_search_opENS9_16wrapped_functionINS8_6system6detail7generic6detail18binary_search_lessEbEEEE10hipError_tPvRmT1_T2_T3_mmT4_T5_P12ihipStream_tbEUlRKtE_EEST_SX_SY_mSZ_S12_bEUlT_E_NS1_11comp_targetILNS1_3genE8ELNS1_11target_archE1030ELNS1_3gpuE2ELNS1_3repE0EEENS1_30default_config_static_selectorELNS0_4arch9wavefront6targetE0EEEvSW_.has_dyn_sized_stack, 0
	.set _ZN7rocprim17ROCPRIM_400000_NS6detail17trampoline_kernelINS0_14default_configENS1_29binary_search_config_selectorItiEEZNS1_14transform_implILb0ES3_S5_N6thrust23THRUST_200600_302600_NS6detail15normal_iteratorINS8_7pointerItNS8_11hip_rocprim5par_tENS8_11use_defaultESE_EEEENSA_INSB_IiSD_SE_SE_EEEEZNS1_13binary_searchIS3_S5_PtSG_SI_NS1_16binary_search_opENS9_16wrapped_functionINS8_6system6detail7generic6detail18binary_search_lessEbEEEE10hipError_tPvRmT1_T2_T3_mmT4_T5_P12ihipStream_tbEUlRKtE_EEST_SX_SY_mSZ_S12_bEUlT_E_NS1_11comp_targetILNS1_3genE8ELNS1_11target_archE1030ELNS1_3gpuE2ELNS1_3repE0EEENS1_30default_config_static_selectorELNS0_4arch9wavefront6targetE0EEEvSW_.has_recursion, 0
	.set _ZN7rocprim17ROCPRIM_400000_NS6detail17trampoline_kernelINS0_14default_configENS1_29binary_search_config_selectorItiEEZNS1_14transform_implILb0ES3_S5_N6thrust23THRUST_200600_302600_NS6detail15normal_iteratorINS8_7pointerItNS8_11hip_rocprim5par_tENS8_11use_defaultESE_EEEENSA_INSB_IiSD_SE_SE_EEEEZNS1_13binary_searchIS3_S5_PtSG_SI_NS1_16binary_search_opENS9_16wrapped_functionINS8_6system6detail7generic6detail18binary_search_lessEbEEEE10hipError_tPvRmT1_T2_T3_mmT4_T5_P12ihipStream_tbEUlRKtE_EEST_SX_SY_mSZ_S12_bEUlT_E_NS1_11comp_targetILNS1_3genE8ELNS1_11target_archE1030ELNS1_3gpuE2ELNS1_3repE0EEENS1_30default_config_static_selectorELNS0_4arch9wavefront6targetE0EEEvSW_.has_indirect_call, 0
	.section	.AMDGPU.csdata,"",@progbits
; Kernel info:
; codeLenInByte = 3244
; TotalNumSgprs: 22
; NumVgprs: 15
; ScratchSize: 0
; MemoryBound: 0
; FloatMode: 240
; IeeeMode: 1
; LDSByteSize: 0 bytes/workgroup (compile time only)
; SGPRBlocks: 0
; VGPRBlocks: 1
; NumSGPRsForWavesPerEU: 22
; NumVGPRsForWavesPerEU: 15
; Occupancy: 16
; WaveLimiterHint : 1
; COMPUTE_PGM_RSRC2:SCRATCH_EN: 0
; COMPUTE_PGM_RSRC2:USER_SGPR: 6
; COMPUTE_PGM_RSRC2:TRAP_HANDLER: 0
; COMPUTE_PGM_RSRC2:TGID_X_EN: 1
; COMPUTE_PGM_RSRC2:TGID_Y_EN: 0
; COMPUTE_PGM_RSRC2:TGID_Z_EN: 0
; COMPUTE_PGM_RSRC2:TIDIG_COMP_CNT: 0
	.section	.text._Z20binary_search_kernelIxEvmPT_Pb,"axG",@progbits,_Z20binary_search_kernelIxEvmPT_Pb,comdat
	.protected	_Z20binary_search_kernelIxEvmPT_Pb ; -- Begin function _Z20binary_search_kernelIxEvmPT_Pb
	.globl	_Z20binary_search_kernelIxEvmPT_Pb
	.p2align	8
	.type	_Z20binary_search_kernelIxEvmPT_Pb,@function
_Z20binary_search_kernelIxEvmPT_Pb:     ; @_Z20binary_search_kernelIxEvmPT_Pb
; %bb.0:
	s_clause 0x1
	s_load_dwordx4 s[8:11], s[4:5], 0x0
	s_load_dwordx2 s[2:3], s[4:5], 0x10
	s_waitcnt lgkmcnt(0)
	s_lshl_b64 s[0:1], s[8:9], 3
	s_add_u32 s0, s10, s0
	s_addc_u32 s1, s11, s1
	s_sub_u32 s0, s0, s10
	s_subb_u32 s1, s1, s11
	s_ashr_i64 s[4:5], s[0:1], 3
	v_cmp_lt_i64_e64 s0, s[4:5], 1
	s_and_b32 vcc_lo, exec_lo, s0
	s_mov_b64 s[0:1], 0
	s_cbranch_vccnz .LBB292_3
; %bb.1:
	s_mov_b64 s[6:7], s[4:5]
	.p2align	6
.LBB292_2:                              ; =>This Inner Loop Header: Depth=1
	s_sub_u32 s12, s6, s0
	s_subb_u32 s13, s7, s1
	s_lshr_b64 s[12:13], s[12:13], 1
	s_add_u32 s12, s12, s0
	s_addc_u32 s13, s13, s1
	s_lshl_b64 s[14:15], s[12:13], 3
	s_add_u32 s14, s10, s14
	s_addc_u32 s15, s11, s15
	s_load_dwordx2 s[14:15], s[14:15], 0x0
	s_waitcnt lgkmcnt(0)
	v_cmp_lt_i64_e64 s14, s[14:15], 0
	s_add_u32 s15, s12, 1
	s_addc_u32 s16, s13, 0
	s_and_b32 s14, s14, exec_lo
	s_cselect_b32 s1, s16, s1
	s_cselect_b32 s0, s15, s0
	s_cselect_b32 s7, s7, s13
	s_cselect_b32 s6, s6, s12
	v_cmp_lt_i64_e64 s12, s[0:1], s[6:7]
	s_and_b32 vcc_lo, exec_lo, s12
	s_cbranch_vccnz .LBB292_2
.LBB292_3:
	v_cmp_gt_i64_e64 s6, s[4:5], 0
	s_cmp_eq_u64 s[0:1], s[8:9]
	s_mov_b32 s7, 0
	s_cbranch_scc1 .LBB292_5
; %bb.4:
	s_lshl_b64 s[0:1], s[0:1], 3
	s_add_u32 s0, s10, s0
	s_addc_u32 s1, s11, s1
	s_load_dwordx2 s[0:1], s[0:1], 0x0
	s_waitcnt lgkmcnt(0)
	v_cmp_lt_i64_e64 s7, s[0:1], 1
.LBB292_5:
	v_cndmask_b32_e64 v0, 0, 1, s6
	v_cndmask_b32_e64 v1, 0, 1, s7
	s_andn2_b32 vcc_lo, exec_lo, s6
	s_mov_b64 s[6:7], 0
	v_cmp_ne_u32_e64 s0, 1, v0
	v_mov_b32_e32 v0, 0
	global_store_byte v0, v1, s[2:3]
	s_cbranch_vccnz .LBB292_8
; %bb.6:
	s_mov_b64 s[12:13], s[4:5]
	.p2align	6
.LBB292_7:                              ; =>This Inner Loop Header: Depth=1
	s_sub_u32 s14, s12, s6
	s_subb_u32 s15, s13, s7
	s_lshr_b64 s[14:15], s[14:15], 1
	s_add_u32 s14, s14, s6
	s_addc_u32 s15, s15, s7
	s_lshl_b64 s[16:17], s[14:15], 3
	s_add_u32 s16, s10, s16
	s_addc_u32 s17, s11, s17
	s_load_dwordx2 s[16:17], s[16:17], 0x0
	s_waitcnt lgkmcnt(0)
	v_cmp_lt_i64_e64 s1, s[16:17], 1
	s_add_u32 s16, s14, 1
	s_addc_u32 s17, s15, 0
	s_and_b32 s1, s1, exec_lo
	s_cselect_b32 s7, s17, s7
	s_cselect_b32 s6, s16, s6
	;; [unrolled: 1-line block ×4, first 2 shown]
	v_cmp_lt_i64_e64 s1, s[6:7], s[12:13]
	s_and_b32 vcc_lo, exec_lo, s1
	s_cbranch_vccnz .LBB292_7
.LBB292_8:
	s_cmp_eq_u64 s[6:7], s[8:9]
	s_mov_b32 s1, 0
	s_cbranch_scc1 .LBB292_10
; %bb.9:
	s_lshl_b64 s[6:7], s[6:7], 3
	s_add_u32 s6, s10, s6
	s_addc_u32 s7, s11, s7
	s_load_dwordx2 s[6:7], s[6:7], 0x0
	s_waitcnt lgkmcnt(0)
	v_cmp_lt_i64_e64 s1, s[6:7], 2
.LBB292_10:
	v_mov_b32_e32 v0, 0
	v_cndmask_b32_e64 v1, 0, 1, s1
	s_and_b32 vcc_lo, exec_lo, s0
	s_mov_b64 s[6:7], 0
	global_store_byte v0, v1, s[2:3] offset:1
	s_cbranch_vccnz .LBB292_13
; %bb.11:
	s_mov_b64 s[12:13], s[4:5]
	.p2align	6
.LBB292_12:                             ; =>This Inner Loop Header: Depth=1
	s_sub_u32 s14, s12, s6
	s_subb_u32 s15, s13, s7
	s_lshr_b64 s[14:15], s[14:15], 1
	s_add_u32 s14, s14, s6
	s_addc_u32 s15, s15, s7
	s_lshl_b64 s[16:17], s[14:15], 3
	s_add_u32 s16, s10, s16
	s_addc_u32 s17, s11, s17
	s_load_dwordx2 s[16:17], s[16:17], 0x0
	s_waitcnt lgkmcnt(0)
	v_cmp_lt_i64_e64 s1, s[16:17], 2
	s_add_u32 s16, s14, 1
	s_addc_u32 s17, s15, 0
	s_and_b32 s1, s1, exec_lo
	s_cselect_b32 s7, s17, s7
	s_cselect_b32 s6, s16, s6
	;; [unrolled: 1-line block ×4, first 2 shown]
	v_cmp_lt_i64_e64 s1, s[6:7], s[12:13]
	s_and_b32 vcc_lo, exec_lo, s1
	s_cbranch_vccnz .LBB292_12
.LBB292_13:
	s_cmp_eq_u64 s[6:7], s[8:9]
	s_mov_b32 s1, 0
	s_cbranch_scc1 .LBB292_15
; %bb.14:
	s_lshl_b64 s[6:7], s[6:7], 3
	s_add_u32 s6, s10, s6
	s_addc_u32 s7, s11, s7
	s_load_dwordx2 s[6:7], s[6:7], 0x0
	s_waitcnt lgkmcnt(0)
	v_cmp_lt_i64_e64 s1, s[6:7], 3
.LBB292_15:
	v_mov_b32_e32 v0, 0
	v_cndmask_b32_e64 v1, 0, 1, s1
	s_and_b32 vcc_lo, exec_lo, s0
	s_mov_b64 s[6:7], 0
	global_store_byte v0, v1, s[2:3] offset:2
	s_cbranch_vccnz .LBB292_18
; %bb.16:
	s_mov_b64 s[12:13], s[4:5]
	.p2align	6
.LBB292_17:                             ; =>This Inner Loop Header: Depth=1
	s_sub_u32 s14, s12, s6
	s_subb_u32 s15, s13, s7
	s_lshr_b64 s[14:15], s[14:15], 1
	s_add_u32 s14, s14, s6
	s_addc_u32 s15, s15, s7
	s_lshl_b64 s[16:17], s[14:15], 3
	s_add_u32 s16, s10, s16
	s_addc_u32 s17, s11, s17
	s_load_dwordx2 s[16:17], s[16:17], 0x0
	s_waitcnt lgkmcnt(0)
	v_cmp_lt_i64_e64 s1, s[16:17], 3
	s_add_u32 s16, s14, 1
	s_addc_u32 s17, s15, 0
	s_and_b32 s1, s1, exec_lo
	s_cselect_b32 s7, s17, s7
	s_cselect_b32 s6, s16, s6
	;; [unrolled: 1-line block ×4, first 2 shown]
	v_cmp_lt_i64_e64 s1, s[6:7], s[12:13]
	s_and_b32 vcc_lo, exec_lo, s1
	s_cbranch_vccnz .LBB292_17
.LBB292_18:
	s_cmp_eq_u64 s[6:7], s[8:9]
	s_mov_b32 s1, 0
	s_cbranch_scc1 .LBB292_20
; %bb.19:
	s_lshl_b64 s[6:7], s[6:7], 3
	s_add_u32 s6, s10, s6
	s_addc_u32 s7, s11, s7
	s_load_dwordx2 s[6:7], s[6:7], 0x0
	s_waitcnt lgkmcnt(0)
	v_cmp_lt_i64_e64 s1, s[6:7], 4
.LBB292_20:
	v_mov_b32_e32 v0, 0
	v_cndmask_b32_e64 v1, 0, 1, s1
	s_and_b32 vcc_lo, exec_lo, s0
	s_mov_b64 s[6:7], 0
	global_store_byte v0, v1, s[2:3] offset:3
	s_cbranch_vccnz .LBB292_23
; %bb.21:
	s_mov_b64 s[12:13], s[4:5]
	.p2align	6
.LBB292_22:                             ; =>This Inner Loop Header: Depth=1
	s_sub_u32 s14, s12, s6
	s_subb_u32 s15, s13, s7
	s_lshr_b64 s[14:15], s[14:15], 1
	s_add_u32 s14, s14, s6
	s_addc_u32 s15, s15, s7
	s_lshl_b64 s[16:17], s[14:15], 3
	s_add_u32 s16, s10, s16
	s_addc_u32 s17, s11, s17
	s_load_dwordx2 s[16:17], s[16:17], 0x0
	s_waitcnt lgkmcnt(0)
	v_cmp_lt_i64_e64 s1, s[16:17], 4
	s_add_u32 s16, s14, 1
	s_addc_u32 s17, s15, 0
	s_and_b32 s1, s1, exec_lo
	s_cselect_b32 s7, s17, s7
	s_cselect_b32 s6, s16, s6
	;; [unrolled: 1-line block ×4, first 2 shown]
	v_cmp_lt_i64_e64 s1, s[6:7], s[12:13]
	s_and_b32 vcc_lo, exec_lo, s1
	s_cbranch_vccnz .LBB292_22
.LBB292_23:
	s_cmp_eq_u64 s[6:7], s[8:9]
	s_mov_b32 s1, 0
	s_cbranch_scc1 .LBB292_25
; %bb.24:
	s_lshl_b64 s[6:7], s[6:7], 3
	s_add_u32 s6, s10, s6
	s_addc_u32 s7, s11, s7
	s_load_dwordx2 s[6:7], s[6:7], 0x0
	s_waitcnt lgkmcnt(0)
	v_cmp_lt_i64_e64 s1, s[6:7], 5
.LBB292_25:
	v_mov_b32_e32 v0, 0
	v_cndmask_b32_e64 v1, 0, 1, s1
	s_and_b32 vcc_lo, exec_lo, s0
	s_mov_b64 s[6:7], 0
	global_store_byte v0, v1, s[2:3] offset:4
	s_cbranch_vccnz .LBB292_28
; %bb.26:
	s_mov_b64 s[12:13], s[4:5]
	.p2align	6
.LBB292_27:                             ; =>This Inner Loop Header: Depth=1
	s_sub_u32 s14, s12, s6
	s_subb_u32 s15, s13, s7
	s_lshr_b64 s[14:15], s[14:15], 1
	s_add_u32 s14, s14, s6
	s_addc_u32 s15, s15, s7
	s_lshl_b64 s[16:17], s[14:15], 3
	s_add_u32 s16, s10, s16
	s_addc_u32 s17, s11, s17
	s_load_dwordx2 s[16:17], s[16:17], 0x0
	s_waitcnt lgkmcnt(0)
	v_cmp_lt_i64_e64 s1, s[16:17], 5
	s_add_u32 s16, s14, 1
	s_addc_u32 s17, s15, 0
	s_and_b32 s1, s1, exec_lo
	s_cselect_b32 s7, s17, s7
	s_cselect_b32 s6, s16, s6
	;; [unrolled: 1-line block ×4, first 2 shown]
	v_cmp_lt_i64_e64 s1, s[6:7], s[12:13]
	s_and_b32 vcc_lo, exec_lo, s1
	s_cbranch_vccnz .LBB292_27
.LBB292_28:
	s_cmp_eq_u64 s[6:7], s[8:9]
	s_mov_b32 s1, 0
	s_cbranch_scc1 .LBB292_30
; %bb.29:
	s_lshl_b64 s[6:7], s[6:7], 3
	s_add_u32 s6, s10, s6
	s_addc_u32 s7, s11, s7
	s_load_dwordx2 s[6:7], s[6:7], 0x0
	s_waitcnt lgkmcnt(0)
	v_cmp_lt_i64_e64 s1, s[6:7], 6
.LBB292_30:
	v_mov_b32_e32 v0, 0
	v_cndmask_b32_e64 v1, 0, 1, s1
	s_and_b32 vcc_lo, exec_lo, s0
	s_mov_b64 s[6:7], 0
	global_store_byte v0, v1, s[2:3] offset:5
	s_cbranch_vccnz .LBB292_33
; %bb.31:
	s_mov_b64 s[12:13], s[4:5]
	.p2align	6
.LBB292_32:                             ; =>This Inner Loop Header: Depth=1
	s_sub_u32 s14, s12, s6
	s_subb_u32 s15, s13, s7
	s_lshr_b64 s[14:15], s[14:15], 1
	s_add_u32 s14, s14, s6
	s_addc_u32 s15, s15, s7
	s_lshl_b64 s[16:17], s[14:15], 3
	s_add_u32 s16, s10, s16
	s_addc_u32 s17, s11, s17
	s_load_dwordx2 s[16:17], s[16:17], 0x0
	s_waitcnt lgkmcnt(0)
	v_cmp_lt_i64_e64 s1, s[16:17], 6
	s_add_u32 s16, s14, 1
	s_addc_u32 s17, s15, 0
	s_and_b32 s1, s1, exec_lo
	s_cselect_b32 s7, s17, s7
	s_cselect_b32 s6, s16, s6
	;; [unrolled: 1-line block ×4, first 2 shown]
	v_cmp_lt_i64_e64 s1, s[6:7], s[12:13]
	s_and_b32 vcc_lo, exec_lo, s1
	s_cbranch_vccnz .LBB292_32
.LBB292_33:
	s_cmp_eq_u64 s[6:7], s[8:9]
	s_mov_b32 s1, 0
	s_cbranch_scc1 .LBB292_35
; %bb.34:
	s_lshl_b64 s[6:7], s[6:7], 3
	s_add_u32 s6, s10, s6
	s_addc_u32 s7, s11, s7
	s_load_dwordx2 s[6:7], s[6:7], 0x0
	s_waitcnt lgkmcnt(0)
	v_cmp_lt_i64_e64 s1, s[6:7], 7
.LBB292_35:
	v_mov_b32_e32 v0, 0
	v_cndmask_b32_e64 v1, 0, 1, s1
	s_and_b32 vcc_lo, exec_lo, s0
	s_mov_b64 s[6:7], 0
	global_store_byte v0, v1, s[2:3] offset:6
	s_cbranch_vccnz .LBB292_38
; %bb.36:
	s_mov_b64 s[12:13], s[4:5]
	.p2align	6
.LBB292_37:                             ; =>This Inner Loop Header: Depth=1
	s_sub_u32 s14, s12, s6
	s_subb_u32 s15, s13, s7
	s_lshr_b64 s[14:15], s[14:15], 1
	s_add_u32 s14, s14, s6
	s_addc_u32 s15, s15, s7
	s_lshl_b64 s[16:17], s[14:15], 3
	s_add_u32 s16, s10, s16
	s_addc_u32 s17, s11, s17
	s_load_dwordx2 s[16:17], s[16:17], 0x0
	s_waitcnt lgkmcnt(0)
	v_cmp_lt_i64_e64 s1, s[16:17], 7
	s_add_u32 s16, s14, 1
	s_addc_u32 s17, s15, 0
	s_and_b32 s1, s1, exec_lo
	s_cselect_b32 s7, s17, s7
	s_cselect_b32 s6, s16, s6
	;; [unrolled: 1-line block ×4, first 2 shown]
	v_cmp_lt_i64_e64 s1, s[6:7], s[12:13]
	s_and_b32 vcc_lo, exec_lo, s1
	s_cbranch_vccnz .LBB292_37
.LBB292_38:
	s_cmp_eq_u64 s[6:7], s[8:9]
	s_mov_b32 s1, 0
	s_cbranch_scc1 .LBB292_40
; %bb.39:
	s_lshl_b64 s[6:7], s[6:7], 3
	s_add_u32 s6, s10, s6
	s_addc_u32 s7, s11, s7
	s_load_dwordx2 s[6:7], s[6:7], 0x0
	s_waitcnt lgkmcnt(0)
	v_cmp_lt_i64_e64 s1, s[6:7], 8
.LBB292_40:
	v_mov_b32_e32 v0, 0
	v_cndmask_b32_e64 v1, 0, 1, s1
	s_and_b32 vcc_lo, exec_lo, s0
	s_mov_b64 s[6:7], 0
	global_store_byte v0, v1, s[2:3] offset:7
	s_cbranch_vccnz .LBB292_43
; %bb.41:
	s_mov_b64 s[12:13], s[4:5]
	.p2align	6
.LBB292_42:                             ; =>This Inner Loop Header: Depth=1
	s_sub_u32 s14, s12, s6
	s_subb_u32 s15, s13, s7
	s_lshr_b64 s[14:15], s[14:15], 1
	s_add_u32 s14, s14, s6
	s_addc_u32 s15, s15, s7
	s_lshl_b64 s[16:17], s[14:15], 3
	s_add_u32 s16, s10, s16
	s_addc_u32 s17, s11, s17
	s_load_dwordx2 s[16:17], s[16:17], 0x0
	s_waitcnt lgkmcnt(0)
	v_cmp_lt_i64_e64 s1, s[16:17], 8
	s_add_u32 s16, s14, 1
	s_addc_u32 s17, s15, 0
	s_and_b32 s1, s1, exec_lo
	s_cselect_b32 s7, s17, s7
	s_cselect_b32 s6, s16, s6
	;; [unrolled: 1-line block ×4, first 2 shown]
	v_cmp_lt_i64_e64 s1, s[6:7], s[12:13]
	s_and_b32 vcc_lo, exec_lo, s1
	s_cbranch_vccnz .LBB292_42
.LBB292_43:
	s_cmp_eq_u64 s[6:7], s[8:9]
	s_mov_b32 s1, 0
	s_cbranch_scc1 .LBB292_45
; %bb.44:
	s_lshl_b64 s[6:7], s[6:7], 3
	s_add_u32 s6, s10, s6
	s_addc_u32 s7, s11, s7
	s_load_dwordx2 s[6:7], s[6:7], 0x0
	s_waitcnt lgkmcnt(0)
	v_cmp_lt_i64_e64 s1, s[6:7], 9
.LBB292_45:
	v_mov_b32_e32 v0, 0
	v_cndmask_b32_e64 v1, 0, 1, s1
	s_and_b32 vcc_lo, exec_lo, s0
	s_mov_b64 s[0:1], 0
	global_store_byte v0, v1, s[2:3] offset:8
	s_cbranch_vccnz .LBB292_47
	.p2align	6
.LBB292_46:                             ; =>This Inner Loop Header: Depth=1
	s_sub_u32 s6, s4, s0
	s_subb_u32 s7, s5, s1
	s_lshr_b64 s[6:7], s[6:7], 1
	s_add_u32 s6, s6, s0
	s_addc_u32 s7, s7, s1
	s_lshl_b64 s[12:13], s[6:7], 3
	s_add_u32 s12, s10, s12
	s_addc_u32 s13, s11, s13
	s_load_dwordx2 s[12:13], s[12:13], 0x0
	s_waitcnt lgkmcnt(0)
	v_cmp_lt_i64_e64 s12, s[12:13], 9
	s_add_u32 s13, s6, 1
	s_addc_u32 s14, s7, 0
	s_and_b32 s12, s12, exec_lo
	s_cselect_b32 s1, s14, s1
	s_cselect_b32 s0, s13, s0
	;; [unrolled: 1-line block ×4, first 2 shown]
	v_cmp_lt_i64_e64 s6, s[0:1], s[4:5]
	s_and_b32 vcc_lo, exec_lo, s6
	s_cbranch_vccnz .LBB292_46
.LBB292_47:
	s_cmp_eq_u64 s[0:1], s[8:9]
	s_mov_b32 s4, 0
	s_cbranch_scc1 .LBB292_49
; %bb.48:
	s_lshl_b64 s[0:1], s[0:1], 3
	s_add_u32 s0, s10, s0
	s_addc_u32 s1, s11, s1
	s_load_dwordx2 s[0:1], s[0:1], 0x0
	s_waitcnt lgkmcnt(0)
	v_cmp_lt_i64_e64 s4, s[0:1], 10
.LBB292_49:
	v_mov_b32_e32 v0, 0
	v_cndmask_b32_e64 v1, 0, 1, s4
	global_store_byte v0, v1, s[2:3] offset:9
	s_endpgm
	.section	.rodata,"a",@progbits
	.p2align	6, 0x0
	.amdhsa_kernel _Z20binary_search_kernelIxEvmPT_Pb
		.amdhsa_group_segment_fixed_size 0
		.amdhsa_private_segment_fixed_size 0
		.amdhsa_kernarg_size 24
		.amdhsa_user_sgpr_count 6
		.amdhsa_user_sgpr_private_segment_buffer 1
		.amdhsa_user_sgpr_dispatch_ptr 0
		.amdhsa_user_sgpr_queue_ptr 0
		.amdhsa_user_sgpr_kernarg_segment_ptr 1
		.amdhsa_user_sgpr_dispatch_id 0
		.amdhsa_user_sgpr_flat_scratch_init 0
		.amdhsa_user_sgpr_private_segment_size 0
		.amdhsa_wavefront_size32 1
		.amdhsa_uses_dynamic_stack 0
		.amdhsa_system_sgpr_private_segment_wavefront_offset 0
		.amdhsa_system_sgpr_workgroup_id_x 1
		.amdhsa_system_sgpr_workgroup_id_y 0
		.amdhsa_system_sgpr_workgroup_id_z 0
		.amdhsa_system_sgpr_workgroup_info 0
		.amdhsa_system_vgpr_workitem_id 0
		.amdhsa_next_free_vgpr 2
		.amdhsa_next_free_sgpr 18
		.amdhsa_reserve_vcc 1
		.amdhsa_reserve_flat_scratch 0
		.amdhsa_float_round_mode_32 0
		.amdhsa_float_round_mode_16_64 0
		.amdhsa_float_denorm_mode_32 3
		.amdhsa_float_denorm_mode_16_64 3
		.amdhsa_dx10_clamp 1
		.amdhsa_ieee_mode 1
		.amdhsa_fp16_overflow 0
		.amdhsa_workgroup_processor_mode 1
		.amdhsa_memory_ordered 1
		.amdhsa_forward_progress 1
		.amdhsa_shared_vgpr_count 0
		.amdhsa_exception_fp_ieee_invalid_op 0
		.amdhsa_exception_fp_denorm_src 0
		.amdhsa_exception_fp_ieee_div_zero 0
		.amdhsa_exception_fp_ieee_overflow 0
		.amdhsa_exception_fp_ieee_underflow 0
		.amdhsa_exception_fp_ieee_inexact 0
		.amdhsa_exception_int_div_zero 0
	.end_amdhsa_kernel
	.section	.text._Z20binary_search_kernelIxEvmPT_Pb,"axG",@progbits,_Z20binary_search_kernelIxEvmPT_Pb,comdat
.Lfunc_end292:
	.size	_Z20binary_search_kernelIxEvmPT_Pb, .Lfunc_end292-_Z20binary_search_kernelIxEvmPT_Pb
                                        ; -- End function
	.set _Z20binary_search_kernelIxEvmPT_Pb.num_vgpr, 2
	.set _Z20binary_search_kernelIxEvmPT_Pb.num_agpr, 0
	.set _Z20binary_search_kernelIxEvmPT_Pb.numbered_sgpr, 18
	.set _Z20binary_search_kernelIxEvmPT_Pb.num_named_barrier, 0
	.set _Z20binary_search_kernelIxEvmPT_Pb.private_seg_size, 0
	.set _Z20binary_search_kernelIxEvmPT_Pb.uses_vcc, 1
	.set _Z20binary_search_kernelIxEvmPT_Pb.uses_flat_scratch, 0
	.set _Z20binary_search_kernelIxEvmPT_Pb.has_dyn_sized_stack, 0
	.set _Z20binary_search_kernelIxEvmPT_Pb.has_recursion, 0
	.set _Z20binary_search_kernelIxEvmPT_Pb.has_indirect_call, 0
	.section	.AMDGPU.csdata,"",@progbits
; Kernel info:
; codeLenInByte = 2084
; TotalNumSgprs: 20
; NumVgprs: 2
; ScratchSize: 0
; MemoryBound: 0
; FloatMode: 240
; IeeeMode: 1
; LDSByteSize: 0 bytes/workgroup (compile time only)
; SGPRBlocks: 0
; VGPRBlocks: 0
; NumSGPRsForWavesPerEU: 20
; NumVGPRsForWavesPerEU: 2
; Occupancy: 16
; WaveLimiterHint : 0
; COMPUTE_PGM_RSRC2:SCRATCH_EN: 0
; COMPUTE_PGM_RSRC2:USER_SGPR: 6
; COMPUTE_PGM_RSRC2:TRAP_HANDLER: 0
; COMPUTE_PGM_RSRC2:TGID_X_EN: 1
; COMPUTE_PGM_RSRC2:TGID_Y_EN: 0
; COMPUTE_PGM_RSRC2:TGID_Z_EN: 0
; COMPUTE_PGM_RSRC2:TIDIG_COMP_CNT: 0
	.section	.text._ZN7rocprim17ROCPRIM_400000_NS6detail17trampoline_kernelINS0_14default_configENS1_29binary_search_config_selectorIxiEEZNS1_14transform_implILb0ES3_S5_N6thrust23THRUST_200600_302600_NS6detail15normal_iteratorINS8_7pointerIxNS8_11hip_rocprim5par_tENS8_11use_defaultESE_EEEENSA_INSB_IiSD_SE_SE_EEEEZNS1_13binary_searchIS3_S5_PxSG_SI_NS1_16binary_search_opENS9_16wrapped_functionINS8_6system6detail7generic6detail18binary_search_lessEbEEEE10hipError_tPvRmT1_T2_T3_mmT4_T5_P12ihipStream_tbEUlRKxE_EEST_SX_SY_mSZ_S12_bEUlT_E_NS1_11comp_targetILNS1_3genE0ELNS1_11target_archE4294967295ELNS1_3gpuE0ELNS1_3repE0EEENS1_30default_config_static_selectorELNS0_4arch9wavefront6targetE0EEEvSW_,"axG",@progbits,_ZN7rocprim17ROCPRIM_400000_NS6detail17trampoline_kernelINS0_14default_configENS1_29binary_search_config_selectorIxiEEZNS1_14transform_implILb0ES3_S5_N6thrust23THRUST_200600_302600_NS6detail15normal_iteratorINS8_7pointerIxNS8_11hip_rocprim5par_tENS8_11use_defaultESE_EEEENSA_INSB_IiSD_SE_SE_EEEEZNS1_13binary_searchIS3_S5_PxSG_SI_NS1_16binary_search_opENS9_16wrapped_functionINS8_6system6detail7generic6detail18binary_search_lessEbEEEE10hipError_tPvRmT1_T2_T3_mmT4_T5_P12ihipStream_tbEUlRKxE_EEST_SX_SY_mSZ_S12_bEUlT_E_NS1_11comp_targetILNS1_3genE0ELNS1_11target_archE4294967295ELNS1_3gpuE0ELNS1_3repE0EEENS1_30default_config_static_selectorELNS0_4arch9wavefront6targetE0EEEvSW_,comdat
	.protected	_ZN7rocprim17ROCPRIM_400000_NS6detail17trampoline_kernelINS0_14default_configENS1_29binary_search_config_selectorIxiEEZNS1_14transform_implILb0ES3_S5_N6thrust23THRUST_200600_302600_NS6detail15normal_iteratorINS8_7pointerIxNS8_11hip_rocprim5par_tENS8_11use_defaultESE_EEEENSA_INSB_IiSD_SE_SE_EEEEZNS1_13binary_searchIS3_S5_PxSG_SI_NS1_16binary_search_opENS9_16wrapped_functionINS8_6system6detail7generic6detail18binary_search_lessEbEEEE10hipError_tPvRmT1_T2_T3_mmT4_T5_P12ihipStream_tbEUlRKxE_EEST_SX_SY_mSZ_S12_bEUlT_E_NS1_11comp_targetILNS1_3genE0ELNS1_11target_archE4294967295ELNS1_3gpuE0ELNS1_3repE0EEENS1_30default_config_static_selectorELNS0_4arch9wavefront6targetE0EEEvSW_ ; -- Begin function _ZN7rocprim17ROCPRIM_400000_NS6detail17trampoline_kernelINS0_14default_configENS1_29binary_search_config_selectorIxiEEZNS1_14transform_implILb0ES3_S5_N6thrust23THRUST_200600_302600_NS6detail15normal_iteratorINS8_7pointerIxNS8_11hip_rocprim5par_tENS8_11use_defaultESE_EEEENSA_INSB_IiSD_SE_SE_EEEEZNS1_13binary_searchIS3_S5_PxSG_SI_NS1_16binary_search_opENS9_16wrapped_functionINS8_6system6detail7generic6detail18binary_search_lessEbEEEE10hipError_tPvRmT1_T2_T3_mmT4_T5_P12ihipStream_tbEUlRKxE_EEST_SX_SY_mSZ_S12_bEUlT_E_NS1_11comp_targetILNS1_3genE0ELNS1_11target_archE4294967295ELNS1_3gpuE0ELNS1_3repE0EEENS1_30default_config_static_selectorELNS0_4arch9wavefront6targetE0EEEvSW_
	.globl	_ZN7rocprim17ROCPRIM_400000_NS6detail17trampoline_kernelINS0_14default_configENS1_29binary_search_config_selectorIxiEEZNS1_14transform_implILb0ES3_S5_N6thrust23THRUST_200600_302600_NS6detail15normal_iteratorINS8_7pointerIxNS8_11hip_rocprim5par_tENS8_11use_defaultESE_EEEENSA_INSB_IiSD_SE_SE_EEEEZNS1_13binary_searchIS3_S5_PxSG_SI_NS1_16binary_search_opENS9_16wrapped_functionINS8_6system6detail7generic6detail18binary_search_lessEbEEEE10hipError_tPvRmT1_T2_T3_mmT4_T5_P12ihipStream_tbEUlRKxE_EEST_SX_SY_mSZ_S12_bEUlT_E_NS1_11comp_targetILNS1_3genE0ELNS1_11target_archE4294967295ELNS1_3gpuE0ELNS1_3repE0EEENS1_30default_config_static_selectorELNS0_4arch9wavefront6targetE0EEEvSW_
	.p2align	8
	.type	_ZN7rocprim17ROCPRIM_400000_NS6detail17trampoline_kernelINS0_14default_configENS1_29binary_search_config_selectorIxiEEZNS1_14transform_implILb0ES3_S5_N6thrust23THRUST_200600_302600_NS6detail15normal_iteratorINS8_7pointerIxNS8_11hip_rocprim5par_tENS8_11use_defaultESE_EEEENSA_INSB_IiSD_SE_SE_EEEEZNS1_13binary_searchIS3_S5_PxSG_SI_NS1_16binary_search_opENS9_16wrapped_functionINS8_6system6detail7generic6detail18binary_search_lessEbEEEE10hipError_tPvRmT1_T2_T3_mmT4_T5_P12ihipStream_tbEUlRKxE_EEST_SX_SY_mSZ_S12_bEUlT_E_NS1_11comp_targetILNS1_3genE0ELNS1_11target_archE4294967295ELNS1_3gpuE0ELNS1_3repE0EEENS1_30default_config_static_selectorELNS0_4arch9wavefront6targetE0EEEvSW_,@function
_ZN7rocprim17ROCPRIM_400000_NS6detail17trampoline_kernelINS0_14default_configENS1_29binary_search_config_selectorIxiEEZNS1_14transform_implILb0ES3_S5_N6thrust23THRUST_200600_302600_NS6detail15normal_iteratorINS8_7pointerIxNS8_11hip_rocprim5par_tENS8_11use_defaultESE_EEEENSA_INSB_IiSD_SE_SE_EEEEZNS1_13binary_searchIS3_S5_PxSG_SI_NS1_16binary_search_opENS9_16wrapped_functionINS8_6system6detail7generic6detail18binary_search_lessEbEEEE10hipError_tPvRmT1_T2_T3_mmT4_T5_P12ihipStream_tbEUlRKxE_EEST_SX_SY_mSZ_S12_bEUlT_E_NS1_11comp_targetILNS1_3genE0ELNS1_11target_archE4294967295ELNS1_3gpuE0ELNS1_3repE0EEENS1_30default_config_static_selectorELNS0_4arch9wavefront6targetE0EEEvSW_: ; @_ZN7rocprim17ROCPRIM_400000_NS6detail17trampoline_kernelINS0_14default_configENS1_29binary_search_config_selectorIxiEEZNS1_14transform_implILb0ES3_S5_N6thrust23THRUST_200600_302600_NS6detail15normal_iteratorINS8_7pointerIxNS8_11hip_rocprim5par_tENS8_11use_defaultESE_EEEENSA_INSB_IiSD_SE_SE_EEEEZNS1_13binary_searchIS3_S5_PxSG_SI_NS1_16binary_search_opENS9_16wrapped_functionINS8_6system6detail7generic6detail18binary_search_lessEbEEEE10hipError_tPvRmT1_T2_T3_mmT4_T5_P12ihipStream_tbEUlRKxE_EEST_SX_SY_mSZ_S12_bEUlT_E_NS1_11comp_targetILNS1_3genE0ELNS1_11target_archE4294967295ELNS1_3gpuE0ELNS1_3repE0EEENS1_30default_config_static_selectorELNS0_4arch9wavefront6targetE0EEEvSW_
; %bb.0:
	.section	.rodata,"a",@progbits
	.p2align	6, 0x0
	.amdhsa_kernel _ZN7rocprim17ROCPRIM_400000_NS6detail17trampoline_kernelINS0_14default_configENS1_29binary_search_config_selectorIxiEEZNS1_14transform_implILb0ES3_S5_N6thrust23THRUST_200600_302600_NS6detail15normal_iteratorINS8_7pointerIxNS8_11hip_rocprim5par_tENS8_11use_defaultESE_EEEENSA_INSB_IiSD_SE_SE_EEEEZNS1_13binary_searchIS3_S5_PxSG_SI_NS1_16binary_search_opENS9_16wrapped_functionINS8_6system6detail7generic6detail18binary_search_lessEbEEEE10hipError_tPvRmT1_T2_T3_mmT4_T5_P12ihipStream_tbEUlRKxE_EEST_SX_SY_mSZ_S12_bEUlT_E_NS1_11comp_targetILNS1_3genE0ELNS1_11target_archE4294967295ELNS1_3gpuE0ELNS1_3repE0EEENS1_30default_config_static_selectorELNS0_4arch9wavefront6targetE0EEEvSW_
		.amdhsa_group_segment_fixed_size 0
		.amdhsa_private_segment_fixed_size 0
		.amdhsa_kernarg_size 56
		.amdhsa_user_sgpr_count 6
		.amdhsa_user_sgpr_private_segment_buffer 1
		.amdhsa_user_sgpr_dispatch_ptr 0
		.amdhsa_user_sgpr_queue_ptr 0
		.amdhsa_user_sgpr_kernarg_segment_ptr 1
		.amdhsa_user_sgpr_dispatch_id 0
		.amdhsa_user_sgpr_flat_scratch_init 0
		.amdhsa_user_sgpr_private_segment_size 0
		.amdhsa_wavefront_size32 1
		.amdhsa_uses_dynamic_stack 0
		.amdhsa_system_sgpr_private_segment_wavefront_offset 0
		.amdhsa_system_sgpr_workgroup_id_x 1
		.amdhsa_system_sgpr_workgroup_id_y 0
		.amdhsa_system_sgpr_workgroup_id_z 0
		.amdhsa_system_sgpr_workgroup_info 0
		.amdhsa_system_vgpr_workitem_id 0
		.amdhsa_next_free_vgpr 1
		.amdhsa_next_free_sgpr 1
		.amdhsa_reserve_vcc 0
		.amdhsa_reserve_flat_scratch 0
		.amdhsa_float_round_mode_32 0
		.amdhsa_float_round_mode_16_64 0
		.amdhsa_float_denorm_mode_32 3
		.amdhsa_float_denorm_mode_16_64 3
		.amdhsa_dx10_clamp 1
		.amdhsa_ieee_mode 1
		.amdhsa_fp16_overflow 0
		.amdhsa_workgroup_processor_mode 1
		.amdhsa_memory_ordered 1
		.amdhsa_forward_progress 1
		.amdhsa_shared_vgpr_count 0
		.amdhsa_exception_fp_ieee_invalid_op 0
		.amdhsa_exception_fp_denorm_src 0
		.amdhsa_exception_fp_ieee_div_zero 0
		.amdhsa_exception_fp_ieee_overflow 0
		.amdhsa_exception_fp_ieee_underflow 0
		.amdhsa_exception_fp_ieee_inexact 0
		.amdhsa_exception_int_div_zero 0
	.end_amdhsa_kernel
	.section	.text._ZN7rocprim17ROCPRIM_400000_NS6detail17trampoline_kernelINS0_14default_configENS1_29binary_search_config_selectorIxiEEZNS1_14transform_implILb0ES3_S5_N6thrust23THRUST_200600_302600_NS6detail15normal_iteratorINS8_7pointerIxNS8_11hip_rocprim5par_tENS8_11use_defaultESE_EEEENSA_INSB_IiSD_SE_SE_EEEEZNS1_13binary_searchIS3_S5_PxSG_SI_NS1_16binary_search_opENS9_16wrapped_functionINS8_6system6detail7generic6detail18binary_search_lessEbEEEE10hipError_tPvRmT1_T2_T3_mmT4_T5_P12ihipStream_tbEUlRKxE_EEST_SX_SY_mSZ_S12_bEUlT_E_NS1_11comp_targetILNS1_3genE0ELNS1_11target_archE4294967295ELNS1_3gpuE0ELNS1_3repE0EEENS1_30default_config_static_selectorELNS0_4arch9wavefront6targetE0EEEvSW_,"axG",@progbits,_ZN7rocprim17ROCPRIM_400000_NS6detail17trampoline_kernelINS0_14default_configENS1_29binary_search_config_selectorIxiEEZNS1_14transform_implILb0ES3_S5_N6thrust23THRUST_200600_302600_NS6detail15normal_iteratorINS8_7pointerIxNS8_11hip_rocprim5par_tENS8_11use_defaultESE_EEEENSA_INSB_IiSD_SE_SE_EEEEZNS1_13binary_searchIS3_S5_PxSG_SI_NS1_16binary_search_opENS9_16wrapped_functionINS8_6system6detail7generic6detail18binary_search_lessEbEEEE10hipError_tPvRmT1_T2_T3_mmT4_T5_P12ihipStream_tbEUlRKxE_EEST_SX_SY_mSZ_S12_bEUlT_E_NS1_11comp_targetILNS1_3genE0ELNS1_11target_archE4294967295ELNS1_3gpuE0ELNS1_3repE0EEENS1_30default_config_static_selectorELNS0_4arch9wavefront6targetE0EEEvSW_,comdat
.Lfunc_end293:
	.size	_ZN7rocprim17ROCPRIM_400000_NS6detail17trampoline_kernelINS0_14default_configENS1_29binary_search_config_selectorIxiEEZNS1_14transform_implILb0ES3_S5_N6thrust23THRUST_200600_302600_NS6detail15normal_iteratorINS8_7pointerIxNS8_11hip_rocprim5par_tENS8_11use_defaultESE_EEEENSA_INSB_IiSD_SE_SE_EEEEZNS1_13binary_searchIS3_S5_PxSG_SI_NS1_16binary_search_opENS9_16wrapped_functionINS8_6system6detail7generic6detail18binary_search_lessEbEEEE10hipError_tPvRmT1_T2_T3_mmT4_T5_P12ihipStream_tbEUlRKxE_EEST_SX_SY_mSZ_S12_bEUlT_E_NS1_11comp_targetILNS1_3genE0ELNS1_11target_archE4294967295ELNS1_3gpuE0ELNS1_3repE0EEENS1_30default_config_static_selectorELNS0_4arch9wavefront6targetE0EEEvSW_, .Lfunc_end293-_ZN7rocprim17ROCPRIM_400000_NS6detail17trampoline_kernelINS0_14default_configENS1_29binary_search_config_selectorIxiEEZNS1_14transform_implILb0ES3_S5_N6thrust23THRUST_200600_302600_NS6detail15normal_iteratorINS8_7pointerIxNS8_11hip_rocprim5par_tENS8_11use_defaultESE_EEEENSA_INSB_IiSD_SE_SE_EEEEZNS1_13binary_searchIS3_S5_PxSG_SI_NS1_16binary_search_opENS9_16wrapped_functionINS8_6system6detail7generic6detail18binary_search_lessEbEEEE10hipError_tPvRmT1_T2_T3_mmT4_T5_P12ihipStream_tbEUlRKxE_EEST_SX_SY_mSZ_S12_bEUlT_E_NS1_11comp_targetILNS1_3genE0ELNS1_11target_archE4294967295ELNS1_3gpuE0ELNS1_3repE0EEENS1_30default_config_static_selectorELNS0_4arch9wavefront6targetE0EEEvSW_
                                        ; -- End function
	.set _ZN7rocprim17ROCPRIM_400000_NS6detail17trampoline_kernelINS0_14default_configENS1_29binary_search_config_selectorIxiEEZNS1_14transform_implILb0ES3_S5_N6thrust23THRUST_200600_302600_NS6detail15normal_iteratorINS8_7pointerIxNS8_11hip_rocprim5par_tENS8_11use_defaultESE_EEEENSA_INSB_IiSD_SE_SE_EEEEZNS1_13binary_searchIS3_S5_PxSG_SI_NS1_16binary_search_opENS9_16wrapped_functionINS8_6system6detail7generic6detail18binary_search_lessEbEEEE10hipError_tPvRmT1_T2_T3_mmT4_T5_P12ihipStream_tbEUlRKxE_EEST_SX_SY_mSZ_S12_bEUlT_E_NS1_11comp_targetILNS1_3genE0ELNS1_11target_archE4294967295ELNS1_3gpuE0ELNS1_3repE0EEENS1_30default_config_static_selectorELNS0_4arch9wavefront6targetE0EEEvSW_.num_vgpr, 0
	.set _ZN7rocprim17ROCPRIM_400000_NS6detail17trampoline_kernelINS0_14default_configENS1_29binary_search_config_selectorIxiEEZNS1_14transform_implILb0ES3_S5_N6thrust23THRUST_200600_302600_NS6detail15normal_iteratorINS8_7pointerIxNS8_11hip_rocprim5par_tENS8_11use_defaultESE_EEEENSA_INSB_IiSD_SE_SE_EEEEZNS1_13binary_searchIS3_S5_PxSG_SI_NS1_16binary_search_opENS9_16wrapped_functionINS8_6system6detail7generic6detail18binary_search_lessEbEEEE10hipError_tPvRmT1_T2_T3_mmT4_T5_P12ihipStream_tbEUlRKxE_EEST_SX_SY_mSZ_S12_bEUlT_E_NS1_11comp_targetILNS1_3genE0ELNS1_11target_archE4294967295ELNS1_3gpuE0ELNS1_3repE0EEENS1_30default_config_static_selectorELNS0_4arch9wavefront6targetE0EEEvSW_.num_agpr, 0
	.set _ZN7rocprim17ROCPRIM_400000_NS6detail17trampoline_kernelINS0_14default_configENS1_29binary_search_config_selectorIxiEEZNS1_14transform_implILb0ES3_S5_N6thrust23THRUST_200600_302600_NS6detail15normal_iteratorINS8_7pointerIxNS8_11hip_rocprim5par_tENS8_11use_defaultESE_EEEENSA_INSB_IiSD_SE_SE_EEEEZNS1_13binary_searchIS3_S5_PxSG_SI_NS1_16binary_search_opENS9_16wrapped_functionINS8_6system6detail7generic6detail18binary_search_lessEbEEEE10hipError_tPvRmT1_T2_T3_mmT4_T5_P12ihipStream_tbEUlRKxE_EEST_SX_SY_mSZ_S12_bEUlT_E_NS1_11comp_targetILNS1_3genE0ELNS1_11target_archE4294967295ELNS1_3gpuE0ELNS1_3repE0EEENS1_30default_config_static_selectorELNS0_4arch9wavefront6targetE0EEEvSW_.numbered_sgpr, 0
	.set _ZN7rocprim17ROCPRIM_400000_NS6detail17trampoline_kernelINS0_14default_configENS1_29binary_search_config_selectorIxiEEZNS1_14transform_implILb0ES3_S5_N6thrust23THRUST_200600_302600_NS6detail15normal_iteratorINS8_7pointerIxNS8_11hip_rocprim5par_tENS8_11use_defaultESE_EEEENSA_INSB_IiSD_SE_SE_EEEEZNS1_13binary_searchIS3_S5_PxSG_SI_NS1_16binary_search_opENS9_16wrapped_functionINS8_6system6detail7generic6detail18binary_search_lessEbEEEE10hipError_tPvRmT1_T2_T3_mmT4_T5_P12ihipStream_tbEUlRKxE_EEST_SX_SY_mSZ_S12_bEUlT_E_NS1_11comp_targetILNS1_3genE0ELNS1_11target_archE4294967295ELNS1_3gpuE0ELNS1_3repE0EEENS1_30default_config_static_selectorELNS0_4arch9wavefront6targetE0EEEvSW_.num_named_barrier, 0
	.set _ZN7rocprim17ROCPRIM_400000_NS6detail17trampoline_kernelINS0_14default_configENS1_29binary_search_config_selectorIxiEEZNS1_14transform_implILb0ES3_S5_N6thrust23THRUST_200600_302600_NS6detail15normal_iteratorINS8_7pointerIxNS8_11hip_rocprim5par_tENS8_11use_defaultESE_EEEENSA_INSB_IiSD_SE_SE_EEEEZNS1_13binary_searchIS3_S5_PxSG_SI_NS1_16binary_search_opENS9_16wrapped_functionINS8_6system6detail7generic6detail18binary_search_lessEbEEEE10hipError_tPvRmT1_T2_T3_mmT4_T5_P12ihipStream_tbEUlRKxE_EEST_SX_SY_mSZ_S12_bEUlT_E_NS1_11comp_targetILNS1_3genE0ELNS1_11target_archE4294967295ELNS1_3gpuE0ELNS1_3repE0EEENS1_30default_config_static_selectorELNS0_4arch9wavefront6targetE0EEEvSW_.private_seg_size, 0
	.set _ZN7rocprim17ROCPRIM_400000_NS6detail17trampoline_kernelINS0_14default_configENS1_29binary_search_config_selectorIxiEEZNS1_14transform_implILb0ES3_S5_N6thrust23THRUST_200600_302600_NS6detail15normal_iteratorINS8_7pointerIxNS8_11hip_rocprim5par_tENS8_11use_defaultESE_EEEENSA_INSB_IiSD_SE_SE_EEEEZNS1_13binary_searchIS3_S5_PxSG_SI_NS1_16binary_search_opENS9_16wrapped_functionINS8_6system6detail7generic6detail18binary_search_lessEbEEEE10hipError_tPvRmT1_T2_T3_mmT4_T5_P12ihipStream_tbEUlRKxE_EEST_SX_SY_mSZ_S12_bEUlT_E_NS1_11comp_targetILNS1_3genE0ELNS1_11target_archE4294967295ELNS1_3gpuE0ELNS1_3repE0EEENS1_30default_config_static_selectorELNS0_4arch9wavefront6targetE0EEEvSW_.uses_vcc, 0
	.set _ZN7rocprim17ROCPRIM_400000_NS6detail17trampoline_kernelINS0_14default_configENS1_29binary_search_config_selectorIxiEEZNS1_14transform_implILb0ES3_S5_N6thrust23THRUST_200600_302600_NS6detail15normal_iteratorINS8_7pointerIxNS8_11hip_rocprim5par_tENS8_11use_defaultESE_EEEENSA_INSB_IiSD_SE_SE_EEEEZNS1_13binary_searchIS3_S5_PxSG_SI_NS1_16binary_search_opENS9_16wrapped_functionINS8_6system6detail7generic6detail18binary_search_lessEbEEEE10hipError_tPvRmT1_T2_T3_mmT4_T5_P12ihipStream_tbEUlRKxE_EEST_SX_SY_mSZ_S12_bEUlT_E_NS1_11comp_targetILNS1_3genE0ELNS1_11target_archE4294967295ELNS1_3gpuE0ELNS1_3repE0EEENS1_30default_config_static_selectorELNS0_4arch9wavefront6targetE0EEEvSW_.uses_flat_scratch, 0
	.set _ZN7rocprim17ROCPRIM_400000_NS6detail17trampoline_kernelINS0_14default_configENS1_29binary_search_config_selectorIxiEEZNS1_14transform_implILb0ES3_S5_N6thrust23THRUST_200600_302600_NS6detail15normal_iteratorINS8_7pointerIxNS8_11hip_rocprim5par_tENS8_11use_defaultESE_EEEENSA_INSB_IiSD_SE_SE_EEEEZNS1_13binary_searchIS3_S5_PxSG_SI_NS1_16binary_search_opENS9_16wrapped_functionINS8_6system6detail7generic6detail18binary_search_lessEbEEEE10hipError_tPvRmT1_T2_T3_mmT4_T5_P12ihipStream_tbEUlRKxE_EEST_SX_SY_mSZ_S12_bEUlT_E_NS1_11comp_targetILNS1_3genE0ELNS1_11target_archE4294967295ELNS1_3gpuE0ELNS1_3repE0EEENS1_30default_config_static_selectorELNS0_4arch9wavefront6targetE0EEEvSW_.has_dyn_sized_stack, 0
	.set _ZN7rocprim17ROCPRIM_400000_NS6detail17trampoline_kernelINS0_14default_configENS1_29binary_search_config_selectorIxiEEZNS1_14transform_implILb0ES3_S5_N6thrust23THRUST_200600_302600_NS6detail15normal_iteratorINS8_7pointerIxNS8_11hip_rocprim5par_tENS8_11use_defaultESE_EEEENSA_INSB_IiSD_SE_SE_EEEEZNS1_13binary_searchIS3_S5_PxSG_SI_NS1_16binary_search_opENS9_16wrapped_functionINS8_6system6detail7generic6detail18binary_search_lessEbEEEE10hipError_tPvRmT1_T2_T3_mmT4_T5_P12ihipStream_tbEUlRKxE_EEST_SX_SY_mSZ_S12_bEUlT_E_NS1_11comp_targetILNS1_3genE0ELNS1_11target_archE4294967295ELNS1_3gpuE0ELNS1_3repE0EEENS1_30default_config_static_selectorELNS0_4arch9wavefront6targetE0EEEvSW_.has_recursion, 0
	.set _ZN7rocprim17ROCPRIM_400000_NS6detail17trampoline_kernelINS0_14default_configENS1_29binary_search_config_selectorIxiEEZNS1_14transform_implILb0ES3_S5_N6thrust23THRUST_200600_302600_NS6detail15normal_iteratorINS8_7pointerIxNS8_11hip_rocprim5par_tENS8_11use_defaultESE_EEEENSA_INSB_IiSD_SE_SE_EEEEZNS1_13binary_searchIS3_S5_PxSG_SI_NS1_16binary_search_opENS9_16wrapped_functionINS8_6system6detail7generic6detail18binary_search_lessEbEEEE10hipError_tPvRmT1_T2_T3_mmT4_T5_P12ihipStream_tbEUlRKxE_EEST_SX_SY_mSZ_S12_bEUlT_E_NS1_11comp_targetILNS1_3genE0ELNS1_11target_archE4294967295ELNS1_3gpuE0ELNS1_3repE0EEENS1_30default_config_static_selectorELNS0_4arch9wavefront6targetE0EEEvSW_.has_indirect_call, 0
	.section	.AMDGPU.csdata,"",@progbits
; Kernel info:
; codeLenInByte = 0
; TotalNumSgprs: 0
; NumVgprs: 0
; ScratchSize: 0
; MemoryBound: 0
; FloatMode: 240
; IeeeMode: 1
; LDSByteSize: 0 bytes/workgroup (compile time only)
; SGPRBlocks: 0
; VGPRBlocks: 0
; NumSGPRsForWavesPerEU: 1
; NumVGPRsForWavesPerEU: 1
; Occupancy: 16
; WaveLimiterHint : 0
; COMPUTE_PGM_RSRC2:SCRATCH_EN: 0
; COMPUTE_PGM_RSRC2:USER_SGPR: 6
; COMPUTE_PGM_RSRC2:TRAP_HANDLER: 0
; COMPUTE_PGM_RSRC2:TGID_X_EN: 1
; COMPUTE_PGM_RSRC2:TGID_Y_EN: 0
; COMPUTE_PGM_RSRC2:TGID_Z_EN: 0
; COMPUTE_PGM_RSRC2:TIDIG_COMP_CNT: 0
	.section	.text._ZN7rocprim17ROCPRIM_400000_NS6detail17trampoline_kernelINS0_14default_configENS1_29binary_search_config_selectorIxiEEZNS1_14transform_implILb0ES3_S5_N6thrust23THRUST_200600_302600_NS6detail15normal_iteratorINS8_7pointerIxNS8_11hip_rocprim5par_tENS8_11use_defaultESE_EEEENSA_INSB_IiSD_SE_SE_EEEEZNS1_13binary_searchIS3_S5_PxSG_SI_NS1_16binary_search_opENS9_16wrapped_functionINS8_6system6detail7generic6detail18binary_search_lessEbEEEE10hipError_tPvRmT1_T2_T3_mmT4_T5_P12ihipStream_tbEUlRKxE_EEST_SX_SY_mSZ_S12_bEUlT_E_NS1_11comp_targetILNS1_3genE5ELNS1_11target_archE942ELNS1_3gpuE9ELNS1_3repE0EEENS1_30default_config_static_selectorELNS0_4arch9wavefront6targetE0EEEvSW_,"axG",@progbits,_ZN7rocprim17ROCPRIM_400000_NS6detail17trampoline_kernelINS0_14default_configENS1_29binary_search_config_selectorIxiEEZNS1_14transform_implILb0ES3_S5_N6thrust23THRUST_200600_302600_NS6detail15normal_iteratorINS8_7pointerIxNS8_11hip_rocprim5par_tENS8_11use_defaultESE_EEEENSA_INSB_IiSD_SE_SE_EEEEZNS1_13binary_searchIS3_S5_PxSG_SI_NS1_16binary_search_opENS9_16wrapped_functionINS8_6system6detail7generic6detail18binary_search_lessEbEEEE10hipError_tPvRmT1_T2_T3_mmT4_T5_P12ihipStream_tbEUlRKxE_EEST_SX_SY_mSZ_S12_bEUlT_E_NS1_11comp_targetILNS1_3genE5ELNS1_11target_archE942ELNS1_3gpuE9ELNS1_3repE0EEENS1_30default_config_static_selectorELNS0_4arch9wavefront6targetE0EEEvSW_,comdat
	.protected	_ZN7rocprim17ROCPRIM_400000_NS6detail17trampoline_kernelINS0_14default_configENS1_29binary_search_config_selectorIxiEEZNS1_14transform_implILb0ES3_S5_N6thrust23THRUST_200600_302600_NS6detail15normal_iteratorINS8_7pointerIxNS8_11hip_rocprim5par_tENS8_11use_defaultESE_EEEENSA_INSB_IiSD_SE_SE_EEEEZNS1_13binary_searchIS3_S5_PxSG_SI_NS1_16binary_search_opENS9_16wrapped_functionINS8_6system6detail7generic6detail18binary_search_lessEbEEEE10hipError_tPvRmT1_T2_T3_mmT4_T5_P12ihipStream_tbEUlRKxE_EEST_SX_SY_mSZ_S12_bEUlT_E_NS1_11comp_targetILNS1_3genE5ELNS1_11target_archE942ELNS1_3gpuE9ELNS1_3repE0EEENS1_30default_config_static_selectorELNS0_4arch9wavefront6targetE0EEEvSW_ ; -- Begin function _ZN7rocprim17ROCPRIM_400000_NS6detail17trampoline_kernelINS0_14default_configENS1_29binary_search_config_selectorIxiEEZNS1_14transform_implILb0ES3_S5_N6thrust23THRUST_200600_302600_NS6detail15normal_iteratorINS8_7pointerIxNS8_11hip_rocprim5par_tENS8_11use_defaultESE_EEEENSA_INSB_IiSD_SE_SE_EEEEZNS1_13binary_searchIS3_S5_PxSG_SI_NS1_16binary_search_opENS9_16wrapped_functionINS8_6system6detail7generic6detail18binary_search_lessEbEEEE10hipError_tPvRmT1_T2_T3_mmT4_T5_P12ihipStream_tbEUlRKxE_EEST_SX_SY_mSZ_S12_bEUlT_E_NS1_11comp_targetILNS1_3genE5ELNS1_11target_archE942ELNS1_3gpuE9ELNS1_3repE0EEENS1_30default_config_static_selectorELNS0_4arch9wavefront6targetE0EEEvSW_
	.globl	_ZN7rocprim17ROCPRIM_400000_NS6detail17trampoline_kernelINS0_14default_configENS1_29binary_search_config_selectorIxiEEZNS1_14transform_implILb0ES3_S5_N6thrust23THRUST_200600_302600_NS6detail15normal_iteratorINS8_7pointerIxNS8_11hip_rocprim5par_tENS8_11use_defaultESE_EEEENSA_INSB_IiSD_SE_SE_EEEEZNS1_13binary_searchIS3_S5_PxSG_SI_NS1_16binary_search_opENS9_16wrapped_functionINS8_6system6detail7generic6detail18binary_search_lessEbEEEE10hipError_tPvRmT1_T2_T3_mmT4_T5_P12ihipStream_tbEUlRKxE_EEST_SX_SY_mSZ_S12_bEUlT_E_NS1_11comp_targetILNS1_3genE5ELNS1_11target_archE942ELNS1_3gpuE9ELNS1_3repE0EEENS1_30default_config_static_selectorELNS0_4arch9wavefront6targetE0EEEvSW_
	.p2align	8
	.type	_ZN7rocprim17ROCPRIM_400000_NS6detail17trampoline_kernelINS0_14default_configENS1_29binary_search_config_selectorIxiEEZNS1_14transform_implILb0ES3_S5_N6thrust23THRUST_200600_302600_NS6detail15normal_iteratorINS8_7pointerIxNS8_11hip_rocprim5par_tENS8_11use_defaultESE_EEEENSA_INSB_IiSD_SE_SE_EEEEZNS1_13binary_searchIS3_S5_PxSG_SI_NS1_16binary_search_opENS9_16wrapped_functionINS8_6system6detail7generic6detail18binary_search_lessEbEEEE10hipError_tPvRmT1_T2_T3_mmT4_T5_P12ihipStream_tbEUlRKxE_EEST_SX_SY_mSZ_S12_bEUlT_E_NS1_11comp_targetILNS1_3genE5ELNS1_11target_archE942ELNS1_3gpuE9ELNS1_3repE0EEENS1_30default_config_static_selectorELNS0_4arch9wavefront6targetE0EEEvSW_,@function
_ZN7rocprim17ROCPRIM_400000_NS6detail17trampoline_kernelINS0_14default_configENS1_29binary_search_config_selectorIxiEEZNS1_14transform_implILb0ES3_S5_N6thrust23THRUST_200600_302600_NS6detail15normal_iteratorINS8_7pointerIxNS8_11hip_rocprim5par_tENS8_11use_defaultESE_EEEENSA_INSB_IiSD_SE_SE_EEEEZNS1_13binary_searchIS3_S5_PxSG_SI_NS1_16binary_search_opENS9_16wrapped_functionINS8_6system6detail7generic6detail18binary_search_lessEbEEEE10hipError_tPvRmT1_T2_T3_mmT4_T5_P12ihipStream_tbEUlRKxE_EEST_SX_SY_mSZ_S12_bEUlT_E_NS1_11comp_targetILNS1_3genE5ELNS1_11target_archE942ELNS1_3gpuE9ELNS1_3repE0EEENS1_30default_config_static_selectorELNS0_4arch9wavefront6targetE0EEEvSW_: ; @_ZN7rocprim17ROCPRIM_400000_NS6detail17trampoline_kernelINS0_14default_configENS1_29binary_search_config_selectorIxiEEZNS1_14transform_implILb0ES3_S5_N6thrust23THRUST_200600_302600_NS6detail15normal_iteratorINS8_7pointerIxNS8_11hip_rocprim5par_tENS8_11use_defaultESE_EEEENSA_INSB_IiSD_SE_SE_EEEEZNS1_13binary_searchIS3_S5_PxSG_SI_NS1_16binary_search_opENS9_16wrapped_functionINS8_6system6detail7generic6detail18binary_search_lessEbEEEE10hipError_tPvRmT1_T2_T3_mmT4_T5_P12ihipStream_tbEUlRKxE_EEST_SX_SY_mSZ_S12_bEUlT_E_NS1_11comp_targetILNS1_3genE5ELNS1_11target_archE942ELNS1_3gpuE9ELNS1_3repE0EEENS1_30default_config_static_selectorELNS0_4arch9wavefront6targetE0EEEvSW_
; %bb.0:
	.section	.rodata,"a",@progbits
	.p2align	6, 0x0
	.amdhsa_kernel _ZN7rocprim17ROCPRIM_400000_NS6detail17trampoline_kernelINS0_14default_configENS1_29binary_search_config_selectorIxiEEZNS1_14transform_implILb0ES3_S5_N6thrust23THRUST_200600_302600_NS6detail15normal_iteratorINS8_7pointerIxNS8_11hip_rocprim5par_tENS8_11use_defaultESE_EEEENSA_INSB_IiSD_SE_SE_EEEEZNS1_13binary_searchIS3_S5_PxSG_SI_NS1_16binary_search_opENS9_16wrapped_functionINS8_6system6detail7generic6detail18binary_search_lessEbEEEE10hipError_tPvRmT1_T2_T3_mmT4_T5_P12ihipStream_tbEUlRKxE_EEST_SX_SY_mSZ_S12_bEUlT_E_NS1_11comp_targetILNS1_3genE5ELNS1_11target_archE942ELNS1_3gpuE9ELNS1_3repE0EEENS1_30default_config_static_selectorELNS0_4arch9wavefront6targetE0EEEvSW_
		.amdhsa_group_segment_fixed_size 0
		.amdhsa_private_segment_fixed_size 0
		.amdhsa_kernarg_size 56
		.amdhsa_user_sgpr_count 6
		.amdhsa_user_sgpr_private_segment_buffer 1
		.amdhsa_user_sgpr_dispatch_ptr 0
		.amdhsa_user_sgpr_queue_ptr 0
		.amdhsa_user_sgpr_kernarg_segment_ptr 1
		.amdhsa_user_sgpr_dispatch_id 0
		.amdhsa_user_sgpr_flat_scratch_init 0
		.amdhsa_user_sgpr_private_segment_size 0
		.amdhsa_wavefront_size32 1
		.amdhsa_uses_dynamic_stack 0
		.amdhsa_system_sgpr_private_segment_wavefront_offset 0
		.amdhsa_system_sgpr_workgroup_id_x 1
		.amdhsa_system_sgpr_workgroup_id_y 0
		.amdhsa_system_sgpr_workgroup_id_z 0
		.amdhsa_system_sgpr_workgroup_info 0
		.amdhsa_system_vgpr_workitem_id 0
		.amdhsa_next_free_vgpr 1
		.amdhsa_next_free_sgpr 1
		.amdhsa_reserve_vcc 0
		.amdhsa_reserve_flat_scratch 0
		.amdhsa_float_round_mode_32 0
		.amdhsa_float_round_mode_16_64 0
		.amdhsa_float_denorm_mode_32 3
		.amdhsa_float_denorm_mode_16_64 3
		.amdhsa_dx10_clamp 1
		.amdhsa_ieee_mode 1
		.amdhsa_fp16_overflow 0
		.amdhsa_workgroup_processor_mode 1
		.amdhsa_memory_ordered 1
		.amdhsa_forward_progress 1
		.amdhsa_shared_vgpr_count 0
		.amdhsa_exception_fp_ieee_invalid_op 0
		.amdhsa_exception_fp_denorm_src 0
		.amdhsa_exception_fp_ieee_div_zero 0
		.amdhsa_exception_fp_ieee_overflow 0
		.amdhsa_exception_fp_ieee_underflow 0
		.amdhsa_exception_fp_ieee_inexact 0
		.amdhsa_exception_int_div_zero 0
	.end_amdhsa_kernel
	.section	.text._ZN7rocprim17ROCPRIM_400000_NS6detail17trampoline_kernelINS0_14default_configENS1_29binary_search_config_selectorIxiEEZNS1_14transform_implILb0ES3_S5_N6thrust23THRUST_200600_302600_NS6detail15normal_iteratorINS8_7pointerIxNS8_11hip_rocprim5par_tENS8_11use_defaultESE_EEEENSA_INSB_IiSD_SE_SE_EEEEZNS1_13binary_searchIS3_S5_PxSG_SI_NS1_16binary_search_opENS9_16wrapped_functionINS8_6system6detail7generic6detail18binary_search_lessEbEEEE10hipError_tPvRmT1_T2_T3_mmT4_T5_P12ihipStream_tbEUlRKxE_EEST_SX_SY_mSZ_S12_bEUlT_E_NS1_11comp_targetILNS1_3genE5ELNS1_11target_archE942ELNS1_3gpuE9ELNS1_3repE0EEENS1_30default_config_static_selectorELNS0_4arch9wavefront6targetE0EEEvSW_,"axG",@progbits,_ZN7rocprim17ROCPRIM_400000_NS6detail17trampoline_kernelINS0_14default_configENS1_29binary_search_config_selectorIxiEEZNS1_14transform_implILb0ES3_S5_N6thrust23THRUST_200600_302600_NS6detail15normal_iteratorINS8_7pointerIxNS8_11hip_rocprim5par_tENS8_11use_defaultESE_EEEENSA_INSB_IiSD_SE_SE_EEEEZNS1_13binary_searchIS3_S5_PxSG_SI_NS1_16binary_search_opENS9_16wrapped_functionINS8_6system6detail7generic6detail18binary_search_lessEbEEEE10hipError_tPvRmT1_T2_T3_mmT4_T5_P12ihipStream_tbEUlRKxE_EEST_SX_SY_mSZ_S12_bEUlT_E_NS1_11comp_targetILNS1_3genE5ELNS1_11target_archE942ELNS1_3gpuE9ELNS1_3repE0EEENS1_30default_config_static_selectorELNS0_4arch9wavefront6targetE0EEEvSW_,comdat
.Lfunc_end294:
	.size	_ZN7rocprim17ROCPRIM_400000_NS6detail17trampoline_kernelINS0_14default_configENS1_29binary_search_config_selectorIxiEEZNS1_14transform_implILb0ES3_S5_N6thrust23THRUST_200600_302600_NS6detail15normal_iteratorINS8_7pointerIxNS8_11hip_rocprim5par_tENS8_11use_defaultESE_EEEENSA_INSB_IiSD_SE_SE_EEEEZNS1_13binary_searchIS3_S5_PxSG_SI_NS1_16binary_search_opENS9_16wrapped_functionINS8_6system6detail7generic6detail18binary_search_lessEbEEEE10hipError_tPvRmT1_T2_T3_mmT4_T5_P12ihipStream_tbEUlRKxE_EEST_SX_SY_mSZ_S12_bEUlT_E_NS1_11comp_targetILNS1_3genE5ELNS1_11target_archE942ELNS1_3gpuE9ELNS1_3repE0EEENS1_30default_config_static_selectorELNS0_4arch9wavefront6targetE0EEEvSW_, .Lfunc_end294-_ZN7rocprim17ROCPRIM_400000_NS6detail17trampoline_kernelINS0_14default_configENS1_29binary_search_config_selectorIxiEEZNS1_14transform_implILb0ES3_S5_N6thrust23THRUST_200600_302600_NS6detail15normal_iteratorINS8_7pointerIxNS8_11hip_rocprim5par_tENS8_11use_defaultESE_EEEENSA_INSB_IiSD_SE_SE_EEEEZNS1_13binary_searchIS3_S5_PxSG_SI_NS1_16binary_search_opENS9_16wrapped_functionINS8_6system6detail7generic6detail18binary_search_lessEbEEEE10hipError_tPvRmT1_T2_T3_mmT4_T5_P12ihipStream_tbEUlRKxE_EEST_SX_SY_mSZ_S12_bEUlT_E_NS1_11comp_targetILNS1_3genE5ELNS1_11target_archE942ELNS1_3gpuE9ELNS1_3repE0EEENS1_30default_config_static_selectorELNS0_4arch9wavefront6targetE0EEEvSW_
                                        ; -- End function
	.set _ZN7rocprim17ROCPRIM_400000_NS6detail17trampoline_kernelINS0_14default_configENS1_29binary_search_config_selectorIxiEEZNS1_14transform_implILb0ES3_S5_N6thrust23THRUST_200600_302600_NS6detail15normal_iteratorINS8_7pointerIxNS8_11hip_rocprim5par_tENS8_11use_defaultESE_EEEENSA_INSB_IiSD_SE_SE_EEEEZNS1_13binary_searchIS3_S5_PxSG_SI_NS1_16binary_search_opENS9_16wrapped_functionINS8_6system6detail7generic6detail18binary_search_lessEbEEEE10hipError_tPvRmT1_T2_T3_mmT4_T5_P12ihipStream_tbEUlRKxE_EEST_SX_SY_mSZ_S12_bEUlT_E_NS1_11comp_targetILNS1_3genE5ELNS1_11target_archE942ELNS1_3gpuE9ELNS1_3repE0EEENS1_30default_config_static_selectorELNS0_4arch9wavefront6targetE0EEEvSW_.num_vgpr, 0
	.set _ZN7rocprim17ROCPRIM_400000_NS6detail17trampoline_kernelINS0_14default_configENS1_29binary_search_config_selectorIxiEEZNS1_14transform_implILb0ES3_S5_N6thrust23THRUST_200600_302600_NS6detail15normal_iteratorINS8_7pointerIxNS8_11hip_rocprim5par_tENS8_11use_defaultESE_EEEENSA_INSB_IiSD_SE_SE_EEEEZNS1_13binary_searchIS3_S5_PxSG_SI_NS1_16binary_search_opENS9_16wrapped_functionINS8_6system6detail7generic6detail18binary_search_lessEbEEEE10hipError_tPvRmT1_T2_T3_mmT4_T5_P12ihipStream_tbEUlRKxE_EEST_SX_SY_mSZ_S12_bEUlT_E_NS1_11comp_targetILNS1_3genE5ELNS1_11target_archE942ELNS1_3gpuE9ELNS1_3repE0EEENS1_30default_config_static_selectorELNS0_4arch9wavefront6targetE0EEEvSW_.num_agpr, 0
	.set _ZN7rocprim17ROCPRIM_400000_NS6detail17trampoline_kernelINS0_14default_configENS1_29binary_search_config_selectorIxiEEZNS1_14transform_implILb0ES3_S5_N6thrust23THRUST_200600_302600_NS6detail15normal_iteratorINS8_7pointerIxNS8_11hip_rocprim5par_tENS8_11use_defaultESE_EEEENSA_INSB_IiSD_SE_SE_EEEEZNS1_13binary_searchIS3_S5_PxSG_SI_NS1_16binary_search_opENS9_16wrapped_functionINS8_6system6detail7generic6detail18binary_search_lessEbEEEE10hipError_tPvRmT1_T2_T3_mmT4_T5_P12ihipStream_tbEUlRKxE_EEST_SX_SY_mSZ_S12_bEUlT_E_NS1_11comp_targetILNS1_3genE5ELNS1_11target_archE942ELNS1_3gpuE9ELNS1_3repE0EEENS1_30default_config_static_selectorELNS0_4arch9wavefront6targetE0EEEvSW_.numbered_sgpr, 0
	.set _ZN7rocprim17ROCPRIM_400000_NS6detail17trampoline_kernelINS0_14default_configENS1_29binary_search_config_selectorIxiEEZNS1_14transform_implILb0ES3_S5_N6thrust23THRUST_200600_302600_NS6detail15normal_iteratorINS8_7pointerIxNS8_11hip_rocprim5par_tENS8_11use_defaultESE_EEEENSA_INSB_IiSD_SE_SE_EEEEZNS1_13binary_searchIS3_S5_PxSG_SI_NS1_16binary_search_opENS9_16wrapped_functionINS8_6system6detail7generic6detail18binary_search_lessEbEEEE10hipError_tPvRmT1_T2_T3_mmT4_T5_P12ihipStream_tbEUlRKxE_EEST_SX_SY_mSZ_S12_bEUlT_E_NS1_11comp_targetILNS1_3genE5ELNS1_11target_archE942ELNS1_3gpuE9ELNS1_3repE0EEENS1_30default_config_static_selectorELNS0_4arch9wavefront6targetE0EEEvSW_.num_named_barrier, 0
	.set _ZN7rocprim17ROCPRIM_400000_NS6detail17trampoline_kernelINS0_14default_configENS1_29binary_search_config_selectorIxiEEZNS1_14transform_implILb0ES3_S5_N6thrust23THRUST_200600_302600_NS6detail15normal_iteratorINS8_7pointerIxNS8_11hip_rocprim5par_tENS8_11use_defaultESE_EEEENSA_INSB_IiSD_SE_SE_EEEEZNS1_13binary_searchIS3_S5_PxSG_SI_NS1_16binary_search_opENS9_16wrapped_functionINS8_6system6detail7generic6detail18binary_search_lessEbEEEE10hipError_tPvRmT1_T2_T3_mmT4_T5_P12ihipStream_tbEUlRKxE_EEST_SX_SY_mSZ_S12_bEUlT_E_NS1_11comp_targetILNS1_3genE5ELNS1_11target_archE942ELNS1_3gpuE9ELNS1_3repE0EEENS1_30default_config_static_selectorELNS0_4arch9wavefront6targetE0EEEvSW_.private_seg_size, 0
	.set _ZN7rocprim17ROCPRIM_400000_NS6detail17trampoline_kernelINS0_14default_configENS1_29binary_search_config_selectorIxiEEZNS1_14transform_implILb0ES3_S5_N6thrust23THRUST_200600_302600_NS6detail15normal_iteratorINS8_7pointerIxNS8_11hip_rocprim5par_tENS8_11use_defaultESE_EEEENSA_INSB_IiSD_SE_SE_EEEEZNS1_13binary_searchIS3_S5_PxSG_SI_NS1_16binary_search_opENS9_16wrapped_functionINS8_6system6detail7generic6detail18binary_search_lessEbEEEE10hipError_tPvRmT1_T2_T3_mmT4_T5_P12ihipStream_tbEUlRKxE_EEST_SX_SY_mSZ_S12_bEUlT_E_NS1_11comp_targetILNS1_3genE5ELNS1_11target_archE942ELNS1_3gpuE9ELNS1_3repE0EEENS1_30default_config_static_selectorELNS0_4arch9wavefront6targetE0EEEvSW_.uses_vcc, 0
	.set _ZN7rocprim17ROCPRIM_400000_NS6detail17trampoline_kernelINS0_14default_configENS1_29binary_search_config_selectorIxiEEZNS1_14transform_implILb0ES3_S5_N6thrust23THRUST_200600_302600_NS6detail15normal_iteratorINS8_7pointerIxNS8_11hip_rocprim5par_tENS8_11use_defaultESE_EEEENSA_INSB_IiSD_SE_SE_EEEEZNS1_13binary_searchIS3_S5_PxSG_SI_NS1_16binary_search_opENS9_16wrapped_functionINS8_6system6detail7generic6detail18binary_search_lessEbEEEE10hipError_tPvRmT1_T2_T3_mmT4_T5_P12ihipStream_tbEUlRKxE_EEST_SX_SY_mSZ_S12_bEUlT_E_NS1_11comp_targetILNS1_3genE5ELNS1_11target_archE942ELNS1_3gpuE9ELNS1_3repE0EEENS1_30default_config_static_selectorELNS0_4arch9wavefront6targetE0EEEvSW_.uses_flat_scratch, 0
	.set _ZN7rocprim17ROCPRIM_400000_NS6detail17trampoline_kernelINS0_14default_configENS1_29binary_search_config_selectorIxiEEZNS1_14transform_implILb0ES3_S5_N6thrust23THRUST_200600_302600_NS6detail15normal_iteratorINS8_7pointerIxNS8_11hip_rocprim5par_tENS8_11use_defaultESE_EEEENSA_INSB_IiSD_SE_SE_EEEEZNS1_13binary_searchIS3_S5_PxSG_SI_NS1_16binary_search_opENS9_16wrapped_functionINS8_6system6detail7generic6detail18binary_search_lessEbEEEE10hipError_tPvRmT1_T2_T3_mmT4_T5_P12ihipStream_tbEUlRKxE_EEST_SX_SY_mSZ_S12_bEUlT_E_NS1_11comp_targetILNS1_3genE5ELNS1_11target_archE942ELNS1_3gpuE9ELNS1_3repE0EEENS1_30default_config_static_selectorELNS0_4arch9wavefront6targetE0EEEvSW_.has_dyn_sized_stack, 0
	.set _ZN7rocprim17ROCPRIM_400000_NS6detail17trampoline_kernelINS0_14default_configENS1_29binary_search_config_selectorIxiEEZNS1_14transform_implILb0ES3_S5_N6thrust23THRUST_200600_302600_NS6detail15normal_iteratorINS8_7pointerIxNS8_11hip_rocprim5par_tENS8_11use_defaultESE_EEEENSA_INSB_IiSD_SE_SE_EEEEZNS1_13binary_searchIS3_S5_PxSG_SI_NS1_16binary_search_opENS9_16wrapped_functionINS8_6system6detail7generic6detail18binary_search_lessEbEEEE10hipError_tPvRmT1_T2_T3_mmT4_T5_P12ihipStream_tbEUlRKxE_EEST_SX_SY_mSZ_S12_bEUlT_E_NS1_11comp_targetILNS1_3genE5ELNS1_11target_archE942ELNS1_3gpuE9ELNS1_3repE0EEENS1_30default_config_static_selectorELNS0_4arch9wavefront6targetE0EEEvSW_.has_recursion, 0
	.set _ZN7rocprim17ROCPRIM_400000_NS6detail17trampoline_kernelINS0_14default_configENS1_29binary_search_config_selectorIxiEEZNS1_14transform_implILb0ES3_S5_N6thrust23THRUST_200600_302600_NS6detail15normal_iteratorINS8_7pointerIxNS8_11hip_rocprim5par_tENS8_11use_defaultESE_EEEENSA_INSB_IiSD_SE_SE_EEEEZNS1_13binary_searchIS3_S5_PxSG_SI_NS1_16binary_search_opENS9_16wrapped_functionINS8_6system6detail7generic6detail18binary_search_lessEbEEEE10hipError_tPvRmT1_T2_T3_mmT4_T5_P12ihipStream_tbEUlRKxE_EEST_SX_SY_mSZ_S12_bEUlT_E_NS1_11comp_targetILNS1_3genE5ELNS1_11target_archE942ELNS1_3gpuE9ELNS1_3repE0EEENS1_30default_config_static_selectorELNS0_4arch9wavefront6targetE0EEEvSW_.has_indirect_call, 0
	.section	.AMDGPU.csdata,"",@progbits
; Kernel info:
; codeLenInByte = 0
; TotalNumSgprs: 0
; NumVgprs: 0
; ScratchSize: 0
; MemoryBound: 0
; FloatMode: 240
; IeeeMode: 1
; LDSByteSize: 0 bytes/workgroup (compile time only)
; SGPRBlocks: 0
; VGPRBlocks: 0
; NumSGPRsForWavesPerEU: 1
; NumVGPRsForWavesPerEU: 1
; Occupancy: 16
; WaveLimiterHint : 0
; COMPUTE_PGM_RSRC2:SCRATCH_EN: 0
; COMPUTE_PGM_RSRC2:USER_SGPR: 6
; COMPUTE_PGM_RSRC2:TRAP_HANDLER: 0
; COMPUTE_PGM_RSRC2:TGID_X_EN: 1
; COMPUTE_PGM_RSRC2:TGID_Y_EN: 0
; COMPUTE_PGM_RSRC2:TGID_Z_EN: 0
; COMPUTE_PGM_RSRC2:TIDIG_COMP_CNT: 0
	.section	.text._ZN7rocprim17ROCPRIM_400000_NS6detail17trampoline_kernelINS0_14default_configENS1_29binary_search_config_selectorIxiEEZNS1_14transform_implILb0ES3_S5_N6thrust23THRUST_200600_302600_NS6detail15normal_iteratorINS8_7pointerIxNS8_11hip_rocprim5par_tENS8_11use_defaultESE_EEEENSA_INSB_IiSD_SE_SE_EEEEZNS1_13binary_searchIS3_S5_PxSG_SI_NS1_16binary_search_opENS9_16wrapped_functionINS8_6system6detail7generic6detail18binary_search_lessEbEEEE10hipError_tPvRmT1_T2_T3_mmT4_T5_P12ihipStream_tbEUlRKxE_EEST_SX_SY_mSZ_S12_bEUlT_E_NS1_11comp_targetILNS1_3genE4ELNS1_11target_archE910ELNS1_3gpuE8ELNS1_3repE0EEENS1_30default_config_static_selectorELNS0_4arch9wavefront6targetE0EEEvSW_,"axG",@progbits,_ZN7rocprim17ROCPRIM_400000_NS6detail17trampoline_kernelINS0_14default_configENS1_29binary_search_config_selectorIxiEEZNS1_14transform_implILb0ES3_S5_N6thrust23THRUST_200600_302600_NS6detail15normal_iteratorINS8_7pointerIxNS8_11hip_rocprim5par_tENS8_11use_defaultESE_EEEENSA_INSB_IiSD_SE_SE_EEEEZNS1_13binary_searchIS3_S5_PxSG_SI_NS1_16binary_search_opENS9_16wrapped_functionINS8_6system6detail7generic6detail18binary_search_lessEbEEEE10hipError_tPvRmT1_T2_T3_mmT4_T5_P12ihipStream_tbEUlRKxE_EEST_SX_SY_mSZ_S12_bEUlT_E_NS1_11comp_targetILNS1_3genE4ELNS1_11target_archE910ELNS1_3gpuE8ELNS1_3repE0EEENS1_30default_config_static_selectorELNS0_4arch9wavefront6targetE0EEEvSW_,comdat
	.protected	_ZN7rocprim17ROCPRIM_400000_NS6detail17trampoline_kernelINS0_14default_configENS1_29binary_search_config_selectorIxiEEZNS1_14transform_implILb0ES3_S5_N6thrust23THRUST_200600_302600_NS6detail15normal_iteratorINS8_7pointerIxNS8_11hip_rocprim5par_tENS8_11use_defaultESE_EEEENSA_INSB_IiSD_SE_SE_EEEEZNS1_13binary_searchIS3_S5_PxSG_SI_NS1_16binary_search_opENS9_16wrapped_functionINS8_6system6detail7generic6detail18binary_search_lessEbEEEE10hipError_tPvRmT1_T2_T3_mmT4_T5_P12ihipStream_tbEUlRKxE_EEST_SX_SY_mSZ_S12_bEUlT_E_NS1_11comp_targetILNS1_3genE4ELNS1_11target_archE910ELNS1_3gpuE8ELNS1_3repE0EEENS1_30default_config_static_selectorELNS0_4arch9wavefront6targetE0EEEvSW_ ; -- Begin function _ZN7rocprim17ROCPRIM_400000_NS6detail17trampoline_kernelINS0_14default_configENS1_29binary_search_config_selectorIxiEEZNS1_14transform_implILb0ES3_S5_N6thrust23THRUST_200600_302600_NS6detail15normal_iteratorINS8_7pointerIxNS8_11hip_rocprim5par_tENS8_11use_defaultESE_EEEENSA_INSB_IiSD_SE_SE_EEEEZNS1_13binary_searchIS3_S5_PxSG_SI_NS1_16binary_search_opENS9_16wrapped_functionINS8_6system6detail7generic6detail18binary_search_lessEbEEEE10hipError_tPvRmT1_T2_T3_mmT4_T5_P12ihipStream_tbEUlRKxE_EEST_SX_SY_mSZ_S12_bEUlT_E_NS1_11comp_targetILNS1_3genE4ELNS1_11target_archE910ELNS1_3gpuE8ELNS1_3repE0EEENS1_30default_config_static_selectorELNS0_4arch9wavefront6targetE0EEEvSW_
	.globl	_ZN7rocprim17ROCPRIM_400000_NS6detail17trampoline_kernelINS0_14default_configENS1_29binary_search_config_selectorIxiEEZNS1_14transform_implILb0ES3_S5_N6thrust23THRUST_200600_302600_NS6detail15normal_iteratorINS8_7pointerIxNS8_11hip_rocprim5par_tENS8_11use_defaultESE_EEEENSA_INSB_IiSD_SE_SE_EEEEZNS1_13binary_searchIS3_S5_PxSG_SI_NS1_16binary_search_opENS9_16wrapped_functionINS8_6system6detail7generic6detail18binary_search_lessEbEEEE10hipError_tPvRmT1_T2_T3_mmT4_T5_P12ihipStream_tbEUlRKxE_EEST_SX_SY_mSZ_S12_bEUlT_E_NS1_11comp_targetILNS1_3genE4ELNS1_11target_archE910ELNS1_3gpuE8ELNS1_3repE0EEENS1_30default_config_static_selectorELNS0_4arch9wavefront6targetE0EEEvSW_
	.p2align	8
	.type	_ZN7rocprim17ROCPRIM_400000_NS6detail17trampoline_kernelINS0_14default_configENS1_29binary_search_config_selectorIxiEEZNS1_14transform_implILb0ES3_S5_N6thrust23THRUST_200600_302600_NS6detail15normal_iteratorINS8_7pointerIxNS8_11hip_rocprim5par_tENS8_11use_defaultESE_EEEENSA_INSB_IiSD_SE_SE_EEEEZNS1_13binary_searchIS3_S5_PxSG_SI_NS1_16binary_search_opENS9_16wrapped_functionINS8_6system6detail7generic6detail18binary_search_lessEbEEEE10hipError_tPvRmT1_T2_T3_mmT4_T5_P12ihipStream_tbEUlRKxE_EEST_SX_SY_mSZ_S12_bEUlT_E_NS1_11comp_targetILNS1_3genE4ELNS1_11target_archE910ELNS1_3gpuE8ELNS1_3repE0EEENS1_30default_config_static_selectorELNS0_4arch9wavefront6targetE0EEEvSW_,@function
_ZN7rocprim17ROCPRIM_400000_NS6detail17trampoline_kernelINS0_14default_configENS1_29binary_search_config_selectorIxiEEZNS1_14transform_implILb0ES3_S5_N6thrust23THRUST_200600_302600_NS6detail15normal_iteratorINS8_7pointerIxNS8_11hip_rocprim5par_tENS8_11use_defaultESE_EEEENSA_INSB_IiSD_SE_SE_EEEEZNS1_13binary_searchIS3_S5_PxSG_SI_NS1_16binary_search_opENS9_16wrapped_functionINS8_6system6detail7generic6detail18binary_search_lessEbEEEE10hipError_tPvRmT1_T2_T3_mmT4_T5_P12ihipStream_tbEUlRKxE_EEST_SX_SY_mSZ_S12_bEUlT_E_NS1_11comp_targetILNS1_3genE4ELNS1_11target_archE910ELNS1_3gpuE8ELNS1_3repE0EEENS1_30default_config_static_selectorELNS0_4arch9wavefront6targetE0EEEvSW_: ; @_ZN7rocprim17ROCPRIM_400000_NS6detail17trampoline_kernelINS0_14default_configENS1_29binary_search_config_selectorIxiEEZNS1_14transform_implILb0ES3_S5_N6thrust23THRUST_200600_302600_NS6detail15normal_iteratorINS8_7pointerIxNS8_11hip_rocprim5par_tENS8_11use_defaultESE_EEEENSA_INSB_IiSD_SE_SE_EEEEZNS1_13binary_searchIS3_S5_PxSG_SI_NS1_16binary_search_opENS9_16wrapped_functionINS8_6system6detail7generic6detail18binary_search_lessEbEEEE10hipError_tPvRmT1_T2_T3_mmT4_T5_P12ihipStream_tbEUlRKxE_EEST_SX_SY_mSZ_S12_bEUlT_E_NS1_11comp_targetILNS1_3genE4ELNS1_11target_archE910ELNS1_3gpuE8ELNS1_3repE0EEENS1_30default_config_static_selectorELNS0_4arch9wavefront6targetE0EEEvSW_
; %bb.0:
	.section	.rodata,"a",@progbits
	.p2align	6, 0x0
	.amdhsa_kernel _ZN7rocprim17ROCPRIM_400000_NS6detail17trampoline_kernelINS0_14default_configENS1_29binary_search_config_selectorIxiEEZNS1_14transform_implILb0ES3_S5_N6thrust23THRUST_200600_302600_NS6detail15normal_iteratorINS8_7pointerIxNS8_11hip_rocprim5par_tENS8_11use_defaultESE_EEEENSA_INSB_IiSD_SE_SE_EEEEZNS1_13binary_searchIS3_S5_PxSG_SI_NS1_16binary_search_opENS9_16wrapped_functionINS8_6system6detail7generic6detail18binary_search_lessEbEEEE10hipError_tPvRmT1_T2_T3_mmT4_T5_P12ihipStream_tbEUlRKxE_EEST_SX_SY_mSZ_S12_bEUlT_E_NS1_11comp_targetILNS1_3genE4ELNS1_11target_archE910ELNS1_3gpuE8ELNS1_3repE0EEENS1_30default_config_static_selectorELNS0_4arch9wavefront6targetE0EEEvSW_
		.amdhsa_group_segment_fixed_size 0
		.amdhsa_private_segment_fixed_size 0
		.amdhsa_kernarg_size 56
		.amdhsa_user_sgpr_count 6
		.amdhsa_user_sgpr_private_segment_buffer 1
		.amdhsa_user_sgpr_dispatch_ptr 0
		.amdhsa_user_sgpr_queue_ptr 0
		.amdhsa_user_sgpr_kernarg_segment_ptr 1
		.amdhsa_user_sgpr_dispatch_id 0
		.amdhsa_user_sgpr_flat_scratch_init 0
		.amdhsa_user_sgpr_private_segment_size 0
		.amdhsa_wavefront_size32 1
		.amdhsa_uses_dynamic_stack 0
		.amdhsa_system_sgpr_private_segment_wavefront_offset 0
		.amdhsa_system_sgpr_workgroup_id_x 1
		.amdhsa_system_sgpr_workgroup_id_y 0
		.amdhsa_system_sgpr_workgroup_id_z 0
		.amdhsa_system_sgpr_workgroup_info 0
		.amdhsa_system_vgpr_workitem_id 0
		.amdhsa_next_free_vgpr 1
		.amdhsa_next_free_sgpr 1
		.amdhsa_reserve_vcc 0
		.amdhsa_reserve_flat_scratch 0
		.amdhsa_float_round_mode_32 0
		.amdhsa_float_round_mode_16_64 0
		.amdhsa_float_denorm_mode_32 3
		.amdhsa_float_denorm_mode_16_64 3
		.amdhsa_dx10_clamp 1
		.amdhsa_ieee_mode 1
		.amdhsa_fp16_overflow 0
		.amdhsa_workgroup_processor_mode 1
		.amdhsa_memory_ordered 1
		.amdhsa_forward_progress 1
		.amdhsa_shared_vgpr_count 0
		.amdhsa_exception_fp_ieee_invalid_op 0
		.amdhsa_exception_fp_denorm_src 0
		.amdhsa_exception_fp_ieee_div_zero 0
		.amdhsa_exception_fp_ieee_overflow 0
		.amdhsa_exception_fp_ieee_underflow 0
		.amdhsa_exception_fp_ieee_inexact 0
		.amdhsa_exception_int_div_zero 0
	.end_amdhsa_kernel
	.section	.text._ZN7rocprim17ROCPRIM_400000_NS6detail17trampoline_kernelINS0_14default_configENS1_29binary_search_config_selectorIxiEEZNS1_14transform_implILb0ES3_S5_N6thrust23THRUST_200600_302600_NS6detail15normal_iteratorINS8_7pointerIxNS8_11hip_rocprim5par_tENS8_11use_defaultESE_EEEENSA_INSB_IiSD_SE_SE_EEEEZNS1_13binary_searchIS3_S5_PxSG_SI_NS1_16binary_search_opENS9_16wrapped_functionINS8_6system6detail7generic6detail18binary_search_lessEbEEEE10hipError_tPvRmT1_T2_T3_mmT4_T5_P12ihipStream_tbEUlRKxE_EEST_SX_SY_mSZ_S12_bEUlT_E_NS1_11comp_targetILNS1_3genE4ELNS1_11target_archE910ELNS1_3gpuE8ELNS1_3repE0EEENS1_30default_config_static_selectorELNS0_4arch9wavefront6targetE0EEEvSW_,"axG",@progbits,_ZN7rocprim17ROCPRIM_400000_NS6detail17trampoline_kernelINS0_14default_configENS1_29binary_search_config_selectorIxiEEZNS1_14transform_implILb0ES3_S5_N6thrust23THRUST_200600_302600_NS6detail15normal_iteratorINS8_7pointerIxNS8_11hip_rocprim5par_tENS8_11use_defaultESE_EEEENSA_INSB_IiSD_SE_SE_EEEEZNS1_13binary_searchIS3_S5_PxSG_SI_NS1_16binary_search_opENS9_16wrapped_functionINS8_6system6detail7generic6detail18binary_search_lessEbEEEE10hipError_tPvRmT1_T2_T3_mmT4_T5_P12ihipStream_tbEUlRKxE_EEST_SX_SY_mSZ_S12_bEUlT_E_NS1_11comp_targetILNS1_3genE4ELNS1_11target_archE910ELNS1_3gpuE8ELNS1_3repE0EEENS1_30default_config_static_selectorELNS0_4arch9wavefront6targetE0EEEvSW_,comdat
.Lfunc_end295:
	.size	_ZN7rocprim17ROCPRIM_400000_NS6detail17trampoline_kernelINS0_14default_configENS1_29binary_search_config_selectorIxiEEZNS1_14transform_implILb0ES3_S5_N6thrust23THRUST_200600_302600_NS6detail15normal_iteratorINS8_7pointerIxNS8_11hip_rocprim5par_tENS8_11use_defaultESE_EEEENSA_INSB_IiSD_SE_SE_EEEEZNS1_13binary_searchIS3_S5_PxSG_SI_NS1_16binary_search_opENS9_16wrapped_functionINS8_6system6detail7generic6detail18binary_search_lessEbEEEE10hipError_tPvRmT1_T2_T3_mmT4_T5_P12ihipStream_tbEUlRKxE_EEST_SX_SY_mSZ_S12_bEUlT_E_NS1_11comp_targetILNS1_3genE4ELNS1_11target_archE910ELNS1_3gpuE8ELNS1_3repE0EEENS1_30default_config_static_selectorELNS0_4arch9wavefront6targetE0EEEvSW_, .Lfunc_end295-_ZN7rocprim17ROCPRIM_400000_NS6detail17trampoline_kernelINS0_14default_configENS1_29binary_search_config_selectorIxiEEZNS1_14transform_implILb0ES3_S5_N6thrust23THRUST_200600_302600_NS6detail15normal_iteratorINS8_7pointerIxNS8_11hip_rocprim5par_tENS8_11use_defaultESE_EEEENSA_INSB_IiSD_SE_SE_EEEEZNS1_13binary_searchIS3_S5_PxSG_SI_NS1_16binary_search_opENS9_16wrapped_functionINS8_6system6detail7generic6detail18binary_search_lessEbEEEE10hipError_tPvRmT1_T2_T3_mmT4_T5_P12ihipStream_tbEUlRKxE_EEST_SX_SY_mSZ_S12_bEUlT_E_NS1_11comp_targetILNS1_3genE4ELNS1_11target_archE910ELNS1_3gpuE8ELNS1_3repE0EEENS1_30default_config_static_selectorELNS0_4arch9wavefront6targetE0EEEvSW_
                                        ; -- End function
	.set _ZN7rocprim17ROCPRIM_400000_NS6detail17trampoline_kernelINS0_14default_configENS1_29binary_search_config_selectorIxiEEZNS1_14transform_implILb0ES3_S5_N6thrust23THRUST_200600_302600_NS6detail15normal_iteratorINS8_7pointerIxNS8_11hip_rocprim5par_tENS8_11use_defaultESE_EEEENSA_INSB_IiSD_SE_SE_EEEEZNS1_13binary_searchIS3_S5_PxSG_SI_NS1_16binary_search_opENS9_16wrapped_functionINS8_6system6detail7generic6detail18binary_search_lessEbEEEE10hipError_tPvRmT1_T2_T3_mmT4_T5_P12ihipStream_tbEUlRKxE_EEST_SX_SY_mSZ_S12_bEUlT_E_NS1_11comp_targetILNS1_3genE4ELNS1_11target_archE910ELNS1_3gpuE8ELNS1_3repE0EEENS1_30default_config_static_selectorELNS0_4arch9wavefront6targetE0EEEvSW_.num_vgpr, 0
	.set _ZN7rocprim17ROCPRIM_400000_NS6detail17trampoline_kernelINS0_14default_configENS1_29binary_search_config_selectorIxiEEZNS1_14transform_implILb0ES3_S5_N6thrust23THRUST_200600_302600_NS6detail15normal_iteratorINS8_7pointerIxNS8_11hip_rocprim5par_tENS8_11use_defaultESE_EEEENSA_INSB_IiSD_SE_SE_EEEEZNS1_13binary_searchIS3_S5_PxSG_SI_NS1_16binary_search_opENS9_16wrapped_functionINS8_6system6detail7generic6detail18binary_search_lessEbEEEE10hipError_tPvRmT1_T2_T3_mmT4_T5_P12ihipStream_tbEUlRKxE_EEST_SX_SY_mSZ_S12_bEUlT_E_NS1_11comp_targetILNS1_3genE4ELNS1_11target_archE910ELNS1_3gpuE8ELNS1_3repE0EEENS1_30default_config_static_selectorELNS0_4arch9wavefront6targetE0EEEvSW_.num_agpr, 0
	.set _ZN7rocprim17ROCPRIM_400000_NS6detail17trampoline_kernelINS0_14default_configENS1_29binary_search_config_selectorIxiEEZNS1_14transform_implILb0ES3_S5_N6thrust23THRUST_200600_302600_NS6detail15normal_iteratorINS8_7pointerIxNS8_11hip_rocprim5par_tENS8_11use_defaultESE_EEEENSA_INSB_IiSD_SE_SE_EEEEZNS1_13binary_searchIS3_S5_PxSG_SI_NS1_16binary_search_opENS9_16wrapped_functionINS8_6system6detail7generic6detail18binary_search_lessEbEEEE10hipError_tPvRmT1_T2_T3_mmT4_T5_P12ihipStream_tbEUlRKxE_EEST_SX_SY_mSZ_S12_bEUlT_E_NS1_11comp_targetILNS1_3genE4ELNS1_11target_archE910ELNS1_3gpuE8ELNS1_3repE0EEENS1_30default_config_static_selectorELNS0_4arch9wavefront6targetE0EEEvSW_.numbered_sgpr, 0
	.set _ZN7rocprim17ROCPRIM_400000_NS6detail17trampoline_kernelINS0_14default_configENS1_29binary_search_config_selectorIxiEEZNS1_14transform_implILb0ES3_S5_N6thrust23THRUST_200600_302600_NS6detail15normal_iteratorINS8_7pointerIxNS8_11hip_rocprim5par_tENS8_11use_defaultESE_EEEENSA_INSB_IiSD_SE_SE_EEEEZNS1_13binary_searchIS3_S5_PxSG_SI_NS1_16binary_search_opENS9_16wrapped_functionINS8_6system6detail7generic6detail18binary_search_lessEbEEEE10hipError_tPvRmT1_T2_T3_mmT4_T5_P12ihipStream_tbEUlRKxE_EEST_SX_SY_mSZ_S12_bEUlT_E_NS1_11comp_targetILNS1_3genE4ELNS1_11target_archE910ELNS1_3gpuE8ELNS1_3repE0EEENS1_30default_config_static_selectorELNS0_4arch9wavefront6targetE0EEEvSW_.num_named_barrier, 0
	.set _ZN7rocprim17ROCPRIM_400000_NS6detail17trampoline_kernelINS0_14default_configENS1_29binary_search_config_selectorIxiEEZNS1_14transform_implILb0ES3_S5_N6thrust23THRUST_200600_302600_NS6detail15normal_iteratorINS8_7pointerIxNS8_11hip_rocprim5par_tENS8_11use_defaultESE_EEEENSA_INSB_IiSD_SE_SE_EEEEZNS1_13binary_searchIS3_S5_PxSG_SI_NS1_16binary_search_opENS9_16wrapped_functionINS8_6system6detail7generic6detail18binary_search_lessEbEEEE10hipError_tPvRmT1_T2_T3_mmT4_T5_P12ihipStream_tbEUlRKxE_EEST_SX_SY_mSZ_S12_bEUlT_E_NS1_11comp_targetILNS1_3genE4ELNS1_11target_archE910ELNS1_3gpuE8ELNS1_3repE0EEENS1_30default_config_static_selectorELNS0_4arch9wavefront6targetE0EEEvSW_.private_seg_size, 0
	.set _ZN7rocprim17ROCPRIM_400000_NS6detail17trampoline_kernelINS0_14default_configENS1_29binary_search_config_selectorIxiEEZNS1_14transform_implILb0ES3_S5_N6thrust23THRUST_200600_302600_NS6detail15normal_iteratorINS8_7pointerIxNS8_11hip_rocprim5par_tENS8_11use_defaultESE_EEEENSA_INSB_IiSD_SE_SE_EEEEZNS1_13binary_searchIS3_S5_PxSG_SI_NS1_16binary_search_opENS9_16wrapped_functionINS8_6system6detail7generic6detail18binary_search_lessEbEEEE10hipError_tPvRmT1_T2_T3_mmT4_T5_P12ihipStream_tbEUlRKxE_EEST_SX_SY_mSZ_S12_bEUlT_E_NS1_11comp_targetILNS1_3genE4ELNS1_11target_archE910ELNS1_3gpuE8ELNS1_3repE0EEENS1_30default_config_static_selectorELNS0_4arch9wavefront6targetE0EEEvSW_.uses_vcc, 0
	.set _ZN7rocprim17ROCPRIM_400000_NS6detail17trampoline_kernelINS0_14default_configENS1_29binary_search_config_selectorIxiEEZNS1_14transform_implILb0ES3_S5_N6thrust23THRUST_200600_302600_NS6detail15normal_iteratorINS8_7pointerIxNS8_11hip_rocprim5par_tENS8_11use_defaultESE_EEEENSA_INSB_IiSD_SE_SE_EEEEZNS1_13binary_searchIS3_S5_PxSG_SI_NS1_16binary_search_opENS9_16wrapped_functionINS8_6system6detail7generic6detail18binary_search_lessEbEEEE10hipError_tPvRmT1_T2_T3_mmT4_T5_P12ihipStream_tbEUlRKxE_EEST_SX_SY_mSZ_S12_bEUlT_E_NS1_11comp_targetILNS1_3genE4ELNS1_11target_archE910ELNS1_3gpuE8ELNS1_3repE0EEENS1_30default_config_static_selectorELNS0_4arch9wavefront6targetE0EEEvSW_.uses_flat_scratch, 0
	.set _ZN7rocprim17ROCPRIM_400000_NS6detail17trampoline_kernelINS0_14default_configENS1_29binary_search_config_selectorIxiEEZNS1_14transform_implILb0ES3_S5_N6thrust23THRUST_200600_302600_NS6detail15normal_iteratorINS8_7pointerIxNS8_11hip_rocprim5par_tENS8_11use_defaultESE_EEEENSA_INSB_IiSD_SE_SE_EEEEZNS1_13binary_searchIS3_S5_PxSG_SI_NS1_16binary_search_opENS9_16wrapped_functionINS8_6system6detail7generic6detail18binary_search_lessEbEEEE10hipError_tPvRmT1_T2_T3_mmT4_T5_P12ihipStream_tbEUlRKxE_EEST_SX_SY_mSZ_S12_bEUlT_E_NS1_11comp_targetILNS1_3genE4ELNS1_11target_archE910ELNS1_3gpuE8ELNS1_3repE0EEENS1_30default_config_static_selectorELNS0_4arch9wavefront6targetE0EEEvSW_.has_dyn_sized_stack, 0
	.set _ZN7rocprim17ROCPRIM_400000_NS6detail17trampoline_kernelINS0_14default_configENS1_29binary_search_config_selectorIxiEEZNS1_14transform_implILb0ES3_S5_N6thrust23THRUST_200600_302600_NS6detail15normal_iteratorINS8_7pointerIxNS8_11hip_rocprim5par_tENS8_11use_defaultESE_EEEENSA_INSB_IiSD_SE_SE_EEEEZNS1_13binary_searchIS3_S5_PxSG_SI_NS1_16binary_search_opENS9_16wrapped_functionINS8_6system6detail7generic6detail18binary_search_lessEbEEEE10hipError_tPvRmT1_T2_T3_mmT4_T5_P12ihipStream_tbEUlRKxE_EEST_SX_SY_mSZ_S12_bEUlT_E_NS1_11comp_targetILNS1_3genE4ELNS1_11target_archE910ELNS1_3gpuE8ELNS1_3repE0EEENS1_30default_config_static_selectorELNS0_4arch9wavefront6targetE0EEEvSW_.has_recursion, 0
	.set _ZN7rocprim17ROCPRIM_400000_NS6detail17trampoline_kernelINS0_14default_configENS1_29binary_search_config_selectorIxiEEZNS1_14transform_implILb0ES3_S5_N6thrust23THRUST_200600_302600_NS6detail15normal_iteratorINS8_7pointerIxNS8_11hip_rocprim5par_tENS8_11use_defaultESE_EEEENSA_INSB_IiSD_SE_SE_EEEEZNS1_13binary_searchIS3_S5_PxSG_SI_NS1_16binary_search_opENS9_16wrapped_functionINS8_6system6detail7generic6detail18binary_search_lessEbEEEE10hipError_tPvRmT1_T2_T3_mmT4_T5_P12ihipStream_tbEUlRKxE_EEST_SX_SY_mSZ_S12_bEUlT_E_NS1_11comp_targetILNS1_3genE4ELNS1_11target_archE910ELNS1_3gpuE8ELNS1_3repE0EEENS1_30default_config_static_selectorELNS0_4arch9wavefront6targetE0EEEvSW_.has_indirect_call, 0
	.section	.AMDGPU.csdata,"",@progbits
; Kernel info:
; codeLenInByte = 0
; TotalNumSgprs: 0
; NumVgprs: 0
; ScratchSize: 0
; MemoryBound: 0
; FloatMode: 240
; IeeeMode: 1
; LDSByteSize: 0 bytes/workgroup (compile time only)
; SGPRBlocks: 0
; VGPRBlocks: 0
; NumSGPRsForWavesPerEU: 1
; NumVGPRsForWavesPerEU: 1
; Occupancy: 16
; WaveLimiterHint : 0
; COMPUTE_PGM_RSRC2:SCRATCH_EN: 0
; COMPUTE_PGM_RSRC2:USER_SGPR: 6
; COMPUTE_PGM_RSRC2:TRAP_HANDLER: 0
; COMPUTE_PGM_RSRC2:TGID_X_EN: 1
; COMPUTE_PGM_RSRC2:TGID_Y_EN: 0
; COMPUTE_PGM_RSRC2:TGID_Z_EN: 0
; COMPUTE_PGM_RSRC2:TIDIG_COMP_CNT: 0
	.section	.text._ZN7rocprim17ROCPRIM_400000_NS6detail17trampoline_kernelINS0_14default_configENS1_29binary_search_config_selectorIxiEEZNS1_14transform_implILb0ES3_S5_N6thrust23THRUST_200600_302600_NS6detail15normal_iteratorINS8_7pointerIxNS8_11hip_rocprim5par_tENS8_11use_defaultESE_EEEENSA_INSB_IiSD_SE_SE_EEEEZNS1_13binary_searchIS3_S5_PxSG_SI_NS1_16binary_search_opENS9_16wrapped_functionINS8_6system6detail7generic6detail18binary_search_lessEbEEEE10hipError_tPvRmT1_T2_T3_mmT4_T5_P12ihipStream_tbEUlRKxE_EEST_SX_SY_mSZ_S12_bEUlT_E_NS1_11comp_targetILNS1_3genE3ELNS1_11target_archE908ELNS1_3gpuE7ELNS1_3repE0EEENS1_30default_config_static_selectorELNS0_4arch9wavefront6targetE0EEEvSW_,"axG",@progbits,_ZN7rocprim17ROCPRIM_400000_NS6detail17trampoline_kernelINS0_14default_configENS1_29binary_search_config_selectorIxiEEZNS1_14transform_implILb0ES3_S5_N6thrust23THRUST_200600_302600_NS6detail15normal_iteratorINS8_7pointerIxNS8_11hip_rocprim5par_tENS8_11use_defaultESE_EEEENSA_INSB_IiSD_SE_SE_EEEEZNS1_13binary_searchIS3_S5_PxSG_SI_NS1_16binary_search_opENS9_16wrapped_functionINS8_6system6detail7generic6detail18binary_search_lessEbEEEE10hipError_tPvRmT1_T2_T3_mmT4_T5_P12ihipStream_tbEUlRKxE_EEST_SX_SY_mSZ_S12_bEUlT_E_NS1_11comp_targetILNS1_3genE3ELNS1_11target_archE908ELNS1_3gpuE7ELNS1_3repE0EEENS1_30default_config_static_selectorELNS0_4arch9wavefront6targetE0EEEvSW_,comdat
	.protected	_ZN7rocprim17ROCPRIM_400000_NS6detail17trampoline_kernelINS0_14default_configENS1_29binary_search_config_selectorIxiEEZNS1_14transform_implILb0ES3_S5_N6thrust23THRUST_200600_302600_NS6detail15normal_iteratorINS8_7pointerIxNS8_11hip_rocprim5par_tENS8_11use_defaultESE_EEEENSA_INSB_IiSD_SE_SE_EEEEZNS1_13binary_searchIS3_S5_PxSG_SI_NS1_16binary_search_opENS9_16wrapped_functionINS8_6system6detail7generic6detail18binary_search_lessEbEEEE10hipError_tPvRmT1_T2_T3_mmT4_T5_P12ihipStream_tbEUlRKxE_EEST_SX_SY_mSZ_S12_bEUlT_E_NS1_11comp_targetILNS1_3genE3ELNS1_11target_archE908ELNS1_3gpuE7ELNS1_3repE0EEENS1_30default_config_static_selectorELNS0_4arch9wavefront6targetE0EEEvSW_ ; -- Begin function _ZN7rocprim17ROCPRIM_400000_NS6detail17trampoline_kernelINS0_14default_configENS1_29binary_search_config_selectorIxiEEZNS1_14transform_implILb0ES3_S5_N6thrust23THRUST_200600_302600_NS6detail15normal_iteratorINS8_7pointerIxNS8_11hip_rocprim5par_tENS8_11use_defaultESE_EEEENSA_INSB_IiSD_SE_SE_EEEEZNS1_13binary_searchIS3_S5_PxSG_SI_NS1_16binary_search_opENS9_16wrapped_functionINS8_6system6detail7generic6detail18binary_search_lessEbEEEE10hipError_tPvRmT1_T2_T3_mmT4_T5_P12ihipStream_tbEUlRKxE_EEST_SX_SY_mSZ_S12_bEUlT_E_NS1_11comp_targetILNS1_3genE3ELNS1_11target_archE908ELNS1_3gpuE7ELNS1_3repE0EEENS1_30default_config_static_selectorELNS0_4arch9wavefront6targetE0EEEvSW_
	.globl	_ZN7rocprim17ROCPRIM_400000_NS6detail17trampoline_kernelINS0_14default_configENS1_29binary_search_config_selectorIxiEEZNS1_14transform_implILb0ES3_S5_N6thrust23THRUST_200600_302600_NS6detail15normal_iteratorINS8_7pointerIxNS8_11hip_rocprim5par_tENS8_11use_defaultESE_EEEENSA_INSB_IiSD_SE_SE_EEEEZNS1_13binary_searchIS3_S5_PxSG_SI_NS1_16binary_search_opENS9_16wrapped_functionINS8_6system6detail7generic6detail18binary_search_lessEbEEEE10hipError_tPvRmT1_T2_T3_mmT4_T5_P12ihipStream_tbEUlRKxE_EEST_SX_SY_mSZ_S12_bEUlT_E_NS1_11comp_targetILNS1_3genE3ELNS1_11target_archE908ELNS1_3gpuE7ELNS1_3repE0EEENS1_30default_config_static_selectorELNS0_4arch9wavefront6targetE0EEEvSW_
	.p2align	8
	.type	_ZN7rocprim17ROCPRIM_400000_NS6detail17trampoline_kernelINS0_14default_configENS1_29binary_search_config_selectorIxiEEZNS1_14transform_implILb0ES3_S5_N6thrust23THRUST_200600_302600_NS6detail15normal_iteratorINS8_7pointerIxNS8_11hip_rocprim5par_tENS8_11use_defaultESE_EEEENSA_INSB_IiSD_SE_SE_EEEEZNS1_13binary_searchIS3_S5_PxSG_SI_NS1_16binary_search_opENS9_16wrapped_functionINS8_6system6detail7generic6detail18binary_search_lessEbEEEE10hipError_tPvRmT1_T2_T3_mmT4_T5_P12ihipStream_tbEUlRKxE_EEST_SX_SY_mSZ_S12_bEUlT_E_NS1_11comp_targetILNS1_3genE3ELNS1_11target_archE908ELNS1_3gpuE7ELNS1_3repE0EEENS1_30default_config_static_selectorELNS0_4arch9wavefront6targetE0EEEvSW_,@function
_ZN7rocprim17ROCPRIM_400000_NS6detail17trampoline_kernelINS0_14default_configENS1_29binary_search_config_selectorIxiEEZNS1_14transform_implILb0ES3_S5_N6thrust23THRUST_200600_302600_NS6detail15normal_iteratorINS8_7pointerIxNS8_11hip_rocprim5par_tENS8_11use_defaultESE_EEEENSA_INSB_IiSD_SE_SE_EEEEZNS1_13binary_searchIS3_S5_PxSG_SI_NS1_16binary_search_opENS9_16wrapped_functionINS8_6system6detail7generic6detail18binary_search_lessEbEEEE10hipError_tPvRmT1_T2_T3_mmT4_T5_P12ihipStream_tbEUlRKxE_EEST_SX_SY_mSZ_S12_bEUlT_E_NS1_11comp_targetILNS1_3genE3ELNS1_11target_archE908ELNS1_3gpuE7ELNS1_3repE0EEENS1_30default_config_static_selectorELNS0_4arch9wavefront6targetE0EEEvSW_: ; @_ZN7rocprim17ROCPRIM_400000_NS6detail17trampoline_kernelINS0_14default_configENS1_29binary_search_config_selectorIxiEEZNS1_14transform_implILb0ES3_S5_N6thrust23THRUST_200600_302600_NS6detail15normal_iteratorINS8_7pointerIxNS8_11hip_rocprim5par_tENS8_11use_defaultESE_EEEENSA_INSB_IiSD_SE_SE_EEEEZNS1_13binary_searchIS3_S5_PxSG_SI_NS1_16binary_search_opENS9_16wrapped_functionINS8_6system6detail7generic6detail18binary_search_lessEbEEEE10hipError_tPvRmT1_T2_T3_mmT4_T5_P12ihipStream_tbEUlRKxE_EEST_SX_SY_mSZ_S12_bEUlT_E_NS1_11comp_targetILNS1_3genE3ELNS1_11target_archE908ELNS1_3gpuE7ELNS1_3repE0EEENS1_30default_config_static_selectorELNS0_4arch9wavefront6targetE0EEEvSW_
; %bb.0:
	.section	.rodata,"a",@progbits
	.p2align	6, 0x0
	.amdhsa_kernel _ZN7rocprim17ROCPRIM_400000_NS6detail17trampoline_kernelINS0_14default_configENS1_29binary_search_config_selectorIxiEEZNS1_14transform_implILb0ES3_S5_N6thrust23THRUST_200600_302600_NS6detail15normal_iteratorINS8_7pointerIxNS8_11hip_rocprim5par_tENS8_11use_defaultESE_EEEENSA_INSB_IiSD_SE_SE_EEEEZNS1_13binary_searchIS3_S5_PxSG_SI_NS1_16binary_search_opENS9_16wrapped_functionINS8_6system6detail7generic6detail18binary_search_lessEbEEEE10hipError_tPvRmT1_T2_T3_mmT4_T5_P12ihipStream_tbEUlRKxE_EEST_SX_SY_mSZ_S12_bEUlT_E_NS1_11comp_targetILNS1_3genE3ELNS1_11target_archE908ELNS1_3gpuE7ELNS1_3repE0EEENS1_30default_config_static_selectorELNS0_4arch9wavefront6targetE0EEEvSW_
		.amdhsa_group_segment_fixed_size 0
		.amdhsa_private_segment_fixed_size 0
		.amdhsa_kernarg_size 56
		.amdhsa_user_sgpr_count 6
		.amdhsa_user_sgpr_private_segment_buffer 1
		.amdhsa_user_sgpr_dispatch_ptr 0
		.amdhsa_user_sgpr_queue_ptr 0
		.amdhsa_user_sgpr_kernarg_segment_ptr 1
		.amdhsa_user_sgpr_dispatch_id 0
		.amdhsa_user_sgpr_flat_scratch_init 0
		.amdhsa_user_sgpr_private_segment_size 0
		.amdhsa_wavefront_size32 1
		.amdhsa_uses_dynamic_stack 0
		.amdhsa_system_sgpr_private_segment_wavefront_offset 0
		.amdhsa_system_sgpr_workgroup_id_x 1
		.amdhsa_system_sgpr_workgroup_id_y 0
		.amdhsa_system_sgpr_workgroup_id_z 0
		.amdhsa_system_sgpr_workgroup_info 0
		.amdhsa_system_vgpr_workitem_id 0
		.amdhsa_next_free_vgpr 1
		.amdhsa_next_free_sgpr 1
		.amdhsa_reserve_vcc 0
		.amdhsa_reserve_flat_scratch 0
		.amdhsa_float_round_mode_32 0
		.amdhsa_float_round_mode_16_64 0
		.amdhsa_float_denorm_mode_32 3
		.amdhsa_float_denorm_mode_16_64 3
		.amdhsa_dx10_clamp 1
		.amdhsa_ieee_mode 1
		.amdhsa_fp16_overflow 0
		.amdhsa_workgroup_processor_mode 1
		.amdhsa_memory_ordered 1
		.amdhsa_forward_progress 1
		.amdhsa_shared_vgpr_count 0
		.amdhsa_exception_fp_ieee_invalid_op 0
		.amdhsa_exception_fp_denorm_src 0
		.amdhsa_exception_fp_ieee_div_zero 0
		.amdhsa_exception_fp_ieee_overflow 0
		.amdhsa_exception_fp_ieee_underflow 0
		.amdhsa_exception_fp_ieee_inexact 0
		.amdhsa_exception_int_div_zero 0
	.end_amdhsa_kernel
	.section	.text._ZN7rocprim17ROCPRIM_400000_NS6detail17trampoline_kernelINS0_14default_configENS1_29binary_search_config_selectorIxiEEZNS1_14transform_implILb0ES3_S5_N6thrust23THRUST_200600_302600_NS6detail15normal_iteratorINS8_7pointerIxNS8_11hip_rocprim5par_tENS8_11use_defaultESE_EEEENSA_INSB_IiSD_SE_SE_EEEEZNS1_13binary_searchIS3_S5_PxSG_SI_NS1_16binary_search_opENS9_16wrapped_functionINS8_6system6detail7generic6detail18binary_search_lessEbEEEE10hipError_tPvRmT1_T2_T3_mmT4_T5_P12ihipStream_tbEUlRKxE_EEST_SX_SY_mSZ_S12_bEUlT_E_NS1_11comp_targetILNS1_3genE3ELNS1_11target_archE908ELNS1_3gpuE7ELNS1_3repE0EEENS1_30default_config_static_selectorELNS0_4arch9wavefront6targetE0EEEvSW_,"axG",@progbits,_ZN7rocprim17ROCPRIM_400000_NS6detail17trampoline_kernelINS0_14default_configENS1_29binary_search_config_selectorIxiEEZNS1_14transform_implILb0ES3_S5_N6thrust23THRUST_200600_302600_NS6detail15normal_iteratorINS8_7pointerIxNS8_11hip_rocprim5par_tENS8_11use_defaultESE_EEEENSA_INSB_IiSD_SE_SE_EEEEZNS1_13binary_searchIS3_S5_PxSG_SI_NS1_16binary_search_opENS9_16wrapped_functionINS8_6system6detail7generic6detail18binary_search_lessEbEEEE10hipError_tPvRmT1_T2_T3_mmT4_T5_P12ihipStream_tbEUlRKxE_EEST_SX_SY_mSZ_S12_bEUlT_E_NS1_11comp_targetILNS1_3genE3ELNS1_11target_archE908ELNS1_3gpuE7ELNS1_3repE0EEENS1_30default_config_static_selectorELNS0_4arch9wavefront6targetE0EEEvSW_,comdat
.Lfunc_end296:
	.size	_ZN7rocprim17ROCPRIM_400000_NS6detail17trampoline_kernelINS0_14default_configENS1_29binary_search_config_selectorIxiEEZNS1_14transform_implILb0ES3_S5_N6thrust23THRUST_200600_302600_NS6detail15normal_iteratorINS8_7pointerIxNS8_11hip_rocprim5par_tENS8_11use_defaultESE_EEEENSA_INSB_IiSD_SE_SE_EEEEZNS1_13binary_searchIS3_S5_PxSG_SI_NS1_16binary_search_opENS9_16wrapped_functionINS8_6system6detail7generic6detail18binary_search_lessEbEEEE10hipError_tPvRmT1_T2_T3_mmT4_T5_P12ihipStream_tbEUlRKxE_EEST_SX_SY_mSZ_S12_bEUlT_E_NS1_11comp_targetILNS1_3genE3ELNS1_11target_archE908ELNS1_3gpuE7ELNS1_3repE0EEENS1_30default_config_static_selectorELNS0_4arch9wavefront6targetE0EEEvSW_, .Lfunc_end296-_ZN7rocprim17ROCPRIM_400000_NS6detail17trampoline_kernelINS0_14default_configENS1_29binary_search_config_selectorIxiEEZNS1_14transform_implILb0ES3_S5_N6thrust23THRUST_200600_302600_NS6detail15normal_iteratorINS8_7pointerIxNS8_11hip_rocprim5par_tENS8_11use_defaultESE_EEEENSA_INSB_IiSD_SE_SE_EEEEZNS1_13binary_searchIS3_S5_PxSG_SI_NS1_16binary_search_opENS9_16wrapped_functionINS8_6system6detail7generic6detail18binary_search_lessEbEEEE10hipError_tPvRmT1_T2_T3_mmT4_T5_P12ihipStream_tbEUlRKxE_EEST_SX_SY_mSZ_S12_bEUlT_E_NS1_11comp_targetILNS1_3genE3ELNS1_11target_archE908ELNS1_3gpuE7ELNS1_3repE0EEENS1_30default_config_static_selectorELNS0_4arch9wavefront6targetE0EEEvSW_
                                        ; -- End function
	.set _ZN7rocprim17ROCPRIM_400000_NS6detail17trampoline_kernelINS0_14default_configENS1_29binary_search_config_selectorIxiEEZNS1_14transform_implILb0ES3_S5_N6thrust23THRUST_200600_302600_NS6detail15normal_iteratorINS8_7pointerIxNS8_11hip_rocprim5par_tENS8_11use_defaultESE_EEEENSA_INSB_IiSD_SE_SE_EEEEZNS1_13binary_searchIS3_S5_PxSG_SI_NS1_16binary_search_opENS9_16wrapped_functionINS8_6system6detail7generic6detail18binary_search_lessEbEEEE10hipError_tPvRmT1_T2_T3_mmT4_T5_P12ihipStream_tbEUlRKxE_EEST_SX_SY_mSZ_S12_bEUlT_E_NS1_11comp_targetILNS1_3genE3ELNS1_11target_archE908ELNS1_3gpuE7ELNS1_3repE0EEENS1_30default_config_static_selectorELNS0_4arch9wavefront6targetE0EEEvSW_.num_vgpr, 0
	.set _ZN7rocprim17ROCPRIM_400000_NS6detail17trampoline_kernelINS0_14default_configENS1_29binary_search_config_selectorIxiEEZNS1_14transform_implILb0ES3_S5_N6thrust23THRUST_200600_302600_NS6detail15normal_iteratorINS8_7pointerIxNS8_11hip_rocprim5par_tENS8_11use_defaultESE_EEEENSA_INSB_IiSD_SE_SE_EEEEZNS1_13binary_searchIS3_S5_PxSG_SI_NS1_16binary_search_opENS9_16wrapped_functionINS8_6system6detail7generic6detail18binary_search_lessEbEEEE10hipError_tPvRmT1_T2_T3_mmT4_T5_P12ihipStream_tbEUlRKxE_EEST_SX_SY_mSZ_S12_bEUlT_E_NS1_11comp_targetILNS1_3genE3ELNS1_11target_archE908ELNS1_3gpuE7ELNS1_3repE0EEENS1_30default_config_static_selectorELNS0_4arch9wavefront6targetE0EEEvSW_.num_agpr, 0
	.set _ZN7rocprim17ROCPRIM_400000_NS6detail17trampoline_kernelINS0_14default_configENS1_29binary_search_config_selectorIxiEEZNS1_14transform_implILb0ES3_S5_N6thrust23THRUST_200600_302600_NS6detail15normal_iteratorINS8_7pointerIxNS8_11hip_rocprim5par_tENS8_11use_defaultESE_EEEENSA_INSB_IiSD_SE_SE_EEEEZNS1_13binary_searchIS3_S5_PxSG_SI_NS1_16binary_search_opENS9_16wrapped_functionINS8_6system6detail7generic6detail18binary_search_lessEbEEEE10hipError_tPvRmT1_T2_T3_mmT4_T5_P12ihipStream_tbEUlRKxE_EEST_SX_SY_mSZ_S12_bEUlT_E_NS1_11comp_targetILNS1_3genE3ELNS1_11target_archE908ELNS1_3gpuE7ELNS1_3repE0EEENS1_30default_config_static_selectorELNS0_4arch9wavefront6targetE0EEEvSW_.numbered_sgpr, 0
	.set _ZN7rocprim17ROCPRIM_400000_NS6detail17trampoline_kernelINS0_14default_configENS1_29binary_search_config_selectorIxiEEZNS1_14transform_implILb0ES3_S5_N6thrust23THRUST_200600_302600_NS6detail15normal_iteratorINS8_7pointerIxNS8_11hip_rocprim5par_tENS8_11use_defaultESE_EEEENSA_INSB_IiSD_SE_SE_EEEEZNS1_13binary_searchIS3_S5_PxSG_SI_NS1_16binary_search_opENS9_16wrapped_functionINS8_6system6detail7generic6detail18binary_search_lessEbEEEE10hipError_tPvRmT1_T2_T3_mmT4_T5_P12ihipStream_tbEUlRKxE_EEST_SX_SY_mSZ_S12_bEUlT_E_NS1_11comp_targetILNS1_3genE3ELNS1_11target_archE908ELNS1_3gpuE7ELNS1_3repE0EEENS1_30default_config_static_selectorELNS0_4arch9wavefront6targetE0EEEvSW_.num_named_barrier, 0
	.set _ZN7rocprim17ROCPRIM_400000_NS6detail17trampoline_kernelINS0_14default_configENS1_29binary_search_config_selectorIxiEEZNS1_14transform_implILb0ES3_S5_N6thrust23THRUST_200600_302600_NS6detail15normal_iteratorINS8_7pointerIxNS8_11hip_rocprim5par_tENS8_11use_defaultESE_EEEENSA_INSB_IiSD_SE_SE_EEEEZNS1_13binary_searchIS3_S5_PxSG_SI_NS1_16binary_search_opENS9_16wrapped_functionINS8_6system6detail7generic6detail18binary_search_lessEbEEEE10hipError_tPvRmT1_T2_T3_mmT4_T5_P12ihipStream_tbEUlRKxE_EEST_SX_SY_mSZ_S12_bEUlT_E_NS1_11comp_targetILNS1_3genE3ELNS1_11target_archE908ELNS1_3gpuE7ELNS1_3repE0EEENS1_30default_config_static_selectorELNS0_4arch9wavefront6targetE0EEEvSW_.private_seg_size, 0
	.set _ZN7rocprim17ROCPRIM_400000_NS6detail17trampoline_kernelINS0_14default_configENS1_29binary_search_config_selectorIxiEEZNS1_14transform_implILb0ES3_S5_N6thrust23THRUST_200600_302600_NS6detail15normal_iteratorINS8_7pointerIxNS8_11hip_rocprim5par_tENS8_11use_defaultESE_EEEENSA_INSB_IiSD_SE_SE_EEEEZNS1_13binary_searchIS3_S5_PxSG_SI_NS1_16binary_search_opENS9_16wrapped_functionINS8_6system6detail7generic6detail18binary_search_lessEbEEEE10hipError_tPvRmT1_T2_T3_mmT4_T5_P12ihipStream_tbEUlRKxE_EEST_SX_SY_mSZ_S12_bEUlT_E_NS1_11comp_targetILNS1_3genE3ELNS1_11target_archE908ELNS1_3gpuE7ELNS1_3repE0EEENS1_30default_config_static_selectorELNS0_4arch9wavefront6targetE0EEEvSW_.uses_vcc, 0
	.set _ZN7rocprim17ROCPRIM_400000_NS6detail17trampoline_kernelINS0_14default_configENS1_29binary_search_config_selectorIxiEEZNS1_14transform_implILb0ES3_S5_N6thrust23THRUST_200600_302600_NS6detail15normal_iteratorINS8_7pointerIxNS8_11hip_rocprim5par_tENS8_11use_defaultESE_EEEENSA_INSB_IiSD_SE_SE_EEEEZNS1_13binary_searchIS3_S5_PxSG_SI_NS1_16binary_search_opENS9_16wrapped_functionINS8_6system6detail7generic6detail18binary_search_lessEbEEEE10hipError_tPvRmT1_T2_T3_mmT4_T5_P12ihipStream_tbEUlRKxE_EEST_SX_SY_mSZ_S12_bEUlT_E_NS1_11comp_targetILNS1_3genE3ELNS1_11target_archE908ELNS1_3gpuE7ELNS1_3repE0EEENS1_30default_config_static_selectorELNS0_4arch9wavefront6targetE0EEEvSW_.uses_flat_scratch, 0
	.set _ZN7rocprim17ROCPRIM_400000_NS6detail17trampoline_kernelINS0_14default_configENS1_29binary_search_config_selectorIxiEEZNS1_14transform_implILb0ES3_S5_N6thrust23THRUST_200600_302600_NS6detail15normal_iteratorINS8_7pointerIxNS8_11hip_rocprim5par_tENS8_11use_defaultESE_EEEENSA_INSB_IiSD_SE_SE_EEEEZNS1_13binary_searchIS3_S5_PxSG_SI_NS1_16binary_search_opENS9_16wrapped_functionINS8_6system6detail7generic6detail18binary_search_lessEbEEEE10hipError_tPvRmT1_T2_T3_mmT4_T5_P12ihipStream_tbEUlRKxE_EEST_SX_SY_mSZ_S12_bEUlT_E_NS1_11comp_targetILNS1_3genE3ELNS1_11target_archE908ELNS1_3gpuE7ELNS1_3repE0EEENS1_30default_config_static_selectorELNS0_4arch9wavefront6targetE0EEEvSW_.has_dyn_sized_stack, 0
	.set _ZN7rocprim17ROCPRIM_400000_NS6detail17trampoline_kernelINS0_14default_configENS1_29binary_search_config_selectorIxiEEZNS1_14transform_implILb0ES3_S5_N6thrust23THRUST_200600_302600_NS6detail15normal_iteratorINS8_7pointerIxNS8_11hip_rocprim5par_tENS8_11use_defaultESE_EEEENSA_INSB_IiSD_SE_SE_EEEEZNS1_13binary_searchIS3_S5_PxSG_SI_NS1_16binary_search_opENS9_16wrapped_functionINS8_6system6detail7generic6detail18binary_search_lessEbEEEE10hipError_tPvRmT1_T2_T3_mmT4_T5_P12ihipStream_tbEUlRKxE_EEST_SX_SY_mSZ_S12_bEUlT_E_NS1_11comp_targetILNS1_3genE3ELNS1_11target_archE908ELNS1_3gpuE7ELNS1_3repE0EEENS1_30default_config_static_selectorELNS0_4arch9wavefront6targetE0EEEvSW_.has_recursion, 0
	.set _ZN7rocprim17ROCPRIM_400000_NS6detail17trampoline_kernelINS0_14default_configENS1_29binary_search_config_selectorIxiEEZNS1_14transform_implILb0ES3_S5_N6thrust23THRUST_200600_302600_NS6detail15normal_iteratorINS8_7pointerIxNS8_11hip_rocprim5par_tENS8_11use_defaultESE_EEEENSA_INSB_IiSD_SE_SE_EEEEZNS1_13binary_searchIS3_S5_PxSG_SI_NS1_16binary_search_opENS9_16wrapped_functionINS8_6system6detail7generic6detail18binary_search_lessEbEEEE10hipError_tPvRmT1_T2_T3_mmT4_T5_P12ihipStream_tbEUlRKxE_EEST_SX_SY_mSZ_S12_bEUlT_E_NS1_11comp_targetILNS1_3genE3ELNS1_11target_archE908ELNS1_3gpuE7ELNS1_3repE0EEENS1_30default_config_static_selectorELNS0_4arch9wavefront6targetE0EEEvSW_.has_indirect_call, 0
	.section	.AMDGPU.csdata,"",@progbits
; Kernel info:
; codeLenInByte = 0
; TotalNumSgprs: 0
; NumVgprs: 0
; ScratchSize: 0
; MemoryBound: 0
; FloatMode: 240
; IeeeMode: 1
; LDSByteSize: 0 bytes/workgroup (compile time only)
; SGPRBlocks: 0
; VGPRBlocks: 0
; NumSGPRsForWavesPerEU: 1
; NumVGPRsForWavesPerEU: 1
; Occupancy: 16
; WaveLimiterHint : 0
; COMPUTE_PGM_RSRC2:SCRATCH_EN: 0
; COMPUTE_PGM_RSRC2:USER_SGPR: 6
; COMPUTE_PGM_RSRC2:TRAP_HANDLER: 0
; COMPUTE_PGM_RSRC2:TGID_X_EN: 1
; COMPUTE_PGM_RSRC2:TGID_Y_EN: 0
; COMPUTE_PGM_RSRC2:TGID_Z_EN: 0
; COMPUTE_PGM_RSRC2:TIDIG_COMP_CNT: 0
	.section	.text._ZN7rocprim17ROCPRIM_400000_NS6detail17trampoline_kernelINS0_14default_configENS1_29binary_search_config_selectorIxiEEZNS1_14transform_implILb0ES3_S5_N6thrust23THRUST_200600_302600_NS6detail15normal_iteratorINS8_7pointerIxNS8_11hip_rocprim5par_tENS8_11use_defaultESE_EEEENSA_INSB_IiSD_SE_SE_EEEEZNS1_13binary_searchIS3_S5_PxSG_SI_NS1_16binary_search_opENS9_16wrapped_functionINS8_6system6detail7generic6detail18binary_search_lessEbEEEE10hipError_tPvRmT1_T2_T3_mmT4_T5_P12ihipStream_tbEUlRKxE_EEST_SX_SY_mSZ_S12_bEUlT_E_NS1_11comp_targetILNS1_3genE2ELNS1_11target_archE906ELNS1_3gpuE6ELNS1_3repE0EEENS1_30default_config_static_selectorELNS0_4arch9wavefront6targetE0EEEvSW_,"axG",@progbits,_ZN7rocprim17ROCPRIM_400000_NS6detail17trampoline_kernelINS0_14default_configENS1_29binary_search_config_selectorIxiEEZNS1_14transform_implILb0ES3_S5_N6thrust23THRUST_200600_302600_NS6detail15normal_iteratorINS8_7pointerIxNS8_11hip_rocprim5par_tENS8_11use_defaultESE_EEEENSA_INSB_IiSD_SE_SE_EEEEZNS1_13binary_searchIS3_S5_PxSG_SI_NS1_16binary_search_opENS9_16wrapped_functionINS8_6system6detail7generic6detail18binary_search_lessEbEEEE10hipError_tPvRmT1_T2_T3_mmT4_T5_P12ihipStream_tbEUlRKxE_EEST_SX_SY_mSZ_S12_bEUlT_E_NS1_11comp_targetILNS1_3genE2ELNS1_11target_archE906ELNS1_3gpuE6ELNS1_3repE0EEENS1_30default_config_static_selectorELNS0_4arch9wavefront6targetE0EEEvSW_,comdat
	.protected	_ZN7rocprim17ROCPRIM_400000_NS6detail17trampoline_kernelINS0_14default_configENS1_29binary_search_config_selectorIxiEEZNS1_14transform_implILb0ES3_S5_N6thrust23THRUST_200600_302600_NS6detail15normal_iteratorINS8_7pointerIxNS8_11hip_rocprim5par_tENS8_11use_defaultESE_EEEENSA_INSB_IiSD_SE_SE_EEEEZNS1_13binary_searchIS3_S5_PxSG_SI_NS1_16binary_search_opENS9_16wrapped_functionINS8_6system6detail7generic6detail18binary_search_lessEbEEEE10hipError_tPvRmT1_T2_T3_mmT4_T5_P12ihipStream_tbEUlRKxE_EEST_SX_SY_mSZ_S12_bEUlT_E_NS1_11comp_targetILNS1_3genE2ELNS1_11target_archE906ELNS1_3gpuE6ELNS1_3repE0EEENS1_30default_config_static_selectorELNS0_4arch9wavefront6targetE0EEEvSW_ ; -- Begin function _ZN7rocprim17ROCPRIM_400000_NS6detail17trampoline_kernelINS0_14default_configENS1_29binary_search_config_selectorIxiEEZNS1_14transform_implILb0ES3_S5_N6thrust23THRUST_200600_302600_NS6detail15normal_iteratorINS8_7pointerIxNS8_11hip_rocprim5par_tENS8_11use_defaultESE_EEEENSA_INSB_IiSD_SE_SE_EEEEZNS1_13binary_searchIS3_S5_PxSG_SI_NS1_16binary_search_opENS9_16wrapped_functionINS8_6system6detail7generic6detail18binary_search_lessEbEEEE10hipError_tPvRmT1_T2_T3_mmT4_T5_P12ihipStream_tbEUlRKxE_EEST_SX_SY_mSZ_S12_bEUlT_E_NS1_11comp_targetILNS1_3genE2ELNS1_11target_archE906ELNS1_3gpuE6ELNS1_3repE0EEENS1_30default_config_static_selectorELNS0_4arch9wavefront6targetE0EEEvSW_
	.globl	_ZN7rocprim17ROCPRIM_400000_NS6detail17trampoline_kernelINS0_14default_configENS1_29binary_search_config_selectorIxiEEZNS1_14transform_implILb0ES3_S5_N6thrust23THRUST_200600_302600_NS6detail15normal_iteratorINS8_7pointerIxNS8_11hip_rocprim5par_tENS8_11use_defaultESE_EEEENSA_INSB_IiSD_SE_SE_EEEEZNS1_13binary_searchIS3_S5_PxSG_SI_NS1_16binary_search_opENS9_16wrapped_functionINS8_6system6detail7generic6detail18binary_search_lessEbEEEE10hipError_tPvRmT1_T2_T3_mmT4_T5_P12ihipStream_tbEUlRKxE_EEST_SX_SY_mSZ_S12_bEUlT_E_NS1_11comp_targetILNS1_3genE2ELNS1_11target_archE906ELNS1_3gpuE6ELNS1_3repE0EEENS1_30default_config_static_selectorELNS0_4arch9wavefront6targetE0EEEvSW_
	.p2align	8
	.type	_ZN7rocprim17ROCPRIM_400000_NS6detail17trampoline_kernelINS0_14default_configENS1_29binary_search_config_selectorIxiEEZNS1_14transform_implILb0ES3_S5_N6thrust23THRUST_200600_302600_NS6detail15normal_iteratorINS8_7pointerIxNS8_11hip_rocprim5par_tENS8_11use_defaultESE_EEEENSA_INSB_IiSD_SE_SE_EEEEZNS1_13binary_searchIS3_S5_PxSG_SI_NS1_16binary_search_opENS9_16wrapped_functionINS8_6system6detail7generic6detail18binary_search_lessEbEEEE10hipError_tPvRmT1_T2_T3_mmT4_T5_P12ihipStream_tbEUlRKxE_EEST_SX_SY_mSZ_S12_bEUlT_E_NS1_11comp_targetILNS1_3genE2ELNS1_11target_archE906ELNS1_3gpuE6ELNS1_3repE0EEENS1_30default_config_static_selectorELNS0_4arch9wavefront6targetE0EEEvSW_,@function
_ZN7rocprim17ROCPRIM_400000_NS6detail17trampoline_kernelINS0_14default_configENS1_29binary_search_config_selectorIxiEEZNS1_14transform_implILb0ES3_S5_N6thrust23THRUST_200600_302600_NS6detail15normal_iteratorINS8_7pointerIxNS8_11hip_rocprim5par_tENS8_11use_defaultESE_EEEENSA_INSB_IiSD_SE_SE_EEEEZNS1_13binary_searchIS3_S5_PxSG_SI_NS1_16binary_search_opENS9_16wrapped_functionINS8_6system6detail7generic6detail18binary_search_lessEbEEEE10hipError_tPvRmT1_T2_T3_mmT4_T5_P12ihipStream_tbEUlRKxE_EEST_SX_SY_mSZ_S12_bEUlT_E_NS1_11comp_targetILNS1_3genE2ELNS1_11target_archE906ELNS1_3gpuE6ELNS1_3repE0EEENS1_30default_config_static_selectorELNS0_4arch9wavefront6targetE0EEEvSW_: ; @_ZN7rocprim17ROCPRIM_400000_NS6detail17trampoline_kernelINS0_14default_configENS1_29binary_search_config_selectorIxiEEZNS1_14transform_implILb0ES3_S5_N6thrust23THRUST_200600_302600_NS6detail15normal_iteratorINS8_7pointerIxNS8_11hip_rocprim5par_tENS8_11use_defaultESE_EEEENSA_INSB_IiSD_SE_SE_EEEEZNS1_13binary_searchIS3_S5_PxSG_SI_NS1_16binary_search_opENS9_16wrapped_functionINS8_6system6detail7generic6detail18binary_search_lessEbEEEE10hipError_tPvRmT1_T2_T3_mmT4_T5_P12ihipStream_tbEUlRKxE_EEST_SX_SY_mSZ_S12_bEUlT_E_NS1_11comp_targetILNS1_3genE2ELNS1_11target_archE906ELNS1_3gpuE6ELNS1_3repE0EEENS1_30default_config_static_selectorELNS0_4arch9wavefront6targetE0EEEvSW_
; %bb.0:
	.section	.rodata,"a",@progbits
	.p2align	6, 0x0
	.amdhsa_kernel _ZN7rocprim17ROCPRIM_400000_NS6detail17trampoline_kernelINS0_14default_configENS1_29binary_search_config_selectorIxiEEZNS1_14transform_implILb0ES3_S5_N6thrust23THRUST_200600_302600_NS6detail15normal_iteratorINS8_7pointerIxNS8_11hip_rocprim5par_tENS8_11use_defaultESE_EEEENSA_INSB_IiSD_SE_SE_EEEEZNS1_13binary_searchIS3_S5_PxSG_SI_NS1_16binary_search_opENS9_16wrapped_functionINS8_6system6detail7generic6detail18binary_search_lessEbEEEE10hipError_tPvRmT1_T2_T3_mmT4_T5_P12ihipStream_tbEUlRKxE_EEST_SX_SY_mSZ_S12_bEUlT_E_NS1_11comp_targetILNS1_3genE2ELNS1_11target_archE906ELNS1_3gpuE6ELNS1_3repE0EEENS1_30default_config_static_selectorELNS0_4arch9wavefront6targetE0EEEvSW_
		.amdhsa_group_segment_fixed_size 0
		.amdhsa_private_segment_fixed_size 0
		.amdhsa_kernarg_size 56
		.amdhsa_user_sgpr_count 6
		.amdhsa_user_sgpr_private_segment_buffer 1
		.amdhsa_user_sgpr_dispatch_ptr 0
		.amdhsa_user_sgpr_queue_ptr 0
		.amdhsa_user_sgpr_kernarg_segment_ptr 1
		.amdhsa_user_sgpr_dispatch_id 0
		.amdhsa_user_sgpr_flat_scratch_init 0
		.amdhsa_user_sgpr_private_segment_size 0
		.amdhsa_wavefront_size32 1
		.amdhsa_uses_dynamic_stack 0
		.amdhsa_system_sgpr_private_segment_wavefront_offset 0
		.amdhsa_system_sgpr_workgroup_id_x 1
		.amdhsa_system_sgpr_workgroup_id_y 0
		.amdhsa_system_sgpr_workgroup_id_z 0
		.amdhsa_system_sgpr_workgroup_info 0
		.amdhsa_system_vgpr_workitem_id 0
		.amdhsa_next_free_vgpr 1
		.amdhsa_next_free_sgpr 1
		.amdhsa_reserve_vcc 0
		.amdhsa_reserve_flat_scratch 0
		.amdhsa_float_round_mode_32 0
		.amdhsa_float_round_mode_16_64 0
		.amdhsa_float_denorm_mode_32 3
		.amdhsa_float_denorm_mode_16_64 3
		.amdhsa_dx10_clamp 1
		.amdhsa_ieee_mode 1
		.amdhsa_fp16_overflow 0
		.amdhsa_workgroup_processor_mode 1
		.amdhsa_memory_ordered 1
		.amdhsa_forward_progress 1
		.amdhsa_shared_vgpr_count 0
		.amdhsa_exception_fp_ieee_invalid_op 0
		.amdhsa_exception_fp_denorm_src 0
		.amdhsa_exception_fp_ieee_div_zero 0
		.amdhsa_exception_fp_ieee_overflow 0
		.amdhsa_exception_fp_ieee_underflow 0
		.amdhsa_exception_fp_ieee_inexact 0
		.amdhsa_exception_int_div_zero 0
	.end_amdhsa_kernel
	.section	.text._ZN7rocprim17ROCPRIM_400000_NS6detail17trampoline_kernelINS0_14default_configENS1_29binary_search_config_selectorIxiEEZNS1_14transform_implILb0ES3_S5_N6thrust23THRUST_200600_302600_NS6detail15normal_iteratorINS8_7pointerIxNS8_11hip_rocprim5par_tENS8_11use_defaultESE_EEEENSA_INSB_IiSD_SE_SE_EEEEZNS1_13binary_searchIS3_S5_PxSG_SI_NS1_16binary_search_opENS9_16wrapped_functionINS8_6system6detail7generic6detail18binary_search_lessEbEEEE10hipError_tPvRmT1_T2_T3_mmT4_T5_P12ihipStream_tbEUlRKxE_EEST_SX_SY_mSZ_S12_bEUlT_E_NS1_11comp_targetILNS1_3genE2ELNS1_11target_archE906ELNS1_3gpuE6ELNS1_3repE0EEENS1_30default_config_static_selectorELNS0_4arch9wavefront6targetE0EEEvSW_,"axG",@progbits,_ZN7rocprim17ROCPRIM_400000_NS6detail17trampoline_kernelINS0_14default_configENS1_29binary_search_config_selectorIxiEEZNS1_14transform_implILb0ES3_S5_N6thrust23THRUST_200600_302600_NS6detail15normal_iteratorINS8_7pointerIxNS8_11hip_rocprim5par_tENS8_11use_defaultESE_EEEENSA_INSB_IiSD_SE_SE_EEEEZNS1_13binary_searchIS3_S5_PxSG_SI_NS1_16binary_search_opENS9_16wrapped_functionINS8_6system6detail7generic6detail18binary_search_lessEbEEEE10hipError_tPvRmT1_T2_T3_mmT4_T5_P12ihipStream_tbEUlRKxE_EEST_SX_SY_mSZ_S12_bEUlT_E_NS1_11comp_targetILNS1_3genE2ELNS1_11target_archE906ELNS1_3gpuE6ELNS1_3repE0EEENS1_30default_config_static_selectorELNS0_4arch9wavefront6targetE0EEEvSW_,comdat
.Lfunc_end297:
	.size	_ZN7rocprim17ROCPRIM_400000_NS6detail17trampoline_kernelINS0_14default_configENS1_29binary_search_config_selectorIxiEEZNS1_14transform_implILb0ES3_S5_N6thrust23THRUST_200600_302600_NS6detail15normal_iteratorINS8_7pointerIxNS8_11hip_rocprim5par_tENS8_11use_defaultESE_EEEENSA_INSB_IiSD_SE_SE_EEEEZNS1_13binary_searchIS3_S5_PxSG_SI_NS1_16binary_search_opENS9_16wrapped_functionINS8_6system6detail7generic6detail18binary_search_lessEbEEEE10hipError_tPvRmT1_T2_T3_mmT4_T5_P12ihipStream_tbEUlRKxE_EEST_SX_SY_mSZ_S12_bEUlT_E_NS1_11comp_targetILNS1_3genE2ELNS1_11target_archE906ELNS1_3gpuE6ELNS1_3repE0EEENS1_30default_config_static_selectorELNS0_4arch9wavefront6targetE0EEEvSW_, .Lfunc_end297-_ZN7rocprim17ROCPRIM_400000_NS6detail17trampoline_kernelINS0_14default_configENS1_29binary_search_config_selectorIxiEEZNS1_14transform_implILb0ES3_S5_N6thrust23THRUST_200600_302600_NS6detail15normal_iteratorINS8_7pointerIxNS8_11hip_rocprim5par_tENS8_11use_defaultESE_EEEENSA_INSB_IiSD_SE_SE_EEEEZNS1_13binary_searchIS3_S5_PxSG_SI_NS1_16binary_search_opENS9_16wrapped_functionINS8_6system6detail7generic6detail18binary_search_lessEbEEEE10hipError_tPvRmT1_T2_T3_mmT4_T5_P12ihipStream_tbEUlRKxE_EEST_SX_SY_mSZ_S12_bEUlT_E_NS1_11comp_targetILNS1_3genE2ELNS1_11target_archE906ELNS1_3gpuE6ELNS1_3repE0EEENS1_30default_config_static_selectorELNS0_4arch9wavefront6targetE0EEEvSW_
                                        ; -- End function
	.set _ZN7rocprim17ROCPRIM_400000_NS6detail17trampoline_kernelINS0_14default_configENS1_29binary_search_config_selectorIxiEEZNS1_14transform_implILb0ES3_S5_N6thrust23THRUST_200600_302600_NS6detail15normal_iteratorINS8_7pointerIxNS8_11hip_rocprim5par_tENS8_11use_defaultESE_EEEENSA_INSB_IiSD_SE_SE_EEEEZNS1_13binary_searchIS3_S5_PxSG_SI_NS1_16binary_search_opENS9_16wrapped_functionINS8_6system6detail7generic6detail18binary_search_lessEbEEEE10hipError_tPvRmT1_T2_T3_mmT4_T5_P12ihipStream_tbEUlRKxE_EEST_SX_SY_mSZ_S12_bEUlT_E_NS1_11comp_targetILNS1_3genE2ELNS1_11target_archE906ELNS1_3gpuE6ELNS1_3repE0EEENS1_30default_config_static_selectorELNS0_4arch9wavefront6targetE0EEEvSW_.num_vgpr, 0
	.set _ZN7rocprim17ROCPRIM_400000_NS6detail17trampoline_kernelINS0_14default_configENS1_29binary_search_config_selectorIxiEEZNS1_14transform_implILb0ES3_S5_N6thrust23THRUST_200600_302600_NS6detail15normal_iteratorINS8_7pointerIxNS8_11hip_rocprim5par_tENS8_11use_defaultESE_EEEENSA_INSB_IiSD_SE_SE_EEEEZNS1_13binary_searchIS3_S5_PxSG_SI_NS1_16binary_search_opENS9_16wrapped_functionINS8_6system6detail7generic6detail18binary_search_lessEbEEEE10hipError_tPvRmT1_T2_T3_mmT4_T5_P12ihipStream_tbEUlRKxE_EEST_SX_SY_mSZ_S12_bEUlT_E_NS1_11comp_targetILNS1_3genE2ELNS1_11target_archE906ELNS1_3gpuE6ELNS1_3repE0EEENS1_30default_config_static_selectorELNS0_4arch9wavefront6targetE0EEEvSW_.num_agpr, 0
	.set _ZN7rocprim17ROCPRIM_400000_NS6detail17trampoline_kernelINS0_14default_configENS1_29binary_search_config_selectorIxiEEZNS1_14transform_implILb0ES3_S5_N6thrust23THRUST_200600_302600_NS6detail15normal_iteratorINS8_7pointerIxNS8_11hip_rocprim5par_tENS8_11use_defaultESE_EEEENSA_INSB_IiSD_SE_SE_EEEEZNS1_13binary_searchIS3_S5_PxSG_SI_NS1_16binary_search_opENS9_16wrapped_functionINS8_6system6detail7generic6detail18binary_search_lessEbEEEE10hipError_tPvRmT1_T2_T3_mmT4_T5_P12ihipStream_tbEUlRKxE_EEST_SX_SY_mSZ_S12_bEUlT_E_NS1_11comp_targetILNS1_3genE2ELNS1_11target_archE906ELNS1_3gpuE6ELNS1_3repE0EEENS1_30default_config_static_selectorELNS0_4arch9wavefront6targetE0EEEvSW_.numbered_sgpr, 0
	.set _ZN7rocprim17ROCPRIM_400000_NS6detail17trampoline_kernelINS0_14default_configENS1_29binary_search_config_selectorIxiEEZNS1_14transform_implILb0ES3_S5_N6thrust23THRUST_200600_302600_NS6detail15normal_iteratorINS8_7pointerIxNS8_11hip_rocprim5par_tENS8_11use_defaultESE_EEEENSA_INSB_IiSD_SE_SE_EEEEZNS1_13binary_searchIS3_S5_PxSG_SI_NS1_16binary_search_opENS9_16wrapped_functionINS8_6system6detail7generic6detail18binary_search_lessEbEEEE10hipError_tPvRmT1_T2_T3_mmT4_T5_P12ihipStream_tbEUlRKxE_EEST_SX_SY_mSZ_S12_bEUlT_E_NS1_11comp_targetILNS1_3genE2ELNS1_11target_archE906ELNS1_3gpuE6ELNS1_3repE0EEENS1_30default_config_static_selectorELNS0_4arch9wavefront6targetE0EEEvSW_.num_named_barrier, 0
	.set _ZN7rocprim17ROCPRIM_400000_NS6detail17trampoline_kernelINS0_14default_configENS1_29binary_search_config_selectorIxiEEZNS1_14transform_implILb0ES3_S5_N6thrust23THRUST_200600_302600_NS6detail15normal_iteratorINS8_7pointerIxNS8_11hip_rocprim5par_tENS8_11use_defaultESE_EEEENSA_INSB_IiSD_SE_SE_EEEEZNS1_13binary_searchIS3_S5_PxSG_SI_NS1_16binary_search_opENS9_16wrapped_functionINS8_6system6detail7generic6detail18binary_search_lessEbEEEE10hipError_tPvRmT1_T2_T3_mmT4_T5_P12ihipStream_tbEUlRKxE_EEST_SX_SY_mSZ_S12_bEUlT_E_NS1_11comp_targetILNS1_3genE2ELNS1_11target_archE906ELNS1_3gpuE6ELNS1_3repE0EEENS1_30default_config_static_selectorELNS0_4arch9wavefront6targetE0EEEvSW_.private_seg_size, 0
	.set _ZN7rocprim17ROCPRIM_400000_NS6detail17trampoline_kernelINS0_14default_configENS1_29binary_search_config_selectorIxiEEZNS1_14transform_implILb0ES3_S5_N6thrust23THRUST_200600_302600_NS6detail15normal_iteratorINS8_7pointerIxNS8_11hip_rocprim5par_tENS8_11use_defaultESE_EEEENSA_INSB_IiSD_SE_SE_EEEEZNS1_13binary_searchIS3_S5_PxSG_SI_NS1_16binary_search_opENS9_16wrapped_functionINS8_6system6detail7generic6detail18binary_search_lessEbEEEE10hipError_tPvRmT1_T2_T3_mmT4_T5_P12ihipStream_tbEUlRKxE_EEST_SX_SY_mSZ_S12_bEUlT_E_NS1_11comp_targetILNS1_3genE2ELNS1_11target_archE906ELNS1_3gpuE6ELNS1_3repE0EEENS1_30default_config_static_selectorELNS0_4arch9wavefront6targetE0EEEvSW_.uses_vcc, 0
	.set _ZN7rocprim17ROCPRIM_400000_NS6detail17trampoline_kernelINS0_14default_configENS1_29binary_search_config_selectorIxiEEZNS1_14transform_implILb0ES3_S5_N6thrust23THRUST_200600_302600_NS6detail15normal_iteratorINS8_7pointerIxNS8_11hip_rocprim5par_tENS8_11use_defaultESE_EEEENSA_INSB_IiSD_SE_SE_EEEEZNS1_13binary_searchIS3_S5_PxSG_SI_NS1_16binary_search_opENS9_16wrapped_functionINS8_6system6detail7generic6detail18binary_search_lessEbEEEE10hipError_tPvRmT1_T2_T3_mmT4_T5_P12ihipStream_tbEUlRKxE_EEST_SX_SY_mSZ_S12_bEUlT_E_NS1_11comp_targetILNS1_3genE2ELNS1_11target_archE906ELNS1_3gpuE6ELNS1_3repE0EEENS1_30default_config_static_selectorELNS0_4arch9wavefront6targetE0EEEvSW_.uses_flat_scratch, 0
	.set _ZN7rocprim17ROCPRIM_400000_NS6detail17trampoline_kernelINS0_14default_configENS1_29binary_search_config_selectorIxiEEZNS1_14transform_implILb0ES3_S5_N6thrust23THRUST_200600_302600_NS6detail15normal_iteratorINS8_7pointerIxNS8_11hip_rocprim5par_tENS8_11use_defaultESE_EEEENSA_INSB_IiSD_SE_SE_EEEEZNS1_13binary_searchIS3_S5_PxSG_SI_NS1_16binary_search_opENS9_16wrapped_functionINS8_6system6detail7generic6detail18binary_search_lessEbEEEE10hipError_tPvRmT1_T2_T3_mmT4_T5_P12ihipStream_tbEUlRKxE_EEST_SX_SY_mSZ_S12_bEUlT_E_NS1_11comp_targetILNS1_3genE2ELNS1_11target_archE906ELNS1_3gpuE6ELNS1_3repE0EEENS1_30default_config_static_selectorELNS0_4arch9wavefront6targetE0EEEvSW_.has_dyn_sized_stack, 0
	.set _ZN7rocprim17ROCPRIM_400000_NS6detail17trampoline_kernelINS0_14default_configENS1_29binary_search_config_selectorIxiEEZNS1_14transform_implILb0ES3_S5_N6thrust23THRUST_200600_302600_NS6detail15normal_iteratorINS8_7pointerIxNS8_11hip_rocprim5par_tENS8_11use_defaultESE_EEEENSA_INSB_IiSD_SE_SE_EEEEZNS1_13binary_searchIS3_S5_PxSG_SI_NS1_16binary_search_opENS9_16wrapped_functionINS8_6system6detail7generic6detail18binary_search_lessEbEEEE10hipError_tPvRmT1_T2_T3_mmT4_T5_P12ihipStream_tbEUlRKxE_EEST_SX_SY_mSZ_S12_bEUlT_E_NS1_11comp_targetILNS1_3genE2ELNS1_11target_archE906ELNS1_3gpuE6ELNS1_3repE0EEENS1_30default_config_static_selectorELNS0_4arch9wavefront6targetE0EEEvSW_.has_recursion, 0
	.set _ZN7rocprim17ROCPRIM_400000_NS6detail17trampoline_kernelINS0_14default_configENS1_29binary_search_config_selectorIxiEEZNS1_14transform_implILb0ES3_S5_N6thrust23THRUST_200600_302600_NS6detail15normal_iteratorINS8_7pointerIxNS8_11hip_rocprim5par_tENS8_11use_defaultESE_EEEENSA_INSB_IiSD_SE_SE_EEEEZNS1_13binary_searchIS3_S5_PxSG_SI_NS1_16binary_search_opENS9_16wrapped_functionINS8_6system6detail7generic6detail18binary_search_lessEbEEEE10hipError_tPvRmT1_T2_T3_mmT4_T5_P12ihipStream_tbEUlRKxE_EEST_SX_SY_mSZ_S12_bEUlT_E_NS1_11comp_targetILNS1_3genE2ELNS1_11target_archE906ELNS1_3gpuE6ELNS1_3repE0EEENS1_30default_config_static_selectorELNS0_4arch9wavefront6targetE0EEEvSW_.has_indirect_call, 0
	.section	.AMDGPU.csdata,"",@progbits
; Kernel info:
; codeLenInByte = 0
; TotalNumSgprs: 0
; NumVgprs: 0
; ScratchSize: 0
; MemoryBound: 0
; FloatMode: 240
; IeeeMode: 1
; LDSByteSize: 0 bytes/workgroup (compile time only)
; SGPRBlocks: 0
; VGPRBlocks: 0
; NumSGPRsForWavesPerEU: 1
; NumVGPRsForWavesPerEU: 1
; Occupancy: 16
; WaveLimiterHint : 0
; COMPUTE_PGM_RSRC2:SCRATCH_EN: 0
; COMPUTE_PGM_RSRC2:USER_SGPR: 6
; COMPUTE_PGM_RSRC2:TRAP_HANDLER: 0
; COMPUTE_PGM_RSRC2:TGID_X_EN: 1
; COMPUTE_PGM_RSRC2:TGID_Y_EN: 0
; COMPUTE_PGM_RSRC2:TGID_Z_EN: 0
; COMPUTE_PGM_RSRC2:TIDIG_COMP_CNT: 0
	.section	.text._ZN7rocprim17ROCPRIM_400000_NS6detail17trampoline_kernelINS0_14default_configENS1_29binary_search_config_selectorIxiEEZNS1_14transform_implILb0ES3_S5_N6thrust23THRUST_200600_302600_NS6detail15normal_iteratorINS8_7pointerIxNS8_11hip_rocprim5par_tENS8_11use_defaultESE_EEEENSA_INSB_IiSD_SE_SE_EEEEZNS1_13binary_searchIS3_S5_PxSG_SI_NS1_16binary_search_opENS9_16wrapped_functionINS8_6system6detail7generic6detail18binary_search_lessEbEEEE10hipError_tPvRmT1_T2_T3_mmT4_T5_P12ihipStream_tbEUlRKxE_EEST_SX_SY_mSZ_S12_bEUlT_E_NS1_11comp_targetILNS1_3genE10ELNS1_11target_archE1201ELNS1_3gpuE5ELNS1_3repE0EEENS1_30default_config_static_selectorELNS0_4arch9wavefront6targetE0EEEvSW_,"axG",@progbits,_ZN7rocprim17ROCPRIM_400000_NS6detail17trampoline_kernelINS0_14default_configENS1_29binary_search_config_selectorIxiEEZNS1_14transform_implILb0ES3_S5_N6thrust23THRUST_200600_302600_NS6detail15normal_iteratorINS8_7pointerIxNS8_11hip_rocprim5par_tENS8_11use_defaultESE_EEEENSA_INSB_IiSD_SE_SE_EEEEZNS1_13binary_searchIS3_S5_PxSG_SI_NS1_16binary_search_opENS9_16wrapped_functionINS8_6system6detail7generic6detail18binary_search_lessEbEEEE10hipError_tPvRmT1_T2_T3_mmT4_T5_P12ihipStream_tbEUlRKxE_EEST_SX_SY_mSZ_S12_bEUlT_E_NS1_11comp_targetILNS1_3genE10ELNS1_11target_archE1201ELNS1_3gpuE5ELNS1_3repE0EEENS1_30default_config_static_selectorELNS0_4arch9wavefront6targetE0EEEvSW_,comdat
	.protected	_ZN7rocprim17ROCPRIM_400000_NS6detail17trampoline_kernelINS0_14default_configENS1_29binary_search_config_selectorIxiEEZNS1_14transform_implILb0ES3_S5_N6thrust23THRUST_200600_302600_NS6detail15normal_iteratorINS8_7pointerIxNS8_11hip_rocprim5par_tENS8_11use_defaultESE_EEEENSA_INSB_IiSD_SE_SE_EEEEZNS1_13binary_searchIS3_S5_PxSG_SI_NS1_16binary_search_opENS9_16wrapped_functionINS8_6system6detail7generic6detail18binary_search_lessEbEEEE10hipError_tPvRmT1_T2_T3_mmT4_T5_P12ihipStream_tbEUlRKxE_EEST_SX_SY_mSZ_S12_bEUlT_E_NS1_11comp_targetILNS1_3genE10ELNS1_11target_archE1201ELNS1_3gpuE5ELNS1_3repE0EEENS1_30default_config_static_selectorELNS0_4arch9wavefront6targetE0EEEvSW_ ; -- Begin function _ZN7rocprim17ROCPRIM_400000_NS6detail17trampoline_kernelINS0_14default_configENS1_29binary_search_config_selectorIxiEEZNS1_14transform_implILb0ES3_S5_N6thrust23THRUST_200600_302600_NS6detail15normal_iteratorINS8_7pointerIxNS8_11hip_rocprim5par_tENS8_11use_defaultESE_EEEENSA_INSB_IiSD_SE_SE_EEEEZNS1_13binary_searchIS3_S5_PxSG_SI_NS1_16binary_search_opENS9_16wrapped_functionINS8_6system6detail7generic6detail18binary_search_lessEbEEEE10hipError_tPvRmT1_T2_T3_mmT4_T5_P12ihipStream_tbEUlRKxE_EEST_SX_SY_mSZ_S12_bEUlT_E_NS1_11comp_targetILNS1_3genE10ELNS1_11target_archE1201ELNS1_3gpuE5ELNS1_3repE0EEENS1_30default_config_static_selectorELNS0_4arch9wavefront6targetE0EEEvSW_
	.globl	_ZN7rocprim17ROCPRIM_400000_NS6detail17trampoline_kernelINS0_14default_configENS1_29binary_search_config_selectorIxiEEZNS1_14transform_implILb0ES3_S5_N6thrust23THRUST_200600_302600_NS6detail15normal_iteratorINS8_7pointerIxNS8_11hip_rocprim5par_tENS8_11use_defaultESE_EEEENSA_INSB_IiSD_SE_SE_EEEEZNS1_13binary_searchIS3_S5_PxSG_SI_NS1_16binary_search_opENS9_16wrapped_functionINS8_6system6detail7generic6detail18binary_search_lessEbEEEE10hipError_tPvRmT1_T2_T3_mmT4_T5_P12ihipStream_tbEUlRKxE_EEST_SX_SY_mSZ_S12_bEUlT_E_NS1_11comp_targetILNS1_3genE10ELNS1_11target_archE1201ELNS1_3gpuE5ELNS1_3repE0EEENS1_30default_config_static_selectorELNS0_4arch9wavefront6targetE0EEEvSW_
	.p2align	8
	.type	_ZN7rocprim17ROCPRIM_400000_NS6detail17trampoline_kernelINS0_14default_configENS1_29binary_search_config_selectorIxiEEZNS1_14transform_implILb0ES3_S5_N6thrust23THRUST_200600_302600_NS6detail15normal_iteratorINS8_7pointerIxNS8_11hip_rocprim5par_tENS8_11use_defaultESE_EEEENSA_INSB_IiSD_SE_SE_EEEEZNS1_13binary_searchIS3_S5_PxSG_SI_NS1_16binary_search_opENS9_16wrapped_functionINS8_6system6detail7generic6detail18binary_search_lessEbEEEE10hipError_tPvRmT1_T2_T3_mmT4_T5_P12ihipStream_tbEUlRKxE_EEST_SX_SY_mSZ_S12_bEUlT_E_NS1_11comp_targetILNS1_3genE10ELNS1_11target_archE1201ELNS1_3gpuE5ELNS1_3repE0EEENS1_30default_config_static_selectorELNS0_4arch9wavefront6targetE0EEEvSW_,@function
_ZN7rocprim17ROCPRIM_400000_NS6detail17trampoline_kernelINS0_14default_configENS1_29binary_search_config_selectorIxiEEZNS1_14transform_implILb0ES3_S5_N6thrust23THRUST_200600_302600_NS6detail15normal_iteratorINS8_7pointerIxNS8_11hip_rocprim5par_tENS8_11use_defaultESE_EEEENSA_INSB_IiSD_SE_SE_EEEEZNS1_13binary_searchIS3_S5_PxSG_SI_NS1_16binary_search_opENS9_16wrapped_functionINS8_6system6detail7generic6detail18binary_search_lessEbEEEE10hipError_tPvRmT1_T2_T3_mmT4_T5_P12ihipStream_tbEUlRKxE_EEST_SX_SY_mSZ_S12_bEUlT_E_NS1_11comp_targetILNS1_3genE10ELNS1_11target_archE1201ELNS1_3gpuE5ELNS1_3repE0EEENS1_30default_config_static_selectorELNS0_4arch9wavefront6targetE0EEEvSW_: ; @_ZN7rocprim17ROCPRIM_400000_NS6detail17trampoline_kernelINS0_14default_configENS1_29binary_search_config_selectorIxiEEZNS1_14transform_implILb0ES3_S5_N6thrust23THRUST_200600_302600_NS6detail15normal_iteratorINS8_7pointerIxNS8_11hip_rocprim5par_tENS8_11use_defaultESE_EEEENSA_INSB_IiSD_SE_SE_EEEEZNS1_13binary_searchIS3_S5_PxSG_SI_NS1_16binary_search_opENS9_16wrapped_functionINS8_6system6detail7generic6detail18binary_search_lessEbEEEE10hipError_tPvRmT1_T2_T3_mmT4_T5_P12ihipStream_tbEUlRKxE_EEST_SX_SY_mSZ_S12_bEUlT_E_NS1_11comp_targetILNS1_3genE10ELNS1_11target_archE1201ELNS1_3gpuE5ELNS1_3repE0EEENS1_30default_config_static_selectorELNS0_4arch9wavefront6targetE0EEEvSW_
; %bb.0:
	.section	.rodata,"a",@progbits
	.p2align	6, 0x0
	.amdhsa_kernel _ZN7rocprim17ROCPRIM_400000_NS6detail17trampoline_kernelINS0_14default_configENS1_29binary_search_config_selectorIxiEEZNS1_14transform_implILb0ES3_S5_N6thrust23THRUST_200600_302600_NS6detail15normal_iteratorINS8_7pointerIxNS8_11hip_rocprim5par_tENS8_11use_defaultESE_EEEENSA_INSB_IiSD_SE_SE_EEEEZNS1_13binary_searchIS3_S5_PxSG_SI_NS1_16binary_search_opENS9_16wrapped_functionINS8_6system6detail7generic6detail18binary_search_lessEbEEEE10hipError_tPvRmT1_T2_T3_mmT4_T5_P12ihipStream_tbEUlRKxE_EEST_SX_SY_mSZ_S12_bEUlT_E_NS1_11comp_targetILNS1_3genE10ELNS1_11target_archE1201ELNS1_3gpuE5ELNS1_3repE0EEENS1_30default_config_static_selectorELNS0_4arch9wavefront6targetE0EEEvSW_
		.amdhsa_group_segment_fixed_size 0
		.amdhsa_private_segment_fixed_size 0
		.amdhsa_kernarg_size 56
		.amdhsa_user_sgpr_count 6
		.amdhsa_user_sgpr_private_segment_buffer 1
		.amdhsa_user_sgpr_dispatch_ptr 0
		.amdhsa_user_sgpr_queue_ptr 0
		.amdhsa_user_sgpr_kernarg_segment_ptr 1
		.amdhsa_user_sgpr_dispatch_id 0
		.amdhsa_user_sgpr_flat_scratch_init 0
		.amdhsa_user_sgpr_private_segment_size 0
		.amdhsa_wavefront_size32 1
		.amdhsa_uses_dynamic_stack 0
		.amdhsa_system_sgpr_private_segment_wavefront_offset 0
		.amdhsa_system_sgpr_workgroup_id_x 1
		.amdhsa_system_sgpr_workgroup_id_y 0
		.amdhsa_system_sgpr_workgroup_id_z 0
		.amdhsa_system_sgpr_workgroup_info 0
		.amdhsa_system_vgpr_workitem_id 0
		.amdhsa_next_free_vgpr 1
		.amdhsa_next_free_sgpr 1
		.amdhsa_reserve_vcc 0
		.amdhsa_reserve_flat_scratch 0
		.amdhsa_float_round_mode_32 0
		.amdhsa_float_round_mode_16_64 0
		.amdhsa_float_denorm_mode_32 3
		.amdhsa_float_denorm_mode_16_64 3
		.amdhsa_dx10_clamp 1
		.amdhsa_ieee_mode 1
		.amdhsa_fp16_overflow 0
		.amdhsa_workgroup_processor_mode 1
		.amdhsa_memory_ordered 1
		.amdhsa_forward_progress 1
		.amdhsa_shared_vgpr_count 0
		.amdhsa_exception_fp_ieee_invalid_op 0
		.amdhsa_exception_fp_denorm_src 0
		.amdhsa_exception_fp_ieee_div_zero 0
		.amdhsa_exception_fp_ieee_overflow 0
		.amdhsa_exception_fp_ieee_underflow 0
		.amdhsa_exception_fp_ieee_inexact 0
		.amdhsa_exception_int_div_zero 0
	.end_amdhsa_kernel
	.section	.text._ZN7rocprim17ROCPRIM_400000_NS6detail17trampoline_kernelINS0_14default_configENS1_29binary_search_config_selectorIxiEEZNS1_14transform_implILb0ES3_S5_N6thrust23THRUST_200600_302600_NS6detail15normal_iteratorINS8_7pointerIxNS8_11hip_rocprim5par_tENS8_11use_defaultESE_EEEENSA_INSB_IiSD_SE_SE_EEEEZNS1_13binary_searchIS3_S5_PxSG_SI_NS1_16binary_search_opENS9_16wrapped_functionINS8_6system6detail7generic6detail18binary_search_lessEbEEEE10hipError_tPvRmT1_T2_T3_mmT4_T5_P12ihipStream_tbEUlRKxE_EEST_SX_SY_mSZ_S12_bEUlT_E_NS1_11comp_targetILNS1_3genE10ELNS1_11target_archE1201ELNS1_3gpuE5ELNS1_3repE0EEENS1_30default_config_static_selectorELNS0_4arch9wavefront6targetE0EEEvSW_,"axG",@progbits,_ZN7rocprim17ROCPRIM_400000_NS6detail17trampoline_kernelINS0_14default_configENS1_29binary_search_config_selectorIxiEEZNS1_14transform_implILb0ES3_S5_N6thrust23THRUST_200600_302600_NS6detail15normal_iteratorINS8_7pointerIxNS8_11hip_rocprim5par_tENS8_11use_defaultESE_EEEENSA_INSB_IiSD_SE_SE_EEEEZNS1_13binary_searchIS3_S5_PxSG_SI_NS1_16binary_search_opENS9_16wrapped_functionINS8_6system6detail7generic6detail18binary_search_lessEbEEEE10hipError_tPvRmT1_T2_T3_mmT4_T5_P12ihipStream_tbEUlRKxE_EEST_SX_SY_mSZ_S12_bEUlT_E_NS1_11comp_targetILNS1_3genE10ELNS1_11target_archE1201ELNS1_3gpuE5ELNS1_3repE0EEENS1_30default_config_static_selectorELNS0_4arch9wavefront6targetE0EEEvSW_,comdat
.Lfunc_end298:
	.size	_ZN7rocprim17ROCPRIM_400000_NS6detail17trampoline_kernelINS0_14default_configENS1_29binary_search_config_selectorIxiEEZNS1_14transform_implILb0ES3_S5_N6thrust23THRUST_200600_302600_NS6detail15normal_iteratorINS8_7pointerIxNS8_11hip_rocprim5par_tENS8_11use_defaultESE_EEEENSA_INSB_IiSD_SE_SE_EEEEZNS1_13binary_searchIS3_S5_PxSG_SI_NS1_16binary_search_opENS9_16wrapped_functionINS8_6system6detail7generic6detail18binary_search_lessEbEEEE10hipError_tPvRmT1_T2_T3_mmT4_T5_P12ihipStream_tbEUlRKxE_EEST_SX_SY_mSZ_S12_bEUlT_E_NS1_11comp_targetILNS1_3genE10ELNS1_11target_archE1201ELNS1_3gpuE5ELNS1_3repE0EEENS1_30default_config_static_selectorELNS0_4arch9wavefront6targetE0EEEvSW_, .Lfunc_end298-_ZN7rocprim17ROCPRIM_400000_NS6detail17trampoline_kernelINS0_14default_configENS1_29binary_search_config_selectorIxiEEZNS1_14transform_implILb0ES3_S5_N6thrust23THRUST_200600_302600_NS6detail15normal_iteratorINS8_7pointerIxNS8_11hip_rocprim5par_tENS8_11use_defaultESE_EEEENSA_INSB_IiSD_SE_SE_EEEEZNS1_13binary_searchIS3_S5_PxSG_SI_NS1_16binary_search_opENS9_16wrapped_functionINS8_6system6detail7generic6detail18binary_search_lessEbEEEE10hipError_tPvRmT1_T2_T3_mmT4_T5_P12ihipStream_tbEUlRKxE_EEST_SX_SY_mSZ_S12_bEUlT_E_NS1_11comp_targetILNS1_3genE10ELNS1_11target_archE1201ELNS1_3gpuE5ELNS1_3repE0EEENS1_30default_config_static_selectorELNS0_4arch9wavefront6targetE0EEEvSW_
                                        ; -- End function
	.set _ZN7rocprim17ROCPRIM_400000_NS6detail17trampoline_kernelINS0_14default_configENS1_29binary_search_config_selectorIxiEEZNS1_14transform_implILb0ES3_S5_N6thrust23THRUST_200600_302600_NS6detail15normal_iteratorINS8_7pointerIxNS8_11hip_rocprim5par_tENS8_11use_defaultESE_EEEENSA_INSB_IiSD_SE_SE_EEEEZNS1_13binary_searchIS3_S5_PxSG_SI_NS1_16binary_search_opENS9_16wrapped_functionINS8_6system6detail7generic6detail18binary_search_lessEbEEEE10hipError_tPvRmT1_T2_T3_mmT4_T5_P12ihipStream_tbEUlRKxE_EEST_SX_SY_mSZ_S12_bEUlT_E_NS1_11comp_targetILNS1_3genE10ELNS1_11target_archE1201ELNS1_3gpuE5ELNS1_3repE0EEENS1_30default_config_static_selectorELNS0_4arch9wavefront6targetE0EEEvSW_.num_vgpr, 0
	.set _ZN7rocprim17ROCPRIM_400000_NS6detail17trampoline_kernelINS0_14default_configENS1_29binary_search_config_selectorIxiEEZNS1_14transform_implILb0ES3_S5_N6thrust23THRUST_200600_302600_NS6detail15normal_iteratorINS8_7pointerIxNS8_11hip_rocprim5par_tENS8_11use_defaultESE_EEEENSA_INSB_IiSD_SE_SE_EEEEZNS1_13binary_searchIS3_S5_PxSG_SI_NS1_16binary_search_opENS9_16wrapped_functionINS8_6system6detail7generic6detail18binary_search_lessEbEEEE10hipError_tPvRmT1_T2_T3_mmT4_T5_P12ihipStream_tbEUlRKxE_EEST_SX_SY_mSZ_S12_bEUlT_E_NS1_11comp_targetILNS1_3genE10ELNS1_11target_archE1201ELNS1_3gpuE5ELNS1_3repE0EEENS1_30default_config_static_selectorELNS0_4arch9wavefront6targetE0EEEvSW_.num_agpr, 0
	.set _ZN7rocprim17ROCPRIM_400000_NS6detail17trampoline_kernelINS0_14default_configENS1_29binary_search_config_selectorIxiEEZNS1_14transform_implILb0ES3_S5_N6thrust23THRUST_200600_302600_NS6detail15normal_iteratorINS8_7pointerIxNS8_11hip_rocprim5par_tENS8_11use_defaultESE_EEEENSA_INSB_IiSD_SE_SE_EEEEZNS1_13binary_searchIS3_S5_PxSG_SI_NS1_16binary_search_opENS9_16wrapped_functionINS8_6system6detail7generic6detail18binary_search_lessEbEEEE10hipError_tPvRmT1_T2_T3_mmT4_T5_P12ihipStream_tbEUlRKxE_EEST_SX_SY_mSZ_S12_bEUlT_E_NS1_11comp_targetILNS1_3genE10ELNS1_11target_archE1201ELNS1_3gpuE5ELNS1_3repE0EEENS1_30default_config_static_selectorELNS0_4arch9wavefront6targetE0EEEvSW_.numbered_sgpr, 0
	.set _ZN7rocprim17ROCPRIM_400000_NS6detail17trampoline_kernelINS0_14default_configENS1_29binary_search_config_selectorIxiEEZNS1_14transform_implILb0ES3_S5_N6thrust23THRUST_200600_302600_NS6detail15normal_iteratorINS8_7pointerIxNS8_11hip_rocprim5par_tENS8_11use_defaultESE_EEEENSA_INSB_IiSD_SE_SE_EEEEZNS1_13binary_searchIS3_S5_PxSG_SI_NS1_16binary_search_opENS9_16wrapped_functionINS8_6system6detail7generic6detail18binary_search_lessEbEEEE10hipError_tPvRmT1_T2_T3_mmT4_T5_P12ihipStream_tbEUlRKxE_EEST_SX_SY_mSZ_S12_bEUlT_E_NS1_11comp_targetILNS1_3genE10ELNS1_11target_archE1201ELNS1_3gpuE5ELNS1_3repE0EEENS1_30default_config_static_selectorELNS0_4arch9wavefront6targetE0EEEvSW_.num_named_barrier, 0
	.set _ZN7rocprim17ROCPRIM_400000_NS6detail17trampoline_kernelINS0_14default_configENS1_29binary_search_config_selectorIxiEEZNS1_14transform_implILb0ES3_S5_N6thrust23THRUST_200600_302600_NS6detail15normal_iteratorINS8_7pointerIxNS8_11hip_rocprim5par_tENS8_11use_defaultESE_EEEENSA_INSB_IiSD_SE_SE_EEEEZNS1_13binary_searchIS3_S5_PxSG_SI_NS1_16binary_search_opENS9_16wrapped_functionINS8_6system6detail7generic6detail18binary_search_lessEbEEEE10hipError_tPvRmT1_T2_T3_mmT4_T5_P12ihipStream_tbEUlRKxE_EEST_SX_SY_mSZ_S12_bEUlT_E_NS1_11comp_targetILNS1_3genE10ELNS1_11target_archE1201ELNS1_3gpuE5ELNS1_3repE0EEENS1_30default_config_static_selectorELNS0_4arch9wavefront6targetE0EEEvSW_.private_seg_size, 0
	.set _ZN7rocprim17ROCPRIM_400000_NS6detail17trampoline_kernelINS0_14default_configENS1_29binary_search_config_selectorIxiEEZNS1_14transform_implILb0ES3_S5_N6thrust23THRUST_200600_302600_NS6detail15normal_iteratorINS8_7pointerIxNS8_11hip_rocprim5par_tENS8_11use_defaultESE_EEEENSA_INSB_IiSD_SE_SE_EEEEZNS1_13binary_searchIS3_S5_PxSG_SI_NS1_16binary_search_opENS9_16wrapped_functionINS8_6system6detail7generic6detail18binary_search_lessEbEEEE10hipError_tPvRmT1_T2_T3_mmT4_T5_P12ihipStream_tbEUlRKxE_EEST_SX_SY_mSZ_S12_bEUlT_E_NS1_11comp_targetILNS1_3genE10ELNS1_11target_archE1201ELNS1_3gpuE5ELNS1_3repE0EEENS1_30default_config_static_selectorELNS0_4arch9wavefront6targetE0EEEvSW_.uses_vcc, 0
	.set _ZN7rocprim17ROCPRIM_400000_NS6detail17trampoline_kernelINS0_14default_configENS1_29binary_search_config_selectorIxiEEZNS1_14transform_implILb0ES3_S5_N6thrust23THRUST_200600_302600_NS6detail15normal_iteratorINS8_7pointerIxNS8_11hip_rocprim5par_tENS8_11use_defaultESE_EEEENSA_INSB_IiSD_SE_SE_EEEEZNS1_13binary_searchIS3_S5_PxSG_SI_NS1_16binary_search_opENS9_16wrapped_functionINS8_6system6detail7generic6detail18binary_search_lessEbEEEE10hipError_tPvRmT1_T2_T3_mmT4_T5_P12ihipStream_tbEUlRKxE_EEST_SX_SY_mSZ_S12_bEUlT_E_NS1_11comp_targetILNS1_3genE10ELNS1_11target_archE1201ELNS1_3gpuE5ELNS1_3repE0EEENS1_30default_config_static_selectorELNS0_4arch9wavefront6targetE0EEEvSW_.uses_flat_scratch, 0
	.set _ZN7rocprim17ROCPRIM_400000_NS6detail17trampoline_kernelINS0_14default_configENS1_29binary_search_config_selectorIxiEEZNS1_14transform_implILb0ES3_S5_N6thrust23THRUST_200600_302600_NS6detail15normal_iteratorINS8_7pointerIxNS8_11hip_rocprim5par_tENS8_11use_defaultESE_EEEENSA_INSB_IiSD_SE_SE_EEEEZNS1_13binary_searchIS3_S5_PxSG_SI_NS1_16binary_search_opENS9_16wrapped_functionINS8_6system6detail7generic6detail18binary_search_lessEbEEEE10hipError_tPvRmT1_T2_T3_mmT4_T5_P12ihipStream_tbEUlRKxE_EEST_SX_SY_mSZ_S12_bEUlT_E_NS1_11comp_targetILNS1_3genE10ELNS1_11target_archE1201ELNS1_3gpuE5ELNS1_3repE0EEENS1_30default_config_static_selectorELNS0_4arch9wavefront6targetE0EEEvSW_.has_dyn_sized_stack, 0
	.set _ZN7rocprim17ROCPRIM_400000_NS6detail17trampoline_kernelINS0_14default_configENS1_29binary_search_config_selectorIxiEEZNS1_14transform_implILb0ES3_S5_N6thrust23THRUST_200600_302600_NS6detail15normal_iteratorINS8_7pointerIxNS8_11hip_rocprim5par_tENS8_11use_defaultESE_EEEENSA_INSB_IiSD_SE_SE_EEEEZNS1_13binary_searchIS3_S5_PxSG_SI_NS1_16binary_search_opENS9_16wrapped_functionINS8_6system6detail7generic6detail18binary_search_lessEbEEEE10hipError_tPvRmT1_T2_T3_mmT4_T5_P12ihipStream_tbEUlRKxE_EEST_SX_SY_mSZ_S12_bEUlT_E_NS1_11comp_targetILNS1_3genE10ELNS1_11target_archE1201ELNS1_3gpuE5ELNS1_3repE0EEENS1_30default_config_static_selectorELNS0_4arch9wavefront6targetE0EEEvSW_.has_recursion, 0
	.set _ZN7rocprim17ROCPRIM_400000_NS6detail17trampoline_kernelINS0_14default_configENS1_29binary_search_config_selectorIxiEEZNS1_14transform_implILb0ES3_S5_N6thrust23THRUST_200600_302600_NS6detail15normal_iteratorINS8_7pointerIxNS8_11hip_rocprim5par_tENS8_11use_defaultESE_EEEENSA_INSB_IiSD_SE_SE_EEEEZNS1_13binary_searchIS3_S5_PxSG_SI_NS1_16binary_search_opENS9_16wrapped_functionINS8_6system6detail7generic6detail18binary_search_lessEbEEEE10hipError_tPvRmT1_T2_T3_mmT4_T5_P12ihipStream_tbEUlRKxE_EEST_SX_SY_mSZ_S12_bEUlT_E_NS1_11comp_targetILNS1_3genE10ELNS1_11target_archE1201ELNS1_3gpuE5ELNS1_3repE0EEENS1_30default_config_static_selectorELNS0_4arch9wavefront6targetE0EEEvSW_.has_indirect_call, 0
	.section	.AMDGPU.csdata,"",@progbits
; Kernel info:
; codeLenInByte = 0
; TotalNumSgprs: 0
; NumVgprs: 0
; ScratchSize: 0
; MemoryBound: 0
; FloatMode: 240
; IeeeMode: 1
; LDSByteSize: 0 bytes/workgroup (compile time only)
; SGPRBlocks: 0
; VGPRBlocks: 0
; NumSGPRsForWavesPerEU: 1
; NumVGPRsForWavesPerEU: 1
; Occupancy: 16
; WaveLimiterHint : 0
; COMPUTE_PGM_RSRC2:SCRATCH_EN: 0
; COMPUTE_PGM_RSRC2:USER_SGPR: 6
; COMPUTE_PGM_RSRC2:TRAP_HANDLER: 0
; COMPUTE_PGM_RSRC2:TGID_X_EN: 1
; COMPUTE_PGM_RSRC2:TGID_Y_EN: 0
; COMPUTE_PGM_RSRC2:TGID_Z_EN: 0
; COMPUTE_PGM_RSRC2:TIDIG_COMP_CNT: 0
	.section	.text._ZN7rocprim17ROCPRIM_400000_NS6detail17trampoline_kernelINS0_14default_configENS1_29binary_search_config_selectorIxiEEZNS1_14transform_implILb0ES3_S5_N6thrust23THRUST_200600_302600_NS6detail15normal_iteratorINS8_7pointerIxNS8_11hip_rocprim5par_tENS8_11use_defaultESE_EEEENSA_INSB_IiSD_SE_SE_EEEEZNS1_13binary_searchIS3_S5_PxSG_SI_NS1_16binary_search_opENS9_16wrapped_functionINS8_6system6detail7generic6detail18binary_search_lessEbEEEE10hipError_tPvRmT1_T2_T3_mmT4_T5_P12ihipStream_tbEUlRKxE_EEST_SX_SY_mSZ_S12_bEUlT_E_NS1_11comp_targetILNS1_3genE10ELNS1_11target_archE1200ELNS1_3gpuE4ELNS1_3repE0EEENS1_30default_config_static_selectorELNS0_4arch9wavefront6targetE0EEEvSW_,"axG",@progbits,_ZN7rocprim17ROCPRIM_400000_NS6detail17trampoline_kernelINS0_14default_configENS1_29binary_search_config_selectorIxiEEZNS1_14transform_implILb0ES3_S5_N6thrust23THRUST_200600_302600_NS6detail15normal_iteratorINS8_7pointerIxNS8_11hip_rocprim5par_tENS8_11use_defaultESE_EEEENSA_INSB_IiSD_SE_SE_EEEEZNS1_13binary_searchIS3_S5_PxSG_SI_NS1_16binary_search_opENS9_16wrapped_functionINS8_6system6detail7generic6detail18binary_search_lessEbEEEE10hipError_tPvRmT1_T2_T3_mmT4_T5_P12ihipStream_tbEUlRKxE_EEST_SX_SY_mSZ_S12_bEUlT_E_NS1_11comp_targetILNS1_3genE10ELNS1_11target_archE1200ELNS1_3gpuE4ELNS1_3repE0EEENS1_30default_config_static_selectorELNS0_4arch9wavefront6targetE0EEEvSW_,comdat
	.protected	_ZN7rocprim17ROCPRIM_400000_NS6detail17trampoline_kernelINS0_14default_configENS1_29binary_search_config_selectorIxiEEZNS1_14transform_implILb0ES3_S5_N6thrust23THRUST_200600_302600_NS6detail15normal_iteratorINS8_7pointerIxNS8_11hip_rocprim5par_tENS8_11use_defaultESE_EEEENSA_INSB_IiSD_SE_SE_EEEEZNS1_13binary_searchIS3_S5_PxSG_SI_NS1_16binary_search_opENS9_16wrapped_functionINS8_6system6detail7generic6detail18binary_search_lessEbEEEE10hipError_tPvRmT1_T2_T3_mmT4_T5_P12ihipStream_tbEUlRKxE_EEST_SX_SY_mSZ_S12_bEUlT_E_NS1_11comp_targetILNS1_3genE10ELNS1_11target_archE1200ELNS1_3gpuE4ELNS1_3repE0EEENS1_30default_config_static_selectorELNS0_4arch9wavefront6targetE0EEEvSW_ ; -- Begin function _ZN7rocprim17ROCPRIM_400000_NS6detail17trampoline_kernelINS0_14default_configENS1_29binary_search_config_selectorIxiEEZNS1_14transform_implILb0ES3_S5_N6thrust23THRUST_200600_302600_NS6detail15normal_iteratorINS8_7pointerIxNS8_11hip_rocprim5par_tENS8_11use_defaultESE_EEEENSA_INSB_IiSD_SE_SE_EEEEZNS1_13binary_searchIS3_S5_PxSG_SI_NS1_16binary_search_opENS9_16wrapped_functionINS8_6system6detail7generic6detail18binary_search_lessEbEEEE10hipError_tPvRmT1_T2_T3_mmT4_T5_P12ihipStream_tbEUlRKxE_EEST_SX_SY_mSZ_S12_bEUlT_E_NS1_11comp_targetILNS1_3genE10ELNS1_11target_archE1200ELNS1_3gpuE4ELNS1_3repE0EEENS1_30default_config_static_selectorELNS0_4arch9wavefront6targetE0EEEvSW_
	.globl	_ZN7rocprim17ROCPRIM_400000_NS6detail17trampoline_kernelINS0_14default_configENS1_29binary_search_config_selectorIxiEEZNS1_14transform_implILb0ES3_S5_N6thrust23THRUST_200600_302600_NS6detail15normal_iteratorINS8_7pointerIxNS8_11hip_rocprim5par_tENS8_11use_defaultESE_EEEENSA_INSB_IiSD_SE_SE_EEEEZNS1_13binary_searchIS3_S5_PxSG_SI_NS1_16binary_search_opENS9_16wrapped_functionINS8_6system6detail7generic6detail18binary_search_lessEbEEEE10hipError_tPvRmT1_T2_T3_mmT4_T5_P12ihipStream_tbEUlRKxE_EEST_SX_SY_mSZ_S12_bEUlT_E_NS1_11comp_targetILNS1_3genE10ELNS1_11target_archE1200ELNS1_3gpuE4ELNS1_3repE0EEENS1_30default_config_static_selectorELNS0_4arch9wavefront6targetE0EEEvSW_
	.p2align	8
	.type	_ZN7rocprim17ROCPRIM_400000_NS6detail17trampoline_kernelINS0_14default_configENS1_29binary_search_config_selectorIxiEEZNS1_14transform_implILb0ES3_S5_N6thrust23THRUST_200600_302600_NS6detail15normal_iteratorINS8_7pointerIxNS8_11hip_rocprim5par_tENS8_11use_defaultESE_EEEENSA_INSB_IiSD_SE_SE_EEEEZNS1_13binary_searchIS3_S5_PxSG_SI_NS1_16binary_search_opENS9_16wrapped_functionINS8_6system6detail7generic6detail18binary_search_lessEbEEEE10hipError_tPvRmT1_T2_T3_mmT4_T5_P12ihipStream_tbEUlRKxE_EEST_SX_SY_mSZ_S12_bEUlT_E_NS1_11comp_targetILNS1_3genE10ELNS1_11target_archE1200ELNS1_3gpuE4ELNS1_3repE0EEENS1_30default_config_static_selectorELNS0_4arch9wavefront6targetE0EEEvSW_,@function
_ZN7rocprim17ROCPRIM_400000_NS6detail17trampoline_kernelINS0_14default_configENS1_29binary_search_config_selectorIxiEEZNS1_14transform_implILb0ES3_S5_N6thrust23THRUST_200600_302600_NS6detail15normal_iteratorINS8_7pointerIxNS8_11hip_rocprim5par_tENS8_11use_defaultESE_EEEENSA_INSB_IiSD_SE_SE_EEEEZNS1_13binary_searchIS3_S5_PxSG_SI_NS1_16binary_search_opENS9_16wrapped_functionINS8_6system6detail7generic6detail18binary_search_lessEbEEEE10hipError_tPvRmT1_T2_T3_mmT4_T5_P12ihipStream_tbEUlRKxE_EEST_SX_SY_mSZ_S12_bEUlT_E_NS1_11comp_targetILNS1_3genE10ELNS1_11target_archE1200ELNS1_3gpuE4ELNS1_3repE0EEENS1_30default_config_static_selectorELNS0_4arch9wavefront6targetE0EEEvSW_: ; @_ZN7rocprim17ROCPRIM_400000_NS6detail17trampoline_kernelINS0_14default_configENS1_29binary_search_config_selectorIxiEEZNS1_14transform_implILb0ES3_S5_N6thrust23THRUST_200600_302600_NS6detail15normal_iteratorINS8_7pointerIxNS8_11hip_rocprim5par_tENS8_11use_defaultESE_EEEENSA_INSB_IiSD_SE_SE_EEEEZNS1_13binary_searchIS3_S5_PxSG_SI_NS1_16binary_search_opENS9_16wrapped_functionINS8_6system6detail7generic6detail18binary_search_lessEbEEEE10hipError_tPvRmT1_T2_T3_mmT4_T5_P12ihipStream_tbEUlRKxE_EEST_SX_SY_mSZ_S12_bEUlT_E_NS1_11comp_targetILNS1_3genE10ELNS1_11target_archE1200ELNS1_3gpuE4ELNS1_3repE0EEENS1_30default_config_static_selectorELNS0_4arch9wavefront6targetE0EEEvSW_
; %bb.0:
	.section	.rodata,"a",@progbits
	.p2align	6, 0x0
	.amdhsa_kernel _ZN7rocprim17ROCPRIM_400000_NS6detail17trampoline_kernelINS0_14default_configENS1_29binary_search_config_selectorIxiEEZNS1_14transform_implILb0ES3_S5_N6thrust23THRUST_200600_302600_NS6detail15normal_iteratorINS8_7pointerIxNS8_11hip_rocprim5par_tENS8_11use_defaultESE_EEEENSA_INSB_IiSD_SE_SE_EEEEZNS1_13binary_searchIS3_S5_PxSG_SI_NS1_16binary_search_opENS9_16wrapped_functionINS8_6system6detail7generic6detail18binary_search_lessEbEEEE10hipError_tPvRmT1_T2_T3_mmT4_T5_P12ihipStream_tbEUlRKxE_EEST_SX_SY_mSZ_S12_bEUlT_E_NS1_11comp_targetILNS1_3genE10ELNS1_11target_archE1200ELNS1_3gpuE4ELNS1_3repE0EEENS1_30default_config_static_selectorELNS0_4arch9wavefront6targetE0EEEvSW_
		.amdhsa_group_segment_fixed_size 0
		.amdhsa_private_segment_fixed_size 0
		.amdhsa_kernarg_size 56
		.amdhsa_user_sgpr_count 6
		.amdhsa_user_sgpr_private_segment_buffer 1
		.amdhsa_user_sgpr_dispatch_ptr 0
		.amdhsa_user_sgpr_queue_ptr 0
		.amdhsa_user_sgpr_kernarg_segment_ptr 1
		.amdhsa_user_sgpr_dispatch_id 0
		.amdhsa_user_sgpr_flat_scratch_init 0
		.amdhsa_user_sgpr_private_segment_size 0
		.amdhsa_wavefront_size32 1
		.amdhsa_uses_dynamic_stack 0
		.amdhsa_system_sgpr_private_segment_wavefront_offset 0
		.amdhsa_system_sgpr_workgroup_id_x 1
		.amdhsa_system_sgpr_workgroup_id_y 0
		.amdhsa_system_sgpr_workgroup_id_z 0
		.amdhsa_system_sgpr_workgroup_info 0
		.amdhsa_system_vgpr_workitem_id 0
		.amdhsa_next_free_vgpr 1
		.amdhsa_next_free_sgpr 1
		.amdhsa_reserve_vcc 0
		.amdhsa_reserve_flat_scratch 0
		.amdhsa_float_round_mode_32 0
		.amdhsa_float_round_mode_16_64 0
		.amdhsa_float_denorm_mode_32 3
		.amdhsa_float_denorm_mode_16_64 3
		.amdhsa_dx10_clamp 1
		.amdhsa_ieee_mode 1
		.amdhsa_fp16_overflow 0
		.amdhsa_workgroup_processor_mode 1
		.amdhsa_memory_ordered 1
		.amdhsa_forward_progress 1
		.amdhsa_shared_vgpr_count 0
		.amdhsa_exception_fp_ieee_invalid_op 0
		.amdhsa_exception_fp_denorm_src 0
		.amdhsa_exception_fp_ieee_div_zero 0
		.amdhsa_exception_fp_ieee_overflow 0
		.amdhsa_exception_fp_ieee_underflow 0
		.amdhsa_exception_fp_ieee_inexact 0
		.amdhsa_exception_int_div_zero 0
	.end_amdhsa_kernel
	.section	.text._ZN7rocprim17ROCPRIM_400000_NS6detail17trampoline_kernelINS0_14default_configENS1_29binary_search_config_selectorIxiEEZNS1_14transform_implILb0ES3_S5_N6thrust23THRUST_200600_302600_NS6detail15normal_iteratorINS8_7pointerIxNS8_11hip_rocprim5par_tENS8_11use_defaultESE_EEEENSA_INSB_IiSD_SE_SE_EEEEZNS1_13binary_searchIS3_S5_PxSG_SI_NS1_16binary_search_opENS9_16wrapped_functionINS8_6system6detail7generic6detail18binary_search_lessEbEEEE10hipError_tPvRmT1_T2_T3_mmT4_T5_P12ihipStream_tbEUlRKxE_EEST_SX_SY_mSZ_S12_bEUlT_E_NS1_11comp_targetILNS1_3genE10ELNS1_11target_archE1200ELNS1_3gpuE4ELNS1_3repE0EEENS1_30default_config_static_selectorELNS0_4arch9wavefront6targetE0EEEvSW_,"axG",@progbits,_ZN7rocprim17ROCPRIM_400000_NS6detail17trampoline_kernelINS0_14default_configENS1_29binary_search_config_selectorIxiEEZNS1_14transform_implILb0ES3_S5_N6thrust23THRUST_200600_302600_NS6detail15normal_iteratorINS8_7pointerIxNS8_11hip_rocprim5par_tENS8_11use_defaultESE_EEEENSA_INSB_IiSD_SE_SE_EEEEZNS1_13binary_searchIS3_S5_PxSG_SI_NS1_16binary_search_opENS9_16wrapped_functionINS8_6system6detail7generic6detail18binary_search_lessEbEEEE10hipError_tPvRmT1_T2_T3_mmT4_T5_P12ihipStream_tbEUlRKxE_EEST_SX_SY_mSZ_S12_bEUlT_E_NS1_11comp_targetILNS1_3genE10ELNS1_11target_archE1200ELNS1_3gpuE4ELNS1_3repE0EEENS1_30default_config_static_selectorELNS0_4arch9wavefront6targetE0EEEvSW_,comdat
.Lfunc_end299:
	.size	_ZN7rocprim17ROCPRIM_400000_NS6detail17trampoline_kernelINS0_14default_configENS1_29binary_search_config_selectorIxiEEZNS1_14transform_implILb0ES3_S5_N6thrust23THRUST_200600_302600_NS6detail15normal_iteratorINS8_7pointerIxNS8_11hip_rocprim5par_tENS8_11use_defaultESE_EEEENSA_INSB_IiSD_SE_SE_EEEEZNS1_13binary_searchIS3_S5_PxSG_SI_NS1_16binary_search_opENS9_16wrapped_functionINS8_6system6detail7generic6detail18binary_search_lessEbEEEE10hipError_tPvRmT1_T2_T3_mmT4_T5_P12ihipStream_tbEUlRKxE_EEST_SX_SY_mSZ_S12_bEUlT_E_NS1_11comp_targetILNS1_3genE10ELNS1_11target_archE1200ELNS1_3gpuE4ELNS1_3repE0EEENS1_30default_config_static_selectorELNS0_4arch9wavefront6targetE0EEEvSW_, .Lfunc_end299-_ZN7rocprim17ROCPRIM_400000_NS6detail17trampoline_kernelINS0_14default_configENS1_29binary_search_config_selectorIxiEEZNS1_14transform_implILb0ES3_S5_N6thrust23THRUST_200600_302600_NS6detail15normal_iteratorINS8_7pointerIxNS8_11hip_rocprim5par_tENS8_11use_defaultESE_EEEENSA_INSB_IiSD_SE_SE_EEEEZNS1_13binary_searchIS3_S5_PxSG_SI_NS1_16binary_search_opENS9_16wrapped_functionINS8_6system6detail7generic6detail18binary_search_lessEbEEEE10hipError_tPvRmT1_T2_T3_mmT4_T5_P12ihipStream_tbEUlRKxE_EEST_SX_SY_mSZ_S12_bEUlT_E_NS1_11comp_targetILNS1_3genE10ELNS1_11target_archE1200ELNS1_3gpuE4ELNS1_3repE0EEENS1_30default_config_static_selectorELNS0_4arch9wavefront6targetE0EEEvSW_
                                        ; -- End function
	.set _ZN7rocprim17ROCPRIM_400000_NS6detail17trampoline_kernelINS0_14default_configENS1_29binary_search_config_selectorIxiEEZNS1_14transform_implILb0ES3_S5_N6thrust23THRUST_200600_302600_NS6detail15normal_iteratorINS8_7pointerIxNS8_11hip_rocprim5par_tENS8_11use_defaultESE_EEEENSA_INSB_IiSD_SE_SE_EEEEZNS1_13binary_searchIS3_S5_PxSG_SI_NS1_16binary_search_opENS9_16wrapped_functionINS8_6system6detail7generic6detail18binary_search_lessEbEEEE10hipError_tPvRmT1_T2_T3_mmT4_T5_P12ihipStream_tbEUlRKxE_EEST_SX_SY_mSZ_S12_bEUlT_E_NS1_11comp_targetILNS1_3genE10ELNS1_11target_archE1200ELNS1_3gpuE4ELNS1_3repE0EEENS1_30default_config_static_selectorELNS0_4arch9wavefront6targetE0EEEvSW_.num_vgpr, 0
	.set _ZN7rocprim17ROCPRIM_400000_NS6detail17trampoline_kernelINS0_14default_configENS1_29binary_search_config_selectorIxiEEZNS1_14transform_implILb0ES3_S5_N6thrust23THRUST_200600_302600_NS6detail15normal_iteratorINS8_7pointerIxNS8_11hip_rocprim5par_tENS8_11use_defaultESE_EEEENSA_INSB_IiSD_SE_SE_EEEEZNS1_13binary_searchIS3_S5_PxSG_SI_NS1_16binary_search_opENS9_16wrapped_functionINS8_6system6detail7generic6detail18binary_search_lessEbEEEE10hipError_tPvRmT1_T2_T3_mmT4_T5_P12ihipStream_tbEUlRKxE_EEST_SX_SY_mSZ_S12_bEUlT_E_NS1_11comp_targetILNS1_3genE10ELNS1_11target_archE1200ELNS1_3gpuE4ELNS1_3repE0EEENS1_30default_config_static_selectorELNS0_4arch9wavefront6targetE0EEEvSW_.num_agpr, 0
	.set _ZN7rocprim17ROCPRIM_400000_NS6detail17trampoline_kernelINS0_14default_configENS1_29binary_search_config_selectorIxiEEZNS1_14transform_implILb0ES3_S5_N6thrust23THRUST_200600_302600_NS6detail15normal_iteratorINS8_7pointerIxNS8_11hip_rocprim5par_tENS8_11use_defaultESE_EEEENSA_INSB_IiSD_SE_SE_EEEEZNS1_13binary_searchIS3_S5_PxSG_SI_NS1_16binary_search_opENS9_16wrapped_functionINS8_6system6detail7generic6detail18binary_search_lessEbEEEE10hipError_tPvRmT1_T2_T3_mmT4_T5_P12ihipStream_tbEUlRKxE_EEST_SX_SY_mSZ_S12_bEUlT_E_NS1_11comp_targetILNS1_3genE10ELNS1_11target_archE1200ELNS1_3gpuE4ELNS1_3repE0EEENS1_30default_config_static_selectorELNS0_4arch9wavefront6targetE0EEEvSW_.numbered_sgpr, 0
	.set _ZN7rocprim17ROCPRIM_400000_NS6detail17trampoline_kernelINS0_14default_configENS1_29binary_search_config_selectorIxiEEZNS1_14transform_implILb0ES3_S5_N6thrust23THRUST_200600_302600_NS6detail15normal_iteratorINS8_7pointerIxNS8_11hip_rocprim5par_tENS8_11use_defaultESE_EEEENSA_INSB_IiSD_SE_SE_EEEEZNS1_13binary_searchIS3_S5_PxSG_SI_NS1_16binary_search_opENS9_16wrapped_functionINS8_6system6detail7generic6detail18binary_search_lessEbEEEE10hipError_tPvRmT1_T2_T3_mmT4_T5_P12ihipStream_tbEUlRKxE_EEST_SX_SY_mSZ_S12_bEUlT_E_NS1_11comp_targetILNS1_3genE10ELNS1_11target_archE1200ELNS1_3gpuE4ELNS1_3repE0EEENS1_30default_config_static_selectorELNS0_4arch9wavefront6targetE0EEEvSW_.num_named_barrier, 0
	.set _ZN7rocprim17ROCPRIM_400000_NS6detail17trampoline_kernelINS0_14default_configENS1_29binary_search_config_selectorIxiEEZNS1_14transform_implILb0ES3_S5_N6thrust23THRUST_200600_302600_NS6detail15normal_iteratorINS8_7pointerIxNS8_11hip_rocprim5par_tENS8_11use_defaultESE_EEEENSA_INSB_IiSD_SE_SE_EEEEZNS1_13binary_searchIS3_S5_PxSG_SI_NS1_16binary_search_opENS9_16wrapped_functionINS8_6system6detail7generic6detail18binary_search_lessEbEEEE10hipError_tPvRmT1_T2_T3_mmT4_T5_P12ihipStream_tbEUlRKxE_EEST_SX_SY_mSZ_S12_bEUlT_E_NS1_11comp_targetILNS1_3genE10ELNS1_11target_archE1200ELNS1_3gpuE4ELNS1_3repE0EEENS1_30default_config_static_selectorELNS0_4arch9wavefront6targetE0EEEvSW_.private_seg_size, 0
	.set _ZN7rocprim17ROCPRIM_400000_NS6detail17trampoline_kernelINS0_14default_configENS1_29binary_search_config_selectorIxiEEZNS1_14transform_implILb0ES3_S5_N6thrust23THRUST_200600_302600_NS6detail15normal_iteratorINS8_7pointerIxNS8_11hip_rocprim5par_tENS8_11use_defaultESE_EEEENSA_INSB_IiSD_SE_SE_EEEEZNS1_13binary_searchIS3_S5_PxSG_SI_NS1_16binary_search_opENS9_16wrapped_functionINS8_6system6detail7generic6detail18binary_search_lessEbEEEE10hipError_tPvRmT1_T2_T3_mmT4_T5_P12ihipStream_tbEUlRKxE_EEST_SX_SY_mSZ_S12_bEUlT_E_NS1_11comp_targetILNS1_3genE10ELNS1_11target_archE1200ELNS1_3gpuE4ELNS1_3repE0EEENS1_30default_config_static_selectorELNS0_4arch9wavefront6targetE0EEEvSW_.uses_vcc, 0
	.set _ZN7rocprim17ROCPRIM_400000_NS6detail17trampoline_kernelINS0_14default_configENS1_29binary_search_config_selectorIxiEEZNS1_14transform_implILb0ES3_S5_N6thrust23THRUST_200600_302600_NS6detail15normal_iteratorINS8_7pointerIxNS8_11hip_rocprim5par_tENS8_11use_defaultESE_EEEENSA_INSB_IiSD_SE_SE_EEEEZNS1_13binary_searchIS3_S5_PxSG_SI_NS1_16binary_search_opENS9_16wrapped_functionINS8_6system6detail7generic6detail18binary_search_lessEbEEEE10hipError_tPvRmT1_T2_T3_mmT4_T5_P12ihipStream_tbEUlRKxE_EEST_SX_SY_mSZ_S12_bEUlT_E_NS1_11comp_targetILNS1_3genE10ELNS1_11target_archE1200ELNS1_3gpuE4ELNS1_3repE0EEENS1_30default_config_static_selectorELNS0_4arch9wavefront6targetE0EEEvSW_.uses_flat_scratch, 0
	.set _ZN7rocprim17ROCPRIM_400000_NS6detail17trampoline_kernelINS0_14default_configENS1_29binary_search_config_selectorIxiEEZNS1_14transform_implILb0ES3_S5_N6thrust23THRUST_200600_302600_NS6detail15normal_iteratorINS8_7pointerIxNS8_11hip_rocprim5par_tENS8_11use_defaultESE_EEEENSA_INSB_IiSD_SE_SE_EEEEZNS1_13binary_searchIS3_S5_PxSG_SI_NS1_16binary_search_opENS9_16wrapped_functionINS8_6system6detail7generic6detail18binary_search_lessEbEEEE10hipError_tPvRmT1_T2_T3_mmT4_T5_P12ihipStream_tbEUlRKxE_EEST_SX_SY_mSZ_S12_bEUlT_E_NS1_11comp_targetILNS1_3genE10ELNS1_11target_archE1200ELNS1_3gpuE4ELNS1_3repE0EEENS1_30default_config_static_selectorELNS0_4arch9wavefront6targetE0EEEvSW_.has_dyn_sized_stack, 0
	.set _ZN7rocprim17ROCPRIM_400000_NS6detail17trampoline_kernelINS0_14default_configENS1_29binary_search_config_selectorIxiEEZNS1_14transform_implILb0ES3_S5_N6thrust23THRUST_200600_302600_NS6detail15normal_iteratorINS8_7pointerIxNS8_11hip_rocprim5par_tENS8_11use_defaultESE_EEEENSA_INSB_IiSD_SE_SE_EEEEZNS1_13binary_searchIS3_S5_PxSG_SI_NS1_16binary_search_opENS9_16wrapped_functionINS8_6system6detail7generic6detail18binary_search_lessEbEEEE10hipError_tPvRmT1_T2_T3_mmT4_T5_P12ihipStream_tbEUlRKxE_EEST_SX_SY_mSZ_S12_bEUlT_E_NS1_11comp_targetILNS1_3genE10ELNS1_11target_archE1200ELNS1_3gpuE4ELNS1_3repE0EEENS1_30default_config_static_selectorELNS0_4arch9wavefront6targetE0EEEvSW_.has_recursion, 0
	.set _ZN7rocprim17ROCPRIM_400000_NS6detail17trampoline_kernelINS0_14default_configENS1_29binary_search_config_selectorIxiEEZNS1_14transform_implILb0ES3_S5_N6thrust23THRUST_200600_302600_NS6detail15normal_iteratorINS8_7pointerIxNS8_11hip_rocprim5par_tENS8_11use_defaultESE_EEEENSA_INSB_IiSD_SE_SE_EEEEZNS1_13binary_searchIS3_S5_PxSG_SI_NS1_16binary_search_opENS9_16wrapped_functionINS8_6system6detail7generic6detail18binary_search_lessEbEEEE10hipError_tPvRmT1_T2_T3_mmT4_T5_P12ihipStream_tbEUlRKxE_EEST_SX_SY_mSZ_S12_bEUlT_E_NS1_11comp_targetILNS1_3genE10ELNS1_11target_archE1200ELNS1_3gpuE4ELNS1_3repE0EEENS1_30default_config_static_selectorELNS0_4arch9wavefront6targetE0EEEvSW_.has_indirect_call, 0
	.section	.AMDGPU.csdata,"",@progbits
; Kernel info:
; codeLenInByte = 0
; TotalNumSgprs: 0
; NumVgprs: 0
; ScratchSize: 0
; MemoryBound: 0
; FloatMode: 240
; IeeeMode: 1
; LDSByteSize: 0 bytes/workgroup (compile time only)
; SGPRBlocks: 0
; VGPRBlocks: 0
; NumSGPRsForWavesPerEU: 1
; NumVGPRsForWavesPerEU: 1
; Occupancy: 16
; WaveLimiterHint : 0
; COMPUTE_PGM_RSRC2:SCRATCH_EN: 0
; COMPUTE_PGM_RSRC2:USER_SGPR: 6
; COMPUTE_PGM_RSRC2:TRAP_HANDLER: 0
; COMPUTE_PGM_RSRC2:TGID_X_EN: 1
; COMPUTE_PGM_RSRC2:TGID_Y_EN: 0
; COMPUTE_PGM_RSRC2:TGID_Z_EN: 0
; COMPUTE_PGM_RSRC2:TIDIG_COMP_CNT: 0
	.section	.text._ZN7rocprim17ROCPRIM_400000_NS6detail17trampoline_kernelINS0_14default_configENS1_29binary_search_config_selectorIxiEEZNS1_14transform_implILb0ES3_S5_N6thrust23THRUST_200600_302600_NS6detail15normal_iteratorINS8_7pointerIxNS8_11hip_rocprim5par_tENS8_11use_defaultESE_EEEENSA_INSB_IiSD_SE_SE_EEEEZNS1_13binary_searchIS3_S5_PxSG_SI_NS1_16binary_search_opENS9_16wrapped_functionINS8_6system6detail7generic6detail18binary_search_lessEbEEEE10hipError_tPvRmT1_T2_T3_mmT4_T5_P12ihipStream_tbEUlRKxE_EEST_SX_SY_mSZ_S12_bEUlT_E_NS1_11comp_targetILNS1_3genE9ELNS1_11target_archE1100ELNS1_3gpuE3ELNS1_3repE0EEENS1_30default_config_static_selectorELNS0_4arch9wavefront6targetE0EEEvSW_,"axG",@progbits,_ZN7rocprim17ROCPRIM_400000_NS6detail17trampoline_kernelINS0_14default_configENS1_29binary_search_config_selectorIxiEEZNS1_14transform_implILb0ES3_S5_N6thrust23THRUST_200600_302600_NS6detail15normal_iteratorINS8_7pointerIxNS8_11hip_rocprim5par_tENS8_11use_defaultESE_EEEENSA_INSB_IiSD_SE_SE_EEEEZNS1_13binary_searchIS3_S5_PxSG_SI_NS1_16binary_search_opENS9_16wrapped_functionINS8_6system6detail7generic6detail18binary_search_lessEbEEEE10hipError_tPvRmT1_T2_T3_mmT4_T5_P12ihipStream_tbEUlRKxE_EEST_SX_SY_mSZ_S12_bEUlT_E_NS1_11comp_targetILNS1_3genE9ELNS1_11target_archE1100ELNS1_3gpuE3ELNS1_3repE0EEENS1_30default_config_static_selectorELNS0_4arch9wavefront6targetE0EEEvSW_,comdat
	.protected	_ZN7rocprim17ROCPRIM_400000_NS6detail17trampoline_kernelINS0_14default_configENS1_29binary_search_config_selectorIxiEEZNS1_14transform_implILb0ES3_S5_N6thrust23THRUST_200600_302600_NS6detail15normal_iteratorINS8_7pointerIxNS8_11hip_rocprim5par_tENS8_11use_defaultESE_EEEENSA_INSB_IiSD_SE_SE_EEEEZNS1_13binary_searchIS3_S5_PxSG_SI_NS1_16binary_search_opENS9_16wrapped_functionINS8_6system6detail7generic6detail18binary_search_lessEbEEEE10hipError_tPvRmT1_T2_T3_mmT4_T5_P12ihipStream_tbEUlRKxE_EEST_SX_SY_mSZ_S12_bEUlT_E_NS1_11comp_targetILNS1_3genE9ELNS1_11target_archE1100ELNS1_3gpuE3ELNS1_3repE0EEENS1_30default_config_static_selectorELNS0_4arch9wavefront6targetE0EEEvSW_ ; -- Begin function _ZN7rocprim17ROCPRIM_400000_NS6detail17trampoline_kernelINS0_14default_configENS1_29binary_search_config_selectorIxiEEZNS1_14transform_implILb0ES3_S5_N6thrust23THRUST_200600_302600_NS6detail15normal_iteratorINS8_7pointerIxNS8_11hip_rocprim5par_tENS8_11use_defaultESE_EEEENSA_INSB_IiSD_SE_SE_EEEEZNS1_13binary_searchIS3_S5_PxSG_SI_NS1_16binary_search_opENS9_16wrapped_functionINS8_6system6detail7generic6detail18binary_search_lessEbEEEE10hipError_tPvRmT1_T2_T3_mmT4_T5_P12ihipStream_tbEUlRKxE_EEST_SX_SY_mSZ_S12_bEUlT_E_NS1_11comp_targetILNS1_3genE9ELNS1_11target_archE1100ELNS1_3gpuE3ELNS1_3repE0EEENS1_30default_config_static_selectorELNS0_4arch9wavefront6targetE0EEEvSW_
	.globl	_ZN7rocprim17ROCPRIM_400000_NS6detail17trampoline_kernelINS0_14default_configENS1_29binary_search_config_selectorIxiEEZNS1_14transform_implILb0ES3_S5_N6thrust23THRUST_200600_302600_NS6detail15normal_iteratorINS8_7pointerIxNS8_11hip_rocprim5par_tENS8_11use_defaultESE_EEEENSA_INSB_IiSD_SE_SE_EEEEZNS1_13binary_searchIS3_S5_PxSG_SI_NS1_16binary_search_opENS9_16wrapped_functionINS8_6system6detail7generic6detail18binary_search_lessEbEEEE10hipError_tPvRmT1_T2_T3_mmT4_T5_P12ihipStream_tbEUlRKxE_EEST_SX_SY_mSZ_S12_bEUlT_E_NS1_11comp_targetILNS1_3genE9ELNS1_11target_archE1100ELNS1_3gpuE3ELNS1_3repE0EEENS1_30default_config_static_selectorELNS0_4arch9wavefront6targetE0EEEvSW_
	.p2align	8
	.type	_ZN7rocprim17ROCPRIM_400000_NS6detail17trampoline_kernelINS0_14default_configENS1_29binary_search_config_selectorIxiEEZNS1_14transform_implILb0ES3_S5_N6thrust23THRUST_200600_302600_NS6detail15normal_iteratorINS8_7pointerIxNS8_11hip_rocprim5par_tENS8_11use_defaultESE_EEEENSA_INSB_IiSD_SE_SE_EEEEZNS1_13binary_searchIS3_S5_PxSG_SI_NS1_16binary_search_opENS9_16wrapped_functionINS8_6system6detail7generic6detail18binary_search_lessEbEEEE10hipError_tPvRmT1_T2_T3_mmT4_T5_P12ihipStream_tbEUlRKxE_EEST_SX_SY_mSZ_S12_bEUlT_E_NS1_11comp_targetILNS1_3genE9ELNS1_11target_archE1100ELNS1_3gpuE3ELNS1_3repE0EEENS1_30default_config_static_selectorELNS0_4arch9wavefront6targetE0EEEvSW_,@function
_ZN7rocprim17ROCPRIM_400000_NS6detail17trampoline_kernelINS0_14default_configENS1_29binary_search_config_selectorIxiEEZNS1_14transform_implILb0ES3_S5_N6thrust23THRUST_200600_302600_NS6detail15normal_iteratorINS8_7pointerIxNS8_11hip_rocprim5par_tENS8_11use_defaultESE_EEEENSA_INSB_IiSD_SE_SE_EEEEZNS1_13binary_searchIS3_S5_PxSG_SI_NS1_16binary_search_opENS9_16wrapped_functionINS8_6system6detail7generic6detail18binary_search_lessEbEEEE10hipError_tPvRmT1_T2_T3_mmT4_T5_P12ihipStream_tbEUlRKxE_EEST_SX_SY_mSZ_S12_bEUlT_E_NS1_11comp_targetILNS1_3genE9ELNS1_11target_archE1100ELNS1_3gpuE3ELNS1_3repE0EEENS1_30default_config_static_selectorELNS0_4arch9wavefront6targetE0EEEvSW_: ; @_ZN7rocprim17ROCPRIM_400000_NS6detail17trampoline_kernelINS0_14default_configENS1_29binary_search_config_selectorIxiEEZNS1_14transform_implILb0ES3_S5_N6thrust23THRUST_200600_302600_NS6detail15normal_iteratorINS8_7pointerIxNS8_11hip_rocprim5par_tENS8_11use_defaultESE_EEEENSA_INSB_IiSD_SE_SE_EEEEZNS1_13binary_searchIS3_S5_PxSG_SI_NS1_16binary_search_opENS9_16wrapped_functionINS8_6system6detail7generic6detail18binary_search_lessEbEEEE10hipError_tPvRmT1_T2_T3_mmT4_T5_P12ihipStream_tbEUlRKxE_EEST_SX_SY_mSZ_S12_bEUlT_E_NS1_11comp_targetILNS1_3genE9ELNS1_11target_archE1100ELNS1_3gpuE3ELNS1_3repE0EEENS1_30default_config_static_selectorELNS0_4arch9wavefront6targetE0EEEvSW_
; %bb.0:
	.section	.rodata,"a",@progbits
	.p2align	6, 0x0
	.amdhsa_kernel _ZN7rocprim17ROCPRIM_400000_NS6detail17trampoline_kernelINS0_14default_configENS1_29binary_search_config_selectorIxiEEZNS1_14transform_implILb0ES3_S5_N6thrust23THRUST_200600_302600_NS6detail15normal_iteratorINS8_7pointerIxNS8_11hip_rocprim5par_tENS8_11use_defaultESE_EEEENSA_INSB_IiSD_SE_SE_EEEEZNS1_13binary_searchIS3_S5_PxSG_SI_NS1_16binary_search_opENS9_16wrapped_functionINS8_6system6detail7generic6detail18binary_search_lessEbEEEE10hipError_tPvRmT1_T2_T3_mmT4_T5_P12ihipStream_tbEUlRKxE_EEST_SX_SY_mSZ_S12_bEUlT_E_NS1_11comp_targetILNS1_3genE9ELNS1_11target_archE1100ELNS1_3gpuE3ELNS1_3repE0EEENS1_30default_config_static_selectorELNS0_4arch9wavefront6targetE0EEEvSW_
		.amdhsa_group_segment_fixed_size 0
		.amdhsa_private_segment_fixed_size 0
		.amdhsa_kernarg_size 56
		.amdhsa_user_sgpr_count 6
		.amdhsa_user_sgpr_private_segment_buffer 1
		.amdhsa_user_sgpr_dispatch_ptr 0
		.amdhsa_user_sgpr_queue_ptr 0
		.amdhsa_user_sgpr_kernarg_segment_ptr 1
		.amdhsa_user_sgpr_dispatch_id 0
		.amdhsa_user_sgpr_flat_scratch_init 0
		.amdhsa_user_sgpr_private_segment_size 0
		.amdhsa_wavefront_size32 1
		.amdhsa_uses_dynamic_stack 0
		.amdhsa_system_sgpr_private_segment_wavefront_offset 0
		.amdhsa_system_sgpr_workgroup_id_x 1
		.amdhsa_system_sgpr_workgroup_id_y 0
		.amdhsa_system_sgpr_workgroup_id_z 0
		.amdhsa_system_sgpr_workgroup_info 0
		.amdhsa_system_vgpr_workitem_id 0
		.amdhsa_next_free_vgpr 1
		.amdhsa_next_free_sgpr 1
		.amdhsa_reserve_vcc 0
		.amdhsa_reserve_flat_scratch 0
		.amdhsa_float_round_mode_32 0
		.amdhsa_float_round_mode_16_64 0
		.amdhsa_float_denorm_mode_32 3
		.amdhsa_float_denorm_mode_16_64 3
		.amdhsa_dx10_clamp 1
		.amdhsa_ieee_mode 1
		.amdhsa_fp16_overflow 0
		.amdhsa_workgroup_processor_mode 1
		.amdhsa_memory_ordered 1
		.amdhsa_forward_progress 1
		.amdhsa_shared_vgpr_count 0
		.amdhsa_exception_fp_ieee_invalid_op 0
		.amdhsa_exception_fp_denorm_src 0
		.amdhsa_exception_fp_ieee_div_zero 0
		.amdhsa_exception_fp_ieee_overflow 0
		.amdhsa_exception_fp_ieee_underflow 0
		.amdhsa_exception_fp_ieee_inexact 0
		.amdhsa_exception_int_div_zero 0
	.end_amdhsa_kernel
	.section	.text._ZN7rocprim17ROCPRIM_400000_NS6detail17trampoline_kernelINS0_14default_configENS1_29binary_search_config_selectorIxiEEZNS1_14transform_implILb0ES3_S5_N6thrust23THRUST_200600_302600_NS6detail15normal_iteratorINS8_7pointerIxNS8_11hip_rocprim5par_tENS8_11use_defaultESE_EEEENSA_INSB_IiSD_SE_SE_EEEEZNS1_13binary_searchIS3_S5_PxSG_SI_NS1_16binary_search_opENS9_16wrapped_functionINS8_6system6detail7generic6detail18binary_search_lessEbEEEE10hipError_tPvRmT1_T2_T3_mmT4_T5_P12ihipStream_tbEUlRKxE_EEST_SX_SY_mSZ_S12_bEUlT_E_NS1_11comp_targetILNS1_3genE9ELNS1_11target_archE1100ELNS1_3gpuE3ELNS1_3repE0EEENS1_30default_config_static_selectorELNS0_4arch9wavefront6targetE0EEEvSW_,"axG",@progbits,_ZN7rocprim17ROCPRIM_400000_NS6detail17trampoline_kernelINS0_14default_configENS1_29binary_search_config_selectorIxiEEZNS1_14transform_implILb0ES3_S5_N6thrust23THRUST_200600_302600_NS6detail15normal_iteratorINS8_7pointerIxNS8_11hip_rocprim5par_tENS8_11use_defaultESE_EEEENSA_INSB_IiSD_SE_SE_EEEEZNS1_13binary_searchIS3_S5_PxSG_SI_NS1_16binary_search_opENS9_16wrapped_functionINS8_6system6detail7generic6detail18binary_search_lessEbEEEE10hipError_tPvRmT1_T2_T3_mmT4_T5_P12ihipStream_tbEUlRKxE_EEST_SX_SY_mSZ_S12_bEUlT_E_NS1_11comp_targetILNS1_3genE9ELNS1_11target_archE1100ELNS1_3gpuE3ELNS1_3repE0EEENS1_30default_config_static_selectorELNS0_4arch9wavefront6targetE0EEEvSW_,comdat
.Lfunc_end300:
	.size	_ZN7rocprim17ROCPRIM_400000_NS6detail17trampoline_kernelINS0_14default_configENS1_29binary_search_config_selectorIxiEEZNS1_14transform_implILb0ES3_S5_N6thrust23THRUST_200600_302600_NS6detail15normal_iteratorINS8_7pointerIxNS8_11hip_rocprim5par_tENS8_11use_defaultESE_EEEENSA_INSB_IiSD_SE_SE_EEEEZNS1_13binary_searchIS3_S5_PxSG_SI_NS1_16binary_search_opENS9_16wrapped_functionINS8_6system6detail7generic6detail18binary_search_lessEbEEEE10hipError_tPvRmT1_T2_T3_mmT4_T5_P12ihipStream_tbEUlRKxE_EEST_SX_SY_mSZ_S12_bEUlT_E_NS1_11comp_targetILNS1_3genE9ELNS1_11target_archE1100ELNS1_3gpuE3ELNS1_3repE0EEENS1_30default_config_static_selectorELNS0_4arch9wavefront6targetE0EEEvSW_, .Lfunc_end300-_ZN7rocprim17ROCPRIM_400000_NS6detail17trampoline_kernelINS0_14default_configENS1_29binary_search_config_selectorIxiEEZNS1_14transform_implILb0ES3_S5_N6thrust23THRUST_200600_302600_NS6detail15normal_iteratorINS8_7pointerIxNS8_11hip_rocprim5par_tENS8_11use_defaultESE_EEEENSA_INSB_IiSD_SE_SE_EEEEZNS1_13binary_searchIS3_S5_PxSG_SI_NS1_16binary_search_opENS9_16wrapped_functionINS8_6system6detail7generic6detail18binary_search_lessEbEEEE10hipError_tPvRmT1_T2_T3_mmT4_T5_P12ihipStream_tbEUlRKxE_EEST_SX_SY_mSZ_S12_bEUlT_E_NS1_11comp_targetILNS1_3genE9ELNS1_11target_archE1100ELNS1_3gpuE3ELNS1_3repE0EEENS1_30default_config_static_selectorELNS0_4arch9wavefront6targetE0EEEvSW_
                                        ; -- End function
	.set _ZN7rocprim17ROCPRIM_400000_NS6detail17trampoline_kernelINS0_14default_configENS1_29binary_search_config_selectorIxiEEZNS1_14transform_implILb0ES3_S5_N6thrust23THRUST_200600_302600_NS6detail15normal_iteratorINS8_7pointerIxNS8_11hip_rocprim5par_tENS8_11use_defaultESE_EEEENSA_INSB_IiSD_SE_SE_EEEEZNS1_13binary_searchIS3_S5_PxSG_SI_NS1_16binary_search_opENS9_16wrapped_functionINS8_6system6detail7generic6detail18binary_search_lessEbEEEE10hipError_tPvRmT1_T2_T3_mmT4_T5_P12ihipStream_tbEUlRKxE_EEST_SX_SY_mSZ_S12_bEUlT_E_NS1_11comp_targetILNS1_3genE9ELNS1_11target_archE1100ELNS1_3gpuE3ELNS1_3repE0EEENS1_30default_config_static_selectorELNS0_4arch9wavefront6targetE0EEEvSW_.num_vgpr, 0
	.set _ZN7rocprim17ROCPRIM_400000_NS6detail17trampoline_kernelINS0_14default_configENS1_29binary_search_config_selectorIxiEEZNS1_14transform_implILb0ES3_S5_N6thrust23THRUST_200600_302600_NS6detail15normal_iteratorINS8_7pointerIxNS8_11hip_rocprim5par_tENS8_11use_defaultESE_EEEENSA_INSB_IiSD_SE_SE_EEEEZNS1_13binary_searchIS3_S5_PxSG_SI_NS1_16binary_search_opENS9_16wrapped_functionINS8_6system6detail7generic6detail18binary_search_lessEbEEEE10hipError_tPvRmT1_T2_T3_mmT4_T5_P12ihipStream_tbEUlRKxE_EEST_SX_SY_mSZ_S12_bEUlT_E_NS1_11comp_targetILNS1_3genE9ELNS1_11target_archE1100ELNS1_3gpuE3ELNS1_3repE0EEENS1_30default_config_static_selectorELNS0_4arch9wavefront6targetE0EEEvSW_.num_agpr, 0
	.set _ZN7rocprim17ROCPRIM_400000_NS6detail17trampoline_kernelINS0_14default_configENS1_29binary_search_config_selectorIxiEEZNS1_14transform_implILb0ES3_S5_N6thrust23THRUST_200600_302600_NS6detail15normal_iteratorINS8_7pointerIxNS8_11hip_rocprim5par_tENS8_11use_defaultESE_EEEENSA_INSB_IiSD_SE_SE_EEEEZNS1_13binary_searchIS3_S5_PxSG_SI_NS1_16binary_search_opENS9_16wrapped_functionINS8_6system6detail7generic6detail18binary_search_lessEbEEEE10hipError_tPvRmT1_T2_T3_mmT4_T5_P12ihipStream_tbEUlRKxE_EEST_SX_SY_mSZ_S12_bEUlT_E_NS1_11comp_targetILNS1_3genE9ELNS1_11target_archE1100ELNS1_3gpuE3ELNS1_3repE0EEENS1_30default_config_static_selectorELNS0_4arch9wavefront6targetE0EEEvSW_.numbered_sgpr, 0
	.set _ZN7rocprim17ROCPRIM_400000_NS6detail17trampoline_kernelINS0_14default_configENS1_29binary_search_config_selectorIxiEEZNS1_14transform_implILb0ES3_S5_N6thrust23THRUST_200600_302600_NS6detail15normal_iteratorINS8_7pointerIxNS8_11hip_rocprim5par_tENS8_11use_defaultESE_EEEENSA_INSB_IiSD_SE_SE_EEEEZNS1_13binary_searchIS3_S5_PxSG_SI_NS1_16binary_search_opENS9_16wrapped_functionINS8_6system6detail7generic6detail18binary_search_lessEbEEEE10hipError_tPvRmT1_T2_T3_mmT4_T5_P12ihipStream_tbEUlRKxE_EEST_SX_SY_mSZ_S12_bEUlT_E_NS1_11comp_targetILNS1_3genE9ELNS1_11target_archE1100ELNS1_3gpuE3ELNS1_3repE0EEENS1_30default_config_static_selectorELNS0_4arch9wavefront6targetE0EEEvSW_.num_named_barrier, 0
	.set _ZN7rocprim17ROCPRIM_400000_NS6detail17trampoline_kernelINS0_14default_configENS1_29binary_search_config_selectorIxiEEZNS1_14transform_implILb0ES3_S5_N6thrust23THRUST_200600_302600_NS6detail15normal_iteratorINS8_7pointerIxNS8_11hip_rocprim5par_tENS8_11use_defaultESE_EEEENSA_INSB_IiSD_SE_SE_EEEEZNS1_13binary_searchIS3_S5_PxSG_SI_NS1_16binary_search_opENS9_16wrapped_functionINS8_6system6detail7generic6detail18binary_search_lessEbEEEE10hipError_tPvRmT1_T2_T3_mmT4_T5_P12ihipStream_tbEUlRKxE_EEST_SX_SY_mSZ_S12_bEUlT_E_NS1_11comp_targetILNS1_3genE9ELNS1_11target_archE1100ELNS1_3gpuE3ELNS1_3repE0EEENS1_30default_config_static_selectorELNS0_4arch9wavefront6targetE0EEEvSW_.private_seg_size, 0
	.set _ZN7rocprim17ROCPRIM_400000_NS6detail17trampoline_kernelINS0_14default_configENS1_29binary_search_config_selectorIxiEEZNS1_14transform_implILb0ES3_S5_N6thrust23THRUST_200600_302600_NS6detail15normal_iteratorINS8_7pointerIxNS8_11hip_rocprim5par_tENS8_11use_defaultESE_EEEENSA_INSB_IiSD_SE_SE_EEEEZNS1_13binary_searchIS3_S5_PxSG_SI_NS1_16binary_search_opENS9_16wrapped_functionINS8_6system6detail7generic6detail18binary_search_lessEbEEEE10hipError_tPvRmT1_T2_T3_mmT4_T5_P12ihipStream_tbEUlRKxE_EEST_SX_SY_mSZ_S12_bEUlT_E_NS1_11comp_targetILNS1_3genE9ELNS1_11target_archE1100ELNS1_3gpuE3ELNS1_3repE0EEENS1_30default_config_static_selectorELNS0_4arch9wavefront6targetE0EEEvSW_.uses_vcc, 0
	.set _ZN7rocprim17ROCPRIM_400000_NS6detail17trampoline_kernelINS0_14default_configENS1_29binary_search_config_selectorIxiEEZNS1_14transform_implILb0ES3_S5_N6thrust23THRUST_200600_302600_NS6detail15normal_iteratorINS8_7pointerIxNS8_11hip_rocprim5par_tENS8_11use_defaultESE_EEEENSA_INSB_IiSD_SE_SE_EEEEZNS1_13binary_searchIS3_S5_PxSG_SI_NS1_16binary_search_opENS9_16wrapped_functionINS8_6system6detail7generic6detail18binary_search_lessEbEEEE10hipError_tPvRmT1_T2_T3_mmT4_T5_P12ihipStream_tbEUlRKxE_EEST_SX_SY_mSZ_S12_bEUlT_E_NS1_11comp_targetILNS1_3genE9ELNS1_11target_archE1100ELNS1_3gpuE3ELNS1_3repE0EEENS1_30default_config_static_selectorELNS0_4arch9wavefront6targetE0EEEvSW_.uses_flat_scratch, 0
	.set _ZN7rocprim17ROCPRIM_400000_NS6detail17trampoline_kernelINS0_14default_configENS1_29binary_search_config_selectorIxiEEZNS1_14transform_implILb0ES3_S5_N6thrust23THRUST_200600_302600_NS6detail15normal_iteratorINS8_7pointerIxNS8_11hip_rocprim5par_tENS8_11use_defaultESE_EEEENSA_INSB_IiSD_SE_SE_EEEEZNS1_13binary_searchIS3_S5_PxSG_SI_NS1_16binary_search_opENS9_16wrapped_functionINS8_6system6detail7generic6detail18binary_search_lessEbEEEE10hipError_tPvRmT1_T2_T3_mmT4_T5_P12ihipStream_tbEUlRKxE_EEST_SX_SY_mSZ_S12_bEUlT_E_NS1_11comp_targetILNS1_3genE9ELNS1_11target_archE1100ELNS1_3gpuE3ELNS1_3repE0EEENS1_30default_config_static_selectorELNS0_4arch9wavefront6targetE0EEEvSW_.has_dyn_sized_stack, 0
	.set _ZN7rocprim17ROCPRIM_400000_NS6detail17trampoline_kernelINS0_14default_configENS1_29binary_search_config_selectorIxiEEZNS1_14transform_implILb0ES3_S5_N6thrust23THRUST_200600_302600_NS6detail15normal_iteratorINS8_7pointerIxNS8_11hip_rocprim5par_tENS8_11use_defaultESE_EEEENSA_INSB_IiSD_SE_SE_EEEEZNS1_13binary_searchIS3_S5_PxSG_SI_NS1_16binary_search_opENS9_16wrapped_functionINS8_6system6detail7generic6detail18binary_search_lessEbEEEE10hipError_tPvRmT1_T2_T3_mmT4_T5_P12ihipStream_tbEUlRKxE_EEST_SX_SY_mSZ_S12_bEUlT_E_NS1_11comp_targetILNS1_3genE9ELNS1_11target_archE1100ELNS1_3gpuE3ELNS1_3repE0EEENS1_30default_config_static_selectorELNS0_4arch9wavefront6targetE0EEEvSW_.has_recursion, 0
	.set _ZN7rocprim17ROCPRIM_400000_NS6detail17trampoline_kernelINS0_14default_configENS1_29binary_search_config_selectorIxiEEZNS1_14transform_implILb0ES3_S5_N6thrust23THRUST_200600_302600_NS6detail15normal_iteratorINS8_7pointerIxNS8_11hip_rocprim5par_tENS8_11use_defaultESE_EEEENSA_INSB_IiSD_SE_SE_EEEEZNS1_13binary_searchIS3_S5_PxSG_SI_NS1_16binary_search_opENS9_16wrapped_functionINS8_6system6detail7generic6detail18binary_search_lessEbEEEE10hipError_tPvRmT1_T2_T3_mmT4_T5_P12ihipStream_tbEUlRKxE_EEST_SX_SY_mSZ_S12_bEUlT_E_NS1_11comp_targetILNS1_3genE9ELNS1_11target_archE1100ELNS1_3gpuE3ELNS1_3repE0EEENS1_30default_config_static_selectorELNS0_4arch9wavefront6targetE0EEEvSW_.has_indirect_call, 0
	.section	.AMDGPU.csdata,"",@progbits
; Kernel info:
; codeLenInByte = 0
; TotalNumSgprs: 0
; NumVgprs: 0
; ScratchSize: 0
; MemoryBound: 0
; FloatMode: 240
; IeeeMode: 1
; LDSByteSize: 0 bytes/workgroup (compile time only)
; SGPRBlocks: 0
; VGPRBlocks: 0
; NumSGPRsForWavesPerEU: 1
; NumVGPRsForWavesPerEU: 1
; Occupancy: 16
; WaveLimiterHint : 0
; COMPUTE_PGM_RSRC2:SCRATCH_EN: 0
; COMPUTE_PGM_RSRC2:USER_SGPR: 6
; COMPUTE_PGM_RSRC2:TRAP_HANDLER: 0
; COMPUTE_PGM_RSRC2:TGID_X_EN: 1
; COMPUTE_PGM_RSRC2:TGID_Y_EN: 0
; COMPUTE_PGM_RSRC2:TGID_Z_EN: 0
; COMPUTE_PGM_RSRC2:TIDIG_COMP_CNT: 0
	.section	.text._ZN7rocprim17ROCPRIM_400000_NS6detail17trampoline_kernelINS0_14default_configENS1_29binary_search_config_selectorIxiEEZNS1_14transform_implILb0ES3_S5_N6thrust23THRUST_200600_302600_NS6detail15normal_iteratorINS8_7pointerIxNS8_11hip_rocprim5par_tENS8_11use_defaultESE_EEEENSA_INSB_IiSD_SE_SE_EEEEZNS1_13binary_searchIS3_S5_PxSG_SI_NS1_16binary_search_opENS9_16wrapped_functionINS8_6system6detail7generic6detail18binary_search_lessEbEEEE10hipError_tPvRmT1_T2_T3_mmT4_T5_P12ihipStream_tbEUlRKxE_EEST_SX_SY_mSZ_S12_bEUlT_E_NS1_11comp_targetILNS1_3genE8ELNS1_11target_archE1030ELNS1_3gpuE2ELNS1_3repE0EEENS1_30default_config_static_selectorELNS0_4arch9wavefront6targetE0EEEvSW_,"axG",@progbits,_ZN7rocprim17ROCPRIM_400000_NS6detail17trampoline_kernelINS0_14default_configENS1_29binary_search_config_selectorIxiEEZNS1_14transform_implILb0ES3_S5_N6thrust23THRUST_200600_302600_NS6detail15normal_iteratorINS8_7pointerIxNS8_11hip_rocprim5par_tENS8_11use_defaultESE_EEEENSA_INSB_IiSD_SE_SE_EEEEZNS1_13binary_searchIS3_S5_PxSG_SI_NS1_16binary_search_opENS9_16wrapped_functionINS8_6system6detail7generic6detail18binary_search_lessEbEEEE10hipError_tPvRmT1_T2_T3_mmT4_T5_P12ihipStream_tbEUlRKxE_EEST_SX_SY_mSZ_S12_bEUlT_E_NS1_11comp_targetILNS1_3genE8ELNS1_11target_archE1030ELNS1_3gpuE2ELNS1_3repE0EEENS1_30default_config_static_selectorELNS0_4arch9wavefront6targetE0EEEvSW_,comdat
	.protected	_ZN7rocprim17ROCPRIM_400000_NS6detail17trampoline_kernelINS0_14default_configENS1_29binary_search_config_selectorIxiEEZNS1_14transform_implILb0ES3_S5_N6thrust23THRUST_200600_302600_NS6detail15normal_iteratorINS8_7pointerIxNS8_11hip_rocprim5par_tENS8_11use_defaultESE_EEEENSA_INSB_IiSD_SE_SE_EEEEZNS1_13binary_searchIS3_S5_PxSG_SI_NS1_16binary_search_opENS9_16wrapped_functionINS8_6system6detail7generic6detail18binary_search_lessEbEEEE10hipError_tPvRmT1_T2_T3_mmT4_T5_P12ihipStream_tbEUlRKxE_EEST_SX_SY_mSZ_S12_bEUlT_E_NS1_11comp_targetILNS1_3genE8ELNS1_11target_archE1030ELNS1_3gpuE2ELNS1_3repE0EEENS1_30default_config_static_selectorELNS0_4arch9wavefront6targetE0EEEvSW_ ; -- Begin function _ZN7rocprim17ROCPRIM_400000_NS6detail17trampoline_kernelINS0_14default_configENS1_29binary_search_config_selectorIxiEEZNS1_14transform_implILb0ES3_S5_N6thrust23THRUST_200600_302600_NS6detail15normal_iteratorINS8_7pointerIxNS8_11hip_rocprim5par_tENS8_11use_defaultESE_EEEENSA_INSB_IiSD_SE_SE_EEEEZNS1_13binary_searchIS3_S5_PxSG_SI_NS1_16binary_search_opENS9_16wrapped_functionINS8_6system6detail7generic6detail18binary_search_lessEbEEEE10hipError_tPvRmT1_T2_T3_mmT4_T5_P12ihipStream_tbEUlRKxE_EEST_SX_SY_mSZ_S12_bEUlT_E_NS1_11comp_targetILNS1_3genE8ELNS1_11target_archE1030ELNS1_3gpuE2ELNS1_3repE0EEENS1_30default_config_static_selectorELNS0_4arch9wavefront6targetE0EEEvSW_
	.globl	_ZN7rocprim17ROCPRIM_400000_NS6detail17trampoline_kernelINS0_14default_configENS1_29binary_search_config_selectorIxiEEZNS1_14transform_implILb0ES3_S5_N6thrust23THRUST_200600_302600_NS6detail15normal_iteratorINS8_7pointerIxNS8_11hip_rocprim5par_tENS8_11use_defaultESE_EEEENSA_INSB_IiSD_SE_SE_EEEEZNS1_13binary_searchIS3_S5_PxSG_SI_NS1_16binary_search_opENS9_16wrapped_functionINS8_6system6detail7generic6detail18binary_search_lessEbEEEE10hipError_tPvRmT1_T2_T3_mmT4_T5_P12ihipStream_tbEUlRKxE_EEST_SX_SY_mSZ_S12_bEUlT_E_NS1_11comp_targetILNS1_3genE8ELNS1_11target_archE1030ELNS1_3gpuE2ELNS1_3repE0EEENS1_30default_config_static_selectorELNS0_4arch9wavefront6targetE0EEEvSW_
	.p2align	8
	.type	_ZN7rocprim17ROCPRIM_400000_NS6detail17trampoline_kernelINS0_14default_configENS1_29binary_search_config_selectorIxiEEZNS1_14transform_implILb0ES3_S5_N6thrust23THRUST_200600_302600_NS6detail15normal_iteratorINS8_7pointerIxNS8_11hip_rocprim5par_tENS8_11use_defaultESE_EEEENSA_INSB_IiSD_SE_SE_EEEEZNS1_13binary_searchIS3_S5_PxSG_SI_NS1_16binary_search_opENS9_16wrapped_functionINS8_6system6detail7generic6detail18binary_search_lessEbEEEE10hipError_tPvRmT1_T2_T3_mmT4_T5_P12ihipStream_tbEUlRKxE_EEST_SX_SY_mSZ_S12_bEUlT_E_NS1_11comp_targetILNS1_3genE8ELNS1_11target_archE1030ELNS1_3gpuE2ELNS1_3repE0EEENS1_30default_config_static_selectorELNS0_4arch9wavefront6targetE0EEEvSW_,@function
_ZN7rocprim17ROCPRIM_400000_NS6detail17trampoline_kernelINS0_14default_configENS1_29binary_search_config_selectorIxiEEZNS1_14transform_implILb0ES3_S5_N6thrust23THRUST_200600_302600_NS6detail15normal_iteratorINS8_7pointerIxNS8_11hip_rocprim5par_tENS8_11use_defaultESE_EEEENSA_INSB_IiSD_SE_SE_EEEEZNS1_13binary_searchIS3_S5_PxSG_SI_NS1_16binary_search_opENS9_16wrapped_functionINS8_6system6detail7generic6detail18binary_search_lessEbEEEE10hipError_tPvRmT1_T2_T3_mmT4_T5_P12ihipStream_tbEUlRKxE_EEST_SX_SY_mSZ_S12_bEUlT_E_NS1_11comp_targetILNS1_3genE8ELNS1_11target_archE1030ELNS1_3gpuE2ELNS1_3repE0EEENS1_30default_config_static_selectorELNS0_4arch9wavefront6targetE0EEEvSW_: ; @_ZN7rocprim17ROCPRIM_400000_NS6detail17trampoline_kernelINS0_14default_configENS1_29binary_search_config_selectorIxiEEZNS1_14transform_implILb0ES3_S5_N6thrust23THRUST_200600_302600_NS6detail15normal_iteratorINS8_7pointerIxNS8_11hip_rocprim5par_tENS8_11use_defaultESE_EEEENSA_INSB_IiSD_SE_SE_EEEEZNS1_13binary_searchIS3_S5_PxSG_SI_NS1_16binary_search_opENS9_16wrapped_functionINS8_6system6detail7generic6detail18binary_search_lessEbEEEE10hipError_tPvRmT1_T2_T3_mmT4_T5_P12ihipStream_tbEUlRKxE_EEST_SX_SY_mSZ_S12_bEUlT_E_NS1_11comp_targetILNS1_3genE8ELNS1_11target_archE1030ELNS1_3gpuE2ELNS1_3repE0EEENS1_30default_config_static_selectorELNS0_4arch9wavefront6targetE0EEEvSW_
; %bb.0:
	s_clause 0x3
	s_load_dwordx4 s[0:3], s[4:5], 0x0
	s_load_dword s12, s[4:5], 0x38
	s_load_dwordx2 s[14:15], s[4:5], 0x28
	s_load_dwordx4 s[8:11], s[4:5], 0x18
	s_mov_b32 s13, 0
	s_mov_b32 s17, -1
                                        ; kill: def $vgpr0 killed $vgpr0 def $vgpr1
                                        ; implicit-def: $vgpr2_vgpr3
                                        ; implicit-def: $vgpr4_vgpr5
	s_waitcnt lgkmcnt(0)
	s_lshl_b64 s[18:19], s[2:3], 3
	s_add_u32 s7, s0, s18
	s_addc_u32 s16, s1, s19
	s_add_i32 s0, s12, -1
	s_lshl_b32 s12, s6, 8
	s_cmp_lg_u32 s6, s0
	s_mov_b32 s6, s13
	s_mov_b32 s1, s13
	s_cbranch_scc1 .LBB301_5
; %bb.1:
	s_and_b32 vcc_lo, exec_lo, s17
	s_cbranch_vccnz .LBB301_10
.LBB301_2:
	v_mov_b32_e32 v6, 0
	s_and_saveexec_b32 s0, s6
	s_cbranch_execnz .LBB301_17
.LBB301_3:
	s_or_b32 exec_lo, exec_lo, s0
	s_and_saveexec_b32 s0, s1
	s_cbranch_execnz .LBB301_18
.LBB301_4:
	s_endpgm
.LBB301_5:
	v_lshlrev_b32_e32 v1, 3, v0
	s_lshl_b64 s[0:1], s[12:13], 3
	v_mov_b32_e32 v4, 0
	s_add_u32 s0, s7, s0
	s_addc_u32 s1, s16, s1
	v_add_co_u32 v1, s0, s0, v1
	v_add_co_ci_u32_e64 v2, null, s1, 0, s0
	v_mov_b32_e32 v5, 0
	s_cmp_eq_u64 s[14:15], 0
	flat_load_dwordx2 v[2:3], v[1:2]
	v_mov_b32_e32 v1, 0
	s_cbranch_scc1 .LBB301_9
; %bb.6:
	v_mov_b32_e32 v6, s14
	v_mov_b32_e32 v7, s15
	s_mov_b32 s1, 0
	s_inst_prefetch 0x1
	.p2align	6
.LBB301_7:                              ; =>This Inner Loop Header: Depth=1
	v_sub_co_u32 v8, vcc_lo, v6, v4
	v_sub_co_ci_u32_e64 v9, null, v7, v5, vcc_lo
	v_lshrrev_b64 v[10:11], 1, v[8:9]
	v_lshrrev_b64 v[8:9], 6, v[8:9]
	v_add_co_u32 v10, vcc_lo, v10, v4
	v_add_co_ci_u32_e64 v11, null, v11, v5, vcc_lo
	v_add_co_u32 v8, vcc_lo, v10, v8
	v_add_co_ci_u32_e64 v9, null, v11, v9, vcc_lo
	v_lshlrev_b64 v[10:11], 3, v[8:9]
	v_add_co_u32 v10, vcc_lo, s10, v10
	v_add_co_ci_u32_e64 v11, null, s11, v11, vcc_lo
	v_add_co_u32 v12, vcc_lo, v8, 1
	global_load_dwordx2 v[10:11], v[10:11], off
	s_waitcnt vmcnt(0) lgkmcnt(0)
	v_cmp_lt_i64_e64 s0, v[10:11], v[2:3]
	v_add_co_ci_u32_e64 v10, null, 0, v9, vcc_lo
	v_cndmask_b32_e64 v7, v9, v7, s0
	v_cndmask_b32_e64 v6, v8, v6, s0
	;; [unrolled: 1-line block ×4, first 2 shown]
	v_cmp_ge_u64_e32 vcc_lo, v[4:5], v[6:7]
	s_or_b32 s1, vcc_lo, s1
	s_andn2_b32 exec_lo, exec_lo, s1
	s_cbranch_execnz .LBB301_7
; %bb.8:
	s_inst_prefetch 0x2
	s_or_b32 exec_lo, exec_lo, s1
.LBB301_9:
	v_cmp_eq_u64_e64 s1, s[14:15], v[4:5]
	v_cmp_ne_u64_e64 s6, s[14:15], v[4:5]
	s_branch .LBB301_2
.LBB301_10:
	s_load_dword s0, s[4:5], 0x10
	s_mov_b32 s4, exec_lo
                                        ; implicit-def: $vgpr2_vgpr3
                                        ; implicit-def: $vgpr4_vgpr5
	s_waitcnt lgkmcnt(0)
	s_sub_i32 s0, s0, s12
	v_cmpx_gt_u32_e64 s0, v0
	s_cbranch_execz .LBB301_16
; %bb.11:
	v_lshlrev_b32_e32 v1, 3, v0
	s_lshl_b64 s[18:19], s[12:13], 3
	v_mov_b32_e32 v4, 0
	s_add_u32 s0, s7, s18
	s_addc_u32 s5, s16, s19
	v_add_co_u32 v1, s0, s0, v1
	s_waitcnt vmcnt(0)
	v_add_co_ci_u32_e64 v2, null, s5, 0, s0
	v_mov_b32_e32 v5, 0
	s_cmp_eq_u64 s[14:15], 0
	flat_load_dwordx2 v[2:3], v[1:2]
	v_mov_b32_e32 v1, 0
	s_cbranch_scc1 .LBB301_15
; %bb.12:
	v_mov_b32_e32 v6, s14
	v_mov_b32_e32 v7, s15
	s_mov_b32 s5, 0
	s_inst_prefetch 0x1
	.p2align	6
.LBB301_13:                             ; =>This Inner Loop Header: Depth=1
	v_sub_co_u32 v8, vcc_lo, v6, v4
	v_sub_co_ci_u32_e64 v9, null, v7, v5, vcc_lo
	v_lshrrev_b64 v[10:11], 1, v[8:9]
	v_lshrrev_b64 v[8:9], 6, v[8:9]
	v_add_co_u32 v10, vcc_lo, v10, v4
	v_add_co_ci_u32_e64 v11, null, v11, v5, vcc_lo
	v_add_co_u32 v8, vcc_lo, v10, v8
	v_add_co_ci_u32_e64 v9, null, v11, v9, vcc_lo
	v_lshlrev_b64 v[10:11], 3, v[8:9]
	v_add_co_u32 v10, vcc_lo, s10, v10
	v_add_co_ci_u32_e64 v11, null, s11, v11, vcc_lo
	v_add_co_u32 v12, vcc_lo, v8, 1
	global_load_dwordx2 v[10:11], v[10:11], off
	s_waitcnt vmcnt(0) lgkmcnt(0)
	v_cmp_lt_i64_e64 s0, v[10:11], v[2:3]
	v_add_co_ci_u32_e64 v10, null, 0, v9, vcc_lo
	v_cndmask_b32_e64 v7, v9, v7, s0
	v_cndmask_b32_e64 v6, v8, v6, s0
	;; [unrolled: 1-line block ×4, first 2 shown]
	v_cmp_ge_u64_e32 vcc_lo, v[4:5], v[6:7]
	s_or_b32 s5, vcc_lo, s5
	s_andn2_b32 exec_lo, exec_lo, s5
	s_cbranch_execnz .LBB301_13
; %bb.14:
	s_inst_prefetch 0x2
	s_or_b32 exec_lo, exec_lo, s5
.LBB301_15:
	v_cmp_eq_u64_e32 vcc_lo, s[14:15], v[4:5]
	v_cmp_ne_u64_e64 s0, s[14:15], v[4:5]
	s_andn2_b32 s1, s1, exec_lo
	s_andn2_b32 s5, s6, exec_lo
	s_and_b32 s6, vcc_lo, exec_lo
	s_and_b32 s0, s0, exec_lo
	s_or_b32 s1, s1, s6
	s_or_b32 s6, s5, s0
.LBB301_16:
	s_or_b32 exec_lo, exec_lo, s4
	v_mov_b32_e32 v6, 0
	s_and_saveexec_b32 s0, s6
	s_cbranch_execz .LBB301_3
.LBB301_17:
	v_lshlrev_b64 v[4:5], 3, v[4:5]
	s_or_b32 s1, s1, exec_lo
	v_add_co_u32 v4, vcc_lo, s10, v4
	v_add_co_ci_u32_e64 v5, null, s11, v5, vcc_lo
	global_load_dwordx2 v[4:5], v[4:5], off
	s_waitcnt vmcnt(0) lgkmcnt(0)
	v_cmp_ge_i64_e32 vcc_lo, v[2:3], v[4:5]
	v_cndmask_b32_e64 v6, 0, 1, vcc_lo
	s_or_b32 exec_lo, exec_lo, s0
	s_and_saveexec_b32 s0, s1
	s_cbranch_execz .LBB301_4
.LBB301_18:
	s_lshl_b64 s[0:1], s[2:3], 2
	v_lshlrev_b64 v[0:1], 2, v[0:1]
	s_add_u32 s2, s8, s0
	s_addc_u32 s3, s9, s1
	s_lshl_b64 s[0:1], s[12:13], 2
	s_add_u32 s0, s2, s0
	s_addc_u32 s1, s3, s1
	v_add_co_u32 v0, vcc_lo, s0, v0
	v_add_co_ci_u32_e64 v1, null, s1, v1, vcc_lo
	flat_store_dword v[0:1], v6
	s_endpgm
	.section	.rodata,"a",@progbits
	.p2align	6, 0x0
	.amdhsa_kernel _ZN7rocprim17ROCPRIM_400000_NS6detail17trampoline_kernelINS0_14default_configENS1_29binary_search_config_selectorIxiEEZNS1_14transform_implILb0ES3_S5_N6thrust23THRUST_200600_302600_NS6detail15normal_iteratorINS8_7pointerIxNS8_11hip_rocprim5par_tENS8_11use_defaultESE_EEEENSA_INSB_IiSD_SE_SE_EEEEZNS1_13binary_searchIS3_S5_PxSG_SI_NS1_16binary_search_opENS9_16wrapped_functionINS8_6system6detail7generic6detail18binary_search_lessEbEEEE10hipError_tPvRmT1_T2_T3_mmT4_T5_P12ihipStream_tbEUlRKxE_EEST_SX_SY_mSZ_S12_bEUlT_E_NS1_11comp_targetILNS1_3genE8ELNS1_11target_archE1030ELNS1_3gpuE2ELNS1_3repE0EEENS1_30default_config_static_selectorELNS0_4arch9wavefront6targetE0EEEvSW_
		.amdhsa_group_segment_fixed_size 0
		.amdhsa_private_segment_fixed_size 0
		.amdhsa_kernarg_size 312
		.amdhsa_user_sgpr_count 6
		.amdhsa_user_sgpr_private_segment_buffer 1
		.amdhsa_user_sgpr_dispatch_ptr 0
		.amdhsa_user_sgpr_queue_ptr 0
		.amdhsa_user_sgpr_kernarg_segment_ptr 1
		.amdhsa_user_sgpr_dispatch_id 0
		.amdhsa_user_sgpr_flat_scratch_init 0
		.amdhsa_user_sgpr_private_segment_size 0
		.amdhsa_wavefront_size32 1
		.amdhsa_uses_dynamic_stack 0
		.amdhsa_system_sgpr_private_segment_wavefront_offset 0
		.amdhsa_system_sgpr_workgroup_id_x 1
		.amdhsa_system_sgpr_workgroup_id_y 0
		.amdhsa_system_sgpr_workgroup_id_z 0
		.amdhsa_system_sgpr_workgroup_info 0
		.amdhsa_system_vgpr_workitem_id 0
		.amdhsa_next_free_vgpr 13
		.amdhsa_next_free_sgpr 20
		.amdhsa_reserve_vcc 1
		.amdhsa_reserve_flat_scratch 0
		.amdhsa_float_round_mode_32 0
		.amdhsa_float_round_mode_16_64 0
		.amdhsa_float_denorm_mode_32 3
		.amdhsa_float_denorm_mode_16_64 3
		.amdhsa_dx10_clamp 1
		.amdhsa_ieee_mode 1
		.amdhsa_fp16_overflow 0
		.amdhsa_workgroup_processor_mode 1
		.amdhsa_memory_ordered 1
		.amdhsa_forward_progress 1
		.amdhsa_shared_vgpr_count 0
		.amdhsa_exception_fp_ieee_invalid_op 0
		.amdhsa_exception_fp_denorm_src 0
		.amdhsa_exception_fp_ieee_div_zero 0
		.amdhsa_exception_fp_ieee_overflow 0
		.amdhsa_exception_fp_ieee_underflow 0
		.amdhsa_exception_fp_ieee_inexact 0
		.amdhsa_exception_int_div_zero 0
	.end_amdhsa_kernel
	.section	.text._ZN7rocprim17ROCPRIM_400000_NS6detail17trampoline_kernelINS0_14default_configENS1_29binary_search_config_selectorIxiEEZNS1_14transform_implILb0ES3_S5_N6thrust23THRUST_200600_302600_NS6detail15normal_iteratorINS8_7pointerIxNS8_11hip_rocprim5par_tENS8_11use_defaultESE_EEEENSA_INSB_IiSD_SE_SE_EEEEZNS1_13binary_searchIS3_S5_PxSG_SI_NS1_16binary_search_opENS9_16wrapped_functionINS8_6system6detail7generic6detail18binary_search_lessEbEEEE10hipError_tPvRmT1_T2_T3_mmT4_T5_P12ihipStream_tbEUlRKxE_EEST_SX_SY_mSZ_S12_bEUlT_E_NS1_11comp_targetILNS1_3genE8ELNS1_11target_archE1030ELNS1_3gpuE2ELNS1_3repE0EEENS1_30default_config_static_selectorELNS0_4arch9wavefront6targetE0EEEvSW_,"axG",@progbits,_ZN7rocprim17ROCPRIM_400000_NS6detail17trampoline_kernelINS0_14default_configENS1_29binary_search_config_selectorIxiEEZNS1_14transform_implILb0ES3_S5_N6thrust23THRUST_200600_302600_NS6detail15normal_iteratorINS8_7pointerIxNS8_11hip_rocprim5par_tENS8_11use_defaultESE_EEEENSA_INSB_IiSD_SE_SE_EEEEZNS1_13binary_searchIS3_S5_PxSG_SI_NS1_16binary_search_opENS9_16wrapped_functionINS8_6system6detail7generic6detail18binary_search_lessEbEEEE10hipError_tPvRmT1_T2_T3_mmT4_T5_P12ihipStream_tbEUlRKxE_EEST_SX_SY_mSZ_S12_bEUlT_E_NS1_11comp_targetILNS1_3genE8ELNS1_11target_archE1030ELNS1_3gpuE2ELNS1_3repE0EEENS1_30default_config_static_selectorELNS0_4arch9wavefront6targetE0EEEvSW_,comdat
.Lfunc_end301:
	.size	_ZN7rocprim17ROCPRIM_400000_NS6detail17trampoline_kernelINS0_14default_configENS1_29binary_search_config_selectorIxiEEZNS1_14transform_implILb0ES3_S5_N6thrust23THRUST_200600_302600_NS6detail15normal_iteratorINS8_7pointerIxNS8_11hip_rocprim5par_tENS8_11use_defaultESE_EEEENSA_INSB_IiSD_SE_SE_EEEEZNS1_13binary_searchIS3_S5_PxSG_SI_NS1_16binary_search_opENS9_16wrapped_functionINS8_6system6detail7generic6detail18binary_search_lessEbEEEE10hipError_tPvRmT1_T2_T3_mmT4_T5_P12ihipStream_tbEUlRKxE_EEST_SX_SY_mSZ_S12_bEUlT_E_NS1_11comp_targetILNS1_3genE8ELNS1_11target_archE1030ELNS1_3gpuE2ELNS1_3repE0EEENS1_30default_config_static_selectorELNS0_4arch9wavefront6targetE0EEEvSW_, .Lfunc_end301-_ZN7rocprim17ROCPRIM_400000_NS6detail17trampoline_kernelINS0_14default_configENS1_29binary_search_config_selectorIxiEEZNS1_14transform_implILb0ES3_S5_N6thrust23THRUST_200600_302600_NS6detail15normal_iteratorINS8_7pointerIxNS8_11hip_rocprim5par_tENS8_11use_defaultESE_EEEENSA_INSB_IiSD_SE_SE_EEEEZNS1_13binary_searchIS3_S5_PxSG_SI_NS1_16binary_search_opENS9_16wrapped_functionINS8_6system6detail7generic6detail18binary_search_lessEbEEEE10hipError_tPvRmT1_T2_T3_mmT4_T5_P12ihipStream_tbEUlRKxE_EEST_SX_SY_mSZ_S12_bEUlT_E_NS1_11comp_targetILNS1_3genE8ELNS1_11target_archE1030ELNS1_3gpuE2ELNS1_3repE0EEENS1_30default_config_static_selectorELNS0_4arch9wavefront6targetE0EEEvSW_
                                        ; -- End function
	.set _ZN7rocprim17ROCPRIM_400000_NS6detail17trampoline_kernelINS0_14default_configENS1_29binary_search_config_selectorIxiEEZNS1_14transform_implILb0ES3_S5_N6thrust23THRUST_200600_302600_NS6detail15normal_iteratorINS8_7pointerIxNS8_11hip_rocprim5par_tENS8_11use_defaultESE_EEEENSA_INSB_IiSD_SE_SE_EEEEZNS1_13binary_searchIS3_S5_PxSG_SI_NS1_16binary_search_opENS9_16wrapped_functionINS8_6system6detail7generic6detail18binary_search_lessEbEEEE10hipError_tPvRmT1_T2_T3_mmT4_T5_P12ihipStream_tbEUlRKxE_EEST_SX_SY_mSZ_S12_bEUlT_E_NS1_11comp_targetILNS1_3genE8ELNS1_11target_archE1030ELNS1_3gpuE2ELNS1_3repE0EEENS1_30default_config_static_selectorELNS0_4arch9wavefront6targetE0EEEvSW_.num_vgpr, 13
	.set _ZN7rocprim17ROCPRIM_400000_NS6detail17trampoline_kernelINS0_14default_configENS1_29binary_search_config_selectorIxiEEZNS1_14transform_implILb0ES3_S5_N6thrust23THRUST_200600_302600_NS6detail15normal_iteratorINS8_7pointerIxNS8_11hip_rocprim5par_tENS8_11use_defaultESE_EEEENSA_INSB_IiSD_SE_SE_EEEEZNS1_13binary_searchIS3_S5_PxSG_SI_NS1_16binary_search_opENS9_16wrapped_functionINS8_6system6detail7generic6detail18binary_search_lessEbEEEE10hipError_tPvRmT1_T2_T3_mmT4_T5_P12ihipStream_tbEUlRKxE_EEST_SX_SY_mSZ_S12_bEUlT_E_NS1_11comp_targetILNS1_3genE8ELNS1_11target_archE1030ELNS1_3gpuE2ELNS1_3repE0EEENS1_30default_config_static_selectorELNS0_4arch9wavefront6targetE0EEEvSW_.num_agpr, 0
	.set _ZN7rocprim17ROCPRIM_400000_NS6detail17trampoline_kernelINS0_14default_configENS1_29binary_search_config_selectorIxiEEZNS1_14transform_implILb0ES3_S5_N6thrust23THRUST_200600_302600_NS6detail15normal_iteratorINS8_7pointerIxNS8_11hip_rocprim5par_tENS8_11use_defaultESE_EEEENSA_INSB_IiSD_SE_SE_EEEEZNS1_13binary_searchIS3_S5_PxSG_SI_NS1_16binary_search_opENS9_16wrapped_functionINS8_6system6detail7generic6detail18binary_search_lessEbEEEE10hipError_tPvRmT1_T2_T3_mmT4_T5_P12ihipStream_tbEUlRKxE_EEST_SX_SY_mSZ_S12_bEUlT_E_NS1_11comp_targetILNS1_3genE8ELNS1_11target_archE1030ELNS1_3gpuE2ELNS1_3repE0EEENS1_30default_config_static_selectorELNS0_4arch9wavefront6targetE0EEEvSW_.numbered_sgpr, 20
	.set _ZN7rocprim17ROCPRIM_400000_NS6detail17trampoline_kernelINS0_14default_configENS1_29binary_search_config_selectorIxiEEZNS1_14transform_implILb0ES3_S5_N6thrust23THRUST_200600_302600_NS6detail15normal_iteratorINS8_7pointerIxNS8_11hip_rocprim5par_tENS8_11use_defaultESE_EEEENSA_INSB_IiSD_SE_SE_EEEEZNS1_13binary_searchIS3_S5_PxSG_SI_NS1_16binary_search_opENS9_16wrapped_functionINS8_6system6detail7generic6detail18binary_search_lessEbEEEE10hipError_tPvRmT1_T2_T3_mmT4_T5_P12ihipStream_tbEUlRKxE_EEST_SX_SY_mSZ_S12_bEUlT_E_NS1_11comp_targetILNS1_3genE8ELNS1_11target_archE1030ELNS1_3gpuE2ELNS1_3repE0EEENS1_30default_config_static_selectorELNS0_4arch9wavefront6targetE0EEEvSW_.num_named_barrier, 0
	.set _ZN7rocprim17ROCPRIM_400000_NS6detail17trampoline_kernelINS0_14default_configENS1_29binary_search_config_selectorIxiEEZNS1_14transform_implILb0ES3_S5_N6thrust23THRUST_200600_302600_NS6detail15normal_iteratorINS8_7pointerIxNS8_11hip_rocprim5par_tENS8_11use_defaultESE_EEEENSA_INSB_IiSD_SE_SE_EEEEZNS1_13binary_searchIS3_S5_PxSG_SI_NS1_16binary_search_opENS9_16wrapped_functionINS8_6system6detail7generic6detail18binary_search_lessEbEEEE10hipError_tPvRmT1_T2_T3_mmT4_T5_P12ihipStream_tbEUlRKxE_EEST_SX_SY_mSZ_S12_bEUlT_E_NS1_11comp_targetILNS1_3genE8ELNS1_11target_archE1030ELNS1_3gpuE2ELNS1_3repE0EEENS1_30default_config_static_selectorELNS0_4arch9wavefront6targetE0EEEvSW_.private_seg_size, 0
	.set _ZN7rocprim17ROCPRIM_400000_NS6detail17trampoline_kernelINS0_14default_configENS1_29binary_search_config_selectorIxiEEZNS1_14transform_implILb0ES3_S5_N6thrust23THRUST_200600_302600_NS6detail15normal_iteratorINS8_7pointerIxNS8_11hip_rocprim5par_tENS8_11use_defaultESE_EEEENSA_INSB_IiSD_SE_SE_EEEEZNS1_13binary_searchIS3_S5_PxSG_SI_NS1_16binary_search_opENS9_16wrapped_functionINS8_6system6detail7generic6detail18binary_search_lessEbEEEE10hipError_tPvRmT1_T2_T3_mmT4_T5_P12ihipStream_tbEUlRKxE_EEST_SX_SY_mSZ_S12_bEUlT_E_NS1_11comp_targetILNS1_3genE8ELNS1_11target_archE1030ELNS1_3gpuE2ELNS1_3repE0EEENS1_30default_config_static_selectorELNS0_4arch9wavefront6targetE0EEEvSW_.uses_vcc, 1
	.set _ZN7rocprim17ROCPRIM_400000_NS6detail17trampoline_kernelINS0_14default_configENS1_29binary_search_config_selectorIxiEEZNS1_14transform_implILb0ES3_S5_N6thrust23THRUST_200600_302600_NS6detail15normal_iteratorINS8_7pointerIxNS8_11hip_rocprim5par_tENS8_11use_defaultESE_EEEENSA_INSB_IiSD_SE_SE_EEEEZNS1_13binary_searchIS3_S5_PxSG_SI_NS1_16binary_search_opENS9_16wrapped_functionINS8_6system6detail7generic6detail18binary_search_lessEbEEEE10hipError_tPvRmT1_T2_T3_mmT4_T5_P12ihipStream_tbEUlRKxE_EEST_SX_SY_mSZ_S12_bEUlT_E_NS1_11comp_targetILNS1_3genE8ELNS1_11target_archE1030ELNS1_3gpuE2ELNS1_3repE0EEENS1_30default_config_static_selectorELNS0_4arch9wavefront6targetE0EEEvSW_.uses_flat_scratch, 0
	.set _ZN7rocprim17ROCPRIM_400000_NS6detail17trampoline_kernelINS0_14default_configENS1_29binary_search_config_selectorIxiEEZNS1_14transform_implILb0ES3_S5_N6thrust23THRUST_200600_302600_NS6detail15normal_iteratorINS8_7pointerIxNS8_11hip_rocprim5par_tENS8_11use_defaultESE_EEEENSA_INSB_IiSD_SE_SE_EEEEZNS1_13binary_searchIS3_S5_PxSG_SI_NS1_16binary_search_opENS9_16wrapped_functionINS8_6system6detail7generic6detail18binary_search_lessEbEEEE10hipError_tPvRmT1_T2_T3_mmT4_T5_P12ihipStream_tbEUlRKxE_EEST_SX_SY_mSZ_S12_bEUlT_E_NS1_11comp_targetILNS1_3genE8ELNS1_11target_archE1030ELNS1_3gpuE2ELNS1_3repE0EEENS1_30default_config_static_selectorELNS0_4arch9wavefront6targetE0EEEvSW_.has_dyn_sized_stack, 0
	.set _ZN7rocprim17ROCPRIM_400000_NS6detail17trampoline_kernelINS0_14default_configENS1_29binary_search_config_selectorIxiEEZNS1_14transform_implILb0ES3_S5_N6thrust23THRUST_200600_302600_NS6detail15normal_iteratorINS8_7pointerIxNS8_11hip_rocprim5par_tENS8_11use_defaultESE_EEEENSA_INSB_IiSD_SE_SE_EEEEZNS1_13binary_searchIS3_S5_PxSG_SI_NS1_16binary_search_opENS9_16wrapped_functionINS8_6system6detail7generic6detail18binary_search_lessEbEEEE10hipError_tPvRmT1_T2_T3_mmT4_T5_P12ihipStream_tbEUlRKxE_EEST_SX_SY_mSZ_S12_bEUlT_E_NS1_11comp_targetILNS1_3genE8ELNS1_11target_archE1030ELNS1_3gpuE2ELNS1_3repE0EEENS1_30default_config_static_selectorELNS0_4arch9wavefront6targetE0EEEvSW_.has_recursion, 0
	.set _ZN7rocprim17ROCPRIM_400000_NS6detail17trampoline_kernelINS0_14default_configENS1_29binary_search_config_selectorIxiEEZNS1_14transform_implILb0ES3_S5_N6thrust23THRUST_200600_302600_NS6detail15normal_iteratorINS8_7pointerIxNS8_11hip_rocprim5par_tENS8_11use_defaultESE_EEEENSA_INSB_IiSD_SE_SE_EEEEZNS1_13binary_searchIS3_S5_PxSG_SI_NS1_16binary_search_opENS9_16wrapped_functionINS8_6system6detail7generic6detail18binary_search_lessEbEEEE10hipError_tPvRmT1_T2_T3_mmT4_T5_P12ihipStream_tbEUlRKxE_EEST_SX_SY_mSZ_S12_bEUlT_E_NS1_11comp_targetILNS1_3genE8ELNS1_11target_archE1030ELNS1_3gpuE2ELNS1_3repE0EEENS1_30default_config_static_selectorELNS0_4arch9wavefront6targetE0EEEvSW_.has_indirect_call, 0
	.section	.AMDGPU.csdata,"",@progbits
; Kernel info:
; codeLenInByte = 932
; TotalNumSgprs: 22
; NumVgprs: 13
; ScratchSize: 0
; MemoryBound: 0
; FloatMode: 240
; IeeeMode: 1
; LDSByteSize: 0 bytes/workgroup (compile time only)
; SGPRBlocks: 0
; VGPRBlocks: 1
; NumSGPRsForWavesPerEU: 22
; NumVGPRsForWavesPerEU: 13
; Occupancy: 16
; WaveLimiterHint : 0
; COMPUTE_PGM_RSRC2:SCRATCH_EN: 0
; COMPUTE_PGM_RSRC2:USER_SGPR: 6
; COMPUTE_PGM_RSRC2:TRAP_HANDLER: 0
; COMPUTE_PGM_RSRC2:TGID_X_EN: 1
; COMPUTE_PGM_RSRC2:TGID_Y_EN: 0
; COMPUTE_PGM_RSRC2:TGID_Z_EN: 0
; COMPUTE_PGM_RSRC2:TIDIG_COMP_CNT: 0
	.section	.text._Z20binary_search_kernelIiEvmPT_Pb,"axG",@progbits,_Z20binary_search_kernelIiEvmPT_Pb,comdat
	.protected	_Z20binary_search_kernelIiEvmPT_Pb ; -- Begin function _Z20binary_search_kernelIiEvmPT_Pb
	.globl	_Z20binary_search_kernelIiEvmPT_Pb
	.p2align	8
	.type	_Z20binary_search_kernelIiEvmPT_Pb,@function
_Z20binary_search_kernelIiEvmPT_Pb:     ; @_Z20binary_search_kernelIiEvmPT_Pb
; %bb.0:
	s_clause 0x1
	s_load_dwordx4 s[8:11], s[4:5], 0x0
	s_load_dwordx2 s[2:3], s[4:5], 0x10
	s_waitcnt lgkmcnt(0)
	s_lshl_b64 s[0:1], s[8:9], 2
	s_add_u32 s0, s10, s0
	s_addc_u32 s1, s11, s1
	s_sub_u32 s0, s0, s10
	s_subb_u32 s1, s1, s11
	s_ashr_i64 s[4:5], s[0:1], 2
	v_cmp_lt_i64_e64 s0, s[4:5], 1
	s_and_b32 vcc_lo, exec_lo, s0
	s_mov_b64 s[0:1], 0
	s_cbranch_vccnz .LBB302_3
; %bb.1:
	s_mov_b64 s[6:7], s[4:5]
	.p2align	6
.LBB302_2:                              ; =>This Inner Loop Header: Depth=1
	s_sub_u32 s12, s6, s0
	s_subb_u32 s13, s7, s1
	s_lshr_b64 s[12:13], s[12:13], 1
	s_add_u32 s12, s12, s0
	s_addc_u32 s13, s13, s1
	s_lshl_b64 s[14:15], s[12:13], 2
	s_add_u32 s14, s10, s14
	s_addc_u32 s15, s11, s15
	s_load_dword s14, s[14:15], 0x0
	s_add_u32 s15, s12, 1
	s_addc_u32 s16, s13, 0
	s_waitcnt lgkmcnt(0)
	s_cmp_lt_i32 s14, 0
	s_cselect_b32 s1, s16, s1
	s_cselect_b32 s0, s15, s0
	s_cselect_b32 s7, s7, s13
	s_cselect_b32 s6, s6, s12
	v_cmp_lt_i64_e64 s12, s[0:1], s[6:7]
	s_and_b32 vcc_lo, exec_lo, s12
	s_cbranch_vccnz .LBB302_2
.LBB302_3:
	v_cmp_gt_i64_e64 s6, s[4:5], 0
	s_cmp_eq_u64 s[0:1], s[8:9]
	s_mov_b32 s7, 0
	s_cbranch_scc1 .LBB302_5
; %bb.4:
	s_lshl_b64 s[0:1], s[0:1], 2
	s_add_u32 s0, s10, s0
	s_addc_u32 s1, s11, s1
	s_load_dword s0, s[0:1], 0x0
	s_waitcnt lgkmcnt(0)
	s_cmp_lt_i32 s0, 1
	s_cselect_b32 s7, -1, 0
.LBB302_5:
	v_cndmask_b32_e64 v0, 0, 1, s6
	v_cndmask_b32_e64 v1, 0, 1, s7
	s_andn2_b32 vcc_lo, exec_lo, s6
	s_mov_b64 s[6:7], 0
	v_cmp_ne_u32_e64 s0, 1, v0
	v_mov_b32_e32 v0, 0
	global_store_byte v0, v1, s[2:3]
	s_cbranch_vccnz .LBB302_8
; %bb.6:
	s_mov_b64 s[12:13], s[4:5]
	.p2align	6
.LBB302_7:                              ; =>This Inner Loop Header: Depth=1
	s_sub_u32 s14, s12, s6
	s_subb_u32 s15, s13, s7
	s_lshr_b64 s[14:15], s[14:15], 1
	s_add_u32 s14, s14, s6
	s_addc_u32 s15, s15, s7
	s_lshl_b64 s[16:17], s[14:15], 2
	s_add_u32 s16, s10, s16
	s_addc_u32 s17, s11, s17
	s_load_dword s1, s[16:17], 0x0
	s_add_u32 s16, s14, 1
	s_addc_u32 s17, s15, 0
	s_waitcnt lgkmcnt(0)
	s_cmp_lt_i32 s1, 1
	s_cselect_b32 s7, s17, s7
	s_cselect_b32 s6, s16, s6
	;; [unrolled: 1-line block ×4, first 2 shown]
	v_cmp_lt_i64_e64 s1, s[6:7], s[12:13]
	s_and_b32 vcc_lo, exec_lo, s1
	s_cbranch_vccnz .LBB302_7
.LBB302_8:
	s_cmp_eq_u64 s[6:7], s[8:9]
	s_mov_b32 s1, 0
	s_cbranch_scc1 .LBB302_10
; %bb.9:
	s_lshl_b64 s[6:7], s[6:7], 2
	s_add_u32 s6, s10, s6
	s_addc_u32 s7, s11, s7
	s_load_dword s1, s[6:7], 0x0
	s_waitcnt lgkmcnt(0)
	s_cmp_lt_i32 s1, 2
	s_cselect_b32 s1, -1, 0
.LBB302_10:
	v_mov_b32_e32 v0, 0
	v_cndmask_b32_e64 v1, 0, 1, s1
	s_and_b32 vcc_lo, exec_lo, s0
	s_mov_b64 s[6:7], 0
	global_store_byte v0, v1, s[2:3] offset:1
	s_cbranch_vccnz .LBB302_13
; %bb.11:
	s_mov_b64 s[12:13], s[4:5]
	.p2align	6
.LBB302_12:                             ; =>This Inner Loop Header: Depth=1
	s_sub_u32 s14, s12, s6
	s_subb_u32 s15, s13, s7
	s_lshr_b64 s[14:15], s[14:15], 1
	s_add_u32 s14, s14, s6
	s_addc_u32 s15, s15, s7
	s_lshl_b64 s[16:17], s[14:15], 2
	s_add_u32 s16, s10, s16
	s_addc_u32 s17, s11, s17
	s_load_dword s1, s[16:17], 0x0
	s_add_u32 s16, s14, 1
	s_addc_u32 s17, s15, 0
	s_waitcnt lgkmcnt(0)
	s_cmp_lt_i32 s1, 2
	s_cselect_b32 s7, s17, s7
	s_cselect_b32 s6, s16, s6
	s_cselect_b32 s13, s13, s15
	s_cselect_b32 s12, s12, s14
	v_cmp_lt_i64_e64 s1, s[6:7], s[12:13]
	s_and_b32 vcc_lo, exec_lo, s1
	s_cbranch_vccnz .LBB302_12
.LBB302_13:
	s_cmp_eq_u64 s[6:7], s[8:9]
	s_mov_b32 s1, 0
	s_cbranch_scc1 .LBB302_15
; %bb.14:
	s_lshl_b64 s[6:7], s[6:7], 2
	s_add_u32 s6, s10, s6
	s_addc_u32 s7, s11, s7
	s_load_dword s1, s[6:7], 0x0
	s_waitcnt lgkmcnt(0)
	s_cmp_lt_i32 s1, 3
	s_cselect_b32 s1, -1, 0
.LBB302_15:
	v_mov_b32_e32 v0, 0
	v_cndmask_b32_e64 v1, 0, 1, s1
	s_and_b32 vcc_lo, exec_lo, s0
	s_mov_b64 s[6:7], 0
	global_store_byte v0, v1, s[2:3] offset:2
	s_cbranch_vccnz .LBB302_18
; %bb.16:
	s_mov_b64 s[12:13], s[4:5]
	.p2align	6
.LBB302_17:                             ; =>This Inner Loop Header: Depth=1
	s_sub_u32 s14, s12, s6
	s_subb_u32 s15, s13, s7
	s_lshr_b64 s[14:15], s[14:15], 1
	s_add_u32 s14, s14, s6
	s_addc_u32 s15, s15, s7
	s_lshl_b64 s[16:17], s[14:15], 2
	s_add_u32 s16, s10, s16
	s_addc_u32 s17, s11, s17
	s_load_dword s1, s[16:17], 0x0
	s_add_u32 s16, s14, 1
	s_addc_u32 s17, s15, 0
	s_waitcnt lgkmcnt(0)
	s_cmp_lt_i32 s1, 3
	s_cselect_b32 s7, s17, s7
	s_cselect_b32 s6, s16, s6
	s_cselect_b32 s13, s13, s15
	s_cselect_b32 s12, s12, s14
	v_cmp_lt_i64_e64 s1, s[6:7], s[12:13]
	s_and_b32 vcc_lo, exec_lo, s1
	s_cbranch_vccnz .LBB302_17
.LBB302_18:
	s_cmp_eq_u64 s[6:7], s[8:9]
	s_mov_b32 s1, 0
	s_cbranch_scc1 .LBB302_20
; %bb.19:
	s_lshl_b64 s[6:7], s[6:7], 2
	s_add_u32 s6, s10, s6
	s_addc_u32 s7, s11, s7
	s_load_dword s1, s[6:7], 0x0
	s_waitcnt lgkmcnt(0)
	s_cmp_lt_i32 s1, 4
	s_cselect_b32 s1, -1, 0
.LBB302_20:
	v_mov_b32_e32 v0, 0
	v_cndmask_b32_e64 v1, 0, 1, s1
	s_and_b32 vcc_lo, exec_lo, s0
	s_mov_b64 s[6:7], 0
	global_store_byte v0, v1, s[2:3] offset:3
	s_cbranch_vccnz .LBB302_23
; %bb.21:
	s_mov_b64 s[12:13], s[4:5]
	.p2align	6
.LBB302_22:                             ; =>This Inner Loop Header: Depth=1
	s_sub_u32 s14, s12, s6
	s_subb_u32 s15, s13, s7
	s_lshr_b64 s[14:15], s[14:15], 1
	s_add_u32 s14, s14, s6
	s_addc_u32 s15, s15, s7
	s_lshl_b64 s[16:17], s[14:15], 2
	s_add_u32 s16, s10, s16
	s_addc_u32 s17, s11, s17
	s_load_dword s1, s[16:17], 0x0
	s_add_u32 s16, s14, 1
	s_addc_u32 s17, s15, 0
	s_waitcnt lgkmcnt(0)
	s_cmp_lt_i32 s1, 4
	s_cselect_b32 s7, s17, s7
	s_cselect_b32 s6, s16, s6
	;; [unrolled: 1-line block ×4, first 2 shown]
	v_cmp_lt_i64_e64 s1, s[6:7], s[12:13]
	s_and_b32 vcc_lo, exec_lo, s1
	s_cbranch_vccnz .LBB302_22
.LBB302_23:
	s_cmp_eq_u64 s[6:7], s[8:9]
	s_mov_b32 s1, 0
	s_cbranch_scc1 .LBB302_25
; %bb.24:
	s_lshl_b64 s[6:7], s[6:7], 2
	s_add_u32 s6, s10, s6
	s_addc_u32 s7, s11, s7
	s_load_dword s1, s[6:7], 0x0
	s_waitcnt lgkmcnt(0)
	s_cmp_lt_i32 s1, 5
	s_cselect_b32 s1, -1, 0
.LBB302_25:
	v_mov_b32_e32 v0, 0
	v_cndmask_b32_e64 v1, 0, 1, s1
	s_and_b32 vcc_lo, exec_lo, s0
	s_mov_b64 s[6:7], 0
	global_store_byte v0, v1, s[2:3] offset:4
	s_cbranch_vccnz .LBB302_28
; %bb.26:
	s_mov_b64 s[12:13], s[4:5]
	.p2align	6
.LBB302_27:                             ; =>This Inner Loop Header: Depth=1
	s_sub_u32 s14, s12, s6
	s_subb_u32 s15, s13, s7
	s_lshr_b64 s[14:15], s[14:15], 1
	s_add_u32 s14, s14, s6
	s_addc_u32 s15, s15, s7
	s_lshl_b64 s[16:17], s[14:15], 2
	s_add_u32 s16, s10, s16
	s_addc_u32 s17, s11, s17
	s_load_dword s1, s[16:17], 0x0
	s_add_u32 s16, s14, 1
	s_addc_u32 s17, s15, 0
	s_waitcnt lgkmcnt(0)
	s_cmp_lt_i32 s1, 5
	s_cselect_b32 s7, s17, s7
	s_cselect_b32 s6, s16, s6
	;; [unrolled: 1-line block ×4, first 2 shown]
	v_cmp_lt_i64_e64 s1, s[6:7], s[12:13]
	s_and_b32 vcc_lo, exec_lo, s1
	s_cbranch_vccnz .LBB302_27
.LBB302_28:
	s_cmp_eq_u64 s[6:7], s[8:9]
	s_mov_b32 s1, 0
	s_cbranch_scc1 .LBB302_30
; %bb.29:
	s_lshl_b64 s[6:7], s[6:7], 2
	s_add_u32 s6, s10, s6
	s_addc_u32 s7, s11, s7
	s_load_dword s1, s[6:7], 0x0
	s_waitcnt lgkmcnt(0)
	s_cmp_lt_i32 s1, 6
	s_cselect_b32 s1, -1, 0
.LBB302_30:
	v_mov_b32_e32 v0, 0
	v_cndmask_b32_e64 v1, 0, 1, s1
	s_and_b32 vcc_lo, exec_lo, s0
	s_mov_b64 s[6:7], 0
	global_store_byte v0, v1, s[2:3] offset:5
	s_cbranch_vccnz .LBB302_33
; %bb.31:
	s_mov_b64 s[12:13], s[4:5]
	.p2align	6
.LBB302_32:                             ; =>This Inner Loop Header: Depth=1
	s_sub_u32 s14, s12, s6
	s_subb_u32 s15, s13, s7
	s_lshr_b64 s[14:15], s[14:15], 1
	s_add_u32 s14, s14, s6
	s_addc_u32 s15, s15, s7
	s_lshl_b64 s[16:17], s[14:15], 2
	s_add_u32 s16, s10, s16
	s_addc_u32 s17, s11, s17
	s_load_dword s1, s[16:17], 0x0
	s_add_u32 s16, s14, 1
	s_addc_u32 s17, s15, 0
	s_waitcnt lgkmcnt(0)
	s_cmp_lt_i32 s1, 6
	s_cselect_b32 s7, s17, s7
	s_cselect_b32 s6, s16, s6
	;; [unrolled: 1-line block ×4, first 2 shown]
	v_cmp_lt_i64_e64 s1, s[6:7], s[12:13]
	s_and_b32 vcc_lo, exec_lo, s1
	s_cbranch_vccnz .LBB302_32
.LBB302_33:
	s_cmp_eq_u64 s[6:7], s[8:9]
	s_mov_b32 s1, 0
	s_cbranch_scc1 .LBB302_35
; %bb.34:
	s_lshl_b64 s[6:7], s[6:7], 2
	s_add_u32 s6, s10, s6
	s_addc_u32 s7, s11, s7
	s_load_dword s1, s[6:7], 0x0
	s_waitcnt lgkmcnt(0)
	s_cmp_lt_i32 s1, 7
	s_cselect_b32 s1, -1, 0
.LBB302_35:
	v_mov_b32_e32 v0, 0
	v_cndmask_b32_e64 v1, 0, 1, s1
	s_and_b32 vcc_lo, exec_lo, s0
	s_mov_b64 s[6:7], 0
	global_store_byte v0, v1, s[2:3] offset:6
	s_cbranch_vccnz .LBB302_38
; %bb.36:
	s_mov_b64 s[12:13], s[4:5]
	.p2align	6
.LBB302_37:                             ; =>This Inner Loop Header: Depth=1
	s_sub_u32 s14, s12, s6
	s_subb_u32 s15, s13, s7
	s_lshr_b64 s[14:15], s[14:15], 1
	s_add_u32 s14, s14, s6
	s_addc_u32 s15, s15, s7
	s_lshl_b64 s[16:17], s[14:15], 2
	s_add_u32 s16, s10, s16
	s_addc_u32 s17, s11, s17
	s_load_dword s1, s[16:17], 0x0
	s_add_u32 s16, s14, 1
	s_addc_u32 s17, s15, 0
	s_waitcnt lgkmcnt(0)
	s_cmp_lt_i32 s1, 7
	s_cselect_b32 s7, s17, s7
	s_cselect_b32 s6, s16, s6
	;; [unrolled: 1-line block ×4, first 2 shown]
	v_cmp_lt_i64_e64 s1, s[6:7], s[12:13]
	s_and_b32 vcc_lo, exec_lo, s1
	s_cbranch_vccnz .LBB302_37
.LBB302_38:
	s_cmp_eq_u64 s[6:7], s[8:9]
	s_mov_b32 s1, 0
	s_cbranch_scc1 .LBB302_40
; %bb.39:
	s_lshl_b64 s[6:7], s[6:7], 2
	s_add_u32 s6, s10, s6
	s_addc_u32 s7, s11, s7
	s_load_dword s1, s[6:7], 0x0
	s_waitcnt lgkmcnt(0)
	s_cmp_lt_i32 s1, 8
	s_cselect_b32 s1, -1, 0
.LBB302_40:
	v_mov_b32_e32 v0, 0
	v_cndmask_b32_e64 v1, 0, 1, s1
	s_and_b32 vcc_lo, exec_lo, s0
	s_mov_b64 s[6:7], 0
	global_store_byte v0, v1, s[2:3] offset:7
	s_cbranch_vccnz .LBB302_43
; %bb.41:
	s_mov_b64 s[12:13], s[4:5]
	.p2align	6
.LBB302_42:                             ; =>This Inner Loop Header: Depth=1
	s_sub_u32 s14, s12, s6
	s_subb_u32 s15, s13, s7
	s_lshr_b64 s[14:15], s[14:15], 1
	s_add_u32 s14, s14, s6
	s_addc_u32 s15, s15, s7
	s_lshl_b64 s[16:17], s[14:15], 2
	s_add_u32 s16, s10, s16
	s_addc_u32 s17, s11, s17
	s_load_dword s1, s[16:17], 0x0
	s_add_u32 s16, s14, 1
	s_addc_u32 s17, s15, 0
	s_waitcnt lgkmcnt(0)
	s_cmp_lt_i32 s1, 8
	s_cselect_b32 s7, s17, s7
	s_cselect_b32 s6, s16, s6
	;; [unrolled: 1-line block ×4, first 2 shown]
	v_cmp_lt_i64_e64 s1, s[6:7], s[12:13]
	s_and_b32 vcc_lo, exec_lo, s1
	s_cbranch_vccnz .LBB302_42
.LBB302_43:
	s_cmp_eq_u64 s[6:7], s[8:9]
	s_mov_b32 s1, 0
	s_cbranch_scc1 .LBB302_45
; %bb.44:
	s_lshl_b64 s[6:7], s[6:7], 2
	s_add_u32 s6, s10, s6
	s_addc_u32 s7, s11, s7
	s_load_dword s1, s[6:7], 0x0
	s_waitcnt lgkmcnt(0)
	s_cmp_lt_i32 s1, 9
	s_cselect_b32 s1, -1, 0
.LBB302_45:
	v_mov_b32_e32 v0, 0
	v_cndmask_b32_e64 v1, 0, 1, s1
	s_and_b32 vcc_lo, exec_lo, s0
	s_mov_b64 s[0:1], 0
	global_store_byte v0, v1, s[2:3] offset:8
	s_cbranch_vccnz .LBB302_47
	.p2align	6
.LBB302_46:                             ; =>This Inner Loop Header: Depth=1
	s_sub_u32 s6, s4, s0
	s_subb_u32 s7, s5, s1
	s_lshr_b64 s[6:7], s[6:7], 1
	s_add_u32 s6, s6, s0
	s_addc_u32 s7, s7, s1
	s_lshl_b64 s[12:13], s[6:7], 2
	s_add_u32 s12, s10, s12
	s_addc_u32 s13, s11, s13
	s_load_dword s12, s[12:13], 0x0
	s_add_u32 s13, s6, 1
	s_addc_u32 s14, s7, 0
	s_waitcnt lgkmcnt(0)
	s_cmp_lt_i32 s12, 9
	s_cselect_b32 s1, s14, s1
	s_cselect_b32 s0, s13, s0
	;; [unrolled: 1-line block ×4, first 2 shown]
	v_cmp_lt_i64_e64 s6, s[0:1], s[4:5]
	s_and_b32 vcc_lo, exec_lo, s6
	s_cbranch_vccnz .LBB302_46
.LBB302_47:
	s_cmp_eq_u64 s[0:1], s[8:9]
	s_mov_b32 s4, 0
	s_cbranch_scc1 .LBB302_49
; %bb.48:
	s_lshl_b64 s[0:1], s[0:1], 2
	s_add_u32 s0, s10, s0
	s_addc_u32 s1, s11, s1
	s_load_dword s0, s[0:1], 0x0
	s_waitcnt lgkmcnt(0)
	s_cmp_lt_i32 s0, 10
	s_cselect_b32 s4, -1, 0
.LBB302_49:
	v_mov_b32_e32 v0, 0
	v_cndmask_b32_e64 v1, 0, 1, s4
	global_store_byte v0, v1, s[2:3] offset:9
	s_endpgm
	.section	.rodata,"a",@progbits
	.p2align	6, 0x0
	.amdhsa_kernel _Z20binary_search_kernelIiEvmPT_Pb
		.amdhsa_group_segment_fixed_size 0
		.amdhsa_private_segment_fixed_size 0
		.amdhsa_kernarg_size 24
		.amdhsa_user_sgpr_count 6
		.amdhsa_user_sgpr_private_segment_buffer 1
		.amdhsa_user_sgpr_dispatch_ptr 0
		.amdhsa_user_sgpr_queue_ptr 0
		.amdhsa_user_sgpr_kernarg_segment_ptr 1
		.amdhsa_user_sgpr_dispatch_id 0
		.amdhsa_user_sgpr_flat_scratch_init 0
		.amdhsa_user_sgpr_private_segment_size 0
		.amdhsa_wavefront_size32 1
		.amdhsa_uses_dynamic_stack 0
		.amdhsa_system_sgpr_private_segment_wavefront_offset 0
		.amdhsa_system_sgpr_workgroup_id_x 1
		.amdhsa_system_sgpr_workgroup_id_y 0
		.amdhsa_system_sgpr_workgroup_id_z 0
		.amdhsa_system_sgpr_workgroup_info 0
		.amdhsa_system_vgpr_workitem_id 0
		.amdhsa_next_free_vgpr 2
		.amdhsa_next_free_sgpr 18
		.amdhsa_reserve_vcc 1
		.amdhsa_reserve_flat_scratch 0
		.amdhsa_float_round_mode_32 0
		.amdhsa_float_round_mode_16_64 0
		.amdhsa_float_denorm_mode_32 3
		.amdhsa_float_denorm_mode_16_64 3
		.amdhsa_dx10_clamp 1
		.amdhsa_ieee_mode 1
		.amdhsa_fp16_overflow 0
		.amdhsa_workgroup_processor_mode 1
		.amdhsa_memory_ordered 1
		.amdhsa_forward_progress 1
		.amdhsa_shared_vgpr_count 0
		.amdhsa_exception_fp_ieee_invalid_op 0
		.amdhsa_exception_fp_denorm_src 0
		.amdhsa_exception_fp_ieee_div_zero 0
		.amdhsa_exception_fp_ieee_overflow 0
		.amdhsa_exception_fp_ieee_underflow 0
		.amdhsa_exception_fp_ieee_inexact 0
		.amdhsa_exception_int_div_zero 0
	.end_amdhsa_kernel
	.section	.text._Z20binary_search_kernelIiEvmPT_Pb,"axG",@progbits,_Z20binary_search_kernelIiEvmPT_Pb,comdat
.Lfunc_end302:
	.size	_Z20binary_search_kernelIiEvmPT_Pb, .Lfunc_end302-_Z20binary_search_kernelIiEvmPT_Pb
                                        ; -- End function
	.set _Z20binary_search_kernelIiEvmPT_Pb.num_vgpr, 2
	.set _Z20binary_search_kernelIiEvmPT_Pb.num_agpr, 0
	.set _Z20binary_search_kernelIiEvmPT_Pb.numbered_sgpr, 18
	.set _Z20binary_search_kernelIiEvmPT_Pb.num_named_barrier, 0
	.set _Z20binary_search_kernelIiEvmPT_Pb.private_seg_size, 0
	.set _Z20binary_search_kernelIiEvmPT_Pb.uses_vcc, 1
	.set _Z20binary_search_kernelIiEvmPT_Pb.uses_flat_scratch, 0
	.set _Z20binary_search_kernelIiEvmPT_Pb.has_dyn_sized_stack, 0
	.set _Z20binary_search_kernelIiEvmPT_Pb.has_recursion, 0
	.set _Z20binary_search_kernelIiEvmPT_Pb.has_indirect_call, 0
	.section	.AMDGPU.csdata,"",@progbits
; Kernel info:
; codeLenInByte = 2012
; TotalNumSgprs: 20
; NumVgprs: 2
; ScratchSize: 0
; MemoryBound: 0
; FloatMode: 240
; IeeeMode: 1
; LDSByteSize: 0 bytes/workgroup (compile time only)
; SGPRBlocks: 0
; VGPRBlocks: 0
; NumSGPRsForWavesPerEU: 20
; NumVGPRsForWavesPerEU: 2
; Occupancy: 16
; WaveLimiterHint : 0
; COMPUTE_PGM_RSRC2:SCRATCH_EN: 0
; COMPUTE_PGM_RSRC2:USER_SGPR: 6
; COMPUTE_PGM_RSRC2:TRAP_HANDLER: 0
; COMPUTE_PGM_RSRC2:TGID_X_EN: 1
; COMPUTE_PGM_RSRC2:TGID_Y_EN: 0
; COMPUTE_PGM_RSRC2:TGID_Z_EN: 0
; COMPUTE_PGM_RSRC2:TIDIG_COMP_CNT: 0
	.section	.text._ZN7rocprim17ROCPRIM_400000_NS6detail17trampoline_kernelINS0_14default_configENS1_29binary_search_config_selectorIiiEEZNS1_14transform_implILb0ES3_S5_N6thrust23THRUST_200600_302600_NS6detail15normal_iteratorINS8_7pointerIiNS8_11hip_rocprim5par_tENS8_11use_defaultESE_EEEESG_ZNS1_13binary_searchIS3_S5_PiSG_SG_NS1_16binary_search_opENS9_16wrapped_functionINS8_6system6detail7generic6detail18binary_search_lessEbEEEE10hipError_tPvRmT1_T2_T3_mmT4_T5_P12ihipStream_tbEUlRKiE_EESR_SV_SW_mSX_S10_bEUlT_E_NS1_11comp_targetILNS1_3genE0ELNS1_11target_archE4294967295ELNS1_3gpuE0ELNS1_3repE0EEENS1_30default_config_static_selectorELNS0_4arch9wavefront6targetE0EEEvSU_,"axG",@progbits,_ZN7rocprim17ROCPRIM_400000_NS6detail17trampoline_kernelINS0_14default_configENS1_29binary_search_config_selectorIiiEEZNS1_14transform_implILb0ES3_S5_N6thrust23THRUST_200600_302600_NS6detail15normal_iteratorINS8_7pointerIiNS8_11hip_rocprim5par_tENS8_11use_defaultESE_EEEESG_ZNS1_13binary_searchIS3_S5_PiSG_SG_NS1_16binary_search_opENS9_16wrapped_functionINS8_6system6detail7generic6detail18binary_search_lessEbEEEE10hipError_tPvRmT1_T2_T3_mmT4_T5_P12ihipStream_tbEUlRKiE_EESR_SV_SW_mSX_S10_bEUlT_E_NS1_11comp_targetILNS1_3genE0ELNS1_11target_archE4294967295ELNS1_3gpuE0ELNS1_3repE0EEENS1_30default_config_static_selectorELNS0_4arch9wavefront6targetE0EEEvSU_,comdat
	.protected	_ZN7rocprim17ROCPRIM_400000_NS6detail17trampoline_kernelINS0_14default_configENS1_29binary_search_config_selectorIiiEEZNS1_14transform_implILb0ES3_S5_N6thrust23THRUST_200600_302600_NS6detail15normal_iteratorINS8_7pointerIiNS8_11hip_rocprim5par_tENS8_11use_defaultESE_EEEESG_ZNS1_13binary_searchIS3_S5_PiSG_SG_NS1_16binary_search_opENS9_16wrapped_functionINS8_6system6detail7generic6detail18binary_search_lessEbEEEE10hipError_tPvRmT1_T2_T3_mmT4_T5_P12ihipStream_tbEUlRKiE_EESR_SV_SW_mSX_S10_bEUlT_E_NS1_11comp_targetILNS1_3genE0ELNS1_11target_archE4294967295ELNS1_3gpuE0ELNS1_3repE0EEENS1_30default_config_static_selectorELNS0_4arch9wavefront6targetE0EEEvSU_ ; -- Begin function _ZN7rocprim17ROCPRIM_400000_NS6detail17trampoline_kernelINS0_14default_configENS1_29binary_search_config_selectorIiiEEZNS1_14transform_implILb0ES3_S5_N6thrust23THRUST_200600_302600_NS6detail15normal_iteratorINS8_7pointerIiNS8_11hip_rocprim5par_tENS8_11use_defaultESE_EEEESG_ZNS1_13binary_searchIS3_S5_PiSG_SG_NS1_16binary_search_opENS9_16wrapped_functionINS8_6system6detail7generic6detail18binary_search_lessEbEEEE10hipError_tPvRmT1_T2_T3_mmT4_T5_P12ihipStream_tbEUlRKiE_EESR_SV_SW_mSX_S10_bEUlT_E_NS1_11comp_targetILNS1_3genE0ELNS1_11target_archE4294967295ELNS1_3gpuE0ELNS1_3repE0EEENS1_30default_config_static_selectorELNS0_4arch9wavefront6targetE0EEEvSU_
	.globl	_ZN7rocprim17ROCPRIM_400000_NS6detail17trampoline_kernelINS0_14default_configENS1_29binary_search_config_selectorIiiEEZNS1_14transform_implILb0ES3_S5_N6thrust23THRUST_200600_302600_NS6detail15normal_iteratorINS8_7pointerIiNS8_11hip_rocprim5par_tENS8_11use_defaultESE_EEEESG_ZNS1_13binary_searchIS3_S5_PiSG_SG_NS1_16binary_search_opENS9_16wrapped_functionINS8_6system6detail7generic6detail18binary_search_lessEbEEEE10hipError_tPvRmT1_T2_T3_mmT4_T5_P12ihipStream_tbEUlRKiE_EESR_SV_SW_mSX_S10_bEUlT_E_NS1_11comp_targetILNS1_3genE0ELNS1_11target_archE4294967295ELNS1_3gpuE0ELNS1_3repE0EEENS1_30default_config_static_selectorELNS0_4arch9wavefront6targetE0EEEvSU_
	.p2align	8
	.type	_ZN7rocprim17ROCPRIM_400000_NS6detail17trampoline_kernelINS0_14default_configENS1_29binary_search_config_selectorIiiEEZNS1_14transform_implILb0ES3_S5_N6thrust23THRUST_200600_302600_NS6detail15normal_iteratorINS8_7pointerIiNS8_11hip_rocprim5par_tENS8_11use_defaultESE_EEEESG_ZNS1_13binary_searchIS3_S5_PiSG_SG_NS1_16binary_search_opENS9_16wrapped_functionINS8_6system6detail7generic6detail18binary_search_lessEbEEEE10hipError_tPvRmT1_T2_T3_mmT4_T5_P12ihipStream_tbEUlRKiE_EESR_SV_SW_mSX_S10_bEUlT_E_NS1_11comp_targetILNS1_3genE0ELNS1_11target_archE4294967295ELNS1_3gpuE0ELNS1_3repE0EEENS1_30default_config_static_selectorELNS0_4arch9wavefront6targetE0EEEvSU_,@function
_ZN7rocprim17ROCPRIM_400000_NS6detail17trampoline_kernelINS0_14default_configENS1_29binary_search_config_selectorIiiEEZNS1_14transform_implILb0ES3_S5_N6thrust23THRUST_200600_302600_NS6detail15normal_iteratorINS8_7pointerIiNS8_11hip_rocprim5par_tENS8_11use_defaultESE_EEEESG_ZNS1_13binary_searchIS3_S5_PiSG_SG_NS1_16binary_search_opENS9_16wrapped_functionINS8_6system6detail7generic6detail18binary_search_lessEbEEEE10hipError_tPvRmT1_T2_T3_mmT4_T5_P12ihipStream_tbEUlRKiE_EESR_SV_SW_mSX_S10_bEUlT_E_NS1_11comp_targetILNS1_3genE0ELNS1_11target_archE4294967295ELNS1_3gpuE0ELNS1_3repE0EEENS1_30default_config_static_selectorELNS0_4arch9wavefront6targetE0EEEvSU_: ; @_ZN7rocprim17ROCPRIM_400000_NS6detail17trampoline_kernelINS0_14default_configENS1_29binary_search_config_selectorIiiEEZNS1_14transform_implILb0ES3_S5_N6thrust23THRUST_200600_302600_NS6detail15normal_iteratorINS8_7pointerIiNS8_11hip_rocprim5par_tENS8_11use_defaultESE_EEEESG_ZNS1_13binary_searchIS3_S5_PiSG_SG_NS1_16binary_search_opENS9_16wrapped_functionINS8_6system6detail7generic6detail18binary_search_lessEbEEEE10hipError_tPvRmT1_T2_T3_mmT4_T5_P12ihipStream_tbEUlRKiE_EESR_SV_SW_mSX_S10_bEUlT_E_NS1_11comp_targetILNS1_3genE0ELNS1_11target_archE4294967295ELNS1_3gpuE0ELNS1_3repE0EEENS1_30default_config_static_selectorELNS0_4arch9wavefront6targetE0EEEvSU_
; %bb.0:
	.section	.rodata,"a",@progbits
	.p2align	6, 0x0
	.amdhsa_kernel _ZN7rocprim17ROCPRIM_400000_NS6detail17trampoline_kernelINS0_14default_configENS1_29binary_search_config_selectorIiiEEZNS1_14transform_implILb0ES3_S5_N6thrust23THRUST_200600_302600_NS6detail15normal_iteratorINS8_7pointerIiNS8_11hip_rocprim5par_tENS8_11use_defaultESE_EEEESG_ZNS1_13binary_searchIS3_S5_PiSG_SG_NS1_16binary_search_opENS9_16wrapped_functionINS8_6system6detail7generic6detail18binary_search_lessEbEEEE10hipError_tPvRmT1_T2_T3_mmT4_T5_P12ihipStream_tbEUlRKiE_EESR_SV_SW_mSX_S10_bEUlT_E_NS1_11comp_targetILNS1_3genE0ELNS1_11target_archE4294967295ELNS1_3gpuE0ELNS1_3repE0EEENS1_30default_config_static_selectorELNS0_4arch9wavefront6targetE0EEEvSU_
		.amdhsa_group_segment_fixed_size 0
		.amdhsa_private_segment_fixed_size 0
		.amdhsa_kernarg_size 56
		.amdhsa_user_sgpr_count 6
		.amdhsa_user_sgpr_private_segment_buffer 1
		.amdhsa_user_sgpr_dispatch_ptr 0
		.amdhsa_user_sgpr_queue_ptr 0
		.amdhsa_user_sgpr_kernarg_segment_ptr 1
		.amdhsa_user_sgpr_dispatch_id 0
		.amdhsa_user_sgpr_flat_scratch_init 0
		.amdhsa_user_sgpr_private_segment_size 0
		.amdhsa_wavefront_size32 1
		.amdhsa_uses_dynamic_stack 0
		.amdhsa_system_sgpr_private_segment_wavefront_offset 0
		.amdhsa_system_sgpr_workgroup_id_x 1
		.amdhsa_system_sgpr_workgroup_id_y 0
		.amdhsa_system_sgpr_workgroup_id_z 0
		.amdhsa_system_sgpr_workgroup_info 0
		.amdhsa_system_vgpr_workitem_id 0
		.amdhsa_next_free_vgpr 1
		.amdhsa_next_free_sgpr 1
		.amdhsa_reserve_vcc 0
		.amdhsa_reserve_flat_scratch 0
		.amdhsa_float_round_mode_32 0
		.amdhsa_float_round_mode_16_64 0
		.amdhsa_float_denorm_mode_32 3
		.amdhsa_float_denorm_mode_16_64 3
		.amdhsa_dx10_clamp 1
		.amdhsa_ieee_mode 1
		.amdhsa_fp16_overflow 0
		.amdhsa_workgroup_processor_mode 1
		.amdhsa_memory_ordered 1
		.amdhsa_forward_progress 1
		.amdhsa_shared_vgpr_count 0
		.amdhsa_exception_fp_ieee_invalid_op 0
		.amdhsa_exception_fp_denorm_src 0
		.amdhsa_exception_fp_ieee_div_zero 0
		.amdhsa_exception_fp_ieee_overflow 0
		.amdhsa_exception_fp_ieee_underflow 0
		.amdhsa_exception_fp_ieee_inexact 0
		.amdhsa_exception_int_div_zero 0
	.end_amdhsa_kernel
	.section	.text._ZN7rocprim17ROCPRIM_400000_NS6detail17trampoline_kernelINS0_14default_configENS1_29binary_search_config_selectorIiiEEZNS1_14transform_implILb0ES3_S5_N6thrust23THRUST_200600_302600_NS6detail15normal_iteratorINS8_7pointerIiNS8_11hip_rocprim5par_tENS8_11use_defaultESE_EEEESG_ZNS1_13binary_searchIS3_S5_PiSG_SG_NS1_16binary_search_opENS9_16wrapped_functionINS8_6system6detail7generic6detail18binary_search_lessEbEEEE10hipError_tPvRmT1_T2_T3_mmT4_T5_P12ihipStream_tbEUlRKiE_EESR_SV_SW_mSX_S10_bEUlT_E_NS1_11comp_targetILNS1_3genE0ELNS1_11target_archE4294967295ELNS1_3gpuE0ELNS1_3repE0EEENS1_30default_config_static_selectorELNS0_4arch9wavefront6targetE0EEEvSU_,"axG",@progbits,_ZN7rocprim17ROCPRIM_400000_NS6detail17trampoline_kernelINS0_14default_configENS1_29binary_search_config_selectorIiiEEZNS1_14transform_implILb0ES3_S5_N6thrust23THRUST_200600_302600_NS6detail15normal_iteratorINS8_7pointerIiNS8_11hip_rocprim5par_tENS8_11use_defaultESE_EEEESG_ZNS1_13binary_searchIS3_S5_PiSG_SG_NS1_16binary_search_opENS9_16wrapped_functionINS8_6system6detail7generic6detail18binary_search_lessEbEEEE10hipError_tPvRmT1_T2_T3_mmT4_T5_P12ihipStream_tbEUlRKiE_EESR_SV_SW_mSX_S10_bEUlT_E_NS1_11comp_targetILNS1_3genE0ELNS1_11target_archE4294967295ELNS1_3gpuE0ELNS1_3repE0EEENS1_30default_config_static_selectorELNS0_4arch9wavefront6targetE0EEEvSU_,comdat
.Lfunc_end303:
	.size	_ZN7rocprim17ROCPRIM_400000_NS6detail17trampoline_kernelINS0_14default_configENS1_29binary_search_config_selectorIiiEEZNS1_14transform_implILb0ES3_S5_N6thrust23THRUST_200600_302600_NS6detail15normal_iteratorINS8_7pointerIiNS8_11hip_rocprim5par_tENS8_11use_defaultESE_EEEESG_ZNS1_13binary_searchIS3_S5_PiSG_SG_NS1_16binary_search_opENS9_16wrapped_functionINS8_6system6detail7generic6detail18binary_search_lessEbEEEE10hipError_tPvRmT1_T2_T3_mmT4_T5_P12ihipStream_tbEUlRKiE_EESR_SV_SW_mSX_S10_bEUlT_E_NS1_11comp_targetILNS1_3genE0ELNS1_11target_archE4294967295ELNS1_3gpuE0ELNS1_3repE0EEENS1_30default_config_static_selectorELNS0_4arch9wavefront6targetE0EEEvSU_, .Lfunc_end303-_ZN7rocprim17ROCPRIM_400000_NS6detail17trampoline_kernelINS0_14default_configENS1_29binary_search_config_selectorIiiEEZNS1_14transform_implILb0ES3_S5_N6thrust23THRUST_200600_302600_NS6detail15normal_iteratorINS8_7pointerIiNS8_11hip_rocprim5par_tENS8_11use_defaultESE_EEEESG_ZNS1_13binary_searchIS3_S5_PiSG_SG_NS1_16binary_search_opENS9_16wrapped_functionINS8_6system6detail7generic6detail18binary_search_lessEbEEEE10hipError_tPvRmT1_T2_T3_mmT4_T5_P12ihipStream_tbEUlRKiE_EESR_SV_SW_mSX_S10_bEUlT_E_NS1_11comp_targetILNS1_3genE0ELNS1_11target_archE4294967295ELNS1_3gpuE0ELNS1_3repE0EEENS1_30default_config_static_selectorELNS0_4arch9wavefront6targetE0EEEvSU_
                                        ; -- End function
	.set _ZN7rocprim17ROCPRIM_400000_NS6detail17trampoline_kernelINS0_14default_configENS1_29binary_search_config_selectorIiiEEZNS1_14transform_implILb0ES3_S5_N6thrust23THRUST_200600_302600_NS6detail15normal_iteratorINS8_7pointerIiNS8_11hip_rocprim5par_tENS8_11use_defaultESE_EEEESG_ZNS1_13binary_searchIS3_S5_PiSG_SG_NS1_16binary_search_opENS9_16wrapped_functionINS8_6system6detail7generic6detail18binary_search_lessEbEEEE10hipError_tPvRmT1_T2_T3_mmT4_T5_P12ihipStream_tbEUlRKiE_EESR_SV_SW_mSX_S10_bEUlT_E_NS1_11comp_targetILNS1_3genE0ELNS1_11target_archE4294967295ELNS1_3gpuE0ELNS1_3repE0EEENS1_30default_config_static_selectorELNS0_4arch9wavefront6targetE0EEEvSU_.num_vgpr, 0
	.set _ZN7rocprim17ROCPRIM_400000_NS6detail17trampoline_kernelINS0_14default_configENS1_29binary_search_config_selectorIiiEEZNS1_14transform_implILb0ES3_S5_N6thrust23THRUST_200600_302600_NS6detail15normal_iteratorINS8_7pointerIiNS8_11hip_rocprim5par_tENS8_11use_defaultESE_EEEESG_ZNS1_13binary_searchIS3_S5_PiSG_SG_NS1_16binary_search_opENS9_16wrapped_functionINS8_6system6detail7generic6detail18binary_search_lessEbEEEE10hipError_tPvRmT1_T2_T3_mmT4_T5_P12ihipStream_tbEUlRKiE_EESR_SV_SW_mSX_S10_bEUlT_E_NS1_11comp_targetILNS1_3genE0ELNS1_11target_archE4294967295ELNS1_3gpuE0ELNS1_3repE0EEENS1_30default_config_static_selectorELNS0_4arch9wavefront6targetE0EEEvSU_.num_agpr, 0
	.set _ZN7rocprim17ROCPRIM_400000_NS6detail17trampoline_kernelINS0_14default_configENS1_29binary_search_config_selectorIiiEEZNS1_14transform_implILb0ES3_S5_N6thrust23THRUST_200600_302600_NS6detail15normal_iteratorINS8_7pointerIiNS8_11hip_rocprim5par_tENS8_11use_defaultESE_EEEESG_ZNS1_13binary_searchIS3_S5_PiSG_SG_NS1_16binary_search_opENS9_16wrapped_functionINS8_6system6detail7generic6detail18binary_search_lessEbEEEE10hipError_tPvRmT1_T2_T3_mmT4_T5_P12ihipStream_tbEUlRKiE_EESR_SV_SW_mSX_S10_bEUlT_E_NS1_11comp_targetILNS1_3genE0ELNS1_11target_archE4294967295ELNS1_3gpuE0ELNS1_3repE0EEENS1_30default_config_static_selectorELNS0_4arch9wavefront6targetE0EEEvSU_.numbered_sgpr, 0
	.set _ZN7rocprim17ROCPRIM_400000_NS6detail17trampoline_kernelINS0_14default_configENS1_29binary_search_config_selectorIiiEEZNS1_14transform_implILb0ES3_S5_N6thrust23THRUST_200600_302600_NS6detail15normal_iteratorINS8_7pointerIiNS8_11hip_rocprim5par_tENS8_11use_defaultESE_EEEESG_ZNS1_13binary_searchIS3_S5_PiSG_SG_NS1_16binary_search_opENS9_16wrapped_functionINS8_6system6detail7generic6detail18binary_search_lessEbEEEE10hipError_tPvRmT1_T2_T3_mmT4_T5_P12ihipStream_tbEUlRKiE_EESR_SV_SW_mSX_S10_bEUlT_E_NS1_11comp_targetILNS1_3genE0ELNS1_11target_archE4294967295ELNS1_3gpuE0ELNS1_3repE0EEENS1_30default_config_static_selectorELNS0_4arch9wavefront6targetE0EEEvSU_.num_named_barrier, 0
	.set _ZN7rocprim17ROCPRIM_400000_NS6detail17trampoline_kernelINS0_14default_configENS1_29binary_search_config_selectorIiiEEZNS1_14transform_implILb0ES3_S5_N6thrust23THRUST_200600_302600_NS6detail15normal_iteratorINS8_7pointerIiNS8_11hip_rocprim5par_tENS8_11use_defaultESE_EEEESG_ZNS1_13binary_searchIS3_S5_PiSG_SG_NS1_16binary_search_opENS9_16wrapped_functionINS8_6system6detail7generic6detail18binary_search_lessEbEEEE10hipError_tPvRmT1_T2_T3_mmT4_T5_P12ihipStream_tbEUlRKiE_EESR_SV_SW_mSX_S10_bEUlT_E_NS1_11comp_targetILNS1_3genE0ELNS1_11target_archE4294967295ELNS1_3gpuE0ELNS1_3repE0EEENS1_30default_config_static_selectorELNS0_4arch9wavefront6targetE0EEEvSU_.private_seg_size, 0
	.set _ZN7rocprim17ROCPRIM_400000_NS6detail17trampoline_kernelINS0_14default_configENS1_29binary_search_config_selectorIiiEEZNS1_14transform_implILb0ES3_S5_N6thrust23THRUST_200600_302600_NS6detail15normal_iteratorINS8_7pointerIiNS8_11hip_rocprim5par_tENS8_11use_defaultESE_EEEESG_ZNS1_13binary_searchIS3_S5_PiSG_SG_NS1_16binary_search_opENS9_16wrapped_functionINS8_6system6detail7generic6detail18binary_search_lessEbEEEE10hipError_tPvRmT1_T2_T3_mmT4_T5_P12ihipStream_tbEUlRKiE_EESR_SV_SW_mSX_S10_bEUlT_E_NS1_11comp_targetILNS1_3genE0ELNS1_11target_archE4294967295ELNS1_3gpuE0ELNS1_3repE0EEENS1_30default_config_static_selectorELNS0_4arch9wavefront6targetE0EEEvSU_.uses_vcc, 0
	.set _ZN7rocprim17ROCPRIM_400000_NS6detail17trampoline_kernelINS0_14default_configENS1_29binary_search_config_selectorIiiEEZNS1_14transform_implILb0ES3_S5_N6thrust23THRUST_200600_302600_NS6detail15normal_iteratorINS8_7pointerIiNS8_11hip_rocprim5par_tENS8_11use_defaultESE_EEEESG_ZNS1_13binary_searchIS3_S5_PiSG_SG_NS1_16binary_search_opENS9_16wrapped_functionINS8_6system6detail7generic6detail18binary_search_lessEbEEEE10hipError_tPvRmT1_T2_T3_mmT4_T5_P12ihipStream_tbEUlRKiE_EESR_SV_SW_mSX_S10_bEUlT_E_NS1_11comp_targetILNS1_3genE0ELNS1_11target_archE4294967295ELNS1_3gpuE0ELNS1_3repE0EEENS1_30default_config_static_selectorELNS0_4arch9wavefront6targetE0EEEvSU_.uses_flat_scratch, 0
	.set _ZN7rocprim17ROCPRIM_400000_NS6detail17trampoline_kernelINS0_14default_configENS1_29binary_search_config_selectorIiiEEZNS1_14transform_implILb0ES3_S5_N6thrust23THRUST_200600_302600_NS6detail15normal_iteratorINS8_7pointerIiNS8_11hip_rocprim5par_tENS8_11use_defaultESE_EEEESG_ZNS1_13binary_searchIS3_S5_PiSG_SG_NS1_16binary_search_opENS9_16wrapped_functionINS8_6system6detail7generic6detail18binary_search_lessEbEEEE10hipError_tPvRmT1_T2_T3_mmT4_T5_P12ihipStream_tbEUlRKiE_EESR_SV_SW_mSX_S10_bEUlT_E_NS1_11comp_targetILNS1_3genE0ELNS1_11target_archE4294967295ELNS1_3gpuE0ELNS1_3repE0EEENS1_30default_config_static_selectorELNS0_4arch9wavefront6targetE0EEEvSU_.has_dyn_sized_stack, 0
	.set _ZN7rocprim17ROCPRIM_400000_NS6detail17trampoline_kernelINS0_14default_configENS1_29binary_search_config_selectorIiiEEZNS1_14transform_implILb0ES3_S5_N6thrust23THRUST_200600_302600_NS6detail15normal_iteratorINS8_7pointerIiNS8_11hip_rocprim5par_tENS8_11use_defaultESE_EEEESG_ZNS1_13binary_searchIS3_S5_PiSG_SG_NS1_16binary_search_opENS9_16wrapped_functionINS8_6system6detail7generic6detail18binary_search_lessEbEEEE10hipError_tPvRmT1_T2_T3_mmT4_T5_P12ihipStream_tbEUlRKiE_EESR_SV_SW_mSX_S10_bEUlT_E_NS1_11comp_targetILNS1_3genE0ELNS1_11target_archE4294967295ELNS1_3gpuE0ELNS1_3repE0EEENS1_30default_config_static_selectorELNS0_4arch9wavefront6targetE0EEEvSU_.has_recursion, 0
	.set _ZN7rocprim17ROCPRIM_400000_NS6detail17trampoline_kernelINS0_14default_configENS1_29binary_search_config_selectorIiiEEZNS1_14transform_implILb0ES3_S5_N6thrust23THRUST_200600_302600_NS6detail15normal_iteratorINS8_7pointerIiNS8_11hip_rocprim5par_tENS8_11use_defaultESE_EEEESG_ZNS1_13binary_searchIS3_S5_PiSG_SG_NS1_16binary_search_opENS9_16wrapped_functionINS8_6system6detail7generic6detail18binary_search_lessEbEEEE10hipError_tPvRmT1_T2_T3_mmT4_T5_P12ihipStream_tbEUlRKiE_EESR_SV_SW_mSX_S10_bEUlT_E_NS1_11comp_targetILNS1_3genE0ELNS1_11target_archE4294967295ELNS1_3gpuE0ELNS1_3repE0EEENS1_30default_config_static_selectorELNS0_4arch9wavefront6targetE0EEEvSU_.has_indirect_call, 0
	.section	.AMDGPU.csdata,"",@progbits
; Kernel info:
; codeLenInByte = 0
; TotalNumSgprs: 0
; NumVgprs: 0
; ScratchSize: 0
; MemoryBound: 0
; FloatMode: 240
; IeeeMode: 1
; LDSByteSize: 0 bytes/workgroup (compile time only)
; SGPRBlocks: 0
; VGPRBlocks: 0
; NumSGPRsForWavesPerEU: 1
; NumVGPRsForWavesPerEU: 1
; Occupancy: 16
; WaveLimiterHint : 0
; COMPUTE_PGM_RSRC2:SCRATCH_EN: 0
; COMPUTE_PGM_RSRC2:USER_SGPR: 6
; COMPUTE_PGM_RSRC2:TRAP_HANDLER: 0
; COMPUTE_PGM_RSRC2:TGID_X_EN: 1
; COMPUTE_PGM_RSRC2:TGID_Y_EN: 0
; COMPUTE_PGM_RSRC2:TGID_Z_EN: 0
; COMPUTE_PGM_RSRC2:TIDIG_COMP_CNT: 0
	.section	.text._ZN7rocprim17ROCPRIM_400000_NS6detail17trampoline_kernelINS0_14default_configENS1_29binary_search_config_selectorIiiEEZNS1_14transform_implILb0ES3_S5_N6thrust23THRUST_200600_302600_NS6detail15normal_iteratorINS8_7pointerIiNS8_11hip_rocprim5par_tENS8_11use_defaultESE_EEEESG_ZNS1_13binary_searchIS3_S5_PiSG_SG_NS1_16binary_search_opENS9_16wrapped_functionINS8_6system6detail7generic6detail18binary_search_lessEbEEEE10hipError_tPvRmT1_T2_T3_mmT4_T5_P12ihipStream_tbEUlRKiE_EESR_SV_SW_mSX_S10_bEUlT_E_NS1_11comp_targetILNS1_3genE5ELNS1_11target_archE942ELNS1_3gpuE9ELNS1_3repE0EEENS1_30default_config_static_selectorELNS0_4arch9wavefront6targetE0EEEvSU_,"axG",@progbits,_ZN7rocprim17ROCPRIM_400000_NS6detail17trampoline_kernelINS0_14default_configENS1_29binary_search_config_selectorIiiEEZNS1_14transform_implILb0ES3_S5_N6thrust23THRUST_200600_302600_NS6detail15normal_iteratorINS8_7pointerIiNS8_11hip_rocprim5par_tENS8_11use_defaultESE_EEEESG_ZNS1_13binary_searchIS3_S5_PiSG_SG_NS1_16binary_search_opENS9_16wrapped_functionINS8_6system6detail7generic6detail18binary_search_lessEbEEEE10hipError_tPvRmT1_T2_T3_mmT4_T5_P12ihipStream_tbEUlRKiE_EESR_SV_SW_mSX_S10_bEUlT_E_NS1_11comp_targetILNS1_3genE5ELNS1_11target_archE942ELNS1_3gpuE9ELNS1_3repE0EEENS1_30default_config_static_selectorELNS0_4arch9wavefront6targetE0EEEvSU_,comdat
	.protected	_ZN7rocprim17ROCPRIM_400000_NS6detail17trampoline_kernelINS0_14default_configENS1_29binary_search_config_selectorIiiEEZNS1_14transform_implILb0ES3_S5_N6thrust23THRUST_200600_302600_NS6detail15normal_iteratorINS8_7pointerIiNS8_11hip_rocprim5par_tENS8_11use_defaultESE_EEEESG_ZNS1_13binary_searchIS3_S5_PiSG_SG_NS1_16binary_search_opENS9_16wrapped_functionINS8_6system6detail7generic6detail18binary_search_lessEbEEEE10hipError_tPvRmT1_T2_T3_mmT4_T5_P12ihipStream_tbEUlRKiE_EESR_SV_SW_mSX_S10_bEUlT_E_NS1_11comp_targetILNS1_3genE5ELNS1_11target_archE942ELNS1_3gpuE9ELNS1_3repE0EEENS1_30default_config_static_selectorELNS0_4arch9wavefront6targetE0EEEvSU_ ; -- Begin function _ZN7rocprim17ROCPRIM_400000_NS6detail17trampoline_kernelINS0_14default_configENS1_29binary_search_config_selectorIiiEEZNS1_14transform_implILb0ES3_S5_N6thrust23THRUST_200600_302600_NS6detail15normal_iteratorINS8_7pointerIiNS8_11hip_rocprim5par_tENS8_11use_defaultESE_EEEESG_ZNS1_13binary_searchIS3_S5_PiSG_SG_NS1_16binary_search_opENS9_16wrapped_functionINS8_6system6detail7generic6detail18binary_search_lessEbEEEE10hipError_tPvRmT1_T2_T3_mmT4_T5_P12ihipStream_tbEUlRKiE_EESR_SV_SW_mSX_S10_bEUlT_E_NS1_11comp_targetILNS1_3genE5ELNS1_11target_archE942ELNS1_3gpuE9ELNS1_3repE0EEENS1_30default_config_static_selectorELNS0_4arch9wavefront6targetE0EEEvSU_
	.globl	_ZN7rocprim17ROCPRIM_400000_NS6detail17trampoline_kernelINS0_14default_configENS1_29binary_search_config_selectorIiiEEZNS1_14transform_implILb0ES3_S5_N6thrust23THRUST_200600_302600_NS6detail15normal_iteratorINS8_7pointerIiNS8_11hip_rocprim5par_tENS8_11use_defaultESE_EEEESG_ZNS1_13binary_searchIS3_S5_PiSG_SG_NS1_16binary_search_opENS9_16wrapped_functionINS8_6system6detail7generic6detail18binary_search_lessEbEEEE10hipError_tPvRmT1_T2_T3_mmT4_T5_P12ihipStream_tbEUlRKiE_EESR_SV_SW_mSX_S10_bEUlT_E_NS1_11comp_targetILNS1_3genE5ELNS1_11target_archE942ELNS1_3gpuE9ELNS1_3repE0EEENS1_30default_config_static_selectorELNS0_4arch9wavefront6targetE0EEEvSU_
	.p2align	8
	.type	_ZN7rocprim17ROCPRIM_400000_NS6detail17trampoline_kernelINS0_14default_configENS1_29binary_search_config_selectorIiiEEZNS1_14transform_implILb0ES3_S5_N6thrust23THRUST_200600_302600_NS6detail15normal_iteratorINS8_7pointerIiNS8_11hip_rocprim5par_tENS8_11use_defaultESE_EEEESG_ZNS1_13binary_searchIS3_S5_PiSG_SG_NS1_16binary_search_opENS9_16wrapped_functionINS8_6system6detail7generic6detail18binary_search_lessEbEEEE10hipError_tPvRmT1_T2_T3_mmT4_T5_P12ihipStream_tbEUlRKiE_EESR_SV_SW_mSX_S10_bEUlT_E_NS1_11comp_targetILNS1_3genE5ELNS1_11target_archE942ELNS1_3gpuE9ELNS1_3repE0EEENS1_30default_config_static_selectorELNS0_4arch9wavefront6targetE0EEEvSU_,@function
_ZN7rocprim17ROCPRIM_400000_NS6detail17trampoline_kernelINS0_14default_configENS1_29binary_search_config_selectorIiiEEZNS1_14transform_implILb0ES3_S5_N6thrust23THRUST_200600_302600_NS6detail15normal_iteratorINS8_7pointerIiNS8_11hip_rocprim5par_tENS8_11use_defaultESE_EEEESG_ZNS1_13binary_searchIS3_S5_PiSG_SG_NS1_16binary_search_opENS9_16wrapped_functionINS8_6system6detail7generic6detail18binary_search_lessEbEEEE10hipError_tPvRmT1_T2_T3_mmT4_T5_P12ihipStream_tbEUlRKiE_EESR_SV_SW_mSX_S10_bEUlT_E_NS1_11comp_targetILNS1_3genE5ELNS1_11target_archE942ELNS1_3gpuE9ELNS1_3repE0EEENS1_30default_config_static_selectorELNS0_4arch9wavefront6targetE0EEEvSU_: ; @_ZN7rocprim17ROCPRIM_400000_NS6detail17trampoline_kernelINS0_14default_configENS1_29binary_search_config_selectorIiiEEZNS1_14transform_implILb0ES3_S5_N6thrust23THRUST_200600_302600_NS6detail15normal_iteratorINS8_7pointerIiNS8_11hip_rocprim5par_tENS8_11use_defaultESE_EEEESG_ZNS1_13binary_searchIS3_S5_PiSG_SG_NS1_16binary_search_opENS9_16wrapped_functionINS8_6system6detail7generic6detail18binary_search_lessEbEEEE10hipError_tPvRmT1_T2_T3_mmT4_T5_P12ihipStream_tbEUlRKiE_EESR_SV_SW_mSX_S10_bEUlT_E_NS1_11comp_targetILNS1_3genE5ELNS1_11target_archE942ELNS1_3gpuE9ELNS1_3repE0EEENS1_30default_config_static_selectorELNS0_4arch9wavefront6targetE0EEEvSU_
; %bb.0:
	.section	.rodata,"a",@progbits
	.p2align	6, 0x0
	.amdhsa_kernel _ZN7rocprim17ROCPRIM_400000_NS6detail17trampoline_kernelINS0_14default_configENS1_29binary_search_config_selectorIiiEEZNS1_14transform_implILb0ES3_S5_N6thrust23THRUST_200600_302600_NS6detail15normal_iteratorINS8_7pointerIiNS8_11hip_rocprim5par_tENS8_11use_defaultESE_EEEESG_ZNS1_13binary_searchIS3_S5_PiSG_SG_NS1_16binary_search_opENS9_16wrapped_functionINS8_6system6detail7generic6detail18binary_search_lessEbEEEE10hipError_tPvRmT1_T2_T3_mmT4_T5_P12ihipStream_tbEUlRKiE_EESR_SV_SW_mSX_S10_bEUlT_E_NS1_11comp_targetILNS1_3genE5ELNS1_11target_archE942ELNS1_3gpuE9ELNS1_3repE0EEENS1_30default_config_static_selectorELNS0_4arch9wavefront6targetE0EEEvSU_
		.amdhsa_group_segment_fixed_size 0
		.amdhsa_private_segment_fixed_size 0
		.amdhsa_kernarg_size 56
		.amdhsa_user_sgpr_count 6
		.amdhsa_user_sgpr_private_segment_buffer 1
		.amdhsa_user_sgpr_dispatch_ptr 0
		.amdhsa_user_sgpr_queue_ptr 0
		.amdhsa_user_sgpr_kernarg_segment_ptr 1
		.amdhsa_user_sgpr_dispatch_id 0
		.amdhsa_user_sgpr_flat_scratch_init 0
		.amdhsa_user_sgpr_private_segment_size 0
		.amdhsa_wavefront_size32 1
		.amdhsa_uses_dynamic_stack 0
		.amdhsa_system_sgpr_private_segment_wavefront_offset 0
		.amdhsa_system_sgpr_workgroup_id_x 1
		.amdhsa_system_sgpr_workgroup_id_y 0
		.amdhsa_system_sgpr_workgroup_id_z 0
		.amdhsa_system_sgpr_workgroup_info 0
		.amdhsa_system_vgpr_workitem_id 0
		.amdhsa_next_free_vgpr 1
		.amdhsa_next_free_sgpr 1
		.amdhsa_reserve_vcc 0
		.amdhsa_reserve_flat_scratch 0
		.amdhsa_float_round_mode_32 0
		.amdhsa_float_round_mode_16_64 0
		.amdhsa_float_denorm_mode_32 3
		.amdhsa_float_denorm_mode_16_64 3
		.amdhsa_dx10_clamp 1
		.amdhsa_ieee_mode 1
		.amdhsa_fp16_overflow 0
		.amdhsa_workgroup_processor_mode 1
		.amdhsa_memory_ordered 1
		.amdhsa_forward_progress 1
		.amdhsa_shared_vgpr_count 0
		.amdhsa_exception_fp_ieee_invalid_op 0
		.amdhsa_exception_fp_denorm_src 0
		.amdhsa_exception_fp_ieee_div_zero 0
		.amdhsa_exception_fp_ieee_overflow 0
		.amdhsa_exception_fp_ieee_underflow 0
		.amdhsa_exception_fp_ieee_inexact 0
		.amdhsa_exception_int_div_zero 0
	.end_amdhsa_kernel
	.section	.text._ZN7rocprim17ROCPRIM_400000_NS6detail17trampoline_kernelINS0_14default_configENS1_29binary_search_config_selectorIiiEEZNS1_14transform_implILb0ES3_S5_N6thrust23THRUST_200600_302600_NS6detail15normal_iteratorINS8_7pointerIiNS8_11hip_rocprim5par_tENS8_11use_defaultESE_EEEESG_ZNS1_13binary_searchIS3_S5_PiSG_SG_NS1_16binary_search_opENS9_16wrapped_functionINS8_6system6detail7generic6detail18binary_search_lessEbEEEE10hipError_tPvRmT1_T2_T3_mmT4_T5_P12ihipStream_tbEUlRKiE_EESR_SV_SW_mSX_S10_bEUlT_E_NS1_11comp_targetILNS1_3genE5ELNS1_11target_archE942ELNS1_3gpuE9ELNS1_3repE0EEENS1_30default_config_static_selectorELNS0_4arch9wavefront6targetE0EEEvSU_,"axG",@progbits,_ZN7rocprim17ROCPRIM_400000_NS6detail17trampoline_kernelINS0_14default_configENS1_29binary_search_config_selectorIiiEEZNS1_14transform_implILb0ES3_S5_N6thrust23THRUST_200600_302600_NS6detail15normal_iteratorINS8_7pointerIiNS8_11hip_rocprim5par_tENS8_11use_defaultESE_EEEESG_ZNS1_13binary_searchIS3_S5_PiSG_SG_NS1_16binary_search_opENS9_16wrapped_functionINS8_6system6detail7generic6detail18binary_search_lessEbEEEE10hipError_tPvRmT1_T2_T3_mmT4_T5_P12ihipStream_tbEUlRKiE_EESR_SV_SW_mSX_S10_bEUlT_E_NS1_11comp_targetILNS1_3genE5ELNS1_11target_archE942ELNS1_3gpuE9ELNS1_3repE0EEENS1_30default_config_static_selectorELNS0_4arch9wavefront6targetE0EEEvSU_,comdat
.Lfunc_end304:
	.size	_ZN7rocprim17ROCPRIM_400000_NS6detail17trampoline_kernelINS0_14default_configENS1_29binary_search_config_selectorIiiEEZNS1_14transform_implILb0ES3_S5_N6thrust23THRUST_200600_302600_NS6detail15normal_iteratorINS8_7pointerIiNS8_11hip_rocprim5par_tENS8_11use_defaultESE_EEEESG_ZNS1_13binary_searchIS3_S5_PiSG_SG_NS1_16binary_search_opENS9_16wrapped_functionINS8_6system6detail7generic6detail18binary_search_lessEbEEEE10hipError_tPvRmT1_T2_T3_mmT4_T5_P12ihipStream_tbEUlRKiE_EESR_SV_SW_mSX_S10_bEUlT_E_NS1_11comp_targetILNS1_3genE5ELNS1_11target_archE942ELNS1_3gpuE9ELNS1_3repE0EEENS1_30default_config_static_selectorELNS0_4arch9wavefront6targetE0EEEvSU_, .Lfunc_end304-_ZN7rocprim17ROCPRIM_400000_NS6detail17trampoline_kernelINS0_14default_configENS1_29binary_search_config_selectorIiiEEZNS1_14transform_implILb0ES3_S5_N6thrust23THRUST_200600_302600_NS6detail15normal_iteratorINS8_7pointerIiNS8_11hip_rocprim5par_tENS8_11use_defaultESE_EEEESG_ZNS1_13binary_searchIS3_S5_PiSG_SG_NS1_16binary_search_opENS9_16wrapped_functionINS8_6system6detail7generic6detail18binary_search_lessEbEEEE10hipError_tPvRmT1_T2_T3_mmT4_T5_P12ihipStream_tbEUlRKiE_EESR_SV_SW_mSX_S10_bEUlT_E_NS1_11comp_targetILNS1_3genE5ELNS1_11target_archE942ELNS1_3gpuE9ELNS1_3repE0EEENS1_30default_config_static_selectorELNS0_4arch9wavefront6targetE0EEEvSU_
                                        ; -- End function
	.set _ZN7rocprim17ROCPRIM_400000_NS6detail17trampoline_kernelINS0_14default_configENS1_29binary_search_config_selectorIiiEEZNS1_14transform_implILb0ES3_S5_N6thrust23THRUST_200600_302600_NS6detail15normal_iteratorINS8_7pointerIiNS8_11hip_rocprim5par_tENS8_11use_defaultESE_EEEESG_ZNS1_13binary_searchIS3_S5_PiSG_SG_NS1_16binary_search_opENS9_16wrapped_functionINS8_6system6detail7generic6detail18binary_search_lessEbEEEE10hipError_tPvRmT1_T2_T3_mmT4_T5_P12ihipStream_tbEUlRKiE_EESR_SV_SW_mSX_S10_bEUlT_E_NS1_11comp_targetILNS1_3genE5ELNS1_11target_archE942ELNS1_3gpuE9ELNS1_3repE0EEENS1_30default_config_static_selectorELNS0_4arch9wavefront6targetE0EEEvSU_.num_vgpr, 0
	.set _ZN7rocprim17ROCPRIM_400000_NS6detail17trampoline_kernelINS0_14default_configENS1_29binary_search_config_selectorIiiEEZNS1_14transform_implILb0ES3_S5_N6thrust23THRUST_200600_302600_NS6detail15normal_iteratorINS8_7pointerIiNS8_11hip_rocprim5par_tENS8_11use_defaultESE_EEEESG_ZNS1_13binary_searchIS3_S5_PiSG_SG_NS1_16binary_search_opENS9_16wrapped_functionINS8_6system6detail7generic6detail18binary_search_lessEbEEEE10hipError_tPvRmT1_T2_T3_mmT4_T5_P12ihipStream_tbEUlRKiE_EESR_SV_SW_mSX_S10_bEUlT_E_NS1_11comp_targetILNS1_3genE5ELNS1_11target_archE942ELNS1_3gpuE9ELNS1_3repE0EEENS1_30default_config_static_selectorELNS0_4arch9wavefront6targetE0EEEvSU_.num_agpr, 0
	.set _ZN7rocprim17ROCPRIM_400000_NS6detail17trampoline_kernelINS0_14default_configENS1_29binary_search_config_selectorIiiEEZNS1_14transform_implILb0ES3_S5_N6thrust23THRUST_200600_302600_NS6detail15normal_iteratorINS8_7pointerIiNS8_11hip_rocprim5par_tENS8_11use_defaultESE_EEEESG_ZNS1_13binary_searchIS3_S5_PiSG_SG_NS1_16binary_search_opENS9_16wrapped_functionINS8_6system6detail7generic6detail18binary_search_lessEbEEEE10hipError_tPvRmT1_T2_T3_mmT4_T5_P12ihipStream_tbEUlRKiE_EESR_SV_SW_mSX_S10_bEUlT_E_NS1_11comp_targetILNS1_3genE5ELNS1_11target_archE942ELNS1_3gpuE9ELNS1_3repE0EEENS1_30default_config_static_selectorELNS0_4arch9wavefront6targetE0EEEvSU_.numbered_sgpr, 0
	.set _ZN7rocprim17ROCPRIM_400000_NS6detail17trampoline_kernelINS0_14default_configENS1_29binary_search_config_selectorIiiEEZNS1_14transform_implILb0ES3_S5_N6thrust23THRUST_200600_302600_NS6detail15normal_iteratorINS8_7pointerIiNS8_11hip_rocprim5par_tENS8_11use_defaultESE_EEEESG_ZNS1_13binary_searchIS3_S5_PiSG_SG_NS1_16binary_search_opENS9_16wrapped_functionINS8_6system6detail7generic6detail18binary_search_lessEbEEEE10hipError_tPvRmT1_T2_T3_mmT4_T5_P12ihipStream_tbEUlRKiE_EESR_SV_SW_mSX_S10_bEUlT_E_NS1_11comp_targetILNS1_3genE5ELNS1_11target_archE942ELNS1_3gpuE9ELNS1_3repE0EEENS1_30default_config_static_selectorELNS0_4arch9wavefront6targetE0EEEvSU_.num_named_barrier, 0
	.set _ZN7rocprim17ROCPRIM_400000_NS6detail17trampoline_kernelINS0_14default_configENS1_29binary_search_config_selectorIiiEEZNS1_14transform_implILb0ES3_S5_N6thrust23THRUST_200600_302600_NS6detail15normal_iteratorINS8_7pointerIiNS8_11hip_rocprim5par_tENS8_11use_defaultESE_EEEESG_ZNS1_13binary_searchIS3_S5_PiSG_SG_NS1_16binary_search_opENS9_16wrapped_functionINS8_6system6detail7generic6detail18binary_search_lessEbEEEE10hipError_tPvRmT1_T2_T3_mmT4_T5_P12ihipStream_tbEUlRKiE_EESR_SV_SW_mSX_S10_bEUlT_E_NS1_11comp_targetILNS1_3genE5ELNS1_11target_archE942ELNS1_3gpuE9ELNS1_3repE0EEENS1_30default_config_static_selectorELNS0_4arch9wavefront6targetE0EEEvSU_.private_seg_size, 0
	.set _ZN7rocprim17ROCPRIM_400000_NS6detail17trampoline_kernelINS0_14default_configENS1_29binary_search_config_selectorIiiEEZNS1_14transform_implILb0ES3_S5_N6thrust23THRUST_200600_302600_NS6detail15normal_iteratorINS8_7pointerIiNS8_11hip_rocprim5par_tENS8_11use_defaultESE_EEEESG_ZNS1_13binary_searchIS3_S5_PiSG_SG_NS1_16binary_search_opENS9_16wrapped_functionINS8_6system6detail7generic6detail18binary_search_lessEbEEEE10hipError_tPvRmT1_T2_T3_mmT4_T5_P12ihipStream_tbEUlRKiE_EESR_SV_SW_mSX_S10_bEUlT_E_NS1_11comp_targetILNS1_3genE5ELNS1_11target_archE942ELNS1_3gpuE9ELNS1_3repE0EEENS1_30default_config_static_selectorELNS0_4arch9wavefront6targetE0EEEvSU_.uses_vcc, 0
	.set _ZN7rocprim17ROCPRIM_400000_NS6detail17trampoline_kernelINS0_14default_configENS1_29binary_search_config_selectorIiiEEZNS1_14transform_implILb0ES3_S5_N6thrust23THRUST_200600_302600_NS6detail15normal_iteratorINS8_7pointerIiNS8_11hip_rocprim5par_tENS8_11use_defaultESE_EEEESG_ZNS1_13binary_searchIS3_S5_PiSG_SG_NS1_16binary_search_opENS9_16wrapped_functionINS8_6system6detail7generic6detail18binary_search_lessEbEEEE10hipError_tPvRmT1_T2_T3_mmT4_T5_P12ihipStream_tbEUlRKiE_EESR_SV_SW_mSX_S10_bEUlT_E_NS1_11comp_targetILNS1_3genE5ELNS1_11target_archE942ELNS1_3gpuE9ELNS1_3repE0EEENS1_30default_config_static_selectorELNS0_4arch9wavefront6targetE0EEEvSU_.uses_flat_scratch, 0
	.set _ZN7rocprim17ROCPRIM_400000_NS6detail17trampoline_kernelINS0_14default_configENS1_29binary_search_config_selectorIiiEEZNS1_14transform_implILb0ES3_S5_N6thrust23THRUST_200600_302600_NS6detail15normal_iteratorINS8_7pointerIiNS8_11hip_rocprim5par_tENS8_11use_defaultESE_EEEESG_ZNS1_13binary_searchIS3_S5_PiSG_SG_NS1_16binary_search_opENS9_16wrapped_functionINS8_6system6detail7generic6detail18binary_search_lessEbEEEE10hipError_tPvRmT1_T2_T3_mmT4_T5_P12ihipStream_tbEUlRKiE_EESR_SV_SW_mSX_S10_bEUlT_E_NS1_11comp_targetILNS1_3genE5ELNS1_11target_archE942ELNS1_3gpuE9ELNS1_3repE0EEENS1_30default_config_static_selectorELNS0_4arch9wavefront6targetE0EEEvSU_.has_dyn_sized_stack, 0
	.set _ZN7rocprim17ROCPRIM_400000_NS6detail17trampoline_kernelINS0_14default_configENS1_29binary_search_config_selectorIiiEEZNS1_14transform_implILb0ES3_S5_N6thrust23THRUST_200600_302600_NS6detail15normal_iteratorINS8_7pointerIiNS8_11hip_rocprim5par_tENS8_11use_defaultESE_EEEESG_ZNS1_13binary_searchIS3_S5_PiSG_SG_NS1_16binary_search_opENS9_16wrapped_functionINS8_6system6detail7generic6detail18binary_search_lessEbEEEE10hipError_tPvRmT1_T2_T3_mmT4_T5_P12ihipStream_tbEUlRKiE_EESR_SV_SW_mSX_S10_bEUlT_E_NS1_11comp_targetILNS1_3genE5ELNS1_11target_archE942ELNS1_3gpuE9ELNS1_3repE0EEENS1_30default_config_static_selectorELNS0_4arch9wavefront6targetE0EEEvSU_.has_recursion, 0
	.set _ZN7rocprim17ROCPRIM_400000_NS6detail17trampoline_kernelINS0_14default_configENS1_29binary_search_config_selectorIiiEEZNS1_14transform_implILb0ES3_S5_N6thrust23THRUST_200600_302600_NS6detail15normal_iteratorINS8_7pointerIiNS8_11hip_rocprim5par_tENS8_11use_defaultESE_EEEESG_ZNS1_13binary_searchIS3_S5_PiSG_SG_NS1_16binary_search_opENS9_16wrapped_functionINS8_6system6detail7generic6detail18binary_search_lessEbEEEE10hipError_tPvRmT1_T2_T3_mmT4_T5_P12ihipStream_tbEUlRKiE_EESR_SV_SW_mSX_S10_bEUlT_E_NS1_11comp_targetILNS1_3genE5ELNS1_11target_archE942ELNS1_3gpuE9ELNS1_3repE0EEENS1_30default_config_static_selectorELNS0_4arch9wavefront6targetE0EEEvSU_.has_indirect_call, 0
	.section	.AMDGPU.csdata,"",@progbits
; Kernel info:
; codeLenInByte = 0
; TotalNumSgprs: 0
; NumVgprs: 0
; ScratchSize: 0
; MemoryBound: 0
; FloatMode: 240
; IeeeMode: 1
; LDSByteSize: 0 bytes/workgroup (compile time only)
; SGPRBlocks: 0
; VGPRBlocks: 0
; NumSGPRsForWavesPerEU: 1
; NumVGPRsForWavesPerEU: 1
; Occupancy: 16
; WaveLimiterHint : 0
; COMPUTE_PGM_RSRC2:SCRATCH_EN: 0
; COMPUTE_PGM_RSRC2:USER_SGPR: 6
; COMPUTE_PGM_RSRC2:TRAP_HANDLER: 0
; COMPUTE_PGM_RSRC2:TGID_X_EN: 1
; COMPUTE_PGM_RSRC2:TGID_Y_EN: 0
; COMPUTE_PGM_RSRC2:TGID_Z_EN: 0
; COMPUTE_PGM_RSRC2:TIDIG_COMP_CNT: 0
	.section	.text._ZN7rocprim17ROCPRIM_400000_NS6detail17trampoline_kernelINS0_14default_configENS1_29binary_search_config_selectorIiiEEZNS1_14transform_implILb0ES3_S5_N6thrust23THRUST_200600_302600_NS6detail15normal_iteratorINS8_7pointerIiNS8_11hip_rocprim5par_tENS8_11use_defaultESE_EEEESG_ZNS1_13binary_searchIS3_S5_PiSG_SG_NS1_16binary_search_opENS9_16wrapped_functionINS8_6system6detail7generic6detail18binary_search_lessEbEEEE10hipError_tPvRmT1_T2_T3_mmT4_T5_P12ihipStream_tbEUlRKiE_EESR_SV_SW_mSX_S10_bEUlT_E_NS1_11comp_targetILNS1_3genE4ELNS1_11target_archE910ELNS1_3gpuE8ELNS1_3repE0EEENS1_30default_config_static_selectorELNS0_4arch9wavefront6targetE0EEEvSU_,"axG",@progbits,_ZN7rocprim17ROCPRIM_400000_NS6detail17trampoline_kernelINS0_14default_configENS1_29binary_search_config_selectorIiiEEZNS1_14transform_implILb0ES3_S5_N6thrust23THRUST_200600_302600_NS6detail15normal_iteratorINS8_7pointerIiNS8_11hip_rocprim5par_tENS8_11use_defaultESE_EEEESG_ZNS1_13binary_searchIS3_S5_PiSG_SG_NS1_16binary_search_opENS9_16wrapped_functionINS8_6system6detail7generic6detail18binary_search_lessEbEEEE10hipError_tPvRmT1_T2_T3_mmT4_T5_P12ihipStream_tbEUlRKiE_EESR_SV_SW_mSX_S10_bEUlT_E_NS1_11comp_targetILNS1_3genE4ELNS1_11target_archE910ELNS1_3gpuE8ELNS1_3repE0EEENS1_30default_config_static_selectorELNS0_4arch9wavefront6targetE0EEEvSU_,comdat
	.protected	_ZN7rocprim17ROCPRIM_400000_NS6detail17trampoline_kernelINS0_14default_configENS1_29binary_search_config_selectorIiiEEZNS1_14transform_implILb0ES3_S5_N6thrust23THRUST_200600_302600_NS6detail15normal_iteratorINS8_7pointerIiNS8_11hip_rocprim5par_tENS8_11use_defaultESE_EEEESG_ZNS1_13binary_searchIS3_S5_PiSG_SG_NS1_16binary_search_opENS9_16wrapped_functionINS8_6system6detail7generic6detail18binary_search_lessEbEEEE10hipError_tPvRmT1_T2_T3_mmT4_T5_P12ihipStream_tbEUlRKiE_EESR_SV_SW_mSX_S10_bEUlT_E_NS1_11comp_targetILNS1_3genE4ELNS1_11target_archE910ELNS1_3gpuE8ELNS1_3repE0EEENS1_30default_config_static_selectorELNS0_4arch9wavefront6targetE0EEEvSU_ ; -- Begin function _ZN7rocprim17ROCPRIM_400000_NS6detail17trampoline_kernelINS0_14default_configENS1_29binary_search_config_selectorIiiEEZNS1_14transform_implILb0ES3_S5_N6thrust23THRUST_200600_302600_NS6detail15normal_iteratorINS8_7pointerIiNS8_11hip_rocprim5par_tENS8_11use_defaultESE_EEEESG_ZNS1_13binary_searchIS3_S5_PiSG_SG_NS1_16binary_search_opENS9_16wrapped_functionINS8_6system6detail7generic6detail18binary_search_lessEbEEEE10hipError_tPvRmT1_T2_T3_mmT4_T5_P12ihipStream_tbEUlRKiE_EESR_SV_SW_mSX_S10_bEUlT_E_NS1_11comp_targetILNS1_3genE4ELNS1_11target_archE910ELNS1_3gpuE8ELNS1_3repE0EEENS1_30default_config_static_selectorELNS0_4arch9wavefront6targetE0EEEvSU_
	.globl	_ZN7rocprim17ROCPRIM_400000_NS6detail17trampoline_kernelINS0_14default_configENS1_29binary_search_config_selectorIiiEEZNS1_14transform_implILb0ES3_S5_N6thrust23THRUST_200600_302600_NS6detail15normal_iteratorINS8_7pointerIiNS8_11hip_rocprim5par_tENS8_11use_defaultESE_EEEESG_ZNS1_13binary_searchIS3_S5_PiSG_SG_NS1_16binary_search_opENS9_16wrapped_functionINS8_6system6detail7generic6detail18binary_search_lessEbEEEE10hipError_tPvRmT1_T2_T3_mmT4_T5_P12ihipStream_tbEUlRKiE_EESR_SV_SW_mSX_S10_bEUlT_E_NS1_11comp_targetILNS1_3genE4ELNS1_11target_archE910ELNS1_3gpuE8ELNS1_3repE0EEENS1_30default_config_static_selectorELNS0_4arch9wavefront6targetE0EEEvSU_
	.p2align	8
	.type	_ZN7rocprim17ROCPRIM_400000_NS6detail17trampoline_kernelINS0_14default_configENS1_29binary_search_config_selectorIiiEEZNS1_14transform_implILb0ES3_S5_N6thrust23THRUST_200600_302600_NS6detail15normal_iteratorINS8_7pointerIiNS8_11hip_rocprim5par_tENS8_11use_defaultESE_EEEESG_ZNS1_13binary_searchIS3_S5_PiSG_SG_NS1_16binary_search_opENS9_16wrapped_functionINS8_6system6detail7generic6detail18binary_search_lessEbEEEE10hipError_tPvRmT1_T2_T3_mmT4_T5_P12ihipStream_tbEUlRKiE_EESR_SV_SW_mSX_S10_bEUlT_E_NS1_11comp_targetILNS1_3genE4ELNS1_11target_archE910ELNS1_3gpuE8ELNS1_3repE0EEENS1_30default_config_static_selectorELNS0_4arch9wavefront6targetE0EEEvSU_,@function
_ZN7rocprim17ROCPRIM_400000_NS6detail17trampoline_kernelINS0_14default_configENS1_29binary_search_config_selectorIiiEEZNS1_14transform_implILb0ES3_S5_N6thrust23THRUST_200600_302600_NS6detail15normal_iteratorINS8_7pointerIiNS8_11hip_rocprim5par_tENS8_11use_defaultESE_EEEESG_ZNS1_13binary_searchIS3_S5_PiSG_SG_NS1_16binary_search_opENS9_16wrapped_functionINS8_6system6detail7generic6detail18binary_search_lessEbEEEE10hipError_tPvRmT1_T2_T3_mmT4_T5_P12ihipStream_tbEUlRKiE_EESR_SV_SW_mSX_S10_bEUlT_E_NS1_11comp_targetILNS1_3genE4ELNS1_11target_archE910ELNS1_3gpuE8ELNS1_3repE0EEENS1_30default_config_static_selectorELNS0_4arch9wavefront6targetE0EEEvSU_: ; @_ZN7rocprim17ROCPRIM_400000_NS6detail17trampoline_kernelINS0_14default_configENS1_29binary_search_config_selectorIiiEEZNS1_14transform_implILb0ES3_S5_N6thrust23THRUST_200600_302600_NS6detail15normal_iteratorINS8_7pointerIiNS8_11hip_rocprim5par_tENS8_11use_defaultESE_EEEESG_ZNS1_13binary_searchIS3_S5_PiSG_SG_NS1_16binary_search_opENS9_16wrapped_functionINS8_6system6detail7generic6detail18binary_search_lessEbEEEE10hipError_tPvRmT1_T2_T3_mmT4_T5_P12ihipStream_tbEUlRKiE_EESR_SV_SW_mSX_S10_bEUlT_E_NS1_11comp_targetILNS1_3genE4ELNS1_11target_archE910ELNS1_3gpuE8ELNS1_3repE0EEENS1_30default_config_static_selectorELNS0_4arch9wavefront6targetE0EEEvSU_
; %bb.0:
	.section	.rodata,"a",@progbits
	.p2align	6, 0x0
	.amdhsa_kernel _ZN7rocprim17ROCPRIM_400000_NS6detail17trampoline_kernelINS0_14default_configENS1_29binary_search_config_selectorIiiEEZNS1_14transform_implILb0ES3_S5_N6thrust23THRUST_200600_302600_NS6detail15normal_iteratorINS8_7pointerIiNS8_11hip_rocprim5par_tENS8_11use_defaultESE_EEEESG_ZNS1_13binary_searchIS3_S5_PiSG_SG_NS1_16binary_search_opENS9_16wrapped_functionINS8_6system6detail7generic6detail18binary_search_lessEbEEEE10hipError_tPvRmT1_T2_T3_mmT4_T5_P12ihipStream_tbEUlRKiE_EESR_SV_SW_mSX_S10_bEUlT_E_NS1_11comp_targetILNS1_3genE4ELNS1_11target_archE910ELNS1_3gpuE8ELNS1_3repE0EEENS1_30default_config_static_selectorELNS0_4arch9wavefront6targetE0EEEvSU_
		.amdhsa_group_segment_fixed_size 0
		.amdhsa_private_segment_fixed_size 0
		.amdhsa_kernarg_size 56
		.amdhsa_user_sgpr_count 6
		.amdhsa_user_sgpr_private_segment_buffer 1
		.amdhsa_user_sgpr_dispatch_ptr 0
		.amdhsa_user_sgpr_queue_ptr 0
		.amdhsa_user_sgpr_kernarg_segment_ptr 1
		.amdhsa_user_sgpr_dispatch_id 0
		.amdhsa_user_sgpr_flat_scratch_init 0
		.amdhsa_user_sgpr_private_segment_size 0
		.amdhsa_wavefront_size32 1
		.amdhsa_uses_dynamic_stack 0
		.amdhsa_system_sgpr_private_segment_wavefront_offset 0
		.amdhsa_system_sgpr_workgroup_id_x 1
		.amdhsa_system_sgpr_workgroup_id_y 0
		.amdhsa_system_sgpr_workgroup_id_z 0
		.amdhsa_system_sgpr_workgroup_info 0
		.amdhsa_system_vgpr_workitem_id 0
		.amdhsa_next_free_vgpr 1
		.amdhsa_next_free_sgpr 1
		.amdhsa_reserve_vcc 0
		.amdhsa_reserve_flat_scratch 0
		.amdhsa_float_round_mode_32 0
		.amdhsa_float_round_mode_16_64 0
		.amdhsa_float_denorm_mode_32 3
		.amdhsa_float_denorm_mode_16_64 3
		.amdhsa_dx10_clamp 1
		.amdhsa_ieee_mode 1
		.amdhsa_fp16_overflow 0
		.amdhsa_workgroup_processor_mode 1
		.amdhsa_memory_ordered 1
		.amdhsa_forward_progress 1
		.amdhsa_shared_vgpr_count 0
		.amdhsa_exception_fp_ieee_invalid_op 0
		.amdhsa_exception_fp_denorm_src 0
		.amdhsa_exception_fp_ieee_div_zero 0
		.amdhsa_exception_fp_ieee_overflow 0
		.amdhsa_exception_fp_ieee_underflow 0
		.amdhsa_exception_fp_ieee_inexact 0
		.amdhsa_exception_int_div_zero 0
	.end_amdhsa_kernel
	.section	.text._ZN7rocprim17ROCPRIM_400000_NS6detail17trampoline_kernelINS0_14default_configENS1_29binary_search_config_selectorIiiEEZNS1_14transform_implILb0ES3_S5_N6thrust23THRUST_200600_302600_NS6detail15normal_iteratorINS8_7pointerIiNS8_11hip_rocprim5par_tENS8_11use_defaultESE_EEEESG_ZNS1_13binary_searchIS3_S5_PiSG_SG_NS1_16binary_search_opENS9_16wrapped_functionINS8_6system6detail7generic6detail18binary_search_lessEbEEEE10hipError_tPvRmT1_T2_T3_mmT4_T5_P12ihipStream_tbEUlRKiE_EESR_SV_SW_mSX_S10_bEUlT_E_NS1_11comp_targetILNS1_3genE4ELNS1_11target_archE910ELNS1_3gpuE8ELNS1_3repE0EEENS1_30default_config_static_selectorELNS0_4arch9wavefront6targetE0EEEvSU_,"axG",@progbits,_ZN7rocprim17ROCPRIM_400000_NS6detail17trampoline_kernelINS0_14default_configENS1_29binary_search_config_selectorIiiEEZNS1_14transform_implILb0ES3_S5_N6thrust23THRUST_200600_302600_NS6detail15normal_iteratorINS8_7pointerIiNS8_11hip_rocprim5par_tENS8_11use_defaultESE_EEEESG_ZNS1_13binary_searchIS3_S5_PiSG_SG_NS1_16binary_search_opENS9_16wrapped_functionINS8_6system6detail7generic6detail18binary_search_lessEbEEEE10hipError_tPvRmT1_T2_T3_mmT4_T5_P12ihipStream_tbEUlRKiE_EESR_SV_SW_mSX_S10_bEUlT_E_NS1_11comp_targetILNS1_3genE4ELNS1_11target_archE910ELNS1_3gpuE8ELNS1_3repE0EEENS1_30default_config_static_selectorELNS0_4arch9wavefront6targetE0EEEvSU_,comdat
.Lfunc_end305:
	.size	_ZN7rocprim17ROCPRIM_400000_NS6detail17trampoline_kernelINS0_14default_configENS1_29binary_search_config_selectorIiiEEZNS1_14transform_implILb0ES3_S5_N6thrust23THRUST_200600_302600_NS6detail15normal_iteratorINS8_7pointerIiNS8_11hip_rocprim5par_tENS8_11use_defaultESE_EEEESG_ZNS1_13binary_searchIS3_S5_PiSG_SG_NS1_16binary_search_opENS9_16wrapped_functionINS8_6system6detail7generic6detail18binary_search_lessEbEEEE10hipError_tPvRmT1_T2_T3_mmT4_T5_P12ihipStream_tbEUlRKiE_EESR_SV_SW_mSX_S10_bEUlT_E_NS1_11comp_targetILNS1_3genE4ELNS1_11target_archE910ELNS1_3gpuE8ELNS1_3repE0EEENS1_30default_config_static_selectorELNS0_4arch9wavefront6targetE0EEEvSU_, .Lfunc_end305-_ZN7rocprim17ROCPRIM_400000_NS6detail17trampoline_kernelINS0_14default_configENS1_29binary_search_config_selectorIiiEEZNS1_14transform_implILb0ES3_S5_N6thrust23THRUST_200600_302600_NS6detail15normal_iteratorINS8_7pointerIiNS8_11hip_rocprim5par_tENS8_11use_defaultESE_EEEESG_ZNS1_13binary_searchIS3_S5_PiSG_SG_NS1_16binary_search_opENS9_16wrapped_functionINS8_6system6detail7generic6detail18binary_search_lessEbEEEE10hipError_tPvRmT1_T2_T3_mmT4_T5_P12ihipStream_tbEUlRKiE_EESR_SV_SW_mSX_S10_bEUlT_E_NS1_11comp_targetILNS1_3genE4ELNS1_11target_archE910ELNS1_3gpuE8ELNS1_3repE0EEENS1_30default_config_static_selectorELNS0_4arch9wavefront6targetE0EEEvSU_
                                        ; -- End function
	.set _ZN7rocprim17ROCPRIM_400000_NS6detail17trampoline_kernelINS0_14default_configENS1_29binary_search_config_selectorIiiEEZNS1_14transform_implILb0ES3_S5_N6thrust23THRUST_200600_302600_NS6detail15normal_iteratorINS8_7pointerIiNS8_11hip_rocprim5par_tENS8_11use_defaultESE_EEEESG_ZNS1_13binary_searchIS3_S5_PiSG_SG_NS1_16binary_search_opENS9_16wrapped_functionINS8_6system6detail7generic6detail18binary_search_lessEbEEEE10hipError_tPvRmT1_T2_T3_mmT4_T5_P12ihipStream_tbEUlRKiE_EESR_SV_SW_mSX_S10_bEUlT_E_NS1_11comp_targetILNS1_3genE4ELNS1_11target_archE910ELNS1_3gpuE8ELNS1_3repE0EEENS1_30default_config_static_selectorELNS0_4arch9wavefront6targetE0EEEvSU_.num_vgpr, 0
	.set _ZN7rocprim17ROCPRIM_400000_NS6detail17trampoline_kernelINS0_14default_configENS1_29binary_search_config_selectorIiiEEZNS1_14transform_implILb0ES3_S5_N6thrust23THRUST_200600_302600_NS6detail15normal_iteratorINS8_7pointerIiNS8_11hip_rocprim5par_tENS8_11use_defaultESE_EEEESG_ZNS1_13binary_searchIS3_S5_PiSG_SG_NS1_16binary_search_opENS9_16wrapped_functionINS8_6system6detail7generic6detail18binary_search_lessEbEEEE10hipError_tPvRmT1_T2_T3_mmT4_T5_P12ihipStream_tbEUlRKiE_EESR_SV_SW_mSX_S10_bEUlT_E_NS1_11comp_targetILNS1_3genE4ELNS1_11target_archE910ELNS1_3gpuE8ELNS1_3repE0EEENS1_30default_config_static_selectorELNS0_4arch9wavefront6targetE0EEEvSU_.num_agpr, 0
	.set _ZN7rocprim17ROCPRIM_400000_NS6detail17trampoline_kernelINS0_14default_configENS1_29binary_search_config_selectorIiiEEZNS1_14transform_implILb0ES3_S5_N6thrust23THRUST_200600_302600_NS6detail15normal_iteratorINS8_7pointerIiNS8_11hip_rocprim5par_tENS8_11use_defaultESE_EEEESG_ZNS1_13binary_searchIS3_S5_PiSG_SG_NS1_16binary_search_opENS9_16wrapped_functionINS8_6system6detail7generic6detail18binary_search_lessEbEEEE10hipError_tPvRmT1_T2_T3_mmT4_T5_P12ihipStream_tbEUlRKiE_EESR_SV_SW_mSX_S10_bEUlT_E_NS1_11comp_targetILNS1_3genE4ELNS1_11target_archE910ELNS1_3gpuE8ELNS1_3repE0EEENS1_30default_config_static_selectorELNS0_4arch9wavefront6targetE0EEEvSU_.numbered_sgpr, 0
	.set _ZN7rocprim17ROCPRIM_400000_NS6detail17trampoline_kernelINS0_14default_configENS1_29binary_search_config_selectorIiiEEZNS1_14transform_implILb0ES3_S5_N6thrust23THRUST_200600_302600_NS6detail15normal_iteratorINS8_7pointerIiNS8_11hip_rocprim5par_tENS8_11use_defaultESE_EEEESG_ZNS1_13binary_searchIS3_S5_PiSG_SG_NS1_16binary_search_opENS9_16wrapped_functionINS8_6system6detail7generic6detail18binary_search_lessEbEEEE10hipError_tPvRmT1_T2_T3_mmT4_T5_P12ihipStream_tbEUlRKiE_EESR_SV_SW_mSX_S10_bEUlT_E_NS1_11comp_targetILNS1_3genE4ELNS1_11target_archE910ELNS1_3gpuE8ELNS1_3repE0EEENS1_30default_config_static_selectorELNS0_4arch9wavefront6targetE0EEEvSU_.num_named_barrier, 0
	.set _ZN7rocprim17ROCPRIM_400000_NS6detail17trampoline_kernelINS0_14default_configENS1_29binary_search_config_selectorIiiEEZNS1_14transform_implILb0ES3_S5_N6thrust23THRUST_200600_302600_NS6detail15normal_iteratorINS8_7pointerIiNS8_11hip_rocprim5par_tENS8_11use_defaultESE_EEEESG_ZNS1_13binary_searchIS3_S5_PiSG_SG_NS1_16binary_search_opENS9_16wrapped_functionINS8_6system6detail7generic6detail18binary_search_lessEbEEEE10hipError_tPvRmT1_T2_T3_mmT4_T5_P12ihipStream_tbEUlRKiE_EESR_SV_SW_mSX_S10_bEUlT_E_NS1_11comp_targetILNS1_3genE4ELNS1_11target_archE910ELNS1_3gpuE8ELNS1_3repE0EEENS1_30default_config_static_selectorELNS0_4arch9wavefront6targetE0EEEvSU_.private_seg_size, 0
	.set _ZN7rocprim17ROCPRIM_400000_NS6detail17trampoline_kernelINS0_14default_configENS1_29binary_search_config_selectorIiiEEZNS1_14transform_implILb0ES3_S5_N6thrust23THRUST_200600_302600_NS6detail15normal_iteratorINS8_7pointerIiNS8_11hip_rocprim5par_tENS8_11use_defaultESE_EEEESG_ZNS1_13binary_searchIS3_S5_PiSG_SG_NS1_16binary_search_opENS9_16wrapped_functionINS8_6system6detail7generic6detail18binary_search_lessEbEEEE10hipError_tPvRmT1_T2_T3_mmT4_T5_P12ihipStream_tbEUlRKiE_EESR_SV_SW_mSX_S10_bEUlT_E_NS1_11comp_targetILNS1_3genE4ELNS1_11target_archE910ELNS1_3gpuE8ELNS1_3repE0EEENS1_30default_config_static_selectorELNS0_4arch9wavefront6targetE0EEEvSU_.uses_vcc, 0
	.set _ZN7rocprim17ROCPRIM_400000_NS6detail17trampoline_kernelINS0_14default_configENS1_29binary_search_config_selectorIiiEEZNS1_14transform_implILb0ES3_S5_N6thrust23THRUST_200600_302600_NS6detail15normal_iteratorINS8_7pointerIiNS8_11hip_rocprim5par_tENS8_11use_defaultESE_EEEESG_ZNS1_13binary_searchIS3_S5_PiSG_SG_NS1_16binary_search_opENS9_16wrapped_functionINS8_6system6detail7generic6detail18binary_search_lessEbEEEE10hipError_tPvRmT1_T2_T3_mmT4_T5_P12ihipStream_tbEUlRKiE_EESR_SV_SW_mSX_S10_bEUlT_E_NS1_11comp_targetILNS1_3genE4ELNS1_11target_archE910ELNS1_3gpuE8ELNS1_3repE0EEENS1_30default_config_static_selectorELNS0_4arch9wavefront6targetE0EEEvSU_.uses_flat_scratch, 0
	.set _ZN7rocprim17ROCPRIM_400000_NS6detail17trampoline_kernelINS0_14default_configENS1_29binary_search_config_selectorIiiEEZNS1_14transform_implILb0ES3_S5_N6thrust23THRUST_200600_302600_NS6detail15normal_iteratorINS8_7pointerIiNS8_11hip_rocprim5par_tENS8_11use_defaultESE_EEEESG_ZNS1_13binary_searchIS3_S5_PiSG_SG_NS1_16binary_search_opENS9_16wrapped_functionINS8_6system6detail7generic6detail18binary_search_lessEbEEEE10hipError_tPvRmT1_T2_T3_mmT4_T5_P12ihipStream_tbEUlRKiE_EESR_SV_SW_mSX_S10_bEUlT_E_NS1_11comp_targetILNS1_3genE4ELNS1_11target_archE910ELNS1_3gpuE8ELNS1_3repE0EEENS1_30default_config_static_selectorELNS0_4arch9wavefront6targetE0EEEvSU_.has_dyn_sized_stack, 0
	.set _ZN7rocprim17ROCPRIM_400000_NS6detail17trampoline_kernelINS0_14default_configENS1_29binary_search_config_selectorIiiEEZNS1_14transform_implILb0ES3_S5_N6thrust23THRUST_200600_302600_NS6detail15normal_iteratorINS8_7pointerIiNS8_11hip_rocprim5par_tENS8_11use_defaultESE_EEEESG_ZNS1_13binary_searchIS3_S5_PiSG_SG_NS1_16binary_search_opENS9_16wrapped_functionINS8_6system6detail7generic6detail18binary_search_lessEbEEEE10hipError_tPvRmT1_T2_T3_mmT4_T5_P12ihipStream_tbEUlRKiE_EESR_SV_SW_mSX_S10_bEUlT_E_NS1_11comp_targetILNS1_3genE4ELNS1_11target_archE910ELNS1_3gpuE8ELNS1_3repE0EEENS1_30default_config_static_selectorELNS0_4arch9wavefront6targetE0EEEvSU_.has_recursion, 0
	.set _ZN7rocprim17ROCPRIM_400000_NS6detail17trampoline_kernelINS0_14default_configENS1_29binary_search_config_selectorIiiEEZNS1_14transform_implILb0ES3_S5_N6thrust23THRUST_200600_302600_NS6detail15normal_iteratorINS8_7pointerIiNS8_11hip_rocprim5par_tENS8_11use_defaultESE_EEEESG_ZNS1_13binary_searchIS3_S5_PiSG_SG_NS1_16binary_search_opENS9_16wrapped_functionINS8_6system6detail7generic6detail18binary_search_lessEbEEEE10hipError_tPvRmT1_T2_T3_mmT4_T5_P12ihipStream_tbEUlRKiE_EESR_SV_SW_mSX_S10_bEUlT_E_NS1_11comp_targetILNS1_3genE4ELNS1_11target_archE910ELNS1_3gpuE8ELNS1_3repE0EEENS1_30default_config_static_selectorELNS0_4arch9wavefront6targetE0EEEvSU_.has_indirect_call, 0
	.section	.AMDGPU.csdata,"",@progbits
; Kernel info:
; codeLenInByte = 0
; TotalNumSgprs: 0
; NumVgprs: 0
; ScratchSize: 0
; MemoryBound: 0
; FloatMode: 240
; IeeeMode: 1
; LDSByteSize: 0 bytes/workgroup (compile time only)
; SGPRBlocks: 0
; VGPRBlocks: 0
; NumSGPRsForWavesPerEU: 1
; NumVGPRsForWavesPerEU: 1
; Occupancy: 16
; WaveLimiterHint : 0
; COMPUTE_PGM_RSRC2:SCRATCH_EN: 0
; COMPUTE_PGM_RSRC2:USER_SGPR: 6
; COMPUTE_PGM_RSRC2:TRAP_HANDLER: 0
; COMPUTE_PGM_RSRC2:TGID_X_EN: 1
; COMPUTE_PGM_RSRC2:TGID_Y_EN: 0
; COMPUTE_PGM_RSRC2:TGID_Z_EN: 0
; COMPUTE_PGM_RSRC2:TIDIG_COMP_CNT: 0
	.section	.text._ZN7rocprim17ROCPRIM_400000_NS6detail17trampoline_kernelINS0_14default_configENS1_29binary_search_config_selectorIiiEEZNS1_14transform_implILb0ES3_S5_N6thrust23THRUST_200600_302600_NS6detail15normal_iteratorINS8_7pointerIiNS8_11hip_rocprim5par_tENS8_11use_defaultESE_EEEESG_ZNS1_13binary_searchIS3_S5_PiSG_SG_NS1_16binary_search_opENS9_16wrapped_functionINS8_6system6detail7generic6detail18binary_search_lessEbEEEE10hipError_tPvRmT1_T2_T3_mmT4_T5_P12ihipStream_tbEUlRKiE_EESR_SV_SW_mSX_S10_bEUlT_E_NS1_11comp_targetILNS1_3genE3ELNS1_11target_archE908ELNS1_3gpuE7ELNS1_3repE0EEENS1_30default_config_static_selectorELNS0_4arch9wavefront6targetE0EEEvSU_,"axG",@progbits,_ZN7rocprim17ROCPRIM_400000_NS6detail17trampoline_kernelINS0_14default_configENS1_29binary_search_config_selectorIiiEEZNS1_14transform_implILb0ES3_S5_N6thrust23THRUST_200600_302600_NS6detail15normal_iteratorINS8_7pointerIiNS8_11hip_rocprim5par_tENS8_11use_defaultESE_EEEESG_ZNS1_13binary_searchIS3_S5_PiSG_SG_NS1_16binary_search_opENS9_16wrapped_functionINS8_6system6detail7generic6detail18binary_search_lessEbEEEE10hipError_tPvRmT1_T2_T3_mmT4_T5_P12ihipStream_tbEUlRKiE_EESR_SV_SW_mSX_S10_bEUlT_E_NS1_11comp_targetILNS1_3genE3ELNS1_11target_archE908ELNS1_3gpuE7ELNS1_3repE0EEENS1_30default_config_static_selectorELNS0_4arch9wavefront6targetE0EEEvSU_,comdat
	.protected	_ZN7rocprim17ROCPRIM_400000_NS6detail17trampoline_kernelINS0_14default_configENS1_29binary_search_config_selectorIiiEEZNS1_14transform_implILb0ES3_S5_N6thrust23THRUST_200600_302600_NS6detail15normal_iteratorINS8_7pointerIiNS8_11hip_rocprim5par_tENS8_11use_defaultESE_EEEESG_ZNS1_13binary_searchIS3_S5_PiSG_SG_NS1_16binary_search_opENS9_16wrapped_functionINS8_6system6detail7generic6detail18binary_search_lessEbEEEE10hipError_tPvRmT1_T2_T3_mmT4_T5_P12ihipStream_tbEUlRKiE_EESR_SV_SW_mSX_S10_bEUlT_E_NS1_11comp_targetILNS1_3genE3ELNS1_11target_archE908ELNS1_3gpuE7ELNS1_3repE0EEENS1_30default_config_static_selectorELNS0_4arch9wavefront6targetE0EEEvSU_ ; -- Begin function _ZN7rocprim17ROCPRIM_400000_NS6detail17trampoline_kernelINS0_14default_configENS1_29binary_search_config_selectorIiiEEZNS1_14transform_implILb0ES3_S5_N6thrust23THRUST_200600_302600_NS6detail15normal_iteratorINS8_7pointerIiNS8_11hip_rocprim5par_tENS8_11use_defaultESE_EEEESG_ZNS1_13binary_searchIS3_S5_PiSG_SG_NS1_16binary_search_opENS9_16wrapped_functionINS8_6system6detail7generic6detail18binary_search_lessEbEEEE10hipError_tPvRmT1_T2_T3_mmT4_T5_P12ihipStream_tbEUlRKiE_EESR_SV_SW_mSX_S10_bEUlT_E_NS1_11comp_targetILNS1_3genE3ELNS1_11target_archE908ELNS1_3gpuE7ELNS1_3repE0EEENS1_30default_config_static_selectorELNS0_4arch9wavefront6targetE0EEEvSU_
	.globl	_ZN7rocprim17ROCPRIM_400000_NS6detail17trampoline_kernelINS0_14default_configENS1_29binary_search_config_selectorIiiEEZNS1_14transform_implILb0ES3_S5_N6thrust23THRUST_200600_302600_NS6detail15normal_iteratorINS8_7pointerIiNS8_11hip_rocprim5par_tENS8_11use_defaultESE_EEEESG_ZNS1_13binary_searchIS3_S5_PiSG_SG_NS1_16binary_search_opENS9_16wrapped_functionINS8_6system6detail7generic6detail18binary_search_lessEbEEEE10hipError_tPvRmT1_T2_T3_mmT4_T5_P12ihipStream_tbEUlRKiE_EESR_SV_SW_mSX_S10_bEUlT_E_NS1_11comp_targetILNS1_3genE3ELNS1_11target_archE908ELNS1_3gpuE7ELNS1_3repE0EEENS1_30default_config_static_selectorELNS0_4arch9wavefront6targetE0EEEvSU_
	.p2align	8
	.type	_ZN7rocprim17ROCPRIM_400000_NS6detail17trampoline_kernelINS0_14default_configENS1_29binary_search_config_selectorIiiEEZNS1_14transform_implILb0ES3_S5_N6thrust23THRUST_200600_302600_NS6detail15normal_iteratorINS8_7pointerIiNS8_11hip_rocprim5par_tENS8_11use_defaultESE_EEEESG_ZNS1_13binary_searchIS3_S5_PiSG_SG_NS1_16binary_search_opENS9_16wrapped_functionINS8_6system6detail7generic6detail18binary_search_lessEbEEEE10hipError_tPvRmT1_T2_T3_mmT4_T5_P12ihipStream_tbEUlRKiE_EESR_SV_SW_mSX_S10_bEUlT_E_NS1_11comp_targetILNS1_3genE3ELNS1_11target_archE908ELNS1_3gpuE7ELNS1_3repE0EEENS1_30default_config_static_selectorELNS0_4arch9wavefront6targetE0EEEvSU_,@function
_ZN7rocprim17ROCPRIM_400000_NS6detail17trampoline_kernelINS0_14default_configENS1_29binary_search_config_selectorIiiEEZNS1_14transform_implILb0ES3_S5_N6thrust23THRUST_200600_302600_NS6detail15normal_iteratorINS8_7pointerIiNS8_11hip_rocprim5par_tENS8_11use_defaultESE_EEEESG_ZNS1_13binary_searchIS3_S5_PiSG_SG_NS1_16binary_search_opENS9_16wrapped_functionINS8_6system6detail7generic6detail18binary_search_lessEbEEEE10hipError_tPvRmT1_T2_T3_mmT4_T5_P12ihipStream_tbEUlRKiE_EESR_SV_SW_mSX_S10_bEUlT_E_NS1_11comp_targetILNS1_3genE3ELNS1_11target_archE908ELNS1_3gpuE7ELNS1_3repE0EEENS1_30default_config_static_selectorELNS0_4arch9wavefront6targetE0EEEvSU_: ; @_ZN7rocprim17ROCPRIM_400000_NS6detail17trampoline_kernelINS0_14default_configENS1_29binary_search_config_selectorIiiEEZNS1_14transform_implILb0ES3_S5_N6thrust23THRUST_200600_302600_NS6detail15normal_iteratorINS8_7pointerIiNS8_11hip_rocprim5par_tENS8_11use_defaultESE_EEEESG_ZNS1_13binary_searchIS3_S5_PiSG_SG_NS1_16binary_search_opENS9_16wrapped_functionINS8_6system6detail7generic6detail18binary_search_lessEbEEEE10hipError_tPvRmT1_T2_T3_mmT4_T5_P12ihipStream_tbEUlRKiE_EESR_SV_SW_mSX_S10_bEUlT_E_NS1_11comp_targetILNS1_3genE3ELNS1_11target_archE908ELNS1_3gpuE7ELNS1_3repE0EEENS1_30default_config_static_selectorELNS0_4arch9wavefront6targetE0EEEvSU_
; %bb.0:
	.section	.rodata,"a",@progbits
	.p2align	6, 0x0
	.amdhsa_kernel _ZN7rocprim17ROCPRIM_400000_NS6detail17trampoline_kernelINS0_14default_configENS1_29binary_search_config_selectorIiiEEZNS1_14transform_implILb0ES3_S5_N6thrust23THRUST_200600_302600_NS6detail15normal_iteratorINS8_7pointerIiNS8_11hip_rocprim5par_tENS8_11use_defaultESE_EEEESG_ZNS1_13binary_searchIS3_S5_PiSG_SG_NS1_16binary_search_opENS9_16wrapped_functionINS8_6system6detail7generic6detail18binary_search_lessEbEEEE10hipError_tPvRmT1_T2_T3_mmT4_T5_P12ihipStream_tbEUlRKiE_EESR_SV_SW_mSX_S10_bEUlT_E_NS1_11comp_targetILNS1_3genE3ELNS1_11target_archE908ELNS1_3gpuE7ELNS1_3repE0EEENS1_30default_config_static_selectorELNS0_4arch9wavefront6targetE0EEEvSU_
		.amdhsa_group_segment_fixed_size 0
		.amdhsa_private_segment_fixed_size 0
		.amdhsa_kernarg_size 56
		.amdhsa_user_sgpr_count 6
		.amdhsa_user_sgpr_private_segment_buffer 1
		.amdhsa_user_sgpr_dispatch_ptr 0
		.amdhsa_user_sgpr_queue_ptr 0
		.amdhsa_user_sgpr_kernarg_segment_ptr 1
		.amdhsa_user_sgpr_dispatch_id 0
		.amdhsa_user_sgpr_flat_scratch_init 0
		.amdhsa_user_sgpr_private_segment_size 0
		.amdhsa_wavefront_size32 1
		.amdhsa_uses_dynamic_stack 0
		.amdhsa_system_sgpr_private_segment_wavefront_offset 0
		.amdhsa_system_sgpr_workgroup_id_x 1
		.amdhsa_system_sgpr_workgroup_id_y 0
		.amdhsa_system_sgpr_workgroup_id_z 0
		.amdhsa_system_sgpr_workgroup_info 0
		.amdhsa_system_vgpr_workitem_id 0
		.amdhsa_next_free_vgpr 1
		.amdhsa_next_free_sgpr 1
		.amdhsa_reserve_vcc 0
		.amdhsa_reserve_flat_scratch 0
		.amdhsa_float_round_mode_32 0
		.amdhsa_float_round_mode_16_64 0
		.amdhsa_float_denorm_mode_32 3
		.amdhsa_float_denorm_mode_16_64 3
		.amdhsa_dx10_clamp 1
		.amdhsa_ieee_mode 1
		.amdhsa_fp16_overflow 0
		.amdhsa_workgroup_processor_mode 1
		.amdhsa_memory_ordered 1
		.amdhsa_forward_progress 1
		.amdhsa_shared_vgpr_count 0
		.amdhsa_exception_fp_ieee_invalid_op 0
		.amdhsa_exception_fp_denorm_src 0
		.amdhsa_exception_fp_ieee_div_zero 0
		.amdhsa_exception_fp_ieee_overflow 0
		.amdhsa_exception_fp_ieee_underflow 0
		.amdhsa_exception_fp_ieee_inexact 0
		.amdhsa_exception_int_div_zero 0
	.end_amdhsa_kernel
	.section	.text._ZN7rocprim17ROCPRIM_400000_NS6detail17trampoline_kernelINS0_14default_configENS1_29binary_search_config_selectorIiiEEZNS1_14transform_implILb0ES3_S5_N6thrust23THRUST_200600_302600_NS6detail15normal_iteratorINS8_7pointerIiNS8_11hip_rocprim5par_tENS8_11use_defaultESE_EEEESG_ZNS1_13binary_searchIS3_S5_PiSG_SG_NS1_16binary_search_opENS9_16wrapped_functionINS8_6system6detail7generic6detail18binary_search_lessEbEEEE10hipError_tPvRmT1_T2_T3_mmT4_T5_P12ihipStream_tbEUlRKiE_EESR_SV_SW_mSX_S10_bEUlT_E_NS1_11comp_targetILNS1_3genE3ELNS1_11target_archE908ELNS1_3gpuE7ELNS1_3repE0EEENS1_30default_config_static_selectorELNS0_4arch9wavefront6targetE0EEEvSU_,"axG",@progbits,_ZN7rocprim17ROCPRIM_400000_NS6detail17trampoline_kernelINS0_14default_configENS1_29binary_search_config_selectorIiiEEZNS1_14transform_implILb0ES3_S5_N6thrust23THRUST_200600_302600_NS6detail15normal_iteratorINS8_7pointerIiNS8_11hip_rocprim5par_tENS8_11use_defaultESE_EEEESG_ZNS1_13binary_searchIS3_S5_PiSG_SG_NS1_16binary_search_opENS9_16wrapped_functionINS8_6system6detail7generic6detail18binary_search_lessEbEEEE10hipError_tPvRmT1_T2_T3_mmT4_T5_P12ihipStream_tbEUlRKiE_EESR_SV_SW_mSX_S10_bEUlT_E_NS1_11comp_targetILNS1_3genE3ELNS1_11target_archE908ELNS1_3gpuE7ELNS1_3repE0EEENS1_30default_config_static_selectorELNS0_4arch9wavefront6targetE0EEEvSU_,comdat
.Lfunc_end306:
	.size	_ZN7rocprim17ROCPRIM_400000_NS6detail17trampoline_kernelINS0_14default_configENS1_29binary_search_config_selectorIiiEEZNS1_14transform_implILb0ES3_S5_N6thrust23THRUST_200600_302600_NS6detail15normal_iteratorINS8_7pointerIiNS8_11hip_rocprim5par_tENS8_11use_defaultESE_EEEESG_ZNS1_13binary_searchIS3_S5_PiSG_SG_NS1_16binary_search_opENS9_16wrapped_functionINS8_6system6detail7generic6detail18binary_search_lessEbEEEE10hipError_tPvRmT1_T2_T3_mmT4_T5_P12ihipStream_tbEUlRKiE_EESR_SV_SW_mSX_S10_bEUlT_E_NS1_11comp_targetILNS1_3genE3ELNS1_11target_archE908ELNS1_3gpuE7ELNS1_3repE0EEENS1_30default_config_static_selectorELNS0_4arch9wavefront6targetE0EEEvSU_, .Lfunc_end306-_ZN7rocprim17ROCPRIM_400000_NS6detail17trampoline_kernelINS0_14default_configENS1_29binary_search_config_selectorIiiEEZNS1_14transform_implILb0ES3_S5_N6thrust23THRUST_200600_302600_NS6detail15normal_iteratorINS8_7pointerIiNS8_11hip_rocprim5par_tENS8_11use_defaultESE_EEEESG_ZNS1_13binary_searchIS3_S5_PiSG_SG_NS1_16binary_search_opENS9_16wrapped_functionINS8_6system6detail7generic6detail18binary_search_lessEbEEEE10hipError_tPvRmT1_T2_T3_mmT4_T5_P12ihipStream_tbEUlRKiE_EESR_SV_SW_mSX_S10_bEUlT_E_NS1_11comp_targetILNS1_3genE3ELNS1_11target_archE908ELNS1_3gpuE7ELNS1_3repE0EEENS1_30default_config_static_selectorELNS0_4arch9wavefront6targetE0EEEvSU_
                                        ; -- End function
	.set _ZN7rocprim17ROCPRIM_400000_NS6detail17trampoline_kernelINS0_14default_configENS1_29binary_search_config_selectorIiiEEZNS1_14transform_implILb0ES3_S5_N6thrust23THRUST_200600_302600_NS6detail15normal_iteratorINS8_7pointerIiNS8_11hip_rocprim5par_tENS8_11use_defaultESE_EEEESG_ZNS1_13binary_searchIS3_S5_PiSG_SG_NS1_16binary_search_opENS9_16wrapped_functionINS8_6system6detail7generic6detail18binary_search_lessEbEEEE10hipError_tPvRmT1_T2_T3_mmT4_T5_P12ihipStream_tbEUlRKiE_EESR_SV_SW_mSX_S10_bEUlT_E_NS1_11comp_targetILNS1_3genE3ELNS1_11target_archE908ELNS1_3gpuE7ELNS1_3repE0EEENS1_30default_config_static_selectorELNS0_4arch9wavefront6targetE0EEEvSU_.num_vgpr, 0
	.set _ZN7rocprim17ROCPRIM_400000_NS6detail17trampoline_kernelINS0_14default_configENS1_29binary_search_config_selectorIiiEEZNS1_14transform_implILb0ES3_S5_N6thrust23THRUST_200600_302600_NS6detail15normal_iteratorINS8_7pointerIiNS8_11hip_rocprim5par_tENS8_11use_defaultESE_EEEESG_ZNS1_13binary_searchIS3_S5_PiSG_SG_NS1_16binary_search_opENS9_16wrapped_functionINS8_6system6detail7generic6detail18binary_search_lessEbEEEE10hipError_tPvRmT1_T2_T3_mmT4_T5_P12ihipStream_tbEUlRKiE_EESR_SV_SW_mSX_S10_bEUlT_E_NS1_11comp_targetILNS1_3genE3ELNS1_11target_archE908ELNS1_3gpuE7ELNS1_3repE0EEENS1_30default_config_static_selectorELNS0_4arch9wavefront6targetE0EEEvSU_.num_agpr, 0
	.set _ZN7rocprim17ROCPRIM_400000_NS6detail17trampoline_kernelINS0_14default_configENS1_29binary_search_config_selectorIiiEEZNS1_14transform_implILb0ES3_S5_N6thrust23THRUST_200600_302600_NS6detail15normal_iteratorINS8_7pointerIiNS8_11hip_rocprim5par_tENS8_11use_defaultESE_EEEESG_ZNS1_13binary_searchIS3_S5_PiSG_SG_NS1_16binary_search_opENS9_16wrapped_functionINS8_6system6detail7generic6detail18binary_search_lessEbEEEE10hipError_tPvRmT1_T2_T3_mmT4_T5_P12ihipStream_tbEUlRKiE_EESR_SV_SW_mSX_S10_bEUlT_E_NS1_11comp_targetILNS1_3genE3ELNS1_11target_archE908ELNS1_3gpuE7ELNS1_3repE0EEENS1_30default_config_static_selectorELNS0_4arch9wavefront6targetE0EEEvSU_.numbered_sgpr, 0
	.set _ZN7rocprim17ROCPRIM_400000_NS6detail17trampoline_kernelINS0_14default_configENS1_29binary_search_config_selectorIiiEEZNS1_14transform_implILb0ES3_S5_N6thrust23THRUST_200600_302600_NS6detail15normal_iteratorINS8_7pointerIiNS8_11hip_rocprim5par_tENS8_11use_defaultESE_EEEESG_ZNS1_13binary_searchIS3_S5_PiSG_SG_NS1_16binary_search_opENS9_16wrapped_functionINS8_6system6detail7generic6detail18binary_search_lessEbEEEE10hipError_tPvRmT1_T2_T3_mmT4_T5_P12ihipStream_tbEUlRKiE_EESR_SV_SW_mSX_S10_bEUlT_E_NS1_11comp_targetILNS1_3genE3ELNS1_11target_archE908ELNS1_3gpuE7ELNS1_3repE0EEENS1_30default_config_static_selectorELNS0_4arch9wavefront6targetE0EEEvSU_.num_named_barrier, 0
	.set _ZN7rocprim17ROCPRIM_400000_NS6detail17trampoline_kernelINS0_14default_configENS1_29binary_search_config_selectorIiiEEZNS1_14transform_implILb0ES3_S5_N6thrust23THRUST_200600_302600_NS6detail15normal_iteratorINS8_7pointerIiNS8_11hip_rocprim5par_tENS8_11use_defaultESE_EEEESG_ZNS1_13binary_searchIS3_S5_PiSG_SG_NS1_16binary_search_opENS9_16wrapped_functionINS8_6system6detail7generic6detail18binary_search_lessEbEEEE10hipError_tPvRmT1_T2_T3_mmT4_T5_P12ihipStream_tbEUlRKiE_EESR_SV_SW_mSX_S10_bEUlT_E_NS1_11comp_targetILNS1_3genE3ELNS1_11target_archE908ELNS1_3gpuE7ELNS1_3repE0EEENS1_30default_config_static_selectorELNS0_4arch9wavefront6targetE0EEEvSU_.private_seg_size, 0
	.set _ZN7rocprim17ROCPRIM_400000_NS6detail17trampoline_kernelINS0_14default_configENS1_29binary_search_config_selectorIiiEEZNS1_14transform_implILb0ES3_S5_N6thrust23THRUST_200600_302600_NS6detail15normal_iteratorINS8_7pointerIiNS8_11hip_rocprim5par_tENS8_11use_defaultESE_EEEESG_ZNS1_13binary_searchIS3_S5_PiSG_SG_NS1_16binary_search_opENS9_16wrapped_functionINS8_6system6detail7generic6detail18binary_search_lessEbEEEE10hipError_tPvRmT1_T2_T3_mmT4_T5_P12ihipStream_tbEUlRKiE_EESR_SV_SW_mSX_S10_bEUlT_E_NS1_11comp_targetILNS1_3genE3ELNS1_11target_archE908ELNS1_3gpuE7ELNS1_3repE0EEENS1_30default_config_static_selectorELNS0_4arch9wavefront6targetE0EEEvSU_.uses_vcc, 0
	.set _ZN7rocprim17ROCPRIM_400000_NS6detail17trampoline_kernelINS0_14default_configENS1_29binary_search_config_selectorIiiEEZNS1_14transform_implILb0ES3_S5_N6thrust23THRUST_200600_302600_NS6detail15normal_iteratorINS8_7pointerIiNS8_11hip_rocprim5par_tENS8_11use_defaultESE_EEEESG_ZNS1_13binary_searchIS3_S5_PiSG_SG_NS1_16binary_search_opENS9_16wrapped_functionINS8_6system6detail7generic6detail18binary_search_lessEbEEEE10hipError_tPvRmT1_T2_T3_mmT4_T5_P12ihipStream_tbEUlRKiE_EESR_SV_SW_mSX_S10_bEUlT_E_NS1_11comp_targetILNS1_3genE3ELNS1_11target_archE908ELNS1_3gpuE7ELNS1_3repE0EEENS1_30default_config_static_selectorELNS0_4arch9wavefront6targetE0EEEvSU_.uses_flat_scratch, 0
	.set _ZN7rocprim17ROCPRIM_400000_NS6detail17trampoline_kernelINS0_14default_configENS1_29binary_search_config_selectorIiiEEZNS1_14transform_implILb0ES3_S5_N6thrust23THRUST_200600_302600_NS6detail15normal_iteratorINS8_7pointerIiNS8_11hip_rocprim5par_tENS8_11use_defaultESE_EEEESG_ZNS1_13binary_searchIS3_S5_PiSG_SG_NS1_16binary_search_opENS9_16wrapped_functionINS8_6system6detail7generic6detail18binary_search_lessEbEEEE10hipError_tPvRmT1_T2_T3_mmT4_T5_P12ihipStream_tbEUlRKiE_EESR_SV_SW_mSX_S10_bEUlT_E_NS1_11comp_targetILNS1_3genE3ELNS1_11target_archE908ELNS1_3gpuE7ELNS1_3repE0EEENS1_30default_config_static_selectorELNS0_4arch9wavefront6targetE0EEEvSU_.has_dyn_sized_stack, 0
	.set _ZN7rocprim17ROCPRIM_400000_NS6detail17trampoline_kernelINS0_14default_configENS1_29binary_search_config_selectorIiiEEZNS1_14transform_implILb0ES3_S5_N6thrust23THRUST_200600_302600_NS6detail15normal_iteratorINS8_7pointerIiNS8_11hip_rocprim5par_tENS8_11use_defaultESE_EEEESG_ZNS1_13binary_searchIS3_S5_PiSG_SG_NS1_16binary_search_opENS9_16wrapped_functionINS8_6system6detail7generic6detail18binary_search_lessEbEEEE10hipError_tPvRmT1_T2_T3_mmT4_T5_P12ihipStream_tbEUlRKiE_EESR_SV_SW_mSX_S10_bEUlT_E_NS1_11comp_targetILNS1_3genE3ELNS1_11target_archE908ELNS1_3gpuE7ELNS1_3repE0EEENS1_30default_config_static_selectorELNS0_4arch9wavefront6targetE0EEEvSU_.has_recursion, 0
	.set _ZN7rocprim17ROCPRIM_400000_NS6detail17trampoline_kernelINS0_14default_configENS1_29binary_search_config_selectorIiiEEZNS1_14transform_implILb0ES3_S5_N6thrust23THRUST_200600_302600_NS6detail15normal_iteratorINS8_7pointerIiNS8_11hip_rocprim5par_tENS8_11use_defaultESE_EEEESG_ZNS1_13binary_searchIS3_S5_PiSG_SG_NS1_16binary_search_opENS9_16wrapped_functionINS8_6system6detail7generic6detail18binary_search_lessEbEEEE10hipError_tPvRmT1_T2_T3_mmT4_T5_P12ihipStream_tbEUlRKiE_EESR_SV_SW_mSX_S10_bEUlT_E_NS1_11comp_targetILNS1_3genE3ELNS1_11target_archE908ELNS1_3gpuE7ELNS1_3repE0EEENS1_30default_config_static_selectorELNS0_4arch9wavefront6targetE0EEEvSU_.has_indirect_call, 0
	.section	.AMDGPU.csdata,"",@progbits
; Kernel info:
; codeLenInByte = 0
; TotalNumSgprs: 0
; NumVgprs: 0
; ScratchSize: 0
; MemoryBound: 0
; FloatMode: 240
; IeeeMode: 1
; LDSByteSize: 0 bytes/workgroup (compile time only)
; SGPRBlocks: 0
; VGPRBlocks: 0
; NumSGPRsForWavesPerEU: 1
; NumVGPRsForWavesPerEU: 1
; Occupancy: 16
; WaveLimiterHint : 0
; COMPUTE_PGM_RSRC2:SCRATCH_EN: 0
; COMPUTE_PGM_RSRC2:USER_SGPR: 6
; COMPUTE_PGM_RSRC2:TRAP_HANDLER: 0
; COMPUTE_PGM_RSRC2:TGID_X_EN: 1
; COMPUTE_PGM_RSRC2:TGID_Y_EN: 0
; COMPUTE_PGM_RSRC2:TGID_Z_EN: 0
; COMPUTE_PGM_RSRC2:TIDIG_COMP_CNT: 0
	.section	.text._ZN7rocprim17ROCPRIM_400000_NS6detail17trampoline_kernelINS0_14default_configENS1_29binary_search_config_selectorIiiEEZNS1_14transform_implILb0ES3_S5_N6thrust23THRUST_200600_302600_NS6detail15normal_iteratorINS8_7pointerIiNS8_11hip_rocprim5par_tENS8_11use_defaultESE_EEEESG_ZNS1_13binary_searchIS3_S5_PiSG_SG_NS1_16binary_search_opENS9_16wrapped_functionINS8_6system6detail7generic6detail18binary_search_lessEbEEEE10hipError_tPvRmT1_T2_T3_mmT4_T5_P12ihipStream_tbEUlRKiE_EESR_SV_SW_mSX_S10_bEUlT_E_NS1_11comp_targetILNS1_3genE2ELNS1_11target_archE906ELNS1_3gpuE6ELNS1_3repE0EEENS1_30default_config_static_selectorELNS0_4arch9wavefront6targetE0EEEvSU_,"axG",@progbits,_ZN7rocprim17ROCPRIM_400000_NS6detail17trampoline_kernelINS0_14default_configENS1_29binary_search_config_selectorIiiEEZNS1_14transform_implILb0ES3_S5_N6thrust23THRUST_200600_302600_NS6detail15normal_iteratorINS8_7pointerIiNS8_11hip_rocprim5par_tENS8_11use_defaultESE_EEEESG_ZNS1_13binary_searchIS3_S5_PiSG_SG_NS1_16binary_search_opENS9_16wrapped_functionINS8_6system6detail7generic6detail18binary_search_lessEbEEEE10hipError_tPvRmT1_T2_T3_mmT4_T5_P12ihipStream_tbEUlRKiE_EESR_SV_SW_mSX_S10_bEUlT_E_NS1_11comp_targetILNS1_3genE2ELNS1_11target_archE906ELNS1_3gpuE6ELNS1_3repE0EEENS1_30default_config_static_selectorELNS0_4arch9wavefront6targetE0EEEvSU_,comdat
	.protected	_ZN7rocprim17ROCPRIM_400000_NS6detail17trampoline_kernelINS0_14default_configENS1_29binary_search_config_selectorIiiEEZNS1_14transform_implILb0ES3_S5_N6thrust23THRUST_200600_302600_NS6detail15normal_iteratorINS8_7pointerIiNS8_11hip_rocprim5par_tENS8_11use_defaultESE_EEEESG_ZNS1_13binary_searchIS3_S5_PiSG_SG_NS1_16binary_search_opENS9_16wrapped_functionINS8_6system6detail7generic6detail18binary_search_lessEbEEEE10hipError_tPvRmT1_T2_T3_mmT4_T5_P12ihipStream_tbEUlRKiE_EESR_SV_SW_mSX_S10_bEUlT_E_NS1_11comp_targetILNS1_3genE2ELNS1_11target_archE906ELNS1_3gpuE6ELNS1_3repE0EEENS1_30default_config_static_selectorELNS0_4arch9wavefront6targetE0EEEvSU_ ; -- Begin function _ZN7rocprim17ROCPRIM_400000_NS6detail17trampoline_kernelINS0_14default_configENS1_29binary_search_config_selectorIiiEEZNS1_14transform_implILb0ES3_S5_N6thrust23THRUST_200600_302600_NS6detail15normal_iteratorINS8_7pointerIiNS8_11hip_rocprim5par_tENS8_11use_defaultESE_EEEESG_ZNS1_13binary_searchIS3_S5_PiSG_SG_NS1_16binary_search_opENS9_16wrapped_functionINS8_6system6detail7generic6detail18binary_search_lessEbEEEE10hipError_tPvRmT1_T2_T3_mmT4_T5_P12ihipStream_tbEUlRKiE_EESR_SV_SW_mSX_S10_bEUlT_E_NS1_11comp_targetILNS1_3genE2ELNS1_11target_archE906ELNS1_3gpuE6ELNS1_3repE0EEENS1_30default_config_static_selectorELNS0_4arch9wavefront6targetE0EEEvSU_
	.globl	_ZN7rocprim17ROCPRIM_400000_NS6detail17trampoline_kernelINS0_14default_configENS1_29binary_search_config_selectorIiiEEZNS1_14transform_implILb0ES3_S5_N6thrust23THRUST_200600_302600_NS6detail15normal_iteratorINS8_7pointerIiNS8_11hip_rocprim5par_tENS8_11use_defaultESE_EEEESG_ZNS1_13binary_searchIS3_S5_PiSG_SG_NS1_16binary_search_opENS9_16wrapped_functionINS8_6system6detail7generic6detail18binary_search_lessEbEEEE10hipError_tPvRmT1_T2_T3_mmT4_T5_P12ihipStream_tbEUlRKiE_EESR_SV_SW_mSX_S10_bEUlT_E_NS1_11comp_targetILNS1_3genE2ELNS1_11target_archE906ELNS1_3gpuE6ELNS1_3repE0EEENS1_30default_config_static_selectorELNS0_4arch9wavefront6targetE0EEEvSU_
	.p2align	8
	.type	_ZN7rocprim17ROCPRIM_400000_NS6detail17trampoline_kernelINS0_14default_configENS1_29binary_search_config_selectorIiiEEZNS1_14transform_implILb0ES3_S5_N6thrust23THRUST_200600_302600_NS6detail15normal_iteratorINS8_7pointerIiNS8_11hip_rocprim5par_tENS8_11use_defaultESE_EEEESG_ZNS1_13binary_searchIS3_S5_PiSG_SG_NS1_16binary_search_opENS9_16wrapped_functionINS8_6system6detail7generic6detail18binary_search_lessEbEEEE10hipError_tPvRmT1_T2_T3_mmT4_T5_P12ihipStream_tbEUlRKiE_EESR_SV_SW_mSX_S10_bEUlT_E_NS1_11comp_targetILNS1_3genE2ELNS1_11target_archE906ELNS1_3gpuE6ELNS1_3repE0EEENS1_30default_config_static_selectorELNS0_4arch9wavefront6targetE0EEEvSU_,@function
_ZN7rocprim17ROCPRIM_400000_NS6detail17trampoline_kernelINS0_14default_configENS1_29binary_search_config_selectorIiiEEZNS1_14transform_implILb0ES3_S5_N6thrust23THRUST_200600_302600_NS6detail15normal_iteratorINS8_7pointerIiNS8_11hip_rocprim5par_tENS8_11use_defaultESE_EEEESG_ZNS1_13binary_searchIS3_S5_PiSG_SG_NS1_16binary_search_opENS9_16wrapped_functionINS8_6system6detail7generic6detail18binary_search_lessEbEEEE10hipError_tPvRmT1_T2_T3_mmT4_T5_P12ihipStream_tbEUlRKiE_EESR_SV_SW_mSX_S10_bEUlT_E_NS1_11comp_targetILNS1_3genE2ELNS1_11target_archE906ELNS1_3gpuE6ELNS1_3repE0EEENS1_30default_config_static_selectorELNS0_4arch9wavefront6targetE0EEEvSU_: ; @_ZN7rocprim17ROCPRIM_400000_NS6detail17trampoline_kernelINS0_14default_configENS1_29binary_search_config_selectorIiiEEZNS1_14transform_implILb0ES3_S5_N6thrust23THRUST_200600_302600_NS6detail15normal_iteratorINS8_7pointerIiNS8_11hip_rocprim5par_tENS8_11use_defaultESE_EEEESG_ZNS1_13binary_searchIS3_S5_PiSG_SG_NS1_16binary_search_opENS9_16wrapped_functionINS8_6system6detail7generic6detail18binary_search_lessEbEEEE10hipError_tPvRmT1_T2_T3_mmT4_T5_P12ihipStream_tbEUlRKiE_EESR_SV_SW_mSX_S10_bEUlT_E_NS1_11comp_targetILNS1_3genE2ELNS1_11target_archE906ELNS1_3gpuE6ELNS1_3repE0EEENS1_30default_config_static_selectorELNS0_4arch9wavefront6targetE0EEEvSU_
; %bb.0:
	.section	.rodata,"a",@progbits
	.p2align	6, 0x0
	.amdhsa_kernel _ZN7rocprim17ROCPRIM_400000_NS6detail17trampoline_kernelINS0_14default_configENS1_29binary_search_config_selectorIiiEEZNS1_14transform_implILb0ES3_S5_N6thrust23THRUST_200600_302600_NS6detail15normal_iteratorINS8_7pointerIiNS8_11hip_rocprim5par_tENS8_11use_defaultESE_EEEESG_ZNS1_13binary_searchIS3_S5_PiSG_SG_NS1_16binary_search_opENS9_16wrapped_functionINS8_6system6detail7generic6detail18binary_search_lessEbEEEE10hipError_tPvRmT1_T2_T3_mmT4_T5_P12ihipStream_tbEUlRKiE_EESR_SV_SW_mSX_S10_bEUlT_E_NS1_11comp_targetILNS1_3genE2ELNS1_11target_archE906ELNS1_3gpuE6ELNS1_3repE0EEENS1_30default_config_static_selectorELNS0_4arch9wavefront6targetE0EEEvSU_
		.amdhsa_group_segment_fixed_size 0
		.amdhsa_private_segment_fixed_size 0
		.amdhsa_kernarg_size 56
		.amdhsa_user_sgpr_count 6
		.amdhsa_user_sgpr_private_segment_buffer 1
		.amdhsa_user_sgpr_dispatch_ptr 0
		.amdhsa_user_sgpr_queue_ptr 0
		.amdhsa_user_sgpr_kernarg_segment_ptr 1
		.amdhsa_user_sgpr_dispatch_id 0
		.amdhsa_user_sgpr_flat_scratch_init 0
		.amdhsa_user_sgpr_private_segment_size 0
		.amdhsa_wavefront_size32 1
		.amdhsa_uses_dynamic_stack 0
		.amdhsa_system_sgpr_private_segment_wavefront_offset 0
		.amdhsa_system_sgpr_workgroup_id_x 1
		.amdhsa_system_sgpr_workgroup_id_y 0
		.amdhsa_system_sgpr_workgroup_id_z 0
		.amdhsa_system_sgpr_workgroup_info 0
		.amdhsa_system_vgpr_workitem_id 0
		.amdhsa_next_free_vgpr 1
		.amdhsa_next_free_sgpr 1
		.amdhsa_reserve_vcc 0
		.amdhsa_reserve_flat_scratch 0
		.amdhsa_float_round_mode_32 0
		.amdhsa_float_round_mode_16_64 0
		.amdhsa_float_denorm_mode_32 3
		.amdhsa_float_denorm_mode_16_64 3
		.amdhsa_dx10_clamp 1
		.amdhsa_ieee_mode 1
		.amdhsa_fp16_overflow 0
		.amdhsa_workgroup_processor_mode 1
		.amdhsa_memory_ordered 1
		.amdhsa_forward_progress 1
		.amdhsa_shared_vgpr_count 0
		.amdhsa_exception_fp_ieee_invalid_op 0
		.amdhsa_exception_fp_denorm_src 0
		.amdhsa_exception_fp_ieee_div_zero 0
		.amdhsa_exception_fp_ieee_overflow 0
		.amdhsa_exception_fp_ieee_underflow 0
		.amdhsa_exception_fp_ieee_inexact 0
		.amdhsa_exception_int_div_zero 0
	.end_amdhsa_kernel
	.section	.text._ZN7rocprim17ROCPRIM_400000_NS6detail17trampoline_kernelINS0_14default_configENS1_29binary_search_config_selectorIiiEEZNS1_14transform_implILb0ES3_S5_N6thrust23THRUST_200600_302600_NS6detail15normal_iteratorINS8_7pointerIiNS8_11hip_rocprim5par_tENS8_11use_defaultESE_EEEESG_ZNS1_13binary_searchIS3_S5_PiSG_SG_NS1_16binary_search_opENS9_16wrapped_functionINS8_6system6detail7generic6detail18binary_search_lessEbEEEE10hipError_tPvRmT1_T2_T3_mmT4_T5_P12ihipStream_tbEUlRKiE_EESR_SV_SW_mSX_S10_bEUlT_E_NS1_11comp_targetILNS1_3genE2ELNS1_11target_archE906ELNS1_3gpuE6ELNS1_3repE0EEENS1_30default_config_static_selectorELNS0_4arch9wavefront6targetE0EEEvSU_,"axG",@progbits,_ZN7rocprim17ROCPRIM_400000_NS6detail17trampoline_kernelINS0_14default_configENS1_29binary_search_config_selectorIiiEEZNS1_14transform_implILb0ES3_S5_N6thrust23THRUST_200600_302600_NS6detail15normal_iteratorINS8_7pointerIiNS8_11hip_rocprim5par_tENS8_11use_defaultESE_EEEESG_ZNS1_13binary_searchIS3_S5_PiSG_SG_NS1_16binary_search_opENS9_16wrapped_functionINS8_6system6detail7generic6detail18binary_search_lessEbEEEE10hipError_tPvRmT1_T2_T3_mmT4_T5_P12ihipStream_tbEUlRKiE_EESR_SV_SW_mSX_S10_bEUlT_E_NS1_11comp_targetILNS1_3genE2ELNS1_11target_archE906ELNS1_3gpuE6ELNS1_3repE0EEENS1_30default_config_static_selectorELNS0_4arch9wavefront6targetE0EEEvSU_,comdat
.Lfunc_end307:
	.size	_ZN7rocprim17ROCPRIM_400000_NS6detail17trampoline_kernelINS0_14default_configENS1_29binary_search_config_selectorIiiEEZNS1_14transform_implILb0ES3_S5_N6thrust23THRUST_200600_302600_NS6detail15normal_iteratorINS8_7pointerIiNS8_11hip_rocprim5par_tENS8_11use_defaultESE_EEEESG_ZNS1_13binary_searchIS3_S5_PiSG_SG_NS1_16binary_search_opENS9_16wrapped_functionINS8_6system6detail7generic6detail18binary_search_lessEbEEEE10hipError_tPvRmT1_T2_T3_mmT4_T5_P12ihipStream_tbEUlRKiE_EESR_SV_SW_mSX_S10_bEUlT_E_NS1_11comp_targetILNS1_3genE2ELNS1_11target_archE906ELNS1_3gpuE6ELNS1_3repE0EEENS1_30default_config_static_selectorELNS0_4arch9wavefront6targetE0EEEvSU_, .Lfunc_end307-_ZN7rocprim17ROCPRIM_400000_NS6detail17trampoline_kernelINS0_14default_configENS1_29binary_search_config_selectorIiiEEZNS1_14transform_implILb0ES3_S5_N6thrust23THRUST_200600_302600_NS6detail15normal_iteratorINS8_7pointerIiNS8_11hip_rocprim5par_tENS8_11use_defaultESE_EEEESG_ZNS1_13binary_searchIS3_S5_PiSG_SG_NS1_16binary_search_opENS9_16wrapped_functionINS8_6system6detail7generic6detail18binary_search_lessEbEEEE10hipError_tPvRmT1_T2_T3_mmT4_T5_P12ihipStream_tbEUlRKiE_EESR_SV_SW_mSX_S10_bEUlT_E_NS1_11comp_targetILNS1_3genE2ELNS1_11target_archE906ELNS1_3gpuE6ELNS1_3repE0EEENS1_30default_config_static_selectorELNS0_4arch9wavefront6targetE0EEEvSU_
                                        ; -- End function
	.set _ZN7rocprim17ROCPRIM_400000_NS6detail17trampoline_kernelINS0_14default_configENS1_29binary_search_config_selectorIiiEEZNS1_14transform_implILb0ES3_S5_N6thrust23THRUST_200600_302600_NS6detail15normal_iteratorINS8_7pointerIiNS8_11hip_rocprim5par_tENS8_11use_defaultESE_EEEESG_ZNS1_13binary_searchIS3_S5_PiSG_SG_NS1_16binary_search_opENS9_16wrapped_functionINS8_6system6detail7generic6detail18binary_search_lessEbEEEE10hipError_tPvRmT1_T2_T3_mmT4_T5_P12ihipStream_tbEUlRKiE_EESR_SV_SW_mSX_S10_bEUlT_E_NS1_11comp_targetILNS1_3genE2ELNS1_11target_archE906ELNS1_3gpuE6ELNS1_3repE0EEENS1_30default_config_static_selectorELNS0_4arch9wavefront6targetE0EEEvSU_.num_vgpr, 0
	.set _ZN7rocprim17ROCPRIM_400000_NS6detail17trampoline_kernelINS0_14default_configENS1_29binary_search_config_selectorIiiEEZNS1_14transform_implILb0ES3_S5_N6thrust23THRUST_200600_302600_NS6detail15normal_iteratorINS8_7pointerIiNS8_11hip_rocprim5par_tENS8_11use_defaultESE_EEEESG_ZNS1_13binary_searchIS3_S5_PiSG_SG_NS1_16binary_search_opENS9_16wrapped_functionINS8_6system6detail7generic6detail18binary_search_lessEbEEEE10hipError_tPvRmT1_T2_T3_mmT4_T5_P12ihipStream_tbEUlRKiE_EESR_SV_SW_mSX_S10_bEUlT_E_NS1_11comp_targetILNS1_3genE2ELNS1_11target_archE906ELNS1_3gpuE6ELNS1_3repE0EEENS1_30default_config_static_selectorELNS0_4arch9wavefront6targetE0EEEvSU_.num_agpr, 0
	.set _ZN7rocprim17ROCPRIM_400000_NS6detail17trampoline_kernelINS0_14default_configENS1_29binary_search_config_selectorIiiEEZNS1_14transform_implILb0ES3_S5_N6thrust23THRUST_200600_302600_NS6detail15normal_iteratorINS8_7pointerIiNS8_11hip_rocprim5par_tENS8_11use_defaultESE_EEEESG_ZNS1_13binary_searchIS3_S5_PiSG_SG_NS1_16binary_search_opENS9_16wrapped_functionINS8_6system6detail7generic6detail18binary_search_lessEbEEEE10hipError_tPvRmT1_T2_T3_mmT4_T5_P12ihipStream_tbEUlRKiE_EESR_SV_SW_mSX_S10_bEUlT_E_NS1_11comp_targetILNS1_3genE2ELNS1_11target_archE906ELNS1_3gpuE6ELNS1_3repE0EEENS1_30default_config_static_selectorELNS0_4arch9wavefront6targetE0EEEvSU_.numbered_sgpr, 0
	.set _ZN7rocprim17ROCPRIM_400000_NS6detail17trampoline_kernelINS0_14default_configENS1_29binary_search_config_selectorIiiEEZNS1_14transform_implILb0ES3_S5_N6thrust23THRUST_200600_302600_NS6detail15normal_iteratorINS8_7pointerIiNS8_11hip_rocprim5par_tENS8_11use_defaultESE_EEEESG_ZNS1_13binary_searchIS3_S5_PiSG_SG_NS1_16binary_search_opENS9_16wrapped_functionINS8_6system6detail7generic6detail18binary_search_lessEbEEEE10hipError_tPvRmT1_T2_T3_mmT4_T5_P12ihipStream_tbEUlRKiE_EESR_SV_SW_mSX_S10_bEUlT_E_NS1_11comp_targetILNS1_3genE2ELNS1_11target_archE906ELNS1_3gpuE6ELNS1_3repE0EEENS1_30default_config_static_selectorELNS0_4arch9wavefront6targetE0EEEvSU_.num_named_barrier, 0
	.set _ZN7rocprim17ROCPRIM_400000_NS6detail17trampoline_kernelINS0_14default_configENS1_29binary_search_config_selectorIiiEEZNS1_14transform_implILb0ES3_S5_N6thrust23THRUST_200600_302600_NS6detail15normal_iteratorINS8_7pointerIiNS8_11hip_rocprim5par_tENS8_11use_defaultESE_EEEESG_ZNS1_13binary_searchIS3_S5_PiSG_SG_NS1_16binary_search_opENS9_16wrapped_functionINS8_6system6detail7generic6detail18binary_search_lessEbEEEE10hipError_tPvRmT1_T2_T3_mmT4_T5_P12ihipStream_tbEUlRKiE_EESR_SV_SW_mSX_S10_bEUlT_E_NS1_11comp_targetILNS1_3genE2ELNS1_11target_archE906ELNS1_3gpuE6ELNS1_3repE0EEENS1_30default_config_static_selectorELNS0_4arch9wavefront6targetE0EEEvSU_.private_seg_size, 0
	.set _ZN7rocprim17ROCPRIM_400000_NS6detail17trampoline_kernelINS0_14default_configENS1_29binary_search_config_selectorIiiEEZNS1_14transform_implILb0ES3_S5_N6thrust23THRUST_200600_302600_NS6detail15normal_iteratorINS8_7pointerIiNS8_11hip_rocprim5par_tENS8_11use_defaultESE_EEEESG_ZNS1_13binary_searchIS3_S5_PiSG_SG_NS1_16binary_search_opENS9_16wrapped_functionINS8_6system6detail7generic6detail18binary_search_lessEbEEEE10hipError_tPvRmT1_T2_T3_mmT4_T5_P12ihipStream_tbEUlRKiE_EESR_SV_SW_mSX_S10_bEUlT_E_NS1_11comp_targetILNS1_3genE2ELNS1_11target_archE906ELNS1_3gpuE6ELNS1_3repE0EEENS1_30default_config_static_selectorELNS0_4arch9wavefront6targetE0EEEvSU_.uses_vcc, 0
	.set _ZN7rocprim17ROCPRIM_400000_NS6detail17trampoline_kernelINS0_14default_configENS1_29binary_search_config_selectorIiiEEZNS1_14transform_implILb0ES3_S5_N6thrust23THRUST_200600_302600_NS6detail15normal_iteratorINS8_7pointerIiNS8_11hip_rocprim5par_tENS8_11use_defaultESE_EEEESG_ZNS1_13binary_searchIS3_S5_PiSG_SG_NS1_16binary_search_opENS9_16wrapped_functionINS8_6system6detail7generic6detail18binary_search_lessEbEEEE10hipError_tPvRmT1_T2_T3_mmT4_T5_P12ihipStream_tbEUlRKiE_EESR_SV_SW_mSX_S10_bEUlT_E_NS1_11comp_targetILNS1_3genE2ELNS1_11target_archE906ELNS1_3gpuE6ELNS1_3repE0EEENS1_30default_config_static_selectorELNS0_4arch9wavefront6targetE0EEEvSU_.uses_flat_scratch, 0
	.set _ZN7rocprim17ROCPRIM_400000_NS6detail17trampoline_kernelINS0_14default_configENS1_29binary_search_config_selectorIiiEEZNS1_14transform_implILb0ES3_S5_N6thrust23THRUST_200600_302600_NS6detail15normal_iteratorINS8_7pointerIiNS8_11hip_rocprim5par_tENS8_11use_defaultESE_EEEESG_ZNS1_13binary_searchIS3_S5_PiSG_SG_NS1_16binary_search_opENS9_16wrapped_functionINS8_6system6detail7generic6detail18binary_search_lessEbEEEE10hipError_tPvRmT1_T2_T3_mmT4_T5_P12ihipStream_tbEUlRKiE_EESR_SV_SW_mSX_S10_bEUlT_E_NS1_11comp_targetILNS1_3genE2ELNS1_11target_archE906ELNS1_3gpuE6ELNS1_3repE0EEENS1_30default_config_static_selectorELNS0_4arch9wavefront6targetE0EEEvSU_.has_dyn_sized_stack, 0
	.set _ZN7rocprim17ROCPRIM_400000_NS6detail17trampoline_kernelINS0_14default_configENS1_29binary_search_config_selectorIiiEEZNS1_14transform_implILb0ES3_S5_N6thrust23THRUST_200600_302600_NS6detail15normal_iteratorINS8_7pointerIiNS8_11hip_rocprim5par_tENS8_11use_defaultESE_EEEESG_ZNS1_13binary_searchIS3_S5_PiSG_SG_NS1_16binary_search_opENS9_16wrapped_functionINS8_6system6detail7generic6detail18binary_search_lessEbEEEE10hipError_tPvRmT1_T2_T3_mmT4_T5_P12ihipStream_tbEUlRKiE_EESR_SV_SW_mSX_S10_bEUlT_E_NS1_11comp_targetILNS1_3genE2ELNS1_11target_archE906ELNS1_3gpuE6ELNS1_3repE0EEENS1_30default_config_static_selectorELNS0_4arch9wavefront6targetE0EEEvSU_.has_recursion, 0
	.set _ZN7rocprim17ROCPRIM_400000_NS6detail17trampoline_kernelINS0_14default_configENS1_29binary_search_config_selectorIiiEEZNS1_14transform_implILb0ES3_S5_N6thrust23THRUST_200600_302600_NS6detail15normal_iteratorINS8_7pointerIiNS8_11hip_rocprim5par_tENS8_11use_defaultESE_EEEESG_ZNS1_13binary_searchIS3_S5_PiSG_SG_NS1_16binary_search_opENS9_16wrapped_functionINS8_6system6detail7generic6detail18binary_search_lessEbEEEE10hipError_tPvRmT1_T2_T3_mmT4_T5_P12ihipStream_tbEUlRKiE_EESR_SV_SW_mSX_S10_bEUlT_E_NS1_11comp_targetILNS1_3genE2ELNS1_11target_archE906ELNS1_3gpuE6ELNS1_3repE0EEENS1_30default_config_static_selectorELNS0_4arch9wavefront6targetE0EEEvSU_.has_indirect_call, 0
	.section	.AMDGPU.csdata,"",@progbits
; Kernel info:
; codeLenInByte = 0
; TotalNumSgprs: 0
; NumVgprs: 0
; ScratchSize: 0
; MemoryBound: 0
; FloatMode: 240
; IeeeMode: 1
; LDSByteSize: 0 bytes/workgroup (compile time only)
; SGPRBlocks: 0
; VGPRBlocks: 0
; NumSGPRsForWavesPerEU: 1
; NumVGPRsForWavesPerEU: 1
; Occupancy: 16
; WaveLimiterHint : 0
; COMPUTE_PGM_RSRC2:SCRATCH_EN: 0
; COMPUTE_PGM_RSRC2:USER_SGPR: 6
; COMPUTE_PGM_RSRC2:TRAP_HANDLER: 0
; COMPUTE_PGM_RSRC2:TGID_X_EN: 1
; COMPUTE_PGM_RSRC2:TGID_Y_EN: 0
; COMPUTE_PGM_RSRC2:TGID_Z_EN: 0
; COMPUTE_PGM_RSRC2:TIDIG_COMP_CNT: 0
	.section	.text._ZN7rocprim17ROCPRIM_400000_NS6detail17trampoline_kernelINS0_14default_configENS1_29binary_search_config_selectorIiiEEZNS1_14transform_implILb0ES3_S5_N6thrust23THRUST_200600_302600_NS6detail15normal_iteratorINS8_7pointerIiNS8_11hip_rocprim5par_tENS8_11use_defaultESE_EEEESG_ZNS1_13binary_searchIS3_S5_PiSG_SG_NS1_16binary_search_opENS9_16wrapped_functionINS8_6system6detail7generic6detail18binary_search_lessEbEEEE10hipError_tPvRmT1_T2_T3_mmT4_T5_P12ihipStream_tbEUlRKiE_EESR_SV_SW_mSX_S10_bEUlT_E_NS1_11comp_targetILNS1_3genE10ELNS1_11target_archE1201ELNS1_3gpuE5ELNS1_3repE0EEENS1_30default_config_static_selectorELNS0_4arch9wavefront6targetE0EEEvSU_,"axG",@progbits,_ZN7rocprim17ROCPRIM_400000_NS6detail17trampoline_kernelINS0_14default_configENS1_29binary_search_config_selectorIiiEEZNS1_14transform_implILb0ES3_S5_N6thrust23THRUST_200600_302600_NS6detail15normal_iteratorINS8_7pointerIiNS8_11hip_rocprim5par_tENS8_11use_defaultESE_EEEESG_ZNS1_13binary_searchIS3_S5_PiSG_SG_NS1_16binary_search_opENS9_16wrapped_functionINS8_6system6detail7generic6detail18binary_search_lessEbEEEE10hipError_tPvRmT1_T2_T3_mmT4_T5_P12ihipStream_tbEUlRKiE_EESR_SV_SW_mSX_S10_bEUlT_E_NS1_11comp_targetILNS1_3genE10ELNS1_11target_archE1201ELNS1_3gpuE5ELNS1_3repE0EEENS1_30default_config_static_selectorELNS0_4arch9wavefront6targetE0EEEvSU_,comdat
	.protected	_ZN7rocprim17ROCPRIM_400000_NS6detail17trampoline_kernelINS0_14default_configENS1_29binary_search_config_selectorIiiEEZNS1_14transform_implILb0ES3_S5_N6thrust23THRUST_200600_302600_NS6detail15normal_iteratorINS8_7pointerIiNS8_11hip_rocprim5par_tENS8_11use_defaultESE_EEEESG_ZNS1_13binary_searchIS3_S5_PiSG_SG_NS1_16binary_search_opENS9_16wrapped_functionINS8_6system6detail7generic6detail18binary_search_lessEbEEEE10hipError_tPvRmT1_T2_T3_mmT4_T5_P12ihipStream_tbEUlRKiE_EESR_SV_SW_mSX_S10_bEUlT_E_NS1_11comp_targetILNS1_3genE10ELNS1_11target_archE1201ELNS1_3gpuE5ELNS1_3repE0EEENS1_30default_config_static_selectorELNS0_4arch9wavefront6targetE0EEEvSU_ ; -- Begin function _ZN7rocprim17ROCPRIM_400000_NS6detail17trampoline_kernelINS0_14default_configENS1_29binary_search_config_selectorIiiEEZNS1_14transform_implILb0ES3_S5_N6thrust23THRUST_200600_302600_NS6detail15normal_iteratorINS8_7pointerIiNS8_11hip_rocprim5par_tENS8_11use_defaultESE_EEEESG_ZNS1_13binary_searchIS3_S5_PiSG_SG_NS1_16binary_search_opENS9_16wrapped_functionINS8_6system6detail7generic6detail18binary_search_lessEbEEEE10hipError_tPvRmT1_T2_T3_mmT4_T5_P12ihipStream_tbEUlRKiE_EESR_SV_SW_mSX_S10_bEUlT_E_NS1_11comp_targetILNS1_3genE10ELNS1_11target_archE1201ELNS1_3gpuE5ELNS1_3repE0EEENS1_30default_config_static_selectorELNS0_4arch9wavefront6targetE0EEEvSU_
	.globl	_ZN7rocprim17ROCPRIM_400000_NS6detail17trampoline_kernelINS0_14default_configENS1_29binary_search_config_selectorIiiEEZNS1_14transform_implILb0ES3_S5_N6thrust23THRUST_200600_302600_NS6detail15normal_iteratorINS8_7pointerIiNS8_11hip_rocprim5par_tENS8_11use_defaultESE_EEEESG_ZNS1_13binary_searchIS3_S5_PiSG_SG_NS1_16binary_search_opENS9_16wrapped_functionINS8_6system6detail7generic6detail18binary_search_lessEbEEEE10hipError_tPvRmT1_T2_T3_mmT4_T5_P12ihipStream_tbEUlRKiE_EESR_SV_SW_mSX_S10_bEUlT_E_NS1_11comp_targetILNS1_3genE10ELNS1_11target_archE1201ELNS1_3gpuE5ELNS1_3repE0EEENS1_30default_config_static_selectorELNS0_4arch9wavefront6targetE0EEEvSU_
	.p2align	8
	.type	_ZN7rocprim17ROCPRIM_400000_NS6detail17trampoline_kernelINS0_14default_configENS1_29binary_search_config_selectorIiiEEZNS1_14transform_implILb0ES3_S5_N6thrust23THRUST_200600_302600_NS6detail15normal_iteratorINS8_7pointerIiNS8_11hip_rocprim5par_tENS8_11use_defaultESE_EEEESG_ZNS1_13binary_searchIS3_S5_PiSG_SG_NS1_16binary_search_opENS9_16wrapped_functionINS8_6system6detail7generic6detail18binary_search_lessEbEEEE10hipError_tPvRmT1_T2_T3_mmT4_T5_P12ihipStream_tbEUlRKiE_EESR_SV_SW_mSX_S10_bEUlT_E_NS1_11comp_targetILNS1_3genE10ELNS1_11target_archE1201ELNS1_3gpuE5ELNS1_3repE0EEENS1_30default_config_static_selectorELNS0_4arch9wavefront6targetE0EEEvSU_,@function
_ZN7rocprim17ROCPRIM_400000_NS6detail17trampoline_kernelINS0_14default_configENS1_29binary_search_config_selectorIiiEEZNS1_14transform_implILb0ES3_S5_N6thrust23THRUST_200600_302600_NS6detail15normal_iteratorINS8_7pointerIiNS8_11hip_rocprim5par_tENS8_11use_defaultESE_EEEESG_ZNS1_13binary_searchIS3_S5_PiSG_SG_NS1_16binary_search_opENS9_16wrapped_functionINS8_6system6detail7generic6detail18binary_search_lessEbEEEE10hipError_tPvRmT1_T2_T3_mmT4_T5_P12ihipStream_tbEUlRKiE_EESR_SV_SW_mSX_S10_bEUlT_E_NS1_11comp_targetILNS1_3genE10ELNS1_11target_archE1201ELNS1_3gpuE5ELNS1_3repE0EEENS1_30default_config_static_selectorELNS0_4arch9wavefront6targetE0EEEvSU_: ; @_ZN7rocprim17ROCPRIM_400000_NS6detail17trampoline_kernelINS0_14default_configENS1_29binary_search_config_selectorIiiEEZNS1_14transform_implILb0ES3_S5_N6thrust23THRUST_200600_302600_NS6detail15normal_iteratorINS8_7pointerIiNS8_11hip_rocprim5par_tENS8_11use_defaultESE_EEEESG_ZNS1_13binary_searchIS3_S5_PiSG_SG_NS1_16binary_search_opENS9_16wrapped_functionINS8_6system6detail7generic6detail18binary_search_lessEbEEEE10hipError_tPvRmT1_T2_T3_mmT4_T5_P12ihipStream_tbEUlRKiE_EESR_SV_SW_mSX_S10_bEUlT_E_NS1_11comp_targetILNS1_3genE10ELNS1_11target_archE1201ELNS1_3gpuE5ELNS1_3repE0EEENS1_30default_config_static_selectorELNS0_4arch9wavefront6targetE0EEEvSU_
; %bb.0:
	.section	.rodata,"a",@progbits
	.p2align	6, 0x0
	.amdhsa_kernel _ZN7rocprim17ROCPRIM_400000_NS6detail17trampoline_kernelINS0_14default_configENS1_29binary_search_config_selectorIiiEEZNS1_14transform_implILb0ES3_S5_N6thrust23THRUST_200600_302600_NS6detail15normal_iteratorINS8_7pointerIiNS8_11hip_rocprim5par_tENS8_11use_defaultESE_EEEESG_ZNS1_13binary_searchIS3_S5_PiSG_SG_NS1_16binary_search_opENS9_16wrapped_functionINS8_6system6detail7generic6detail18binary_search_lessEbEEEE10hipError_tPvRmT1_T2_T3_mmT4_T5_P12ihipStream_tbEUlRKiE_EESR_SV_SW_mSX_S10_bEUlT_E_NS1_11comp_targetILNS1_3genE10ELNS1_11target_archE1201ELNS1_3gpuE5ELNS1_3repE0EEENS1_30default_config_static_selectorELNS0_4arch9wavefront6targetE0EEEvSU_
		.amdhsa_group_segment_fixed_size 0
		.amdhsa_private_segment_fixed_size 0
		.amdhsa_kernarg_size 56
		.amdhsa_user_sgpr_count 6
		.amdhsa_user_sgpr_private_segment_buffer 1
		.amdhsa_user_sgpr_dispatch_ptr 0
		.amdhsa_user_sgpr_queue_ptr 0
		.amdhsa_user_sgpr_kernarg_segment_ptr 1
		.amdhsa_user_sgpr_dispatch_id 0
		.amdhsa_user_sgpr_flat_scratch_init 0
		.amdhsa_user_sgpr_private_segment_size 0
		.amdhsa_wavefront_size32 1
		.amdhsa_uses_dynamic_stack 0
		.amdhsa_system_sgpr_private_segment_wavefront_offset 0
		.amdhsa_system_sgpr_workgroup_id_x 1
		.amdhsa_system_sgpr_workgroup_id_y 0
		.amdhsa_system_sgpr_workgroup_id_z 0
		.amdhsa_system_sgpr_workgroup_info 0
		.amdhsa_system_vgpr_workitem_id 0
		.amdhsa_next_free_vgpr 1
		.amdhsa_next_free_sgpr 1
		.amdhsa_reserve_vcc 0
		.amdhsa_reserve_flat_scratch 0
		.amdhsa_float_round_mode_32 0
		.amdhsa_float_round_mode_16_64 0
		.amdhsa_float_denorm_mode_32 3
		.amdhsa_float_denorm_mode_16_64 3
		.amdhsa_dx10_clamp 1
		.amdhsa_ieee_mode 1
		.amdhsa_fp16_overflow 0
		.amdhsa_workgroup_processor_mode 1
		.amdhsa_memory_ordered 1
		.amdhsa_forward_progress 1
		.amdhsa_shared_vgpr_count 0
		.amdhsa_exception_fp_ieee_invalid_op 0
		.amdhsa_exception_fp_denorm_src 0
		.amdhsa_exception_fp_ieee_div_zero 0
		.amdhsa_exception_fp_ieee_overflow 0
		.amdhsa_exception_fp_ieee_underflow 0
		.amdhsa_exception_fp_ieee_inexact 0
		.amdhsa_exception_int_div_zero 0
	.end_amdhsa_kernel
	.section	.text._ZN7rocprim17ROCPRIM_400000_NS6detail17trampoline_kernelINS0_14default_configENS1_29binary_search_config_selectorIiiEEZNS1_14transform_implILb0ES3_S5_N6thrust23THRUST_200600_302600_NS6detail15normal_iteratorINS8_7pointerIiNS8_11hip_rocprim5par_tENS8_11use_defaultESE_EEEESG_ZNS1_13binary_searchIS3_S5_PiSG_SG_NS1_16binary_search_opENS9_16wrapped_functionINS8_6system6detail7generic6detail18binary_search_lessEbEEEE10hipError_tPvRmT1_T2_T3_mmT4_T5_P12ihipStream_tbEUlRKiE_EESR_SV_SW_mSX_S10_bEUlT_E_NS1_11comp_targetILNS1_3genE10ELNS1_11target_archE1201ELNS1_3gpuE5ELNS1_3repE0EEENS1_30default_config_static_selectorELNS0_4arch9wavefront6targetE0EEEvSU_,"axG",@progbits,_ZN7rocprim17ROCPRIM_400000_NS6detail17trampoline_kernelINS0_14default_configENS1_29binary_search_config_selectorIiiEEZNS1_14transform_implILb0ES3_S5_N6thrust23THRUST_200600_302600_NS6detail15normal_iteratorINS8_7pointerIiNS8_11hip_rocprim5par_tENS8_11use_defaultESE_EEEESG_ZNS1_13binary_searchIS3_S5_PiSG_SG_NS1_16binary_search_opENS9_16wrapped_functionINS8_6system6detail7generic6detail18binary_search_lessEbEEEE10hipError_tPvRmT1_T2_T3_mmT4_T5_P12ihipStream_tbEUlRKiE_EESR_SV_SW_mSX_S10_bEUlT_E_NS1_11comp_targetILNS1_3genE10ELNS1_11target_archE1201ELNS1_3gpuE5ELNS1_3repE0EEENS1_30default_config_static_selectorELNS0_4arch9wavefront6targetE0EEEvSU_,comdat
.Lfunc_end308:
	.size	_ZN7rocprim17ROCPRIM_400000_NS6detail17trampoline_kernelINS0_14default_configENS1_29binary_search_config_selectorIiiEEZNS1_14transform_implILb0ES3_S5_N6thrust23THRUST_200600_302600_NS6detail15normal_iteratorINS8_7pointerIiNS8_11hip_rocprim5par_tENS8_11use_defaultESE_EEEESG_ZNS1_13binary_searchIS3_S5_PiSG_SG_NS1_16binary_search_opENS9_16wrapped_functionINS8_6system6detail7generic6detail18binary_search_lessEbEEEE10hipError_tPvRmT1_T2_T3_mmT4_T5_P12ihipStream_tbEUlRKiE_EESR_SV_SW_mSX_S10_bEUlT_E_NS1_11comp_targetILNS1_3genE10ELNS1_11target_archE1201ELNS1_3gpuE5ELNS1_3repE0EEENS1_30default_config_static_selectorELNS0_4arch9wavefront6targetE0EEEvSU_, .Lfunc_end308-_ZN7rocprim17ROCPRIM_400000_NS6detail17trampoline_kernelINS0_14default_configENS1_29binary_search_config_selectorIiiEEZNS1_14transform_implILb0ES3_S5_N6thrust23THRUST_200600_302600_NS6detail15normal_iteratorINS8_7pointerIiNS8_11hip_rocprim5par_tENS8_11use_defaultESE_EEEESG_ZNS1_13binary_searchIS3_S5_PiSG_SG_NS1_16binary_search_opENS9_16wrapped_functionINS8_6system6detail7generic6detail18binary_search_lessEbEEEE10hipError_tPvRmT1_T2_T3_mmT4_T5_P12ihipStream_tbEUlRKiE_EESR_SV_SW_mSX_S10_bEUlT_E_NS1_11comp_targetILNS1_3genE10ELNS1_11target_archE1201ELNS1_3gpuE5ELNS1_3repE0EEENS1_30default_config_static_selectorELNS0_4arch9wavefront6targetE0EEEvSU_
                                        ; -- End function
	.set _ZN7rocprim17ROCPRIM_400000_NS6detail17trampoline_kernelINS0_14default_configENS1_29binary_search_config_selectorIiiEEZNS1_14transform_implILb0ES3_S5_N6thrust23THRUST_200600_302600_NS6detail15normal_iteratorINS8_7pointerIiNS8_11hip_rocprim5par_tENS8_11use_defaultESE_EEEESG_ZNS1_13binary_searchIS3_S5_PiSG_SG_NS1_16binary_search_opENS9_16wrapped_functionINS8_6system6detail7generic6detail18binary_search_lessEbEEEE10hipError_tPvRmT1_T2_T3_mmT4_T5_P12ihipStream_tbEUlRKiE_EESR_SV_SW_mSX_S10_bEUlT_E_NS1_11comp_targetILNS1_3genE10ELNS1_11target_archE1201ELNS1_3gpuE5ELNS1_3repE0EEENS1_30default_config_static_selectorELNS0_4arch9wavefront6targetE0EEEvSU_.num_vgpr, 0
	.set _ZN7rocprim17ROCPRIM_400000_NS6detail17trampoline_kernelINS0_14default_configENS1_29binary_search_config_selectorIiiEEZNS1_14transform_implILb0ES3_S5_N6thrust23THRUST_200600_302600_NS6detail15normal_iteratorINS8_7pointerIiNS8_11hip_rocprim5par_tENS8_11use_defaultESE_EEEESG_ZNS1_13binary_searchIS3_S5_PiSG_SG_NS1_16binary_search_opENS9_16wrapped_functionINS8_6system6detail7generic6detail18binary_search_lessEbEEEE10hipError_tPvRmT1_T2_T3_mmT4_T5_P12ihipStream_tbEUlRKiE_EESR_SV_SW_mSX_S10_bEUlT_E_NS1_11comp_targetILNS1_3genE10ELNS1_11target_archE1201ELNS1_3gpuE5ELNS1_3repE0EEENS1_30default_config_static_selectorELNS0_4arch9wavefront6targetE0EEEvSU_.num_agpr, 0
	.set _ZN7rocprim17ROCPRIM_400000_NS6detail17trampoline_kernelINS0_14default_configENS1_29binary_search_config_selectorIiiEEZNS1_14transform_implILb0ES3_S5_N6thrust23THRUST_200600_302600_NS6detail15normal_iteratorINS8_7pointerIiNS8_11hip_rocprim5par_tENS8_11use_defaultESE_EEEESG_ZNS1_13binary_searchIS3_S5_PiSG_SG_NS1_16binary_search_opENS9_16wrapped_functionINS8_6system6detail7generic6detail18binary_search_lessEbEEEE10hipError_tPvRmT1_T2_T3_mmT4_T5_P12ihipStream_tbEUlRKiE_EESR_SV_SW_mSX_S10_bEUlT_E_NS1_11comp_targetILNS1_3genE10ELNS1_11target_archE1201ELNS1_3gpuE5ELNS1_3repE0EEENS1_30default_config_static_selectorELNS0_4arch9wavefront6targetE0EEEvSU_.numbered_sgpr, 0
	.set _ZN7rocprim17ROCPRIM_400000_NS6detail17trampoline_kernelINS0_14default_configENS1_29binary_search_config_selectorIiiEEZNS1_14transform_implILb0ES3_S5_N6thrust23THRUST_200600_302600_NS6detail15normal_iteratorINS8_7pointerIiNS8_11hip_rocprim5par_tENS8_11use_defaultESE_EEEESG_ZNS1_13binary_searchIS3_S5_PiSG_SG_NS1_16binary_search_opENS9_16wrapped_functionINS8_6system6detail7generic6detail18binary_search_lessEbEEEE10hipError_tPvRmT1_T2_T3_mmT4_T5_P12ihipStream_tbEUlRKiE_EESR_SV_SW_mSX_S10_bEUlT_E_NS1_11comp_targetILNS1_3genE10ELNS1_11target_archE1201ELNS1_3gpuE5ELNS1_3repE0EEENS1_30default_config_static_selectorELNS0_4arch9wavefront6targetE0EEEvSU_.num_named_barrier, 0
	.set _ZN7rocprim17ROCPRIM_400000_NS6detail17trampoline_kernelINS0_14default_configENS1_29binary_search_config_selectorIiiEEZNS1_14transform_implILb0ES3_S5_N6thrust23THRUST_200600_302600_NS6detail15normal_iteratorINS8_7pointerIiNS8_11hip_rocprim5par_tENS8_11use_defaultESE_EEEESG_ZNS1_13binary_searchIS3_S5_PiSG_SG_NS1_16binary_search_opENS9_16wrapped_functionINS8_6system6detail7generic6detail18binary_search_lessEbEEEE10hipError_tPvRmT1_T2_T3_mmT4_T5_P12ihipStream_tbEUlRKiE_EESR_SV_SW_mSX_S10_bEUlT_E_NS1_11comp_targetILNS1_3genE10ELNS1_11target_archE1201ELNS1_3gpuE5ELNS1_3repE0EEENS1_30default_config_static_selectorELNS0_4arch9wavefront6targetE0EEEvSU_.private_seg_size, 0
	.set _ZN7rocprim17ROCPRIM_400000_NS6detail17trampoline_kernelINS0_14default_configENS1_29binary_search_config_selectorIiiEEZNS1_14transform_implILb0ES3_S5_N6thrust23THRUST_200600_302600_NS6detail15normal_iteratorINS8_7pointerIiNS8_11hip_rocprim5par_tENS8_11use_defaultESE_EEEESG_ZNS1_13binary_searchIS3_S5_PiSG_SG_NS1_16binary_search_opENS9_16wrapped_functionINS8_6system6detail7generic6detail18binary_search_lessEbEEEE10hipError_tPvRmT1_T2_T3_mmT4_T5_P12ihipStream_tbEUlRKiE_EESR_SV_SW_mSX_S10_bEUlT_E_NS1_11comp_targetILNS1_3genE10ELNS1_11target_archE1201ELNS1_3gpuE5ELNS1_3repE0EEENS1_30default_config_static_selectorELNS0_4arch9wavefront6targetE0EEEvSU_.uses_vcc, 0
	.set _ZN7rocprim17ROCPRIM_400000_NS6detail17trampoline_kernelINS0_14default_configENS1_29binary_search_config_selectorIiiEEZNS1_14transform_implILb0ES3_S5_N6thrust23THRUST_200600_302600_NS6detail15normal_iteratorINS8_7pointerIiNS8_11hip_rocprim5par_tENS8_11use_defaultESE_EEEESG_ZNS1_13binary_searchIS3_S5_PiSG_SG_NS1_16binary_search_opENS9_16wrapped_functionINS8_6system6detail7generic6detail18binary_search_lessEbEEEE10hipError_tPvRmT1_T2_T3_mmT4_T5_P12ihipStream_tbEUlRKiE_EESR_SV_SW_mSX_S10_bEUlT_E_NS1_11comp_targetILNS1_3genE10ELNS1_11target_archE1201ELNS1_3gpuE5ELNS1_3repE0EEENS1_30default_config_static_selectorELNS0_4arch9wavefront6targetE0EEEvSU_.uses_flat_scratch, 0
	.set _ZN7rocprim17ROCPRIM_400000_NS6detail17trampoline_kernelINS0_14default_configENS1_29binary_search_config_selectorIiiEEZNS1_14transform_implILb0ES3_S5_N6thrust23THRUST_200600_302600_NS6detail15normal_iteratorINS8_7pointerIiNS8_11hip_rocprim5par_tENS8_11use_defaultESE_EEEESG_ZNS1_13binary_searchIS3_S5_PiSG_SG_NS1_16binary_search_opENS9_16wrapped_functionINS8_6system6detail7generic6detail18binary_search_lessEbEEEE10hipError_tPvRmT1_T2_T3_mmT4_T5_P12ihipStream_tbEUlRKiE_EESR_SV_SW_mSX_S10_bEUlT_E_NS1_11comp_targetILNS1_3genE10ELNS1_11target_archE1201ELNS1_3gpuE5ELNS1_3repE0EEENS1_30default_config_static_selectorELNS0_4arch9wavefront6targetE0EEEvSU_.has_dyn_sized_stack, 0
	.set _ZN7rocprim17ROCPRIM_400000_NS6detail17trampoline_kernelINS0_14default_configENS1_29binary_search_config_selectorIiiEEZNS1_14transform_implILb0ES3_S5_N6thrust23THRUST_200600_302600_NS6detail15normal_iteratorINS8_7pointerIiNS8_11hip_rocprim5par_tENS8_11use_defaultESE_EEEESG_ZNS1_13binary_searchIS3_S5_PiSG_SG_NS1_16binary_search_opENS9_16wrapped_functionINS8_6system6detail7generic6detail18binary_search_lessEbEEEE10hipError_tPvRmT1_T2_T3_mmT4_T5_P12ihipStream_tbEUlRKiE_EESR_SV_SW_mSX_S10_bEUlT_E_NS1_11comp_targetILNS1_3genE10ELNS1_11target_archE1201ELNS1_3gpuE5ELNS1_3repE0EEENS1_30default_config_static_selectorELNS0_4arch9wavefront6targetE0EEEvSU_.has_recursion, 0
	.set _ZN7rocprim17ROCPRIM_400000_NS6detail17trampoline_kernelINS0_14default_configENS1_29binary_search_config_selectorIiiEEZNS1_14transform_implILb0ES3_S5_N6thrust23THRUST_200600_302600_NS6detail15normal_iteratorINS8_7pointerIiNS8_11hip_rocprim5par_tENS8_11use_defaultESE_EEEESG_ZNS1_13binary_searchIS3_S5_PiSG_SG_NS1_16binary_search_opENS9_16wrapped_functionINS8_6system6detail7generic6detail18binary_search_lessEbEEEE10hipError_tPvRmT1_T2_T3_mmT4_T5_P12ihipStream_tbEUlRKiE_EESR_SV_SW_mSX_S10_bEUlT_E_NS1_11comp_targetILNS1_3genE10ELNS1_11target_archE1201ELNS1_3gpuE5ELNS1_3repE0EEENS1_30default_config_static_selectorELNS0_4arch9wavefront6targetE0EEEvSU_.has_indirect_call, 0
	.section	.AMDGPU.csdata,"",@progbits
; Kernel info:
; codeLenInByte = 0
; TotalNumSgprs: 0
; NumVgprs: 0
; ScratchSize: 0
; MemoryBound: 0
; FloatMode: 240
; IeeeMode: 1
; LDSByteSize: 0 bytes/workgroup (compile time only)
; SGPRBlocks: 0
; VGPRBlocks: 0
; NumSGPRsForWavesPerEU: 1
; NumVGPRsForWavesPerEU: 1
; Occupancy: 16
; WaveLimiterHint : 0
; COMPUTE_PGM_RSRC2:SCRATCH_EN: 0
; COMPUTE_PGM_RSRC2:USER_SGPR: 6
; COMPUTE_PGM_RSRC2:TRAP_HANDLER: 0
; COMPUTE_PGM_RSRC2:TGID_X_EN: 1
; COMPUTE_PGM_RSRC2:TGID_Y_EN: 0
; COMPUTE_PGM_RSRC2:TGID_Z_EN: 0
; COMPUTE_PGM_RSRC2:TIDIG_COMP_CNT: 0
	.section	.text._ZN7rocprim17ROCPRIM_400000_NS6detail17trampoline_kernelINS0_14default_configENS1_29binary_search_config_selectorIiiEEZNS1_14transform_implILb0ES3_S5_N6thrust23THRUST_200600_302600_NS6detail15normal_iteratorINS8_7pointerIiNS8_11hip_rocprim5par_tENS8_11use_defaultESE_EEEESG_ZNS1_13binary_searchIS3_S5_PiSG_SG_NS1_16binary_search_opENS9_16wrapped_functionINS8_6system6detail7generic6detail18binary_search_lessEbEEEE10hipError_tPvRmT1_T2_T3_mmT4_T5_P12ihipStream_tbEUlRKiE_EESR_SV_SW_mSX_S10_bEUlT_E_NS1_11comp_targetILNS1_3genE10ELNS1_11target_archE1200ELNS1_3gpuE4ELNS1_3repE0EEENS1_30default_config_static_selectorELNS0_4arch9wavefront6targetE0EEEvSU_,"axG",@progbits,_ZN7rocprim17ROCPRIM_400000_NS6detail17trampoline_kernelINS0_14default_configENS1_29binary_search_config_selectorIiiEEZNS1_14transform_implILb0ES3_S5_N6thrust23THRUST_200600_302600_NS6detail15normal_iteratorINS8_7pointerIiNS8_11hip_rocprim5par_tENS8_11use_defaultESE_EEEESG_ZNS1_13binary_searchIS3_S5_PiSG_SG_NS1_16binary_search_opENS9_16wrapped_functionINS8_6system6detail7generic6detail18binary_search_lessEbEEEE10hipError_tPvRmT1_T2_T3_mmT4_T5_P12ihipStream_tbEUlRKiE_EESR_SV_SW_mSX_S10_bEUlT_E_NS1_11comp_targetILNS1_3genE10ELNS1_11target_archE1200ELNS1_3gpuE4ELNS1_3repE0EEENS1_30default_config_static_selectorELNS0_4arch9wavefront6targetE0EEEvSU_,comdat
	.protected	_ZN7rocprim17ROCPRIM_400000_NS6detail17trampoline_kernelINS0_14default_configENS1_29binary_search_config_selectorIiiEEZNS1_14transform_implILb0ES3_S5_N6thrust23THRUST_200600_302600_NS6detail15normal_iteratorINS8_7pointerIiNS8_11hip_rocprim5par_tENS8_11use_defaultESE_EEEESG_ZNS1_13binary_searchIS3_S5_PiSG_SG_NS1_16binary_search_opENS9_16wrapped_functionINS8_6system6detail7generic6detail18binary_search_lessEbEEEE10hipError_tPvRmT1_T2_T3_mmT4_T5_P12ihipStream_tbEUlRKiE_EESR_SV_SW_mSX_S10_bEUlT_E_NS1_11comp_targetILNS1_3genE10ELNS1_11target_archE1200ELNS1_3gpuE4ELNS1_3repE0EEENS1_30default_config_static_selectorELNS0_4arch9wavefront6targetE0EEEvSU_ ; -- Begin function _ZN7rocprim17ROCPRIM_400000_NS6detail17trampoline_kernelINS0_14default_configENS1_29binary_search_config_selectorIiiEEZNS1_14transform_implILb0ES3_S5_N6thrust23THRUST_200600_302600_NS6detail15normal_iteratorINS8_7pointerIiNS8_11hip_rocprim5par_tENS8_11use_defaultESE_EEEESG_ZNS1_13binary_searchIS3_S5_PiSG_SG_NS1_16binary_search_opENS9_16wrapped_functionINS8_6system6detail7generic6detail18binary_search_lessEbEEEE10hipError_tPvRmT1_T2_T3_mmT4_T5_P12ihipStream_tbEUlRKiE_EESR_SV_SW_mSX_S10_bEUlT_E_NS1_11comp_targetILNS1_3genE10ELNS1_11target_archE1200ELNS1_3gpuE4ELNS1_3repE0EEENS1_30default_config_static_selectorELNS0_4arch9wavefront6targetE0EEEvSU_
	.globl	_ZN7rocprim17ROCPRIM_400000_NS6detail17trampoline_kernelINS0_14default_configENS1_29binary_search_config_selectorIiiEEZNS1_14transform_implILb0ES3_S5_N6thrust23THRUST_200600_302600_NS6detail15normal_iteratorINS8_7pointerIiNS8_11hip_rocprim5par_tENS8_11use_defaultESE_EEEESG_ZNS1_13binary_searchIS3_S5_PiSG_SG_NS1_16binary_search_opENS9_16wrapped_functionINS8_6system6detail7generic6detail18binary_search_lessEbEEEE10hipError_tPvRmT1_T2_T3_mmT4_T5_P12ihipStream_tbEUlRKiE_EESR_SV_SW_mSX_S10_bEUlT_E_NS1_11comp_targetILNS1_3genE10ELNS1_11target_archE1200ELNS1_3gpuE4ELNS1_3repE0EEENS1_30default_config_static_selectorELNS0_4arch9wavefront6targetE0EEEvSU_
	.p2align	8
	.type	_ZN7rocprim17ROCPRIM_400000_NS6detail17trampoline_kernelINS0_14default_configENS1_29binary_search_config_selectorIiiEEZNS1_14transform_implILb0ES3_S5_N6thrust23THRUST_200600_302600_NS6detail15normal_iteratorINS8_7pointerIiNS8_11hip_rocprim5par_tENS8_11use_defaultESE_EEEESG_ZNS1_13binary_searchIS3_S5_PiSG_SG_NS1_16binary_search_opENS9_16wrapped_functionINS8_6system6detail7generic6detail18binary_search_lessEbEEEE10hipError_tPvRmT1_T2_T3_mmT4_T5_P12ihipStream_tbEUlRKiE_EESR_SV_SW_mSX_S10_bEUlT_E_NS1_11comp_targetILNS1_3genE10ELNS1_11target_archE1200ELNS1_3gpuE4ELNS1_3repE0EEENS1_30default_config_static_selectorELNS0_4arch9wavefront6targetE0EEEvSU_,@function
_ZN7rocprim17ROCPRIM_400000_NS6detail17trampoline_kernelINS0_14default_configENS1_29binary_search_config_selectorIiiEEZNS1_14transform_implILb0ES3_S5_N6thrust23THRUST_200600_302600_NS6detail15normal_iteratorINS8_7pointerIiNS8_11hip_rocprim5par_tENS8_11use_defaultESE_EEEESG_ZNS1_13binary_searchIS3_S5_PiSG_SG_NS1_16binary_search_opENS9_16wrapped_functionINS8_6system6detail7generic6detail18binary_search_lessEbEEEE10hipError_tPvRmT1_T2_T3_mmT4_T5_P12ihipStream_tbEUlRKiE_EESR_SV_SW_mSX_S10_bEUlT_E_NS1_11comp_targetILNS1_3genE10ELNS1_11target_archE1200ELNS1_3gpuE4ELNS1_3repE0EEENS1_30default_config_static_selectorELNS0_4arch9wavefront6targetE0EEEvSU_: ; @_ZN7rocprim17ROCPRIM_400000_NS6detail17trampoline_kernelINS0_14default_configENS1_29binary_search_config_selectorIiiEEZNS1_14transform_implILb0ES3_S5_N6thrust23THRUST_200600_302600_NS6detail15normal_iteratorINS8_7pointerIiNS8_11hip_rocprim5par_tENS8_11use_defaultESE_EEEESG_ZNS1_13binary_searchIS3_S5_PiSG_SG_NS1_16binary_search_opENS9_16wrapped_functionINS8_6system6detail7generic6detail18binary_search_lessEbEEEE10hipError_tPvRmT1_T2_T3_mmT4_T5_P12ihipStream_tbEUlRKiE_EESR_SV_SW_mSX_S10_bEUlT_E_NS1_11comp_targetILNS1_3genE10ELNS1_11target_archE1200ELNS1_3gpuE4ELNS1_3repE0EEENS1_30default_config_static_selectorELNS0_4arch9wavefront6targetE0EEEvSU_
; %bb.0:
	.section	.rodata,"a",@progbits
	.p2align	6, 0x0
	.amdhsa_kernel _ZN7rocprim17ROCPRIM_400000_NS6detail17trampoline_kernelINS0_14default_configENS1_29binary_search_config_selectorIiiEEZNS1_14transform_implILb0ES3_S5_N6thrust23THRUST_200600_302600_NS6detail15normal_iteratorINS8_7pointerIiNS8_11hip_rocprim5par_tENS8_11use_defaultESE_EEEESG_ZNS1_13binary_searchIS3_S5_PiSG_SG_NS1_16binary_search_opENS9_16wrapped_functionINS8_6system6detail7generic6detail18binary_search_lessEbEEEE10hipError_tPvRmT1_T2_T3_mmT4_T5_P12ihipStream_tbEUlRKiE_EESR_SV_SW_mSX_S10_bEUlT_E_NS1_11comp_targetILNS1_3genE10ELNS1_11target_archE1200ELNS1_3gpuE4ELNS1_3repE0EEENS1_30default_config_static_selectorELNS0_4arch9wavefront6targetE0EEEvSU_
		.amdhsa_group_segment_fixed_size 0
		.amdhsa_private_segment_fixed_size 0
		.amdhsa_kernarg_size 56
		.amdhsa_user_sgpr_count 6
		.amdhsa_user_sgpr_private_segment_buffer 1
		.amdhsa_user_sgpr_dispatch_ptr 0
		.amdhsa_user_sgpr_queue_ptr 0
		.amdhsa_user_sgpr_kernarg_segment_ptr 1
		.amdhsa_user_sgpr_dispatch_id 0
		.amdhsa_user_sgpr_flat_scratch_init 0
		.amdhsa_user_sgpr_private_segment_size 0
		.amdhsa_wavefront_size32 1
		.amdhsa_uses_dynamic_stack 0
		.amdhsa_system_sgpr_private_segment_wavefront_offset 0
		.amdhsa_system_sgpr_workgroup_id_x 1
		.amdhsa_system_sgpr_workgroup_id_y 0
		.amdhsa_system_sgpr_workgroup_id_z 0
		.amdhsa_system_sgpr_workgroup_info 0
		.amdhsa_system_vgpr_workitem_id 0
		.amdhsa_next_free_vgpr 1
		.amdhsa_next_free_sgpr 1
		.amdhsa_reserve_vcc 0
		.amdhsa_reserve_flat_scratch 0
		.amdhsa_float_round_mode_32 0
		.amdhsa_float_round_mode_16_64 0
		.amdhsa_float_denorm_mode_32 3
		.amdhsa_float_denorm_mode_16_64 3
		.amdhsa_dx10_clamp 1
		.amdhsa_ieee_mode 1
		.amdhsa_fp16_overflow 0
		.amdhsa_workgroup_processor_mode 1
		.amdhsa_memory_ordered 1
		.amdhsa_forward_progress 1
		.amdhsa_shared_vgpr_count 0
		.amdhsa_exception_fp_ieee_invalid_op 0
		.amdhsa_exception_fp_denorm_src 0
		.amdhsa_exception_fp_ieee_div_zero 0
		.amdhsa_exception_fp_ieee_overflow 0
		.amdhsa_exception_fp_ieee_underflow 0
		.amdhsa_exception_fp_ieee_inexact 0
		.amdhsa_exception_int_div_zero 0
	.end_amdhsa_kernel
	.section	.text._ZN7rocprim17ROCPRIM_400000_NS6detail17trampoline_kernelINS0_14default_configENS1_29binary_search_config_selectorIiiEEZNS1_14transform_implILb0ES3_S5_N6thrust23THRUST_200600_302600_NS6detail15normal_iteratorINS8_7pointerIiNS8_11hip_rocprim5par_tENS8_11use_defaultESE_EEEESG_ZNS1_13binary_searchIS3_S5_PiSG_SG_NS1_16binary_search_opENS9_16wrapped_functionINS8_6system6detail7generic6detail18binary_search_lessEbEEEE10hipError_tPvRmT1_T2_T3_mmT4_T5_P12ihipStream_tbEUlRKiE_EESR_SV_SW_mSX_S10_bEUlT_E_NS1_11comp_targetILNS1_3genE10ELNS1_11target_archE1200ELNS1_3gpuE4ELNS1_3repE0EEENS1_30default_config_static_selectorELNS0_4arch9wavefront6targetE0EEEvSU_,"axG",@progbits,_ZN7rocprim17ROCPRIM_400000_NS6detail17trampoline_kernelINS0_14default_configENS1_29binary_search_config_selectorIiiEEZNS1_14transform_implILb0ES3_S5_N6thrust23THRUST_200600_302600_NS6detail15normal_iteratorINS8_7pointerIiNS8_11hip_rocprim5par_tENS8_11use_defaultESE_EEEESG_ZNS1_13binary_searchIS3_S5_PiSG_SG_NS1_16binary_search_opENS9_16wrapped_functionINS8_6system6detail7generic6detail18binary_search_lessEbEEEE10hipError_tPvRmT1_T2_T3_mmT4_T5_P12ihipStream_tbEUlRKiE_EESR_SV_SW_mSX_S10_bEUlT_E_NS1_11comp_targetILNS1_3genE10ELNS1_11target_archE1200ELNS1_3gpuE4ELNS1_3repE0EEENS1_30default_config_static_selectorELNS0_4arch9wavefront6targetE0EEEvSU_,comdat
.Lfunc_end309:
	.size	_ZN7rocprim17ROCPRIM_400000_NS6detail17trampoline_kernelINS0_14default_configENS1_29binary_search_config_selectorIiiEEZNS1_14transform_implILb0ES3_S5_N6thrust23THRUST_200600_302600_NS6detail15normal_iteratorINS8_7pointerIiNS8_11hip_rocprim5par_tENS8_11use_defaultESE_EEEESG_ZNS1_13binary_searchIS3_S5_PiSG_SG_NS1_16binary_search_opENS9_16wrapped_functionINS8_6system6detail7generic6detail18binary_search_lessEbEEEE10hipError_tPvRmT1_T2_T3_mmT4_T5_P12ihipStream_tbEUlRKiE_EESR_SV_SW_mSX_S10_bEUlT_E_NS1_11comp_targetILNS1_3genE10ELNS1_11target_archE1200ELNS1_3gpuE4ELNS1_3repE0EEENS1_30default_config_static_selectorELNS0_4arch9wavefront6targetE0EEEvSU_, .Lfunc_end309-_ZN7rocprim17ROCPRIM_400000_NS6detail17trampoline_kernelINS0_14default_configENS1_29binary_search_config_selectorIiiEEZNS1_14transform_implILb0ES3_S5_N6thrust23THRUST_200600_302600_NS6detail15normal_iteratorINS8_7pointerIiNS8_11hip_rocprim5par_tENS8_11use_defaultESE_EEEESG_ZNS1_13binary_searchIS3_S5_PiSG_SG_NS1_16binary_search_opENS9_16wrapped_functionINS8_6system6detail7generic6detail18binary_search_lessEbEEEE10hipError_tPvRmT1_T2_T3_mmT4_T5_P12ihipStream_tbEUlRKiE_EESR_SV_SW_mSX_S10_bEUlT_E_NS1_11comp_targetILNS1_3genE10ELNS1_11target_archE1200ELNS1_3gpuE4ELNS1_3repE0EEENS1_30default_config_static_selectorELNS0_4arch9wavefront6targetE0EEEvSU_
                                        ; -- End function
	.set _ZN7rocprim17ROCPRIM_400000_NS6detail17trampoline_kernelINS0_14default_configENS1_29binary_search_config_selectorIiiEEZNS1_14transform_implILb0ES3_S5_N6thrust23THRUST_200600_302600_NS6detail15normal_iteratorINS8_7pointerIiNS8_11hip_rocprim5par_tENS8_11use_defaultESE_EEEESG_ZNS1_13binary_searchIS3_S5_PiSG_SG_NS1_16binary_search_opENS9_16wrapped_functionINS8_6system6detail7generic6detail18binary_search_lessEbEEEE10hipError_tPvRmT1_T2_T3_mmT4_T5_P12ihipStream_tbEUlRKiE_EESR_SV_SW_mSX_S10_bEUlT_E_NS1_11comp_targetILNS1_3genE10ELNS1_11target_archE1200ELNS1_3gpuE4ELNS1_3repE0EEENS1_30default_config_static_selectorELNS0_4arch9wavefront6targetE0EEEvSU_.num_vgpr, 0
	.set _ZN7rocprim17ROCPRIM_400000_NS6detail17trampoline_kernelINS0_14default_configENS1_29binary_search_config_selectorIiiEEZNS1_14transform_implILb0ES3_S5_N6thrust23THRUST_200600_302600_NS6detail15normal_iteratorINS8_7pointerIiNS8_11hip_rocprim5par_tENS8_11use_defaultESE_EEEESG_ZNS1_13binary_searchIS3_S5_PiSG_SG_NS1_16binary_search_opENS9_16wrapped_functionINS8_6system6detail7generic6detail18binary_search_lessEbEEEE10hipError_tPvRmT1_T2_T3_mmT4_T5_P12ihipStream_tbEUlRKiE_EESR_SV_SW_mSX_S10_bEUlT_E_NS1_11comp_targetILNS1_3genE10ELNS1_11target_archE1200ELNS1_3gpuE4ELNS1_3repE0EEENS1_30default_config_static_selectorELNS0_4arch9wavefront6targetE0EEEvSU_.num_agpr, 0
	.set _ZN7rocprim17ROCPRIM_400000_NS6detail17trampoline_kernelINS0_14default_configENS1_29binary_search_config_selectorIiiEEZNS1_14transform_implILb0ES3_S5_N6thrust23THRUST_200600_302600_NS6detail15normal_iteratorINS8_7pointerIiNS8_11hip_rocprim5par_tENS8_11use_defaultESE_EEEESG_ZNS1_13binary_searchIS3_S5_PiSG_SG_NS1_16binary_search_opENS9_16wrapped_functionINS8_6system6detail7generic6detail18binary_search_lessEbEEEE10hipError_tPvRmT1_T2_T3_mmT4_T5_P12ihipStream_tbEUlRKiE_EESR_SV_SW_mSX_S10_bEUlT_E_NS1_11comp_targetILNS1_3genE10ELNS1_11target_archE1200ELNS1_3gpuE4ELNS1_3repE0EEENS1_30default_config_static_selectorELNS0_4arch9wavefront6targetE0EEEvSU_.numbered_sgpr, 0
	.set _ZN7rocprim17ROCPRIM_400000_NS6detail17trampoline_kernelINS0_14default_configENS1_29binary_search_config_selectorIiiEEZNS1_14transform_implILb0ES3_S5_N6thrust23THRUST_200600_302600_NS6detail15normal_iteratorINS8_7pointerIiNS8_11hip_rocprim5par_tENS8_11use_defaultESE_EEEESG_ZNS1_13binary_searchIS3_S5_PiSG_SG_NS1_16binary_search_opENS9_16wrapped_functionINS8_6system6detail7generic6detail18binary_search_lessEbEEEE10hipError_tPvRmT1_T2_T3_mmT4_T5_P12ihipStream_tbEUlRKiE_EESR_SV_SW_mSX_S10_bEUlT_E_NS1_11comp_targetILNS1_3genE10ELNS1_11target_archE1200ELNS1_3gpuE4ELNS1_3repE0EEENS1_30default_config_static_selectorELNS0_4arch9wavefront6targetE0EEEvSU_.num_named_barrier, 0
	.set _ZN7rocprim17ROCPRIM_400000_NS6detail17trampoline_kernelINS0_14default_configENS1_29binary_search_config_selectorIiiEEZNS1_14transform_implILb0ES3_S5_N6thrust23THRUST_200600_302600_NS6detail15normal_iteratorINS8_7pointerIiNS8_11hip_rocprim5par_tENS8_11use_defaultESE_EEEESG_ZNS1_13binary_searchIS3_S5_PiSG_SG_NS1_16binary_search_opENS9_16wrapped_functionINS8_6system6detail7generic6detail18binary_search_lessEbEEEE10hipError_tPvRmT1_T2_T3_mmT4_T5_P12ihipStream_tbEUlRKiE_EESR_SV_SW_mSX_S10_bEUlT_E_NS1_11comp_targetILNS1_3genE10ELNS1_11target_archE1200ELNS1_3gpuE4ELNS1_3repE0EEENS1_30default_config_static_selectorELNS0_4arch9wavefront6targetE0EEEvSU_.private_seg_size, 0
	.set _ZN7rocprim17ROCPRIM_400000_NS6detail17trampoline_kernelINS0_14default_configENS1_29binary_search_config_selectorIiiEEZNS1_14transform_implILb0ES3_S5_N6thrust23THRUST_200600_302600_NS6detail15normal_iteratorINS8_7pointerIiNS8_11hip_rocprim5par_tENS8_11use_defaultESE_EEEESG_ZNS1_13binary_searchIS3_S5_PiSG_SG_NS1_16binary_search_opENS9_16wrapped_functionINS8_6system6detail7generic6detail18binary_search_lessEbEEEE10hipError_tPvRmT1_T2_T3_mmT4_T5_P12ihipStream_tbEUlRKiE_EESR_SV_SW_mSX_S10_bEUlT_E_NS1_11comp_targetILNS1_3genE10ELNS1_11target_archE1200ELNS1_3gpuE4ELNS1_3repE0EEENS1_30default_config_static_selectorELNS0_4arch9wavefront6targetE0EEEvSU_.uses_vcc, 0
	.set _ZN7rocprim17ROCPRIM_400000_NS6detail17trampoline_kernelINS0_14default_configENS1_29binary_search_config_selectorIiiEEZNS1_14transform_implILb0ES3_S5_N6thrust23THRUST_200600_302600_NS6detail15normal_iteratorINS8_7pointerIiNS8_11hip_rocprim5par_tENS8_11use_defaultESE_EEEESG_ZNS1_13binary_searchIS3_S5_PiSG_SG_NS1_16binary_search_opENS9_16wrapped_functionINS8_6system6detail7generic6detail18binary_search_lessEbEEEE10hipError_tPvRmT1_T2_T3_mmT4_T5_P12ihipStream_tbEUlRKiE_EESR_SV_SW_mSX_S10_bEUlT_E_NS1_11comp_targetILNS1_3genE10ELNS1_11target_archE1200ELNS1_3gpuE4ELNS1_3repE0EEENS1_30default_config_static_selectorELNS0_4arch9wavefront6targetE0EEEvSU_.uses_flat_scratch, 0
	.set _ZN7rocprim17ROCPRIM_400000_NS6detail17trampoline_kernelINS0_14default_configENS1_29binary_search_config_selectorIiiEEZNS1_14transform_implILb0ES3_S5_N6thrust23THRUST_200600_302600_NS6detail15normal_iteratorINS8_7pointerIiNS8_11hip_rocprim5par_tENS8_11use_defaultESE_EEEESG_ZNS1_13binary_searchIS3_S5_PiSG_SG_NS1_16binary_search_opENS9_16wrapped_functionINS8_6system6detail7generic6detail18binary_search_lessEbEEEE10hipError_tPvRmT1_T2_T3_mmT4_T5_P12ihipStream_tbEUlRKiE_EESR_SV_SW_mSX_S10_bEUlT_E_NS1_11comp_targetILNS1_3genE10ELNS1_11target_archE1200ELNS1_3gpuE4ELNS1_3repE0EEENS1_30default_config_static_selectorELNS0_4arch9wavefront6targetE0EEEvSU_.has_dyn_sized_stack, 0
	.set _ZN7rocprim17ROCPRIM_400000_NS6detail17trampoline_kernelINS0_14default_configENS1_29binary_search_config_selectorIiiEEZNS1_14transform_implILb0ES3_S5_N6thrust23THRUST_200600_302600_NS6detail15normal_iteratorINS8_7pointerIiNS8_11hip_rocprim5par_tENS8_11use_defaultESE_EEEESG_ZNS1_13binary_searchIS3_S5_PiSG_SG_NS1_16binary_search_opENS9_16wrapped_functionINS8_6system6detail7generic6detail18binary_search_lessEbEEEE10hipError_tPvRmT1_T2_T3_mmT4_T5_P12ihipStream_tbEUlRKiE_EESR_SV_SW_mSX_S10_bEUlT_E_NS1_11comp_targetILNS1_3genE10ELNS1_11target_archE1200ELNS1_3gpuE4ELNS1_3repE0EEENS1_30default_config_static_selectorELNS0_4arch9wavefront6targetE0EEEvSU_.has_recursion, 0
	.set _ZN7rocprim17ROCPRIM_400000_NS6detail17trampoline_kernelINS0_14default_configENS1_29binary_search_config_selectorIiiEEZNS1_14transform_implILb0ES3_S5_N6thrust23THRUST_200600_302600_NS6detail15normal_iteratorINS8_7pointerIiNS8_11hip_rocprim5par_tENS8_11use_defaultESE_EEEESG_ZNS1_13binary_searchIS3_S5_PiSG_SG_NS1_16binary_search_opENS9_16wrapped_functionINS8_6system6detail7generic6detail18binary_search_lessEbEEEE10hipError_tPvRmT1_T2_T3_mmT4_T5_P12ihipStream_tbEUlRKiE_EESR_SV_SW_mSX_S10_bEUlT_E_NS1_11comp_targetILNS1_3genE10ELNS1_11target_archE1200ELNS1_3gpuE4ELNS1_3repE0EEENS1_30default_config_static_selectorELNS0_4arch9wavefront6targetE0EEEvSU_.has_indirect_call, 0
	.section	.AMDGPU.csdata,"",@progbits
; Kernel info:
; codeLenInByte = 0
; TotalNumSgprs: 0
; NumVgprs: 0
; ScratchSize: 0
; MemoryBound: 0
; FloatMode: 240
; IeeeMode: 1
; LDSByteSize: 0 bytes/workgroup (compile time only)
; SGPRBlocks: 0
; VGPRBlocks: 0
; NumSGPRsForWavesPerEU: 1
; NumVGPRsForWavesPerEU: 1
; Occupancy: 16
; WaveLimiterHint : 0
; COMPUTE_PGM_RSRC2:SCRATCH_EN: 0
; COMPUTE_PGM_RSRC2:USER_SGPR: 6
; COMPUTE_PGM_RSRC2:TRAP_HANDLER: 0
; COMPUTE_PGM_RSRC2:TGID_X_EN: 1
; COMPUTE_PGM_RSRC2:TGID_Y_EN: 0
; COMPUTE_PGM_RSRC2:TGID_Z_EN: 0
; COMPUTE_PGM_RSRC2:TIDIG_COMP_CNT: 0
	.section	.text._ZN7rocprim17ROCPRIM_400000_NS6detail17trampoline_kernelINS0_14default_configENS1_29binary_search_config_selectorIiiEEZNS1_14transform_implILb0ES3_S5_N6thrust23THRUST_200600_302600_NS6detail15normal_iteratorINS8_7pointerIiNS8_11hip_rocprim5par_tENS8_11use_defaultESE_EEEESG_ZNS1_13binary_searchIS3_S5_PiSG_SG_NS1_16binary_search_opENS9_16wrapped_functionINS8_6system6detail7generic6detail18binary_search_lessEbEEEE10hipError_tPvRmT1_T2_T3_mmT4_T5_P12ihipStream_tbEUlRKiE_EESR_SV_SW_mSX_S10_bEUlT_E_NS1_11comp_targetILNS1_3genE9ELNS1_11target_archE1100ELNS1_3gpuE3ELNS1_3repE0EEENS1_30default_config_static_selectorELNS0_4arch9wavefront6targetE0EEEvSU_,"axG",@progbits,_ZN7rocprim17ROCPRIM_400000_NS6detail17trampoline_kernelINS0_14default_configENS1_29binary_search_config_selectorIiiEEZNS1_14transform_implILb0ES3_S5_N6thrust23THRUST_200600_302600_NS6detail15normal_iteratorINS8_7pointerIiNS8_11hip_rocprim5par_tENS8_11use_defaultESE_EEEESG_ZNS1_13binary_searchIS3_S5_PiSG_SG_NS1_16binary_search_opENS9_16wrapped_functionINS8_6system6detail7generic6detail18binary_search_lessEbEEEE10hipError_tPvRmT1_T2_T3_mmT4_T5_P12ihipStream_tbEUlRKiE_EESR_SV_SW_mSX_S10_bEUlT_E_NS1_11comp_targetILNS1_3genE9ELNS1_11target_archE1100ELNS1_3gpuE3ELNS1_3repE0EEENS1_30default_config_static_selectorELNS0_4arch9wavefront6targetE0EEEvSU_,comdat
	.protected	_ZN7rocprim17ROCPRIM_400000_NS6detail17trampoline_kernelINS0_14default_configENS1_29binary_search_config_selectorIiiEEZNS1_14transform_implILb0ES3_S5_N6thrust23THRUST_200600_302600_NS6detail15normal_iteratorINS8_7pointerIiNS8_11hip_rocprim5par_tENS8_11use_defaultESE_EEEESG_ZNS1_13binary_searchIS3_S5_PiSG_SG_NS1_16binary_search_opENS9_16wrapped_functionINS8_6system6detail7generic6detail18binary_search_lessEbEEEE10hipError_tPvRmT1_T2_T3_mmT4_T5_P12ihipStream_tbEUlRKiE_EESR_SV_SW_mSX_S10_bEUlT_E_NS1_11comp_targetILNS1_3genE9ELNS1_11target_archE1100ELNS1_3gpuE3ELNS1_3repE0EEENS1_30default_config_static_selectorELNS0_4arch9wavefront6targetE0EEEvSU_ ; -- Begin function _ZN7rocprim17ROCPRIM_400000_NS6detail17trampoline_kernelINS0_14default_configENS1_29binary_search_config_selectorIiiEEZNS1_14transform_implILb0ES3_S5_N6thrust23THRUST_200600_302600_NS6detail15normal_iteratorINS8_7pointerIiNS8_11hip_rocprim5par_tENS8_11use_defaultESE_EEEESG_ZNS1_13binary_searchIS3_S5_PiSG_SG_NS1_16binary_search_opENS9_16wrapped_functionINS8_6system6detail7generic6detail18binary_search_lessEbEEEE10hipError_tPvRmT1_T2_T3_mmT4_T5_P12ihipStream_tbEUlRKiE_EESR_SV_SW_mSX_S10_bEUlT_E_NS1_11comp_targetILNS1_3genE9ELNS1_11target_archE1100ELNS1_3gpuE3ELNS1_3repE0EEENS1_30default_config_static_selectorELNS0_4arch9wavefront6targetE0EEEvSU_
	.globl	_ZN7rocprim17ROCPRIM_400000_NS6detail17trampoline_kernelINS0_14default_configENS1_29binary_search_config_selectorIiiEEZNS1_14transform_implILb0ES3_S5_N6thrust23THRUST_200600_302600_NS6detail15normal_iteratorINS8_7pointerIiNS8_11hip_rocprim5par_tENS8_11use_defaultESE_EEEESG_ZNS1_13binary_searchIS3_S5_PiSG_SG_NS1_16binary_search_opENS9_16wrapped_functionINS8_6system6detail7generic6detail18binary_search_lessEbEEEE10hipError_tPvRmT1_T2_T3_mmT4_T5_P12ihipStream_tbEUlRKiE_EESR_SV_SW_mSX_S10_bEUlT_E_NS1_11comp_targetILNS1_3genE9ELNS1_11target_archE1100ELNS1_3gpuE3ELNS1_3repE0EEENS1_30default_config_static_selectorELNS0_4arch9wavefront6targetE0EEEvSU_
	.p2align	8
	.type	_ZN7rocprim17ROCPRIM_400000_NS6detail17trampoline_kernelINS0_14default_configENS1_29binary_search_config_selectorIiiEEZNS1_14transform_implILb0ES3_S5_N6thrust23THRUST_200600_302600_NS6detail15normal_iteratorINS8_7pointerIiNS8_11hip_rocprim5par_tENS8_11use_defaultESE_EEEESG_ZNS1_13binary_searchIS3_S5_PiSG_SG_NS1_16binary_search_opENS9_16wrapped_functionINS8_6system6detail7generic6detail18binary_search_lessEbEEEE10hipError_tPvRmT1_T2_T3_mmT4_T5_P12ihipStream_tbEUlRKiE_EESR_SV_SW_mSX_S10_bEUlT_E_NS1_11comp_targetILNS1_3genE9ELNS1_11target_archE1100ELNS1_3gpuE3ELNS1_3repE0EEENS1_30default_config_static_selectorELNS0_4arch9wavefront6targetE0EEEvSU_,@function
_ZN7rocprim17ROCPRIM_400000_NS6detail17trampoline_kernelINS0_14default_configENS1_29binary_search_config_selectorIiiEEZNS1_14transform_implILb0ES3_S5_N6thrust23THRUST_200600_302600_NS6detail15normal_iteratorINS8_7pointerIiNS8_11hip_rocprim5par_tENS8_11use_defaultESE_EEEESG_ZNS1_13binary_searchIS3_S5_PiSG_SG_NS1_16binary_search_opENS9_16wrapped_functionINS8_6system6detail7generic6detail18binary_search_lessEbEEEE10hipError_tPvRmT1_T2_T3_mmT4_T5_P12ihipStream_tbEUlRKiE_EESR_SV_SW_mSX_S10_bEUlT_E_NS1_11comp_targetILNS1_3genE9ELNS1_11target_archE1100ELNS1_3gpuE3ELNS1_3repE0EEENS1_30default_config_static_selectorELNS0_4arch9wavefront6targetE0EEEvSU_: ; @_ZN7rocprim17ROCPRIM_400000_NS6detail17trampoline_kernelINS0_14default_configENS1_29binary_search_config_selectorIiiEEZNS1_14transform_implILb0ES3_S5_N6thrust23THRUST_200600_302600_NS6detail15normal_iteratorINS8_7pointerIiNS8_11hip_rocprim5par_tENS8_11use_defaultESE_EEEESG_ZNS1_13binary_searchIS3_S5_PiSG_SG_NS1_16binary_search_opENS9_16wrapped_functionINS8_6system6detail7generic6detail18binary_search_lessEbEEEE10hipError_tPvRmT1_T2_T3_mmT4_T5_P12ihipStream_tbEUlRKiE_EESR_SV_SW_mSX_S10_bEUlT_E_NS1_11comp_targetILNS1_3genE9ELNS1_11target_archE1100ELNS1_3gpuE3ELNS1_3repE0EEENS1_30default_config_static_selectorELNS0_4arch9wavefront6targetE0EEEvSU_
; %bb.0:
	.section	.rodata,"a",@progbits
	.p2align	6, 0x0
	.amdhsa_kernel _ZN7rocprim17ROCPRIM_400000_NS6detail17trampoline_kernelINS0_14default_configENS1_29binary_search_config_selectorIiiEEZNS1_14transform_implILb0ES3_S5_N6thrust23THRUST_200600_302600_NS6detail15normal_iteratorINS8_7pointerIiNS8_11hip_rocprim5par_tENS8_11use_defaultESE_EEEESG_ZNS1_13binary_searchIS3_S5_PiSG_SG_NS1_16binary_search_opENS9_16wrapped_functionINS8_6system6detail7generic6detail18binary_search_lessEbEEEE10hipError_tPvRmT1_T2_T3_mmT4_T5_P12ihipStream_tbEUlRKiE_EESR_SV_SW_mSX_S10_bEUlT_E_NS1_11comp_targetILNS1_3genE9ELNS1_11target_archE1100ELNS1_3gpuE3ELNS1_3repE0EEENS1_30default_config_static_selectorELNS0_4arch9wavefront6targetE0EEEvSU_
		.amdhsa_group_segment_fixed_size 0
		.amdhsa_private_segment_fixed_size 0
		.amdhsa_kernarg_size 56
		.amdhsa_user_sgpr_count 6
		.amdhsa_user_sgpr_private_segment_buffer 1
		.amdhsa_user_sgpr_dispatch_ptr 0
		.amdhsa_user_sgpr_queue_ptr 0
		.amdhsa_user_sgpr_kernarg_segment_ptr 1
		.amdhsa_user_sgpr_dispatch_id 0
		.amdhsa_user_sgpr_flat_scratch_init 0
		.amdhsa_user_sgpr_private_segment_size 0
		.amdhsa_wavefront_size32 1
		.amdhsa_uses_dynamic_stack 0
		.amdhsa_system_sgpr_private_segment_wavefront_offset 0
		.amdhsa_system_sgpr_workgroup_id_x 1
		.amdhsa_system_sgpr_workgroup_id_y 0
		.amdhsa_system_sgpr_workgroup_id_z 0
		.amdhsa_system_sgpr_workgroup_info 0
		.amdhsa_system_vgpr_workitem_id 0
		.amdhsa_next_free_vgpr 1
		.amdhsa_next_free_sgpr 1
		.amdhsa_reserve_vcc 0
		.amdhsa_reserve_flat_scratch 0
		.amdhsa_float_round_mode_32 0
		.amdhsa_float_round_mode_16_64 0
		.amdhsa_float_denorm_mode_32 3
		.amdhsa_float_denorm_mode_16_64 3
		.amdhsa_dx10_clamp 1
		.amdhsa_ieee_mode 1
		.amdhsa_fp16_overflow 0
		.amdhsa_workgroup_processor_mode 1
		.amdhsa_memory_ordered 1
		.amdhsa_forward_progress 1
		.amdhsa_shared_vgpr_count 0
		.amdhsa_exception_fp_ieee_invalid_op 0
		.amdhsa_exception_fp_denorm_src 0
		.amdhsa_exception_fp_ieee_div_zero 0
		.amdhsa_exception_fp_ieee_overflow 0
		.amdhsa_exception_fp_ieee_underflow 0
		.amdhsa_exception_fp_ieee_inexact 0
		.amdhsa_exception_int_div_zero 0
	.end_amdhsa_kernel
	.section	.text._ZN7rocprim17ROCPRIM_400000_NS6detail17trampoline_kernelINS0_14default_configENS1_29binary_search_config_selectorIiiEEZNS1_14transform_implILb0ES3_S5_N6thrust23THRUST_200600_302600_NS6detail15normal_iteratorINS8_7pointerIiNS8_11hip_rocprim5par_tENS8_11use_defaultESE_EEEESG_ZNS1_13binary_searchIS3_S5_PiSG_SG_NS1_16binary_search_opENS9_16wrapped_functionINS8_6system6detail7generic6detail18binary_search_lessEbEEEE10hipError_tPvRmT1_T2_T3_mmT4_T5_P12ihipStream_tbEUlRKiE_EESR_SV_SW_mSX_S10_bEUlT_E_NS1_11comp_targetILNS1_3genE9ELNS1_11target_archE1100ELNS1_3gpuE3ELNS1_3repE0EEENS1_30default_config_static_selectorELNS0_4arch9wavefront6targetE0EEEvSU_,"axG",@progbits,_ZN7rocprim17ROCPRIM_400000_NS6detail17trampoline_kernelINS0_14default_configENS1_29binary_search_config_selectorIiiEEZNS1_14transform_implILb0ES3_S5_N6thrust23THRUST_200600_302600_NS6detail15normal_iteratorINS8_7pointerIiNS8_11hip_rocprim5par_tENS8_11use_defaultESE_EEEESG_ZNS1_13binary_searchIS3_S5_PiSG_SG_NS1_16binary_search_opENS9_16wrapped_functionINS8_6system6detail7generic6detail18binary_search_lessEbEEEE10hipError_tPvRmT1_T2_T3_mmT4_T5_P12ihipStream_tbEUlRKiE_EESR_SV_SW_mSX_S10_bEUlT_E_NS1_11comp_targetILNS1_3genE9ELNS1_11target_archE1100ELNS1_3gpuE3ELNS1_3repE0EEENS1_30default_config_static_selectorELNS0_4arch9wavefront6targetE0EEEvSU_,comdat
.Lfunc_end310:
	.size	_ZN7rocprim17ROCPRIM_400000_NS6detail17trampoline_kernelINS0_14default_configENS1_29binary_search_config_selectorIiiEEZNS1_14transform_implILb0ES3_S5_N6thrust23THRUST_200600_302600_NS6detail15normal_iteratorINS8_7pointerIiNS8_11hip_rocprim5par_tENS8_11use_defaultESE_EEEESG_ZNS1_13binary_searchIS3_S5_PiSG_SG_NS1_16binary_search_opENS9_16wrapped_functionINS8_6system6detail7generic6detail18binary_search_lessEbEEEE10hipError_tPvRmT1_T2_T3_mmT4_T5_P12ihipStream_tbEUlRKiE_EESR_SV_SW_mSX_S10_bEUlT_E_NS1_11comp_targetILNS1_3genE9ELNS1_11target_archE1100ELNS1_3gpuE3ELNS1_3repE0EEENS1_30default_config_static_selectorELNS0_4arch9wavefront6targetE0EEEvSU_, .Lfunc_end310-_ZN7rocprim17ROCPRIM_400000_NS6detail17trampoline_kernelINS0_14default_configENS1_29binary_search_config_selectorIiiEEZNS1_14transform_implILb0ES3_S5_N6thrust23THRUST_200600_302600_NS6detail15normal_iteratorINS8_7pointerIiNS8_11hip_rocprim5par_tENS8_11use_defaultESE_EEEESG_ZNS1_13binary_searchIS3_S5_PiSG_SG_NS1_16binary_search_opENS9_16wrapped_functionINS8_6system6detail7generic6detail18binary_search_lessEbEEEE10hipError_tPvRmT1_T2_T3_mmT4_T5_P12ihipStream_tbEUlRKiE_EESR_SV_SW_mSX_S10_bEUlT_E_NS1_11comp_targetILNS1_3genE9ELNS1_11target_archE1100ELNS1_3gpuE3ELNS1_3repE0EEENS1_30default_config_static_selectorELNS0_4arch9wavefront6targetE0EEEvSU_
                                        ; -- End function
	.set _ZN7rocprim17ROCPRIM_400000_NS6detail17trampoline_kernelINS0_14default_configENS1_29binary_search_config_selectorIiiEEZNS1_14transform_implILb0ES3_S5_N6thrust23THRUST_200600_302600_NS6detail15normal_iteratorINS8_7pointerIiNS8_11hip_rocprim5par_tENS8_11use_defaultESE_EEEESG_ZNS1_13binary_searchIS3_S5_PiSG_SG_NS1_16binary_search_opENS9_16wrapped_functionINS8_6system6detail7generic6detail18binary_search_lessEbEEEE10hipError_tPvRmT1_T2_T3_mmT4_T5_P12ihipStream_tbEUlRKiE_EESR_SV_SW_mSX_S10_bEUlT_E_NS1_11comp_targetILNS1_3genE9ELNS1_11target_archE1100ELNS1_3gpuE3ELNS1_3repE0EEENS1_30default_config_static_selectorELNS0_4arch9wavefront6targetE0EEEvSU_.num_vgpr, 0
	.set _ZN7rocprim17ROCPRIM_400000_NS6detail17trampoline_kernelINS0_14default_configENS1_29binary_search_config_selectorIiiEEZNS1_14transform_implILb0ES3_S5_N6thrust23THRUST_200600_302600_NS6detail15normal_iteratorINS8_7pointerIiNS8_11hip_rocprim5par_tENS8_11use_defaultESE_EEEESG_ZNS1_13binary_searchIS3_S5_PiSG_SG_NS1_16binary_search_opENS9_16wrapped_functionINS8_6system6detail7generic6detail18binary_search_lessEbEEEE10hipError_tPvRmT1_T2_T3_mmT4_T5_P12ihipStream_tbEUlRKiE_EESR_SV_SW_mSX_S10_bEUlT_E_NS1_11comp_targetILNS1_3genE9ELNS1_11target_archE1100ELNS1_3gpuE3ELNS1_3repE0EEENS1_30default_config_static_selectorELNS0_4arch9wavefront6targetE0EEEvSU_.num_agpr, 0
	.set _ZN7rocprim17ROCPRIM_400000_NS6detail17trampoline_kernelINS0_14default_configENS1_29binary_search_config_selectorIiiEEZNS1_14transform_implILb0ES3_S5_N6thrust23THRUST_200600_302600_NS6detail15normal_iteratorINS8_7pointerIiNS8_11hip_rocprim5par_tENS8_11use_defaultESE_EEEESG_ZNS1_13binary_searchIS3_S5_PiSG_SG_NS1_16binary_search_opENS9_16wrapped_functionINS8_6system6detail7generic6detail18binary_search_lessEbEEEE10hipError_tPvRmT1_T2_T3_mmT4_T5_P12ihipStream_tbEUlRKiE_EESR_SV_SW_mSX_S10_bEUlT_E_NS1_11comp_targetILNS1_3genE9ELNS1_11target_archE1100ELNS1_3gpuE3ELNS1_3repE0EEENS1_30default_config_static_selectorELNS0_4arch9wavefront6targetE0EEEvSU_.numbered_sgpr, 0
	.set _ZN7rocprim17ROCPRIM_400000_NS6detail17trampoline_kernelINS0_14default_configENS1_29binary_search_config_selectorIiiEEZNS1_14transform_implILb0ES3_S5_N6thrust23THRUST_200600_302600_NS6detail15normal_iteratorINS8_7pointerIiNS8_11hip_rocprim5par_tENS8_11use_defaultESE_EEEESG_ZNS1_13binary_searchIS3_S5_PiSG_SG_NS1_16binary_search_opENS9_16wrapped_functionINS8_6system6detail7generic6detail18binary_search_lessEbEEEE10hipError_tPvRmT1_T2_T3_mmT4_T5_P12ihipStream_tbEUlRKiE_EESR_SV_SW_mSX_S10_bEUlT_E_NS1_11comp_targetILNS1_3genE9ELNS1_11target_archE1100ELNS1_3gpuE3ELNS1_3repE0EEENS1_30default_config_static_selectorELNS0_4arch9wavefront6targetE0EEEvSU_.num_named_barrier, 0
	.set _ZN7rocprim17ROCPRIM_400000_NS6detail17trampoline_kernelINS0_14default_configENS1_29binary_search_config_selectorIiiEEZNS1_14transform_implILb0ES3_S5_N6thrust23THRUST_200600_302600_NS6detail15normal_iteratorINS8_7pointerIiNS8_11hip_rocprim5par_tENS8_11use_defaultESE_EEEESG_ZNS1_13binary_searchIS3_S5_PiSG_SG_NS1_16binary_search_opENS9_16wrapped_functionINS8_6system6detail7generic6detail18binary_search_lessEbEEEE10hipError_tPvRmT1_T2_T3_mmT4_T5_P12ihipStream_tbEUlRKiE_EESR_SV_SW_mSX_S10_bEUlT_E_NS1_11comp_targetILNS1_3genE9ELNS1_11target_archE1100ELNS1_3gpuE3ELNS1_3repE0EEENS1_30default_config_static_selectorELNS0_4arch9wavefront6targetE0EEEvSU_.private_seg_size, 0
	.set _ZN7rocprim17ROCPRIM_400000_NS6detail17trampoline_kernelINS0_14default_configENS1_29binary_search_config_selectorIiiEEZNS1_14transform_implILb0ES3_S5_N6thrust23THRUST_200600_302600_NS6detail15normal_iteratorINS8_7pointerIiNS8_11hip_rocprim5par_tENS8_11use_defaultESE_EEEESG_ZNS1_13binary_searchIS3_S5_PiSG_SG_NS1_16binary_search_opENS9_16wrapped_functionINS8_6system6detail7generic6detail18binary_search_lessEbEEEE10hipError_tPvRmT1_T2_T3_mmT4_T5_P12ihipStream_tbEUlRKiE_EESR_SV_SW_mSX_S10_bEUlT_E_NS1_11comp_targetILNS1_3genE9ELNS1_11target_archE1100ELNS1_3gpuE3ELNS1_3repE0EEENS1_30default_config_static_selectorELNS0_4arch9wavefront6targetE0EEEvSU_.uses_vcc, 0
	.set _ZN7rocprim17ROCPRIM_400000_NS6detail17trampoline_kernelINS0_14default_configENS1_29binary_search_config_selectorIiiEEZNS1_14transform_implILb0ES3_S5_N6thrust23THRUST_200600_302600_NS6detail15normal_iteratorINS8_7pointerIiNS8_11hip_rocprim5par_tENS8_11use_defaultESE_EEEESG_ZNS1_13binary_searchIS3_S5_PiSG_SG_NS1_16binary_search_opENS9_16wrapped_functionINS8_6system6detail7generic6detail18binary_search_lessEbEEEE10hipError_tPvRmT1_T2_T3_mmT4_T5_P12ihipStream_tbEUlRKiE_EESR_SV_SW_mSX_S10_bEUlT_E_NS1_11comp_targetILNS1_3genE9ELNS1_11target_archE1100ELNS1_3gpuE3ELNS1_3repE0EEENS1_30default_config_static_selectorELNS0_4arch9wavefront6targetE0EEEvSU_.uses_flat_scratch, 0
	.set _ZN7rocprim17ROCPRIM_400000_NS6detail17trampoline_kernelINS0_14default_configENS1_29binary_search_config_selectorIiiEEZNS1_14transform_implILb0ES3_S5_N6thrust23THRUST_200600_302600_NS6detail15normal_iteratorINS8_7pointerIiNS8_11hip_rocprim5par_tENS8_11use_defaultESE_EEEESG_ZNS1_13binary_searchIS3_S5_PiSG_SG_NS1_16binary_search_opENS9_16wrapped_functionINS8_6system6detail7generic6detail18binary_search_lessEbEEEE10hipError_tPvRmT1_T2_T3_mmT4_T5_P12ihipStream_tbEUlRKiE_EESR_SV_SW_mSX_S10_bEUlT_E_NS1_11comp_targetILNS1_3genE9ELNS1_11target_archE1100ELNS1_3gpuE3ELNS1_3repE0EEENS1_30default_config_static_selectorELNS0_4arch9wavefront6targetE0EEEvSU_.has_dyn_sized_stack, 0
	.set _ZN7rocprim17ROCPRIM_400000_NS6detail17trampoline_kernelINS0_14default_configENS1_29binary_search_config_selectorIiiEEZNS1_14transform_implILb0ES3_S5_N6thrust23THRUST_200600_302600_NS6detail15normal_iteratorINS8_7pointerIiNS8_11hip_rocprim5par_tENS8_11use_defaultESE_EEEESG_ZNS1_13binary_searchIS3_S5_PiSG_SG_NS1_16binary_search_opENS9_16wrapped_functionINS8_6system6detail7generic6detail18binary_search_lessEbEEEE10hipError_tPvRmT1_T2_T3_mmT4_T5_P12ihipStream_tbEUlRKiE_EESR_SV_SW_mSX_S10_bEUlT_E_NS1_11comp_targetILNS1_3genE9ELNS1_11target_archE1100ELNS1_3gpuE3ELNS1_3repE0EEENS1_30default_config_static_selectorELNS0_4arch9wavefront6targetE0EEEvSU_.has_recursion, 0
	.set _ZN7rocprim17ROCPRIM_400000_NS6detail17trampoline_kernelINS0_14default_configENS1_29binary_search_config_selectorIiiEEZNS1_14transform_implILb0ES3_S5_N6thrust23THRUST_200600_302600_NS6detail15normal_iteratorINS8_7pointerIiNS8_11hip_rocprim5par_tENS8_11use_defaultESE_EEEESG_ZNS1_13binary_searchIS3_S5_PiSG_SG_NS1_16binary_search_opENS9_16wrapped_functionINS8_6system6detail7generic6detail18binary_search_lessEbEEEE10hipError_tPvRmT1_T2_T3_mmT4_T5_P12ihipStream_tbEUlRKiE_EESR_SV_SW_mSX_S10_bEUlT_E_NS1_11comp_targetILNS1_3genE9ELNS1_11target_archE1100ELNS1_3gpuE3ELNS1_3repE0EEENS1_30default_config_static_selectorELNS0_4arch9wavefront6targetE0EEEvSU_.has_indirect_call, 0
	.section	.AMDGPU.csdata,"",@progbits
; Kernel info:
; codeLenInByte = 0
; TotalNumSgprs: 0
; NumVgprs: 0
; ScratchSize: 0
; MemoryBound: 0
; FloatMode: 240
; IeeeMode: 1
; LDSByteSize: 0 bytes/workgroup (compile time only)
; SGPRBlocks: 0
; VGPRBlocks: 0
; NumSGPRsForWavesPerEU: 1
; NumVGPRsForWavesPerEU: 1
; Occupancy: 16
; WaveLimiterHint : 0
; COMPUTE_PGM_RSRC2:SCRATCH_EN: 0
; COMPUTE_PGM_RSRC2:USER_SGPR: 6
; COMPUTE_PGM_RSRC2:TRAP_HANDLER: 0
; COMPUTE_PGM_RSRC2:TGID_X_EN: 1
; COMPUTE_PGM_RSRC2:TGID_Y_EN: 0
; COMPUTE_PGM_RSRC2:TGID_Z_EN: 0
; COMPUTE_PGM_RSRC2:TIDIG_COMP_CNT: 0
	.section	.text._ZN7rocprim17ROCPRIM_400000_NS6detail17trampoline_kernelINS0_14default_configENS1_29binary_search_config_selectorIiiEEZNS1_14transform_implILb0ES3_S5_N6thrust23THRUST_200600_302600_NS6detail15normal_iteratorINS8_7pointerIiNS8_11hip_rocprim5par_tENS8_11use_defaultESE_EEEESG_ZNS1_13binary_searchIS3_S5_PiSG_SG_NS1_16binary_search_opENS9_16wrapped_functionINS8_6system6detail7generic6detail18binary_search_lessEbEEEE10hipError_tPvRmT1_T2_T3_mmT4_T5_P12ihipStream_tbEUlRKiE_EESR_SV_SW_mSX_S10_bEUlT_E_NS1_11comp_targetILNS1_3genE8ELNS1_11target_archE1030ELNS1_3gpuE2ELNS1_3repE0EEENS1_30default_config_static_selectorELNS0_4arch9wavefront6targetE0EEEvSU_,"axG",@progbits,_ZN7rocprim17ROCPRIM_400000_NS6detail17trampoline_kernelINS0_14default_configENS1_29binary_search_config_selectorIiiEEZNS1_14transform_implILb0ES3_S5_N6thrust23THRUST_200600_302600_NS6detail15normal_iteratorINS8_7pointerIiNS8_11hip_rocprim5par_tENS8_11use_defaultESE_EEEESG_ZNS1_13binary_searchIS3_S5_PiSG_SG_NS1_16binary_search_opENS9_16wrapped_functionINS8_6system6detail7generic6detail18binary_search_lessEbEEEE10hipError_tPvRmT1_T2_T3_mmT4_T5_P12ihipStream_tbEUlRKiE_EESR_SV_SW_mSX_S10_bEUlT_E_NS1_11comp_targetILNS1_3genE8ELNS1_11target_archE1030ELNS1_3gpuE2ELNS1_3repE0EEENS1_30default_config_static_selectorELNS0_4arch9wavefront6targetE0EEEvSU_,comdat
	.protected	_ZN7rocprim17ROCPRIM_400000_NS6detail17trampoline_kernelINS0_14default_configENS1_29binary_search_config_selectorIiiEEZNS1_14transform_implILb0ES3_S5_N6thrust23THRUST_200600_302600_NS6detail15normal_iteratorINS8_7pointerIiNS8_11hip_rocprim5par_tENS8_11use_defaultESE_EEEESG_ZNS1_13binary_searchIS3_S5_PiSG_SG_NS1_16binary_search_opENS9_16wrapped_functionINS8_6system6detail7generic6detail18binary_search_lessEbEEEE10hipError_tPvRmT1_T2_T3_mmT4_T5_P12ihipStream_tbEUlRKiE_EESR_SV_SW_mSX_S10_bEUlT_E_NS1_11comp_targetILNS1_3genE8ELNS1_11target_archE1030ELNS1_3gpuE2ELNS1_3repE0EEENS1_30default_config_static_selectorELNS0_4arch9wavefront6targetE0EEEvSU_ ; -- Begin function _ZN7rocprim17ROCPRIM_400000_NS6detail17trampoline_kernelINS0_14default_configENS1_29binary_search_config_selectorIiiEEZNS1_14transform_implILb0ES3_S5_N6thrust23THRUST_200600_302600_NS6detail15normal_iteratorINS8_7pointerIiNS8_11hip_rocprim5par_tENS8_11use_defaultESE_EEEESG_ZNS1_13binary_searchIS3_S5_PiSG_SG_NS1_16binary_search_opENS9_16wrapped_functionINS8_6system6detail7generic6detail18binary_search_lessEbEEEE10hipError_tPvRmT1_T2_T3_mmT4_T5_P12ihipStream_tbEUlRKiE_EESR_SV_SW_mSX_S10_bEUlT_E_NS1_11comp_targetILNS1_3genE8ELNS1_11target_archE1030ELNS1_3gpuE2ELNS1_3repE0EEENS1_30default_config_static_selectorELNS0_4arch9wavefront6targetE0EEEvSU_
	.globl	_ZN7rocprim17ROCPRIM_400000_NS6detail17trampoline_kernelINS0_14default_configENS1_29binary_search_config_selectorIiiEEZNS1_14transform_implILb0ES3_S5_N6thrust23THRUST_200600_302600_NS6detail15normal_iteratorINS8_7pointerIiNS8_11hip_rocprim5par_tENS8_11use_defaultESE_EEEESG_ZNS1_13binary_searchIS3_S5_PiSG_SG_NS1_16binary_search_opENS9_16wrapped_functionINS8_6system6detail7generic6detail18binary_search_lessEbEEEE10hipError_tPvRmT1_T2_T3_mmT4_T5_P12ihipStream_tbEUlRKiE_EESR_SV_SW_mSX_S10_bEUlT_E_NS1_11comp_targetILNS1_3genE8ELNS1_11target_archE1030ELNS1_3gpuE2ELNS1_3repE0EEENS1_30default_config_static_selectorELNS0_4arch9wavefront6targetE0EEEvSU_
	.p2align	8
	.type	_ZN7rocprim17ROCPRIM_400000_NS6detail17trampoline_kernelINS0_14default_configENS1_29binary_search_config_selectorIiiEEZNS1_14transform_implILb0ES3_S5_N6thrust23THRUST_200600_302600_NS6detail15normal_iteratorINS8_7pointerIiNS8_11hip_rocprim5par_tENS8_11use_defaultESE_EEEESG_ZNS1_13binary_searchIS3_S5_PiSG_SG_NS1_16binary_search_opENS9_16wrapped_functionINS8_6system6detail7generic6detail18binary_search_lessEbEEEE10hipError_tPvRmT1_T2_T3_mmT4_T5_P12ihipStream_tbEUlRKiE_EESR_SV_SW_mSX_S10_bEUlT_E_NS1_11comp_targetILNS1_3genE8ELNS1_11target_archE1030ELNS1_3gpuE2ELNS1_3repE0EEENS1_30default_config_static_selectorELNS0_4arch9wavefront6targetE0EEEvSU_,@function
_ZN7rocprim17ROCPRIM_400000_NS6detail17trampoline_kernelINS0_14default_configENS1_29binary_search_config_selectorIiiEEZNS1_14transform_implILb0ES3_S5_N6thrust23THRUST_200600_302600_NS6detail15normal_iteratorINS8_7pointerIiNS8_11hip_rocprim5par_tENS8_11use_defaultESE_EEEESG_ZNS1_13binary_searchIS3_S5_PiSG_SG_NS1_16binary_search_opENS9_16wrapped_functionINS8_6system6detail7generic6detail18binary_search_lessEbEEEE10hipError_tPvRmT1_T2_T3_mmT4_T5_P12ihipStream_tbEUlRKiE_EESR_SV_SW_mSX_S10_bEUlT_E_NS1_11comp_targetILNS1_3genE8ELNS1_11target_archE1030ELNS1_3gpuE2ELNS1_3repE0EEENS1_30default_config_static_selectorELNS0_4arch9wavefront6targetE0EEEvSU_: ; @_ZN7rocprim17ROCPRIM_400000_NS6detail17trampoline_kernelINS0_14default_configENS1_29binary_search_config_selectorIiiEEZNS1_14transform_implILb0ES3_S5_N6thrust23THRUST_200600_302600_NS6detail15normal_iteratorINS8_7pointerIiNS8_11hip_rocprim5par_tENS8_11use_defaultESE_EEEESG_ZNS1_13binary_searchIS3_S5_PiSG_SG_NS1_16binary_search_opENS9_16wrapped_functionINS8_6system6detail7generic6detail18binary_search_lessEbEEEE10hipError_tPvRmT1_T2_T3_mmT4_T5_P12ihipStream_tbEUlRKiE_EESR_SV_SW_mSX_S10_bEUlT_E_NS1_11comp_targetILNS1_3genE8ELNS1_11target_archE1030ELNS1_3gpuE2ELNS1_3repE0EEENS1_30default_config_static_selectorELNS0_4arch9wavefront6targetE0EEEvSU_
; %bb.0:
	s_clause 0x3
	s_load_dwordx4 s[16:19], s[4:5], 0x0
	s_load_dword s3, s[4:5], 0x38
	s_load_dwordx2 s[0:1], s[4:5], 0x28
	s_load_dwordx4 s[8:11], s[4:5], 0x18
	s_waitcnt lgkmcnt(0)
	s_lshl_b64 s[12:13], s[18:19], 2
	s_add_u32 s14, s16, s12
	s_addc_u32 s15, s17, s13
	s_add_i32 s7, s3, -1
	s_lshl_b32 s2, s6, 8
	s_mov_b32 s3, 0
	s_cmp_lg_u32 s6, s7
	s_mov_b32 s16, -1
	s_cbranch_scc0 .LBB311_6
; %bb.1:
	v_lshlrev_b32_e32 v1, 2, v0
	s_lshl_b64 s[6:7], s[2:3], 2
	s_add_u32 s6, s14, s6
	s_addc_u32 s7, s15, s7
	v_add_co_u32 v1, s6, s6, v1
	v_add_co_ci_u32_e64 v2, null, s7, 0, s6
	s_cmp_eq_u64 s[0:1], 0
	flat_load_dword v6, v[1:2]
	v_mov_b32_e32 v2, 0
	v_mov_b32_e32 v1, 0
	;; [unrolled: 1-line block ×3, first 2 shown]
	s_cbranch_scc1 .LBB311_5
; %bb.2:
	v_mov_b32_e32 v5, s1
	v_mov_b32_e32 v4, s0
	s_mov_b32 s6, 0
	s_inst_prefetch 0x1
	.p2align	6
.LBB311_3:                              ; =>This Inner Loop Header: Depth=1
	v_sub_co_u32 v7, vcc_lo, v4, v2
	v_sub_co_ci_u32_e64 v8, null, v5, v3, vcc_lo
	v_lshrrev_b64 v[9:10], 1, v[7:8]
	v_lshrrev_b64 v[7:8], 6, v[7:8]
	v_add_co_u32 v9, vcc_lo, v9, v2
	v_add_co_ci_u32_e64 v10, null, v10, v3, vcc_lo
	v_add_co_u32 v7, vcc_lo, v9, v7
	v_add_co_ci_u32_e64 v8, null, v10, v8, vcc_lo
	v_lshlrev_b64 v[9:10], 2, v[7:8]
	v_add_co_u32 v9, vcc_lo, s10, v9
	v_add_co_ci_u32_e64 v10, null, s11, v10, vcc_lo
	global_load_dword v9, v[9:10], off
	v_add_co_u32 v10, vcc_lo, v7, 1
	v_add_co_ci_u32_e64 v11, null, 0, v8, vcc_lo
	s_waitcnt vmcnt(0) lgkmcnt(0)
	v_cmp_lt_i32_e32 vcc_lo, v9, v6
	v_cndmask_b32_e32 v5, v8, v5, vcc_lo
	v_cndmask_b32_e32 v4, v7, v4, vcc_lo
	;; [unrolled: 1-line block ×4, first 2 shown]
	v_cmp_ge_u64_e32 vcc_lo, v[2:3], v[4:5]
	s_or_b32 s6, vcc_lo, s6
	s_andn2_b32 exec_lo, exec_lo, s6
	s_cbranch_execnz .LBB311_3
; %bb.4:
	s_inst_prefetch 0x2
	s_or_b32 exec_lo, exec_lo, s6
.LBB311_5:
	v_cmp_eq_u64_e64 s6, s[0:1], v[2:3]
	v_cmp_ne_u64_e64 s7, s[0:1], v[2:3]
	s_branch .LBB311_14
.LBB311_6:
	s_mov_b32 s7, s3
	s_mov_b32 s6, s3
                                        ; implicit-def: $vgpr6
                                        ; implicit-def: $vgpr2_vgpr3
	s_and_b32 vcc_lo, exec_lo, s16
	s_cbranch_vccz .LBB311_14
; %bb.7:
	s_load_dword s4, s[4:5], 0x10
                                        ; implicit-def: $vgpr6
                                        ; implicit-def: $vgpr2_vgpr3
	s_waitcnt lgkmcnt(0)
	s_sub_i32 s4, s4, s2
	v_cmp_gt_u32_e32 vcc_lo, s4, v0
	s_and_saveexec_b32 s4, vcc_lo
	s_cbranch_execz .LBB311_13
; %bb.8:
	v_lshlrev_b32_e32 v1, 2, v0
	s_lshl_b64 s[16:17], s[2:3], 2
	s_add_u32 s5, s14, s16
	s_addc_u32 s14, s15, s17
	v_add_co_u32 v1, s5, s5, v1
	v_add_co_ci_u32_e64 v2, null, s14, 0, s5
	s_cmp_eq_u64 s[0:1], 0
	s_waitcnt vmcnt(0)
	flat_load_dword v6, v[1:2]
	v_mov_b32_e32 v2, 0
	v_mov_b32_e32 v1, 0
	;; [unrolled: 1-line block ×3, first 2 shown]
	s_cbranch_scc1 .LBB311_12
; %bb.9:
	v_mov_b32_e32 v5, s1
	v_mov_b32_e32 v4, s0
	s_mov_b32 s5, 0
	s_inst_prefetch 0x1
	.p2align	6
.LBB311_10:                             ; =>This Inner Loop Header: Depth=1
	v_sub_co_u32 v7, vcc_lo, v4, v2
	v_sub_co_ci_u32_e64 v8, null, v5, v3, vcc_lo
	v_lshrrev_b64 v[9:10], 1, v[7:8]
	v_lshrrev_b64 v[7:8], 6, v[7:8]
	v_add_co_u32 v9, vcc_lo, v9, v2
	v_add_co_ci_u32_e64 v10, null, v10, v3, vcc_lo
	v_add_co_u32 v7, vcc_lo, v9, v7
	v_add_co_ci_u32_e64 v8, null, v10, v8, vcc_lo
	v_lshlrev_b64 v[9:10], 2, v[7:8]
	v_add_co_u32 v9, vcc_lo, s10, v9
	v_add_co_ci_u32_e64 v10, null, s11, v10, vcc_lo
	global_load_dword v9, v[9:10], off
	v_add_co_u32 v10, vcc_lo, v7, 1
	v_add_co_ci_u32_e64 v11, null, 0, v8, vcc_lo
	s_waitcnt vmcnt(0) lgkmcnt(0)
	v_cmp_lt_i32_e32 vcc_lo, v9, v6
	v_cndmask_b32_e32 v5, v8, v5, vcc_lo
	v_cndmask_b32_e32 v4, v7, v4, vcc_lo
	;; [unrolled: 1-line block ×4, first 2 shown]
	v_cmp_ge_u64_e32 vcc_lo, v[2:3], v[4:5]
	s_or_b32 s5, vcc_lo, s5
	s_andn2_b32 exec_lo, exec_lo, s5
	s_cbranch_execnz .LBB311_10
; %bb.11:
	s_inst_prefetch 0x2
	s_or_b32 exec_lo, exec_lo, s5
.LBB311_12:
	v_cmp_eq_u64_e32 vcc_lo, s[0:1], v[2:3]
	v_cmp_ne_u64_e64 s0, s[0:1], v[2:3]
	s_andn2_b32 s1, s6, exec_lo
	s_andn2_b32 s5, s7, exec_lo
	s_and_b32 s6, vcc_lo, exec_lo
	s_and_b32 s0, s0, exec_lo
	s_or_b32 s6, s1, s6
	s_or_b32 s7, s5, s0
.LBB311_13:
	s_or_b32 exec_lo, exec_lo, s4
.LBB311_14:
	v_mov_b32_e32 v4, 0
	s_and_saveexec_b32 s0, s7
	s_cbranch_execnz .LBB311_17
; %bb.15:
	s_or_b32 exec_lo, exec_lo, s0
	s_and_saveexec_b32 s0, s6
	s_cbranch_execnz .LBB311_18
.LBB311_16:
	s_endpgm
.LBB311_17:
	v_lshlrev_b64 v[2:3], 2, v[2:3]
	s_or_b32 s6, s6, exec_lo
	v_add_co_u32 v2, vcc_lo, s10, v2
	v_add_co_ci_u32_e64 v3, null, s11, v3, vcc_lo
	global_load_dword v2, v[2:3], off
	s_waitcnt vmcnt(0) lgkmcnt(0)
	v_cmp_ge_i32_e32 vcc_lo, v6, v2
	v_cndmask_b32_e64 v4, 0, 1, vcc_lo
	s_or_b32 exec_lo, exec_lo, s0
	s_and_saveexec_b32 s0, s6
	s_cbranch_execz .LBB311_16
.LBB311_18:
	v_lshlrev_b64 v[0:1], 2, v[0:1]
	s_add_u32 s4, s8, s12
	s_addc_u32 s5, s9, s13
	s_lshl_b64 s[0:1], s[2:3], 2
	s_add_u32 s0, s4, s0
	s_addc_u32 s1, s5, s1
	v_add_co_u32 v0, vcc_lo, s0, v0
	v_add_co_ci_u32_e64 v1, null, s1, v1, vcc_lo
	flat_store_dword v[0:1], v4
	s_endpgm
	.section	.rodata,"a",@progbits
	.p2align	6, 0x0
	.amdhsa_kernel _ZN7rocprim17ROCPRIM_400000_NS6detail17trampoline_kernelINS0_14default_configENS1_29binary_search_config_selectorIiiEEZNS1_14transform_implILb0ES3_S5_N6thrust23THRUST_200600_302600_NS6detail15normal_iteratorINS8_7pointerIiNS8_11hip_rocprim5par_tENS8_11use_defaultESE_EEEESG_ZNS1_13binary_searchIS3_S5_PiSG_SG_NS1_16binary_search_opENS9_16wrapped_functionINS8_6system6detail7generic6detail18binary_search_lessEbEEEE10hipError_tPvRmT1_T2_T3_mmT4_T5_P12ihipStream_tbEUlRKiE_EESR_SV_SW_mSX_S10_bEUlT_E_NS1_11comp_targetILNS1_3genE8ELNS1_11target_archE1030ELNS1_3gpuE2ELNS1_3repE0EEENS1_30default_config_static_selectorELNS0_4arch9wavefront6targetE0EEEvSU_
		.amdhsa_group_segment_fixed_size 0
		.amdhsa_private_segment_fixed_size 0
		.amdhsa_kernarg_size 312
		.amdhsa_user_sgpr_count 6
		.amdhsa_user_sgpr_private_segment_buffer 1
		.amdhsa_user_sgpr_dispatch_ptr 0
		.amdhsa_user_sgpr_queue_ptr 0
		.amdhsa_user_sgpr_kernarg_segment_ptr 1
		.amdhsa_user_sgpr_dispatch_id 0
		.amdhsa_user_sgpr_flat_scratch_init 0
		.amdhsa_user_sgpr_private_segment_size 0
		.amdhsa_wavefront_size32 1
		.amdhsa_uses_dynamic_stack 0
		.amdhsa_system_sgpr_private_segment_wavefront_offset 0
		.amdhsa_system_sgpr_workgroup_id_x 1
		.amdhsa_system_sgpr_workgroup_id_y 0
		.amdhsa_system_sgpr_workgroup_id_z 0
		.amdhsa_system_sgpr_workgroup_info 0
		.amdhsa_system_vgpr_workitem_id 0
		.amdhsa_next_free_vgpr 12
		.amdhsa_next_free_sgpr 20
		.amdhsa_reserve_vcc 1
		.amdhsa_reserve_flat_scratch 0
		.amdhsa_float_round_mode_32 0
		.amdhsa_float_round_mode_16_64 0
		.amdhsa_float_denorm_mode_32 3
		.amdhsa_float_denorm_mode_16_64 3
		.amdhsa_dx10_clamp 1
		.amdhsa_ieee_mode 1
		.amdhsa_fp16_overflow 0
		.amdhsa_workgroup_processor_mode 1
		.amdhsa_memory_ordered 1
		.amdhsa_forward_progress 1
		.amdhsa_shared_vgpr_count 0
		.amdhsa_exception_fp_ieee_invalid_op 0
		.amdhsa_exception_fp_denorm_src 0
		.amdhsa_exception_fp_ieee_div_zero 0
		.amdhsa_exception_fp_ieee_overflow 0
		.amdhsa_exception_fp_ieee_underflow 0
		.amdhsa_exception_fp_ieee_inexact 0
		.amdhsa_exception_int_div_zero 0
	.end_amdhsa_kernel
	.section	.text._ZN7rocprim17ROCPRIM_400000_NS6detail17trampoline_kernelINS0_14default_configENS1_29binary_search_config_selectorIiiEEZNS1_14transform_implILb0ES3_S5_N6thrust23THRUST_200600_302600_NS6detail15normal_iteratorINS8_7pointerIiNS8_11hip_rocprim5par_tENS8_11use_defaultESE_EEEESG_ZNS1_13binary_searchIS3_S5_PiSG_SG_NS1_16binary_search_opENS9_16wrapped_functionINS8_6system6detail7generic6detail18binary_search_lessEbEEEE10hipError_tPvRmT1_T2_T3_mmT4_T5_P12ihipStream_tbEUlRKiE_EESR_SV_SW_mSX_S10_bEUlT_E_NS1_11comp_targetILNS1_3genE8ELNS1_11target_archE1030ELNS1_3gpuE2ELNS1_3repE0EEENS1_30default_config_static_selectorELNS0_4arch9wavefront6targetE0EEEvSU_,"axG",@progbits,_ZN7rocprim17ROCPRIM_400000_NS6detail17trampoline_kernelINS0_14default_configENS1_29binary_search_config_selectorIiiEEZNS1_14transform_implILb0ES3_S5_N6thrust23THRUST_200600_302600_NS6detail15normal_iteratorINS8_7pointerIiNS8_11hip_rocprim5par_tENS8_11use_defaultESE_EEEESG_ZNS1_13binary_searchIS3_S5_PiSG_SG_NS1_16binary_search_opENS9_16wrapped_functionINS8_6system6detail7generic6detail18binary_search_lessEbEEEE10hipError_tPvRmT1_T2_T3_mmT4_T5_P12ihipStream_tbEUlRKiE_EESR_SV_SW_mSX_S10_bEUlT_E_NS1_11comp_targetILNS1_3genE8ELNS1_11target_archE1030ELNS1_3gpuE2ELNS1_3repE0EEENS1_30default_config_static_selectorELNS0_4arch9wavefront6targetE0EEEvSU_,comdat
.Lfunc_end311:
	.size	_ZN7rocprim17ROCPRIM_400000_NS6detail17trampoline_kernelINS0_14default_configENS1_29binary_search_config_selectorIiiEEZNS1_14transform_implILb0ES3_S5_N6thrust23THRUST_200600_302600_NS6detail15normal_iteratorINS8_7pointerIiNS8_11hip_rocprim5par_tENS8_11use_defaultESE_EEEESG_ZNS1_13binary_searchIS3_S5_PiSG_SG_NS1_16binary_search_opENS9_16wrapped_functionINS8_6system6detail7generic6detail18binary_search_lessEbEEEE10hipError_tPvRmT1_T2_T3_mmT4_T5_P12ihipStream_tbEUlRKiE_EESR_SV_SW_mSX_S10_bEUlT_E_NS1_11comp_targetILNS1_3genE8ELNS1_11target_archE1030ELNS1_3gpuE2ELNS1_3repE0EEENS1_30default_config_static_selectorELNS0_4arch9wavefront6targetE0EEEvSU_, .Lfunc_end311-_ZN7rocprim17ROCPRIM_400000_NS6detail17trampoline_kernelINS0_14default_configENS1_29binary_search_config_selectorIiiEEZNS1_14transform_implILb0ES3_S5_N6thrust23THRUST_200600_302600_NS6detail15normal_iteratorINS8_7pointerIiNS8_11hip_rocprim5par_tENS8_11use_defaultESE_EEEESG_ZNS1_13binary_searchIS3_S5_PiSG_SG_NS1_16binary_search_opENS9_16wrapped_functionINS8_6system6detail7generic6detail18binary_search_lessEbEEEE10hipError_tPvRmT1_T2_T3_mmT4_T5_P12ihipStream_tbEUlRKiE_EESR_SV_SW_mSX_S10_bEUlT_E_NS1_11comp_targetILNS1_3genE8ELNS1_11target_archE1030ELNS1_3gpuE2ELNS1_3repE0EEENS1_30default_config_static_selectorELNS0_4arch9wavefront6targetE0EEEvSU_
                                        ; -- End function
	.set _ZN7rocprim17ROCPRIM_400000_NS6detail17trampoline_kernelINS0_14default_configENS1_29binary_search_config_selectorIiiEEZNS1_14transform_implILb0ES3_S5_N6thrust23THRUST_200600_302600_NS6detail15normal_iteratorINS8_7pointerIiNS8_11hip_rocprim5par_tENS8_11use_defaultESE_EEEESG_ZNS1_13binary_searchIS3_S5_PiSG_SG_NS1_16binary_search_opENS9_16wrapped_functionINS8_6system6detail7generic6detail18binary_search_lessEbEEEE10hipError_tPvRmT1_T2_T3_mmT4_T5_P12ihipStream_tbEUlRKiE_EESR_SV_SW_mSX_S10_bEUlT_E_NS1_11comp_targetILNS1_3genE8ELNS1_11target_archE1030ELNS1_3gpuE2ELNS1_3repE0EEENS1_30default_config_static_selectorELNS0_4arch9wavefront6targetE0EEEvSU_.num_vgpr, 12
	.set _ZN7rocprim17ROCPRIM_400000_NS6detail17trampoline_kernelINS0_14default_configENS1_29binary_search_config_selectorIiiEEZNS1_14transform_implILb0ES3_S5_N6thrust23THRUST_200600_302600_NS6detail15normal_iteratorINS8_7pointerIiNS8_11hip_rocprim5par_tENS8_11use_defaultESE_EEEESG_ZNS1_13binary_searchIS3_S5_PiSG_SG_NS1_16binary_search_opENS9_16wrapped_functionINS8_6system6detail7generic6detail18binary_search_lessEbEEEE10hipError_tPvRmT1_T2_T3_mmT4_T5_P12ihipStream_tbEUlRKiE_EESR_SV_SW_mSX_S10_bEUlT_E_NS1_11comp_targetILNS1_3genE8ELNS1_11target_archE1030ELNS1_3gpuE2ELNS1_3repE0EEENS1_30default_config_static_selectorELNS0_4arch9wavefront6targetE0EEEvSU_.num_agpr, 0
	.set _ZN7rocprim17ROCPRIM_400000_NS6detail17trampoline_kernelINS0_14default_configENS1_29binary_search_config_selectorIiiEEZNS1_14transform_implILb0ES3_S5_N6thrust23THRUST_200600_302600_NS6detail15normal_iteratorINS8_7pointerIiNS8_11hip_rocprim5par_tENS8_11use_defaultESE_EEEESG_ZNS1_13binary_searchIS3_S5_PiSG_SG_NS1_16binary_search_opENS9_16wrapped_functionINS8_6system6detail7generic6detail18binary_search_lessEbEEEE10hipError_tPvRmT1_T2_T3_mmT4_T5_P12ihipStream_tbEUlRKiE_EESR_SV_SW_mSX_S10_bEUlT_E_NS1_11comp_targetILNS1_3genE8ELNS1_11target_archE1030ELNS1_3gpuE2ELNS1_3repE0EEENS1_30default_config_static_selectorELNS0_4arch9wavefront6targetE0EEEvSU_.numbered_sgpr, 20
	.set _ZN7rocprim17ROCPRIM_400000_NS6detail17trampoline_kernelINS0_14default_configENS1_29binary_search_config_selectorIiiEEZNS1_14transform_implILb0ES3_S5_N6thrust23THRUST_200600_302600_NS6detail15normal_iteratorINS8_7pointerIiNS8_11hip_rocprim5par_tENS8_11use_defaultESE_EEEESG_ZNS1_13binary_searchIS3_S5_PiSG_SG_NS1_16binary_search_opENS9_16wrapped_functionINS8_6system6detail7generic6detail18binary_search_lessEbEEEE10hipError_tPvRmT1_T2_T3_mmT4_T5_P12ihipStream_tbEUlRKiE_EESR_SV_SW_mSX_S10_bEUlT_E_NS1_11comp_targetILNS1_3genE8ELNS1_11target_archE1030ELNS1_3gpuE2ELNS1_3repE0EEENS1_30default_config_static_selectorELNS0_4arch9wavefront6targetE0EEEvSU_.num_named_barrier, 0
	.set _ZN7rocprim17ROCPRIM_400000_NS6detail17trampoline_kernelINS0_14default_configENS1_29binary_search_config_selectorIiiEEZNS1_14transform_implILb0ES3_S5_N6thrust23THRUST_200600_302600_NS6detail15normal_iteratorINS8_7pointerIiNS8_11hip_rocprim5par_tENS8_11use_defaultESE_EEEESG_ZNS1_13binary_searchIS3_S5_PiSG_SG_NS1_16binary_search_opENS9_16wrapped_functionINS8_6system6detail7generic6detail18binary_search_lessEbEEEE10hipError_tPvRmT1_T2_T3_mmT4_T5_P12ihipStream_tbEUlRKiE_EESR_SV_SW_mSX_S10_bEUlT_E_NS1_11comp_targetILNS1_3genE8ELNS1_11target_archE1030ELNS1_3gpuE2ELNS1_3repE0EEENS1_30default_config_static_selectorELNS0_4arch9wavefront6targetE0EEEvSU_.private_seg_size, 0
	.set _ZN7rocprim17ROCPRIM_400000_NS6detail17trampoline_kernelINS0_14default_configENS1_29binary_search_config_selectorIiiEEZNS1_14transform_implILb0ES3_S5_N6thrust23THRUST_200600_302600_NS6detail15normal_iteratorINS8_7pointerIiNS8_11hip_rocprim5par_tENS8_11use_defaultESE_EEEESG_ZNS1_13binary_searchIS3_S5_PiSG_SG_NS1_16binary_search_opENS9_16wrapped_functionINS8_6system6detail7generic6detail18binary_search_lessEbEEEE10hipError_tPvRmT1_T2_T3_mmT4_T5_P12ihipStream_tbEUlRKiE_EESR_SV_SW_mSX_S10_bEUlT_E_NS1_11comp_targetILNS1_3genE8ELNS1_11target_archE1030ELNS1_3gpuE2ELNS1_3repE0EEENS1_30default_config_static_selectorELNS0_4arch9wavefront6targetE0EEEvSU_.uses_vcc, 1
	.set _ZN7rocprim17ROCPRIM_400000_NS6detail17trampoline_kernelINS0_14default_configENS1_29binary_search_config_selectorIiiEEZNS1_14transform_implILb0ES3_S5_N6thrust23THRUST_200600_302600_NS6detail15normal_iteratorINS8_7pointerIiNS8_11hip_rocprim5par_tENS8_11use_defaultESE_EEEESG_ZNS1_13binary_searchIS3_S5_PiSG_SG_NS1_16binary_search_opENS9_16wrapped_functionINS8_6system6detail7generic6detail18binary_search_lessEbEEEE10hipError_tPvRmT1_T2_T3_mmT4_T5_P12ihipStream_tbEUlRKiE_EESR_SV_SW_mSX_S10_bEUlT_E_NS1_11comp_targetILNS1_3genE8ELNS1_11target_archE1030ELNS1_3gpuE2ELNS1_3repE0EEENS1_30default_config_static_selectorELNS0_4arch9wavefront6targetE0EEEvSU_.uses_flat_scratch, 0
	.set _ZN7rocprim17ROCPRIM_400000_NS6detail17trampoline_kernelINS0_14default_configENS1_29binary_search_config_selectorIiiEEZNS1_14transform_implILb0ES3_S5_N6thrust23THRUST_200600_302600_NS6detail15normal_iteratorINS8_7pointerIiNS8_11hip_rocprim5par_tENS8_11use_defaultESE_EEEESG_ZNS1_13binary_searchIS3_S5_PiSG_SG_NS1_16binary_search_opENS9_16wrapped_functionINS8_6system6detail7generic6detail18binary_search_lessEbEEEE10hipError_tPvRmT1_T2_T3_mmT4_T5_P12ihipStream_tbEUlRKiE_EESR_SV_SW_mSX_S10_bEUlT_E_NS1_11comp_targetILNS1_3genE8ELNS1_11target_archE1030ELNS1_3gpuE2ELNS1_3repE0EEENS1_30default_config_static_selectorELNS0_4arch9wavefront6targetE0EEEvSU_.has_dyn_sized_stack, 0
	.set _ZN7rocprim17ROCPRIM_400000_NS6detail17trampoline_kernelINS0_14default_configENS1_29binary_search_config_selectorIiiEEZNS1_14transform_implILb0ES3_S5_N6thrust23THRUST_200600_302600_NS6detail15normal_iteratorINS8_7pointerIiNS8_11hip_rocprim5par_tENS8_11use_defaultESE_EEEESG_ZNS1_13binary_searchIS3_S5_PiSG_SG_NS1_16binary_search_opENS9_16wrapped_functionINS8_6system6detail7generic6detail18binary_search_lessEbEEEE10hipError_tPvRmT1_T2_T3_mmT4_T5_P12ihipStream_tbEUlRKiE_EESR_SV_SW_mSX_S10_bEUlT_E_NS1_11comp_targetILNS1_3genE8ELNS1_11target_archE1030ELNS1_3gpuE2ELNS1_3repE0EEENS1_30default_config_static_selectorELNS0_4arch9wavefront6targetE0EEEvSU_.has_recursion, 0
	.set _ZN7rocprim17ROCPRIM_400000_NS6detail17trampoline_kernelINS0_14default_configENS1_29binary_search_config_selectorIiiEEZNS1_14transform_implILb0ES3_S5_N6thrust23THRUST_200600_302600_NS6detail15normal_iteratorINS8_7pointerIiNS8_11hip_rocprim5par_tENS8_11use_defaultESE_EEEESG_ZNS1_13binary_searchIS3_S5_PiSG_SG_NS1_16binary_search_opENS9_16wrapped_functionINS8_6system6detail7generic6detail18binary_search_lessEbEEEE10hipError_tPvRmT1_T2_T3_mmT4_T5_P12ihipStream_tbEUlRKiE_EESR_SV_SW_mSX_S10_bEUlT_E_NS1_11comp_targetILNS1_3genE8ELNS1_11target_archE1030ELNS1_3gpuE2ELNS1_3repE0EEENS1_30default_config_static_selectorELNS0_4arch9wavefront6targetE0EEEvSU_.has_indirect_call, 0
	.section	.AMDGPU.csdata,"",@progbits
; Kernel info:
; codeLenInByte = 860
; TotalNumSgprs: 22
; NumVgprs: 12
; ScratchSize: 0
; MemoryBound: 0
; FloatMode: 240
; IeeeMode: 1
; LDSByteSize: 0 bytes/workgroup (compile time only)
; SGPRBlocks: 0
; VGPRBlocks: 1
; NumSGPRsForWavesPerEU: 22
; NumVGPRsForWavesPerEU: 12
; Occupancy: 16
; WaveLimiterHint : 0
; COMPUTE_PGM_RSRC2:SCRATCH_EN: 0
; COMPUTE_PGM_RSRC2:USER_SGPR: 6
; COMPUTE_PGM_RSRC2:TRAP_HANDLER: 0
; COMPUTE_PGM_RSRC2:TGID_X_EN: 1
; COMPUTE_PGM_RSRC2:TGID_Y_EN: 0
; COMPUTE_PGM_RSRC2:TGID_Z_EN: 0
; COMPUTE_PGM_RSRC2:TIDIG_COMP_CNT: 0
	.section	.text._Z20binary_search_kernelIsEvmPT_Pb,"axG",@progbits,_Z20binary_search_kernelIsEvmPT_Pb,comdat
	.protected	_Z20binary_search_kernelIsEvmPT_Pb ; -- Begin function _Z20binary_search_kernelIsEvmPT_Pb
	.globl	_Z20binary_search_kernelIsEvmPT_Pb
	.p2align	8
	.type	_Z20binary_search_kernelIsEvmPT_Pb,@function
_Z20binary_search_kernelIsEvmPT_Pb:     ; @_Z20binary_search_kernelIsEvmPT_Pb
; %bb.0:
	s_clause 0x1
	s_load_dwordx4 s[8:11], s[4:5], 0x0
	s_load_dwordx2 s[2:3], s[4:5], 0x10
	s_waitcnt lgkmcnt(0)
	s_lshl_b64 s[0:1], s[8:9], 1
	s_add_u32 s0, s10, s0
	s_addc_u32 s1, s11, s1
	s_sub_u32 s0, s0, s10
	s_subb_u32 s1, s1, s11
	s_ashr_i64 s[4:5], s[0:1], 1
	v_cmp_lt_i64_e64 s0, s[4:5], 1
	s_and_b32 vcc_lo, exec_lo, s0
	s_mov_b64 s[0:1], 0
	s_cbranch_vccnz .LBB312_3
; %bb.1:
	v_mov_b32_e32 v0, 0
	s_mov_b64 s[6:7], s[4:5]
	.p2align	6
.LBB312_2:                              ; =>This Inner Loop Header: Depth=1
	s_sub_u32 s12, s6, s0
	s_subb_u32 s13, s7, s1
	s_lshr_b64 s[12:13], s[12:13], 1
	s_add_u32 s12, s12, s0
	s_addc_u32 s13, s13, s1
	s_lshl_b64 s[14:15], s[12:13], 1
	s_add_u32 s14, s10, s14
	s_addc_u32 s15, s11, s15
	global_load_ushort v1, v0, s[14:15]
	s_add_u32 s14, s12, 1
	s_addc_u32 s16, s13, 0
	s_waitcnt vmcnt(0)
	v_readfirstlane_b32 s15, v1
	s_sext_i32_i16 s15, s15
	s_cmp_lt_i32 s15, 0
	s_cselect_b32 s1, s16, s1
	s_cselect_b32 s0, s14, s0
	;; [unrolled: 1-line block ×4, first 2 shown]
	v_cmp_lt_i64_e64 s12, s[0:1], s[6:7]
	s_and_b32 vcc_lo, exec_lo, s12
	s_cbranch_vccnz .LBB312_2
.LBB312_3:
	v_cmp_gt_i64_e64 s6, s[4:5], 0
	s_cmp_eq_u64 s[0:1], s[8:9]
	s_mov_b32 s7, 0
	s_cbranch_scc1 .LBB312_5
; %bb.4:
	s_lshl_b64 s[0:1], s[0:1], 1
	v_mov_b32_e32 v0, 0
	s_add_u32 s0, s10, s0
	s_addc_u32 s1, s11, s1
	global_load_sshort v0, v0, s[0:1]
	s_waitcnt vmcnt(0)
	v_cmp_gt_i32_e64 s7, 1, v0
.LBB312_5:
	v_cndmask_b32_e64 v0, 0, 1, s6
	v_cndmask_b32_e64 v1, 0, 1, s7
	s_andn2_b32 vcc_lo, exec_lo, s6
	s_mov_b64 s[6:7], 0
	v_cmp_ne_u32_e64 s0, 1, v0
	v_mov_b32_e32 v0, 0
	global_store_byte v0, v1, s[2:3]
	s_cbranch_vccnz .LBB312_8
; %bb.6:
	s_mov_b64 s[12:13], s[4:5]
	.p2align	6
.LBB312_7:                              ; =>This Inner Loop Header: Depth=1
	s_sub_u32 s14, s12, s6
	s_subb_u32 s15, s13, s7
	s_lshr_b64 s[14:15], s[14:15], 1
	s_add_u32 s14, s14, s6
	s_addc_u32 s15, s15, s7
	s_lshl_b64 s[16:17], s[14:15], 1
	s_add_u32 s16, s10, s16
	s_addc_u32 s17, s11, s17
	s_add_u32 s1, s14, 1
	global_load_ushort v1, v0, s[16:17]
	s_addc_u32 s17, s15, 0
	s_waitcnt vmcnt(0)
	v_readfirstlane_b32 s16, v1
	s_sext_i32_i16 s16, s16
	s_cmp_lt_i32 s16, 1
	s_cselect_b32 s7, s17, s7
	s_cselect_b32 s6, s1, s6
	;; [unrolled: 1-line block ×4, first 2 shown]
	v_cmp_lt_i64_e64 s1, s[6:7], s[12:13]
	s_and_b32 vcc_lo, exec_lo, s1
	s_cbranch_vccnz .LBB312_7
.LBB312_8:
	s_cmp_eq_u64 s[6:7], s[8:9]
	s_mov_b32 s1, 0
	s_cbranch_scc1 .LBB312_10
; %bb.9:
	s_lshl_b64 s[6:7], s[6:7], 1
	v_mov_b32_e32 v0, 0
	s_add_u32 s6, s10, s6
	s_addc_u32 s7, s11, s7
	global_load_sshort v0, v0, s[6:7]
	s_waitcnt vmcnt(0)
	v_cmp_gt_i32_e64 s1, 2, v0
.LBB312_10:
	v_mov_b32_e32 v0, 0
	v_cndmask_b32_e64 v1, 0, 1, s1
	s_and_b32 vcc_lo, exec_lo, s0
	s_mov_b64 s[6:7], 0
	global_store_byte v0, v1, s[2:3] offset:1
	s_cbranch_vccnz .LBB312_13
; %bb.11:
	s_mov_b64 s[12:13], s[4:5]
	.p2align	6
.LBB312_12:                             ; =>This Inner Loop Header: Depth=1
	s_sub_u32 s14, s12, s6
	s_subb_u32 s15, s13, s7
	s_lshr_b64 s[14:15], s[14:15], 1
	s_add_u32 s14, s14, s6
	s_addc_u32 s15, s15, s7
	s_lshl_b64 s[16:17], s[14:15], 1
	s_add_u32 s16, s10, s16
	s_addc_u32 s17, s11, s17
	s_add_u32 s1, s14, 1
	global_load_ushort v1, v0, s[16:17]
	s_addc_u32 s17, s15, 0
	s_waitcnt vmcnt(0)
	v_readfirstlane_b32 s16, v1
	s_sext_i32_i16 s16, s16
	s_cmp_lt_i32 s16, 2
	s_cselect_b32 s7, s17, s7
	s_cselect_b32 s6, s1, s6
	;; [unrolled: 1-line block ×4, first 2 shown]
	v_cmp_lt_i64_e64 s1, s[6:7], s[12:13]
	s_and_b32 vcc_lo, exec_lo, s1
	s_cbranch_vccnz .LBB312_12
.LBB312_13:
	s_cmp_eq_u64 s[6:7], s[8:9]
	s_mov_b32 s1, 0
	s_cbranch_scc1 .LBB312_15
; %bb.14:
	s_lshl_b64 s[6:7], s[6:7], 1
	v_mov_b32_e32 v0, 0
	s_add_u32 s6, s10, s6
	s_addc_u32 s7, s11, s7
	global_load_sshort v0, v0, s[6:7]
	s_waitcnt vmcnt(0)
	v_cmp_gt_i32_e64 s1, 3, v0
.LBB312_15:
	v_mov_b32_e32 v0, 0
	v_cndmask_b32_e64 v1, 0, 1, s1
	s_and_b32 vcc_lo, exec_lo, s0
	s_mov_b64 s[6:7], 0
	global_store_byte v0, v1, s[2:3] offset:2
	s_cbranch_vccnz .LBB312_18
; %bb.16:
	s_mov_b64 s[12:13], s[4:5]
	.p2align	6
.LBB312_17:                             ; =>This Inner Loop Header: Depth=1
	s_sub_u32 s14, s12, s6
	s_subb_u32 s15, s13, s7
	s_lshr_b64 s[14:15], s[14:15], 1
	s_add_u32 s14, s14, s6
	s_addc_u32 s15, s15, s7
	s_lshl_b64 s[16:17], s[14:15], 1
	s_add_u32 s16, s10, s16
	s_addc_u32 s17, s11, s17
	s_add_u32 s1, s14, 1
	global_load_ushort v1, v0, s[16:17]
	s_addc_u32 s17, s15, 0
	s_waitcnt vmcnt(0)
	v_readfirstlane_b32 s16, v1
	s_sext_i32_i16 s16, s16
	s_cmp_lt_i32 s16, 3
	s_cselect_b32 s7, s17, s7
	s_cselect_b32 s6, s1, s6
	s_cselect_b32 s13, s13, s15
	s_cselect_b32 s12, s12, s14
	v_cmp_lt_i64_e64 s1, s[6:7], s[12:13]
	s_and_b32 vcc_lo, exec_lo, s1
	s_cbranch_vccnz .LBB312_17
.LBB312_18:
	s_cmp_eq_u64 s[6:7], s[8:9]
	s_mov_b32 s1, 0
	s_cbranch_scc1 .LBB312_20
; %bb.19:
	s_lshl_b64 s[6:7], s[6:7], 1
	v_mov_b32_e32 v0, 0
	s_add_u32 s6, s10, s6
	s_addc_u32 s7, s11, s7
	global_load_sshort v0, v0, s[6:7]
	s_waitcnt vmcnt(0)
	v_cmp_gt_i32_e64 s1, 4, v0
.LBB312_20:
	v_mov_b32_e32 v0, 0
	v_cndmask_b32_e64 v1, 0, 1, s1
	s_and_b32 vcc_lo, exec_lo, s0
	s_mov_b64 s[6:7], 0
	global_store_byte v0, v1, s[2:3] offset:3
	s_cbranch_vccnz .LBB312_23
; %bb.21:
	s_mov_b64 s[12:13], s[4:5]
	.p2align	6
.LBB312_22:                             ; =>This Inner Loop Header: Depth=1
	s_sub_u32 s14, s12, s6
	s_subb_u32 s15, s13, s7
	s_lshr_b64 s[14:15], s[14:15], 1
	s_add_u32 s14, s14, s6
	s_addc_u32 s15, s15, s7
	s_lshl_b64 s[16:17], s[14:15], 1
	s_add_u32 s16, s10, s16
	s_addc_u32 s17, s11, s17
	s_add_u32 s1, s14, 1
	global_load_ushort v1, v0, s[16:17]
	s_addc_u32 s17, s15, 0
	s_waitcnt vmcnt(0)
	v_readfirstlane_b32 s16, v1
	s_sext_i32_i16 s16, s16
	s_cmp_lt_i32 s16, 4
	s_cselect_b32 s7, s17, s7
	s_cselect_b32 s6, s1, s6
	;; [unrolled: 1-line block ×4, first 2 shown]
	v_cmp_lt_i64_e64 s1, s[6:7], s[12:13]
	s_and_b32 vcc_lo, exec_lo, s1
	s_cbranch_vccnz .LBB312_22
.LBB312_23:
	s_cmp_eq_u64 s[6:7], s[8:9]
	s_mov_b32 s1, 0
	s_cbranch_scc1 .LBB312_25
; %bb.24:
	s_lshl_b64 s[6:7], s[6:7], 1
	v_mov_b32_e32 v0, 0
	s_add_u32 s6, s10, s6
	s_addc_u32 s7, s11, s7
	global_load_sshort v0, v0, s[6:7]
	s_waitcnt vmcnt(0)
	v_cmp_gt_i32_e64 s1, 5, v0
.LBB312_25:
	v_mov_b32_e32 v0, 0
	v_cndmask_b32_e64 v1, 0, 1, s1
	s_and_b32 vcc_lo, exec_lo, s0
	s_mov_b64 s[6:7], 0
	global_store_byte v0, v1, s[2:3] offset:4
	s_cbranch_vccnz .LBB312_28
; %bb.26:
	s_mov_b64 s[12:13], s[4:5]
	.p2align	6
.LBB312_27:                             ; =>This Inner Loop Header: Depth=1
	s_sub_u32 s14, s12, s6
	s_subb_u32 s15, s13, s7
	s_lshr_b64 s[14:15], s[14:15], 1
	s_add_u32 s14, s14, s6
	s_addc_u32 s15, s15, s7
	s_lshl_b64 s[16:17], s[14:15], 1
	s_add_u32 s16, s10, s16
	s_addc_u32 s17, s11, s17
	s_add_u32 s1, s14, 1
	global_load_ushort v1, v0, s[16:17]
	s_addc_u32 s17, s15, 0
	s_waitcnt vmcnt(0)
	v_readfirstlane_b32 s16, v1
	s_sext_i32_i16 s16, s16
	s_cmp_lt_i32 s16, 5
	s_cselect_b32 s7, s17, s7
	s_cselect_b32 s6, s1, s6
	;; [unrolled: 1-line block ×4, first 2 shown]
	v_cmp_lt_i64_e64 s1, s[6:7], s[12:13]
	s_and_b32 vcc_lo, exec_lo, s1
	s_cbranch_vccnz .LBB312_27
.LBB312_28:
	s_cmp_eq_u64 s[6:7], s[8:9]
	s_mov_b32 s1, 0
	s_cbranch_scc1 .LBB312_30
; %bb.29:
	s_lshl_b64 s[6:7], s[6:7], 1
	v_mov_b32_e32 v0, 0
	s_add_u32 s6, s10, s6
	s_addc_u32 s7, s11, s7
	global_load_sshort v0, v0, s[6:7]
	s_waitcnt vmcnt(0)
	v_cmp_gt_i32_e64 s1, 6, v0
.LBB312_30:
	v_mov_b32_e32 v0, 0
	v_cndmask_b32_e64 v1, 0, 1, s1
	s_and_b32 vcc_lo, exec_lo, s0
	s_mov_b64 s[6:7], 0
	global_store_byte v0, v1, s[2:3] offset:5
	s_cbranch_vccnz .LBB312_33
; %bb.31:
	s_mov_b64 s[12:13], s[4:5]
	.p2align	6
.LBB312_32:                             ; =>This Inner Loop Header: Depth=1
	s_sub_u32 s14, s12, s6
	s_subb_u32 s15, s13, s7
	s_lshr_b64 s[14:15], s[14:15], 1
	s_add_u32 s14, s14, s6
	s_addc_u32 s15, s15, s7
	s_lshl_b64 s[16:17], s[14:15], 1
	s_add_u32 s16, s10, s16
	s_addc_u32 s17, s11, s17
	s_add_u32 s1, s14, 1
	global_load_ushort v1, v0, s[16:17]
	s_addc_u32 s17, s15, 0
	s_waitcnt vmcnt(0)
	v_readfirstlane_b32 s16, v1
	s_sext_i32_i16 s16, s16
	s_cmp_lt_i32 s16, 6
	s_cselect_b32 s7, s17, s7
	s_cselect_b32 s6, s1, s6
	s_cselect_b32 s13, s13, s15
	s_cselect_b32 s12, s12, s14
	v_cmp_lt_i64_e64 s1, s[6:7], s[12:13]
	s_and_b32 vcc_lo, exec_lo, s1
	s_cbranch_vccnz .LBB312_32
.LBB312_33:
	s_cmp_eq_u64 s[6:7], s[8:9]
	s_mov_b32 s1, 0
	s_cbranch_scc1 .LBB312_35
; %bb.34:
	s_lshl_b64 s[6:7], s[6:7], 1
	v_mov_b32_e32 v0, 0
	s_add_u32 s6, s10, s6
	s_addc_u32 s7, s11, s7
	global_load_sshort v0, v0, s[6:7]
	s_waitcnt vmcnt(0)
	v_cmp_gt_i32_e64 s1, 7, v0
.LBB312_35:
	v_mov_b32_e32 v0, 0
	v_cndmask_b32_e64 v1, 0, 1, s1
	s_and_b32 vcc_lo, exec_lo, s0
	s_mov_b64 s[6:7], 0
	global_store_byte v0, v1, s[2:3] offset:6
	s_cbranch_vccnz .LBB312_38
; %bb.36:
	s_mov_b64 s[12:13], s[4:5]
	.p2align	6
.LBB312_37:                             ; =>This Inner Loop Header: Depth=1
	s_sub_u32 s14, s12, s6
	s_subb_u32 s15, s13, s7
	s_lshr_b64 s[14:15], s[14:15], 1
	s_add_u32 s14, s14, s6
	s_addc_u32 s15, s15, s7
	s_lshl_b64 s[16:17], s[14:15], 1
	s_add_u32 s16, s10, s16
	s_addc_u32 s17, s11, s17
	s_add_u32 s1, s14, 1
	global_load_ushort v1, v0, s[16:17]
	s_addc_u32 s17, s15, 0
	s_waitcnt vmcnt(0)
	v_readfirstlane_b32 s16, v1
	s_sext_i32_i16 s16, s16
	s_cmp_lt_i32 s16, 7
	s_cselect_b32 s7, s17, s7
	s_cselect_b32 s6, s1, s6
	s_cselect_b32 s13, s13, s15
	s_cselect_b32 s12, s12, s14
	v_cmp_lt_i64_e64 s1, s[6:7], s[12:13]
	s_and_b32 vcc_lo, exec_lo, s1
	s_cbranch_vccnz .LBB312_37
.LBB312_38:
	s_cmp_eq_u64 s[6:7], s[8:9]
	s_mov_b32 s1, 0
	s_cbranch_scc1 .LBB312_40
; %bb.39:
	s_lshl_b64 s[6:7], s[6:7], 1
	v_mov_b32_e32 v0, 0
	s_add_u32 s6, s10, s6
	s_addc_u32 s7, s11, s7
	global_load_sshort v0, v0, s[6:7]
	s_waitcnt vmcnt(0)
	v_cmp_gt_i32_e64 s1, 8, v0
.LBB312_40:
	v_mov_b32_e32 v0, 0
	v_cndmask_b32_e64 v1, 0, 1, s1
	s_and_b32 vcc_lo, exec_lo, s0
	s_mov_b64 s[6:7], 0
	global_store_byte v0, v1, s[2:3] offset:7
	s_cbranch_vccnz .LBB312_43
; %bb.41:
	s_mov_b64 s[12:13], s[4:5]
	.p2align	6
.LBB312_42:                             ; =>This Inner Loop Header: Depth=1
	s_sub_u32 s14, s12, s6
	s_subb_u32 s15, s13, s7
	s_lshr_b64 s[14:15], s[14:15], 1
	s_add_u32 s14, s14, s6
	s_addc_u32 s15, s15, s7
	s_lshl_b64 s[16:17], s[14:15], 1
	s_add_u32 s16, s10, s16
	s_addc_u32 s17, s11, s17
	s_add_u32 s1, s14, 1
	global_load_ushort v1, v0, s[16:17]
	s_addc_u32 s17, s15, 0
	s_waitcnt vmcnt(0)
	v_readfirstlane_b32 s16, v1
	s_sext_i32_i16 s16, s16
	s_cmp_lt_i32 s16, 8
	s_cselect_b32 s7, s17, s7
	s_cselect_b32 s6, s1, s6
	;; [unrolled: 1-line block ×4, first 2 shown]
	v_cmp_lt_i64_e64 s1, s[6:7], s[12:13]
	s_and_b32 vcc_lo, exec_lo, s1
	s_cbranch_vccnz .LBB312_42
.LBB312_43:
	s_cmp_eq_u64 s[6:7], s[8:9]
	s_mov_b32 s1, 0
	s_cbranch_scc1 .LBB312_45
; %bb.44:
	s_lshl_b64 s[6:7], s[6:7], 1
	v_mov_b32_e32 v0, 0
	s_add_u32 s6, s10, s6
	s_addc_u32 s7, s11, s7
	global_load_sshort v0, v0, s[6:7]
	s_waitcnt vmcnt(0)
	v_cmp_gt_i32_e64 s1, 9, v0
.LBB312_45:
	v_mov_b32_e32 v0, 0
	v_cndmask_b32_e64 v1, 0, 1, s1
	s_and_b32 vcc_lo, exec_lo, s0
	s_mov_b64 s[0:1], 0
	global_store_byte v0, v1, s[2:3] offset:8
	s_cbranch_vccnz .LBB312_47
	.p2align	6
.LBB312_46:                             ; =>This Inner Loop Header: Depth=1
	s_sub_u32 s6, s4, s0
	s_subb_u32 s7, s5, s1
	s_lshr_b64 s[6:7], s[6:7], 1
	s_add_u32 s6, s6, s0
	s_addc_u32 s7, s7, s1
	s_lshl_b64 s[12:13], s[6:7], 1
	s_add_u32 s12, s10, s12
	s_addc_u32 s13, s11, s13
	global_load_ushort v1, v0, s[12:13]
	s_add_u32 s12, s6, 1
	s_addc_u32 s14, s7, 0
	s_waitcnt vmcnt(0)
	v_readfirstlane_b32 s13, v1
	s_sext_i32_i16 s13, s13
	s_cmp_lt_i32 s13, 9
	s_cselect_b32 s1, s14, s1
	s_cselect_b32 s0, s12, s0
	s_cselect_b32 s5, s5, s7
	s_cselect_b32 s4, s4, s6
	v_cmp_lt_i64_e64 s6, s[0:1], s[4:5]
	s_and_b32 vcc_lo, exec_lo, s6
	s_cbranch_vccnz .LBB312_46
.LBB312_47:
	s_cmp_eq_u64 s[0:1], s[8:9]
	s_mov_b32 s4, 0
	s_cbranch_scc1 .LBB312_49
; %bb.48:
	s_lshl_b64 s[0:1], s[0:1], 1
	v_mov_b32_e32 v0, 0
	s_add_u32 s0, s10, s0
	s_addc_u32 s1, s11, s1
	global_load_sshort v0, v0, s[0:1]
	s_waitcnt vmcnt(0)
	v_cmp_gt_i32_e64 s4, 10, v0
.LBB312_49:
	v_mov_b32_e32 v0, 0
	v_cndmask_b32_e64 v1, 0, 1, s4
	global_store_byte v0, v1, s[2:3] offset:9
	s_endpgm
	.section	.rodata,"a",@progbits
	.p2align	6, 0x0
	.amdhsa_kernel _Z20binary_search_kernelIsEvmPT_Pb
		.amdhsa_group_segment_fixed_size 0
		.amdhsa_private_segment_fixed_size 0
		.amdhsa_kernarg_size 24
		.amdhsa_user_sgpr_count 6
		.amdhsa_user_sgpr_private_segment_buffer 1
		.amdhsa_user_sgpr_dispatch_ptr 0
		.amdhsa_user_sgpr_queue_ptr 0
		.amdhsa_user_sgpr_kernarg_segment_ptr 1
		.amdhsa_user_sgpr_dispatch_id 0
		.amdhsa_user_sgpr_flat_scratch_init 0
		.amdhsa_user_sgpr_private_segment_size 0
		.amdhsa_wavefront_size32 1
		.amdhsa_uses_dynamic_stack 0
		.amdhsa_system_sgpr_private_segment_wavefront_offset 0
		.amdhsa_system_sgpr_workgroup_id_x 1
		.amdhsa_system_sgpr_workgroup_id_y 0
		.amdhsa_system_sgpr_workgroup_id_z 0
		.amdhsa_system_sgpr_workgroup_info 0
		.amdhsa_system_vgpr_workitem_id 0
		.amdhsa_next_free_vgpr 2
		.amdhsa_next_free_sgpr 18
		.amdhsa_reserve_vcc 1
		.amdhsa_reserve_flat_scratch 0
		.amdhsa_float_round_mode_32 0
		.amdhsa_float_round_mode_16_64 0
		.amdhsa_float_denorm_mode_32 3
		.amdhsa_float_denorm_mode_16_64 3
		.amdhsa_dx10_clamp 1
		.amdhsa_ieee_mode 1
		.amdhsa_fp16_overflow 0
		.amdhsa_workgroup_processor_mode 1
		.amdhsa_memory_ordered 1
		.amdhsa_forward_progress 1
		.amdhsa_shared_vgpr_count 0
		.amdhsa_exception_fp_ieee_invalid_op 0
		.amdhsa_exception_fp_denorm_src 0
		.amdhsa_exception_fp_ieee_div_zero 0
		.amdhsa_exception_fp_ieee_overflow 0
		.amdhsa_exception_fp_ieee_underflow 0
		.amdhsa_exception_fp_ieee_inexact 0
		.amdhsa_exception_int_div_zero 0
	.end_amdhsa_kernel
	.section	.text._Z20binary_search_kernelIsEvmPT_Pb,"axG",@progbits,_Z20binary_search_kernelIsEvmPT_Pb,comdat
.Lfunc_end312:
	.size	_Z20binary_search_kernelIsEvmPT_Pb, .Lfunc_end312-_Z20binary_search_kernelIsEvmPT_Pb
                                        ; -- End function
	.set _Z20binary_search_kernelIsEvmPT_Pb.num_vgpr, 2
	.set _Z20binary_search_kernelIsEvmPT_Pb.num_agpr, 0
	.set _Z20binary_search_kernelIsEvmPT_Pb.numbered_sgpr, 18
	.set _Z20binary_search_kernelIsEvmPT_Pb.num_named_barrier, 0
	.set _Z20binary_search_kernelIsEvmPT_Pb.private_seg_size, 0
	.set _Z20binary_search_kernelIsEvmPT_Pb.uses_vcc, 1
	.set _Z20binary_search_kernelIsEvmPT_Pb.uses_flat_scratch, 0
	.set _Z20binary_search_kernelIsEvmPT_Pb.has_dyn_sized_stack, 0
	.set _Z20binary_search_kernelIsEvmPT_Pb.has_recursion, 0
	.set _Z20binary_search_kernelIsEvmPT_Pb.has_indirect_call, 0
	.section	.AMDGPU.csdata,"",@progbits
; Kernel info:
; codeLenInByte = 2088
; TotalNumSgprs: 20
; NumVgprs: 2
; ScratchSize: 0
; MemoryBound: 0
; FloatMode: 240
; IeeeMode: 1
; LDSByteSize: 0 bytes/workgroup (compile time only)
; SGPRBlocks: 0
; VGPRBlocks: 0
; NumSGPRsForWavesPerEU: 20
; NumVGPRsForWavesPerEU: 2
; Occupancy: 16
; WaveLimiterHint : 0
; COMPUTE_PGM_RSRC2:SCRATCH_EN: 0
; COMPUTE_PGM_RSRC2:USER_SGPR: 6
; COMPUTE_PGM_RSRC2:TRAP_HANDLER: 0
; COMPUTE_PGM_RSRC2:TGID_X_EN: 1
; COMPUTE_PGM_RSRC2:TGID_Y_EN: 0
; COMPUTE_PGM_RSRC2:TGID_Z_EN: 0
; COMPUTE_PGM_RSRC2:TIDIG_COMP_CNT: 0
	.section	.text._ZN7rocprim17ROCPRIM_400000_NS6detail17trampoline_kernelINS0_14default_configENS1_29binary_search_config_selectorIsiEEZNS1_14transform_implILb0ES3_S5_N6thrust23THRUST_200600_302600_NS6detail15normal_iteratorINS8_7pointerIsNS8_11hip_rocprim5par_tENS8_11use_defaultESE_EEEENSA_INSB_IiSD_SE_SE_EEEEZNS1_13binary_searchIS3_S5_PsSG_SI_NS1_16binary_search_opENS9_16wrapped_functionINS8_6system6detail7generic6detail18binary_search_lessEbEEEE10hipError_tPvRmT1_T2_T3_mmT4_T5_P12ihipStream_tbEUlRKsE_EEST_SX_SY_mSZ_S12_bEUlT_E_NS1_11comp_targetILNS1_3genE0ELNS1_11target_archE4294967295ELNS1_3gpuE0ELNS1_3repE0EEENS1_30default_config_static_selectorELNS0_4arch9wavefront6targetE0EEEvSW_,"axG",@progbits,_ZN7rocprim17ROCPRIM_400000_NS6detail17trampoline_kernelINS0_14default_configENS1_29binary_search_config_selectorIsiEEZNS1_14transform_implILb0ES3_S5_N6thrust23THRUST_200600_302600_NS6detail15normal_iteratorINS8_7pointerIsNS8_11hip_rocprim5par_tENS8_11use_defaultESE_EEEENSA_INSB_IiSD_SE_SE_EEEEZNS1_13binary_searchIS3_S5_PsSG_SI_NS1_16binary_search_opENS9_16wrapped_functionINS8_6system6detail7generic6detail18binary_search_lessEbEEEE10hipError_tPvRmT1_T2_T3_mmT4_T5_P12ihipStream_tbEUlRKsE_EEST_SX_SY_mSZ_S12_bEUlT_E_NS1_11comp_targetILNS1_3genE0ELNS1_11target_archE4294967295ELNS1_3gpuE0ELNS1_3repE0EEENS1_30default_config_static_selectorELNS0_4arch9wavefront6targetE0EEEvSW_,comdat
	.protected	_ZN7rocprim17ROCPRIM_400000_NS6detail17trampoline_kernelINS0_14default_configENS1_29binary_search_config_selectorIsiEEZNS1_14transform_implILb0ES3_S5_N6thrust23THRUST_200600_302600_NS6detail15normal_iteratorINS8_7pointerIsNS8_11hip_rocprim5par_tENS8_11use_defaultESE_EEEENSA_INSB_IiSD_SE_SE_EEEEZNS1_13binary_searchIS3_S5_PsSG_SI_NS1_16binary_search_opENS9_16wrapped_functionINS8_6system6detail7generic6detail18binary_search_lessEbEEEE10hipError_tPvRmT1_T2_T3_mmT4_T5_P12ihipStream_tbEUlRKsE_EEST_SX_SY_mSZ_S12_bEUlT_E_NS1_11comp_targetILNS1_3genE0ELNS1_11target_archE4294967295ELNS1_3gpuE0ELNS1_3repE0EEENS1_30default_config_static_selectorELNS0_4arch9wavefront6targetE0EEEvSW_ ; -- Begin function _ZN7rocprim17ROCPRIM_400000_NS6detail17trampoline_kernelINS0_14default_configENS1_29binary_search_config_selectorIsiEEZNS1_14transform_implILb0ES3_S5_N6thrust23THRUST_200600_302600_NS6detail15normal_iteratorINS8_7pointerIsNS8_11hip_rocprim5par_tENS8_11use_defaultESE_EEEENSA_INSB_IiSD_SE_SE_EEEEZNS1_13binary_searchIS3_S5_PsSG_SI_NS1_16binary_search_opENS9_16wrapped_functionINS8_6system6detail7generic6detail18binary_search_lessEbEEEE10hipError_tPvRmT1_T2_T3_mmT4_T5_P12ihipStream_tbEUlRKsE_EEST_SX_SY_mSZ_S12_bEUlT_E_NS1_11comp_targetILNS1_3genE0ELNS1_11target_archE4294967295ELNS1_3gpuE0ELNS1_3repE0EEENS1_30default_config_static_selectorELNS0_4arch9wavefront6targetE0EEEvSW_
	.globl	_ZN7rocprim17ROCPRIM_400000_NS6detail17trampoline_kernelINS0_14default_configENS1_29binary_search_config_selectorIsiEEZNS1_14transform_implILb0ES3_S5_N6thrust23THRUST_200600_302600_NS6detail15normal_iteratorINS8_7pointerIsNS8_11hip_rocprim5par_tENS8_11use_defaultESE_EEEENSA_INSB_IiSD_SE_SE_EEEEZNS1_13binary_searchIS3_S5_PsSG_SI_NS1_16binary_search_opENS9_16wrapped_functionINS8_6system6detail7generic6detail18binary_search_lessEbEEEE10hipError_tPvRmT1_T2_T3_mmT4_T5_P12ihipStream_tbEUlRKsE_EEST_SX_SY_mSZ_S12_bEUlT_E_NS1_11comp_targetILNS1_3genE0ELNS1_11target_archE4294967295ELNS1_3gpuE0ELNS1_3repE0EEENS1_30default_config_static_selectorELNS0_4arch9wavefront6targetE0EEEvSW_
	.p2align	8
	.type	_ZN7rocprim17ROCPRIM_400000_NS6detail17trampoline_kernelINS0_14default_configENS1_29binary_search_config_selectorIsiEEZNS1_14transform_implILb0ES3_S5_N6thrust23THRUST_200600_302600_NS6detail15normal_iteratorINS8_7pointerIsNS8_11hip_rocprim5par_tENS8_11use_defaultESE_EEEENSA_INSB_IiSD_SE_SE_EEEEZNS1_13binary_searchIS3_S5_PsSG_SI_NS1_16binary_search_opENS9_16wrapped_functionINS8_6system6detail7generic6detail18binary_search_lessEbEEEE10hipError_tPvRmT1_T2_T3_mmT4_T5_P12ihipStream_tbEUlRKsE_EEST_SX_SY_mSZ_S12_bEUlT_E_NS1_11comp_targetILNS1_3genE0ELNS1_11target_archE4294967295ELNS1_3gpuE0ELNS1_3repE0EEENS1_30default_config_static_selectorELNS0_4arch9wavefront6targetE0EEEvSW_,@function
_ZN7rocprim17ROCPRIM_400000_NS6detail17trampoline_kernelINS0_14default_configENS1_29binary_search_config_selectorIsiEEZNS1_14transform_implILb0ES3_S5_N6thrust23THRUST_200600_302600_NS6detail15normal_iteratorINS8_7pointerIsNS8_11hip_rocprim5par_tENS8_11use_defaultESE_EEEENSA_INSB_IiSD_SE_SE_EEEEZNS1_13binary_searchIS3_S5_PsSG_SI_NS1_16binary_search_opENS9_16wrapped_functionINS8_6system6detail7generic6detail18binary_search_lessEbEEEE10hipError_tPvRmT1_T2_T3_mmT4_T5_P12ihipStream_tbEUlRKsE_EEST_SX_SY_mSZ_S12_bEUlT_E_NS1_11comp_targetILNS1_3genE0ELNS1_11target_archE4294967295ELNS1_3gpuE0ELNS1_3repE0EEENS1_30default_config_static_selectorELNS0_4arch9wavefront6targetE0EEEvSW_: ; @_ZN7rocprim17ROCPRIM_400000_NS6detail17trampoline_kernelINS0_14default_configENS1_29binary_search_config_selectorIsiEEZNS1_14transform_implILb0ES3_S5_N6thrust23THRUST_200600_302600_NS6detail15normal_iteratorINS8_7pointerIsNS8_11hip_rocprim5par_tENS8_11use_defaultESE_EEEENSA_INSB_IiSD_SE_SE_EEEEZNS1_13binary_searchIS3_S5_PsSG_SI_NS1_16binary_search_opENS9_16wrapped_functionINS8_6system6detail7generic6detail18binary_search_lessEbEEEE10hipError_tPvRmT1_T2_T3_mmT4_T5_P12ihipStream_tbEUlRKsE_EEST_SX_SY_mSZ_S12_bEUlT_E_NS1_11comp_targetILNS1_3genE0ELNS1_11target_archE4294967295ELNS1_3gpuE0ELNS1_3repE0EEENS1_30default_config_static_selectorELNS0_4arch9wavefront6targetE0EEEvSW_
; %bb.0:
	.section	.rodata,"a",@progbits
	.p2align	6, 0x0
	.amdhsa_kernel _ZN7rocprim17ROCPRIM_400000_NS6detail17trampoline_kernelINS0_14default_configENS1_29binary_search_config_selectorIsiEEZNS1_14transform_implILb0ES3_S5_N6thrust23THRUST_200600_302600_NS6detail15normal_iteratorINS8_7pointerIsNS8_11hip_rocprim5par_tENS8_11use_defaultESE_EEEENSA_INSB_IiSD_SE_SE_EEEEZNS1_13binary_searchIS3_S5_PsSG_SI_NS1_16binary_search_opENS9_16wrapped_functionINS8_6system6detail7generic6detail18binary_search_lessEbEEEE10hipError_tPvRmT1_T2_T3_mmT4_T5_P12ihipStream_tbEUlRKsE_EEST_SX_SY_mSZ_S12_bEUlT_E_NS1_11comp_targetILNS1_3genE0ELNS1_11target_archE4294967295ELNS1_3gpuE0ELNS1_3repE0EEENS1_30default_config_static_selectorELNS0_4arch9wavefront6targetE0EEEvSW_
		.amdhsa_group_segment_fixed_size 0
		.amdhsa_private_segment_fixed_size 0
		.amdhsa_kernarg_size 56
		.amdhsa_user_sgpr_count 6
		.amdhsa_user_sgpr_private_segment_buffer 1
		.amdhsa_user_sgpr_dispatch_ptr 0
		.amdhsa_user_sgpr_queue_ptr 0
		.amdhsa_user_sgpr_kernarg_segment_ptr 1
		.amdhsa_user_sgpr_dispatch_id 0
		.amdhsa_user_sgpr_flat_scratch_init 0
		.amdhsa_user_sgpr_private_segment_size 0
		.amdhsa_wavefront_size32 1
		.amdhsa_uses_dynamic_stack 0
		.amdhsa_system_sgpr_private_segment_wavefront_offset 0
		.amdhsa_system_sgpr_workgroup_id_x 1
		.amdhsa_system_sgpr_workgroup_id_y 0
		.amdhsa_system_sgpr_workgroup_id_z 0
		.amdhsa_system_sgpr_workgroup_info 0
		.amdhsa_system_vgpr_workitem_id 0
		.amdhsa_next_free_vgpr 1
		.amdhsa_next_free_sgpr 1
		.amdhsa_reserve_vcc 0
		.amdhsa_reserve_flat_scratch 0
		.amdhsa_float_round_mode_32 0
		.amdhsa_float_round_mode_16_64 0
		.amdhsa_float_denorm_mode_32 3
		.amdhsa_float_denorm_mode_16_64 3
		.amdhsa_dx10_clamp 1
		.amdhsa_ieee_mode 1
		.amdhsa_fp16_overflow 0
		.amdhsa_workgroup_processor_mode 1
		.amdhsa_memory_ordered 1
		.amdhsa_forward_progress 1
		.amdhsa_shared_vgpr_count 0
		.amdhsa_exception_fp_ieee_invalid_op 0
		.amdhsa_exception_fp_denorm_src 0
		.amdhsa_exception_fp_ieee_div_zero 0
		.amdhsa_exception_fp_ieee_overflow 0
		.amdhsa_exception_fp_ieee_underflow 0
		.amdhsa_exception_fp_ieee_inexact 0
		.amdhsa_exception_int_div_zero 0
	.end_amdhsa_kernel
	.section	.text._ZN7rocprim17ROCPRIM_400000_NS6detail17trampoline_kernelINS0_14default_configENS1_29binary_search_config_selectorIsiEEZNS1_14transform_implILb0ES3_S5_N6thrust23THRUST_200600_302600_NS6detail15normal_iteratorINS8_7pointerIsNS8_11hip_rocprim5par_tENS8_11use_defaultESE_EEEENSA_INSB_IiSD_SE_SE_EEEEZNS1_13binary_searchIS3_S5_PsSG_SI_NS1_16binary_search_opENS9_16wrapped_functionINS8_6system6detail7generic6detail18binary_search_lessEbEEEE10hipError_tPvRmT1_T2_T3_mmT4_T5_P12ihipStream_tbEUlRKsE_EEST_SX_SY_mSZ_S12_bEUlT_E_NS1_11comp_targetILNS1_3genE0ELNS1_11target_archE4294967295ELNS1_3gpuE0ELNS1_3repE0EEENS1_30default_config_static_selectorELNS0_4arch9wavefront6targetE0EEEvSW_,"axG",@progbits,_ZN7rocprim17ROCPRIM_400000_NS6detail17trampoline_kernelINS0_14default_configENS1_29binary_search_config_selectorIsiEEZNS1_14transform_implILb0ES3_S5_N6thrust23THRUST_200600_302600_NS6detail15normal_iteratorINS8_7pointerIsNS8_11hip_rocprim5par_tENS8_11use_defaultESE_EEEENSA_INSB_IiSD_SE_SE_EEEEZNS1_13binary_searchIS3_S5_PsSG_SI_NS1_16binary_search_opENS9_16wrapped_functionINS8_6system6detail7generic6detail18binary_search_lessEbEEEE10hipError_tPvRmT1_T2_T3_mmT4_T5_P12ihipStream_tbEUlRKsE_EEST_SX_SY_mSZ_S12_bEUlT_E_NS1_11comp_targetILNS1_3genE0ELNS1_11target_archE4294967295ELNS1_3gpuE0ELNS1_3repE0EEENS1_30default_config_static_selectorELNS0_4arch9wavefront6targetE0EEEvSW_,comdat
.Lfunc_end313:
	.size	_ZN7rocprim17ROCPRIM_400000_NS6detail17trampoline_kernelINS0_14default_configENS1_29binary_search_config_selectorIsiEEZNS1_14transform_implILb0ES3_S5_N6thrust23THRUST_200600_302600_NS6detail15normal_iteratorINS8_7pointerIsNS8_11hip_rocprim5par_tENS8_11use_defaultESE_EEEENSA_INSB_IiSD_SE_SE_EEEEZNS1_13binary_searchIS3_S5_PsSG_SI_NS1_16binary_search_opENS9_16wrapped_functionINS8_6system6detail7generic6detail18binary_search_lessEbEEEE10hipError_tPvRmT1_T2_T3_mmT4_T5_P12ihipStream_tbEUlRKsE_EEST_SX_SY_mSZ_S12_bEUlT_E_NS1_11comp_targetILNS1_3genE0ELNS1_11target_archE4294967295ELNS1_3gpuE0ELNS1_3repE0EEENS1_30default_config_static_selectorELNS0_4arch9wavefront6targetE0EEEvSW_, .Lfunc_end313-_ZN7rocprim17ROCPRIM_400000_NS6detail17trampoline_kernelINS0_14default_configENS1_29binary_search_config_selectorIsiEEZNS1_14transform_implILb0ES3_S5_N6thrust23THRUST_200600_302600_NS6detail15normal_iteratorINS8_7pointerIsNS8_11hip_rocprim5par_tENS8_11use_defaultESE_EEEENSA_INSB_IiSD_SE_SE_EEEEZNS1_13binary_searchIS3_S5_PsSG_SI_NS1_16binary_search_opENS9_16wrapped_functionINS8_6system6detail7generic6detail18binary_search_lessEbEEEE10hipError_tPvRmT1_T2_T3_mmT4_T5_P12ihipStream_tbEUlRKsE_EEST_SX_SY_mSZ_S12_bEUlT_E_NS1_11comp_targetILNS1_3genE0ELNS1_11target_archE4294967295ELNS1_3gpuE0ELNS1_3repE0EEENS1_30default_config_static_selectorELNS0_4arch9wavefront6targetE0EEEvSW_
                                        ; -- End function
	.set _ZN7rocprim17ROCPRIM_400000_NS6detail17trampoline_kernelINS0_14default_configENS1_29binary_search_config_selectorIsiEEZNS1_14transform_implILb0ES3_S5_N6thrust23THRUST_200600_302600_NS6detail15normal_iteratorINS8_7pointerIsNS8_11hip_rocprim5par_tENS8_11use_defaultESE_EEEENSA_INSB_IiSD_SE_SE_EEEEZNS1_13binary_searchIS3_S5_PsSG_SI_NS1_16binary_search_opENS9_16wrapped_functionINS8_6system6detail7generic6detail18binary_search_lessEbEEEE10hipError_tPvRmT1_T2_T3_mmT4_T5_P12ihipStream_tbEUlRKsE_EEST_SX_SY_mSZ_S12_bEUlT_E_NS1_11comp_targetILNS1_3genE0ELNS1_11target_archE4294967295ELNS1_3gpuE0ELNS1_3repE0EEENS1_30default_config_static_selectorELNS0_4arch9wavefront6targetE0EEEvSW_.num_vgpr, 0
	.set _ZN7rocprim17ROCPRIM_400000_NS6detail17trampoline_kernelINS0_14default_configENS1_29binary_search_config_selectorIsiEEZNS1_14transform_implILb0ES3_S5_N6thrust23THRUST_200600_302600_NS6detail15normal_iteratorINS8_7pointerIsNS8_11hip_rocprim5par_tENS8_11use_defaultESE_EEEENSA_INSB_IiSD_SE_SE_EEEEZNS1_13binary_searchIS3_S5_PsSG_SI_NS1_16binary_search_opENS9_16wrapped_functionINS8_6system6detail7generic6detail18binary_search_lessEbEEEE10hipError_tPvRmT1_T2_T3_mmT4_T5_P12ihipStream_tbEUlRKsE_EEST_SX_SY_mSZ_S12_bEUlT_E_NS1_11comp_targetILNS1_3genE0ELNS1_11target_archE4294967295ELNS1_3gpuE0ELNS1_3repE0EEENS1_30default_config_static_selectorELNS0_4arch9wavefront6targetE0EEEvSW_.num_agpr, 0
	.set _ZN7rocprim17ROCPRIM_400000_NS6detail17trampoline_kernelINS0_14default_configENS1_29binary_search_config_selectorIsiEEZNS1_14transform_implILb0ES3_S5_N6thrust23THRUST_200600_302600_NS6detail15normal_iteratorINS8_7pointerIsNS8_11hip_rocprim5par_tENS8_11use_defaultESE_EEEENSA_INSB_IiSD_SE_SE_EEEEZNS1_13binary_searchIS3_S5_PsSG_SI_NS1_16binary_search_opENS9_16wrapped_functionINS8_6system6detail7generic6detail18binary_search_lessEbEEEE10hipError_tPvRmT1_T2_T3_mmT4_T5_P12ihipStream_tbEUlRKsE_EEST_SX_SY_mSZ_S12_bEUlT_E_NS1_11comp_targetILNS1_3genE0ELNS1_11target_archE4294967295ELNS1_3gpuE0ELNS1_3repE0EEENS1_30default_config_static_selectorELNS0_4arch9wavefront6targetE0EEEvSW_.numbered_sgpr, 0
	.set _ZN7rocprim17ROCPRIM_400000_NS6detail17trampoline_kernelINS0_14default_configENS1_29binary_search_config_selectorIsiEEZNS1_14transform_implILb0ES3_S5_N6thrust23THRUST_200600_302600_NS6detail15normal_iteratorINS8_7pointerIsNS8_11hip_rocprim5par_tENS8_11use_defaultESE_EEEENSA_INSB_IiSD_SE_SE_EEEEZNS1_13binary_searchIS3_S5_PsSG_SI_NS1_16binary_search_opENS9_16wrapped_functionINS8_6system6detail7generic6detail18binary_search_lessEbEEEE10hipError_tPvRmT1_T2_T3_mmT4_T5_P12ihipStream_tbEUlRKsE_EEST_SX_SY_mSZ_S12_bEUlT_E_NS1_11comp_targetILNS1_3genE0ELNS1_11target_archE4294967295ELNS1_3gpuE0ELNS1_3repE0EEENS1_30default_config_static_selectorELNS0_4arch9wavefront6targetE0EEEvSW_.num_named_barrier, 0
	.set _ZN7rocprim17ROCPRIM_400000_NS6detail17trampoline_kernelINS0_14default_configENS1_29binary_search_config_selectorIsiEEZNS1_14transform_implILb0ES3_S5_N6thrust23THRUST_200600_302600_NS6detail15normal_iteratorINS8_7pointerIsNS8_11hip_rocprim5par_tENS8_11use_defaultESE_EEEENSA_INSB_IiSD_SE_SE_EEEEZNS1_13binary_searchIS3_S5_PsSG_SI_NS1_16binary_search_opENS9_16wrapped_functionINS8_6system6detail7generic6detail18binary_search_lessEbEEEE10hipError_tPvRmT1_T2_T3_mmT4_T5_P12ihipStream_tbEUlRKsE_EEST_SX_SY_mSZ_S12_bEUlT_E_NS1_11comp_targetILNS1_3genE0ELNS1_11target_archE4294967295ELNS1_3gpuE0ELNS1_3repE0EEENS1_30default_config_static_selectorELNS0_4arch9wavefront6targetE0EEEvSW_.private_seg_size, 0
	.set _ZN7rocprim17ROCPRIM_400000_NS6detail17trampoline_kernelINS0_14default_configENS1_29binary_search_config_selectorIsiEEZNS1_14transform_implILb0ES3_S5_N6thrust23THRUST_200600_302600_NS6detail15normal_iteratorINS8_7pointerIsNS8_11hip_rocprim5par_tENS8_11use_defaultESE_EEEENSA_INSB_IiSD_SE_SE_EEEEZNS1_13binary_searchIS3_S5_PsSG_SI_NS1_16binary_search_opENS9_16wrapped_functionINS8_6system6detail7generic6detail18binary_search_lessEbEEEE10hipError_tPvRmT1_T2_T3_mmT4_T5_P12ihipStream_tbEUlRKsE_EEST_SX_SY_mSZ_S12_bEUlT_E_NS1_11comp_targetILNS1_3genE0ELNS1_11target_archE4294967295ELNS1_3gpuE0ELNS1_3repE0EEENS1_30default_config_static_selectorELNS0_4arch9wavefront6targetE0EEEvSW_.uses_vcc, 0
	.set _ZN7rocprim17ROCPRIM_400000_NS6detail17trampoline_kernelINS0_14default_configENS1_29binary_search_config_selectorIsiEEZNS1_14transform_implILb0ES3_S5_N6thrust23THRUST_200600_302600_NS6detail15normal_iteratorINS8_7pointerIsNS8_11hip_rocprim5par_tENS8_11use_defaultESE_EEEENSA_INSB_IiSD_SE_SE_EEEEZNS1_13binary_searchIS3_S5_PsSG_SI_NS1_16binary_search_opENS9_16wrapped_functionINS8_6system6detail7generic6detail18binary_search_lessEbEEEE10hipError_tPvRmT1_T2_T3_mmT4_T5_P12ihipStream_tbEUlRKsE_EEST_SX_SY_mSZ_S12_bEUlT_E_NS1_11comp_targetILNS1_3genE0ELNS1_11target_archE4294967295ELNS1_3gpuE0ELNS1_3repE0EEENS1_30default_config_static_selectorELNS0_4arch9wavefront6targetE0EEEvSW_.uses_flat_scratch, 0
	.set _ZN7rocprim17ROCPRIM_400000_NS6detail17trampoline_kernelINS0_14default_configENS1_29binary_search_config_selectorIsiEEZNS1_14transform_implILb0ES3_S5_N6thrust23THRUST_200600_302600_NS6detail15normal_iteratorINS8_7pointerIsNS8_11hip_rocprim5par_tENS8_11use_defaultESE_EEEENSA_INSB_IiSD_SE_SE_EEEEZNS1_13binary_searchIS3_S5_PsSG_SI_NS1_16binary_search_opENS9_16wrapped_functionINS8_6system6detail7generic6detail18binary_search_lessEbEEEE10hipError_tPvRmT1_T2_T3_mmT4_T5_P12ihipStream_tbEUlRKsE_EEST_SX_SY_mSZ_S12_bEUlT_E_NS1_11comp_targetILNS1_3genE0ELNS1_11target_archE4294967295ELNS1_3gpuE0ELNS1_3repE0EEENS1_30default_config_static_selectorELNS0_4arch9wavefront6targetE0EEEvSW_.has_dyn_sized_stack, 0
	.set _ZN7rocprim17ROCPRIM_400000_NS6detail17trampoline_kernelINS0_14default_configENS1_29binary_search_config_selectorIsiEEZNS1_14transform_implILb0ES3_S5_N6thrust23THRUST_200600_302600_NS6detail15normal_iteratorINS8_7pointerIsNS8_11hip_rocprim5par_tENS8_11use_defaultESE_EEEENSA_INSB_IiSD_SE_SE_EEEEZNS1_13binary_searchIS3_S5_PsSG_SI_NS1_16binary_search_opENS9_16wrapped_functionINS8_6system6detail7generic6detail18binary_search_lessEbEEEE10hipError_tPvRmT1_T2_T3_mmT4_T5_P12ihipStream_tbEUlRKsE_EEST_SX_SY_mSZ_S12_bEUlT_E_NS1_11comp_targetILNS1_3genE0ELNS1_11target_archE4294967295ELNS1_3gpuE0ELNS1_3repE0EEENS1_30default_config_static_selectorELNS0_4arch9wavefront6targetE0EEEvSW_.has_recursion, 0
	.set _ZN7rocprim17ROCPRIM_400000_NS6detail17trampoline_kernelINS0_14default_configENS1_29binary_search_config_selectorIsiEEZNS1_14transform_implILb0ES3_S5_N6thrust23THRUST_200600_302600_NS6detail15normal_iteratorINS8_7pointerIsNS8_11hip_rocprim5par_tENS8_11use_defaultESE_EEEENSA_INSB_IiSD_SE_SE_EEEEZNS1_13binary_searchIS3_S5_PsSG_SI_NS1_16binary_search_opENS9_16wrapped_functionINS8_6system6detail7generic6detail18binary_search_lessEbEEEE10hipError_tPvRmT1_T2_T3_mmT4_T5_P12ihipStream_tbEUlRKsE_EEST_SX_SY_mSZ_S12_bEUlT_E_NS1_11comp_targetILNS1_3genE0ELNS1_11target_archE4294967295ELNS1_3gpuE0ELNS1_3repE0EEENS1_30default_config_static_selectorELNS0_4arch9wavefront6targetE0EEEvSW_.has_indirect_call, 0
	.section	.AMDGPU.csdata,"",@progbits
; Kernel info:
; codeLenInByte = 0
; TotalNumSgprs: 0
; NumVgprs: 0
; ScratchSize: 0
; MemoryBound: 0
; FloatMode: 240
; IeeeMode: 1
; LDSByteSize: 0 bytes/workgroup (compile time only)
; SGPRBlocks: 0
; VGPRBlocks: 0
; NumSGPRsForWavesPerEU: 1
; NumVGPRsForWavesPerEU: 1
; Occupancy: 16
; WaveLimiterHint : 0
; COMPUTE_PGM_RSRC2:SCRATCH_EN: 0
; COMPUTE_PGM_RSRC2:USER_SGPR: 6
; COMPUTE_PGM_RSRC2:TRAP_HANDLER: 0
; COMPUTE_PGM_RSRC2:TGID_X_EN: 1
; COMPUTE_PGM_RSRC2:TGID_Y_EN: 0
; COMPUTE_PGM_RSRC2:TGID_Z_EN: 0
; COMPUTE_PGM_RSRC2:TIDIG_COMP_CNT: 0
	.section	.text._ZN7rocprim17ROCPRIM_400000_NS6detail17trampoline_kernelINS0_14default_configENS1_29binary_search_config_selectorIsiEEZNS1_14transform_implILb0ES3_S5_N6thrust23THRUST_200600_302600_NS6detail15normal_iteratorINS8_7pointerIsNS8_11hip_rocprim5par_tENS8_11use_defaultESE_EEEENSA_INSB_IiSD_SE_SE_EEEEZNS1_13binary_searchIS3_S5_PsSG_SI_NS1_16binary_search_opENS9_16wrapped_functionINS8_6system6detail7generic6detail18binary_search_lessEbEEEE10hipError_tPvRmT1_T2_T3_mmT4_T5_P12ihipStream_tbEUlRKsE_EEST_SX_SY_mSZ_S12_bEUlT_E_NS1_11comp_targetILNS1_3genE5ELNS1_11target_archE942ELNS1_3gpuE9ELNS1_3repE0EEENS1_30default_config_static_selectorELNS0_4arch9wavefront6targetE0EEEvSW_,"axG",@progbits,_ZN7rocprim17ROCPRIM_400000_NS6detail17trampoline_kernelINS0_14default_configENS1_29binary_search_config_selectorIsiEEZNS1_14transform_implILb0ES3_S5_N6thrust23THRUST_200600_302600_NS6detail15normal_iteratorINS8_7pointerIsNS8_11hip_rocprim5par_tENS8_11use_defaultESE_EEEENSA_INSB_IiSD_SE_SE_EEEEZNS1_13binary_searchIS3_S5_PsSG_SI_NS1_16binary_search_opENS9_16wrapped_functionINS8_6system6detail7generic6detail18binary_search_lessEbEEEE10hipError_tPvRmT1_T2_T3_mmT4_T5_P12ihipStream_tbEUlRKsE_EEST_SX_SY_mSZ_S12_bEUlT_E_NS1_11comp_targetILNS1_3genE5ELNS1_11target_archE942ELNS1_3gpuE9ELNS1_3repE0EEENS1_30default_config_static_selectorELNS0_4arch9wavefront6targetE0EEEvSW_,comdat
	.protected	_ZN7rocprim17ROCPRIM_400000_NS6detail17trampoline_kernelINS0_14default_configENS1_29binary_search_config_selectorIsiEEZNS1_14transform_implILb0ES3_S5_N6thrust23THRUST_200600_302600_NS6detail15normal_iteratorINS8_7pointerIsNS8_11hip_rocprim5par_tENS8_11use_defaultESE_EEEENSA_INSB_IiSD_SE_SE_EEEEZNS1_13binary_searchIS3_S5_PsSG_SI_NS1_16binary_search_opENS9_16wrapped_functionINS8_6system6detail7generic6detail18binary_search_lessEbEEEE10hipError_tPvRmT1_T2_T3_mmT4_T5_P12ihipStream_tbEUlRKsE_EEST_SX_SY_mSZ_S12_bEUlT_E_NS1_11comp_targetILNS1_3genE5ELNS1_11target_archE942ELNS1_3gpuE9ELNS1_3repE0EEENS1_30default_config_static_selectorELNS0_4arch9wavefront6targetE0EEEvSW_ ; -- Begin function _ZN7rocprim17ROCPRIM_400000_NS6detail17trampoline_kernelINS0_14default_configENS1_29binary_search_config_selectorIsiEEZNS1_14transform_implILb0ES3_S5_N6thrust23THRUST_200600_302600_NS6detail15normal_iteratorINS8_7pointerIsNS8_11hip_rocprim5par_tENS8_11use_defaultESE_EEEENSA_INSB_IiSD_SE_SE_EEEEZNS1_13binary_searchIS3_S5_PsSG_SI_NS1_16binary_search_opENS9_16wrapped_functionINS8_6system6detail7generic6detail18binary_search_lessEbEEEE10hipError_tPvRmT1_T2_T3_mmT4_T5_P12ihipStream_tbEUlRKsE_EEST_SX_SY_mSZ_S12_bEUlT_E_NS1_11comp_targetILNS1_3genE5ELNS1_11target_archE942ELNS1_3gpuE9ELNS1_3repE0EEENS1_30default_config_static_selectorELNS0_4arch9wavefront6targetE0EEEvSW_
	.globl	_ZN7rocprim17ROCPRIM_400000_NS6detail17trampoline_kernelINS0_14default_configENS1_29binary_search_config_selectorIsiEEZNS1_14transform_implILb0ES3_S5_N6thrust23THRUST_200600_302600_NS6detail15normal_iteratorINS8_7pointerIsNS8_11hip_rocprim5par_tENS8_11use_defaultESE_EEEENSA_INSB_IiSD_SE_SE_EEEEZNS1_13binary_searchIS3_S5_PsSG_SI_NS1_16binary_search_opENS9_16wrapped_functionINS8_6system6detail7generic6detail18binary_search_lessEbEEEE10hipError_tPvRmT1_T2_T3_mmT4_T5_P12ihipStream_tbEUlRKsE_EEST_SX_SY_mSZ_S12_bEUlT_E_NS1_11comp_targetILNS1_3genE5ELNS1_11target_archE942ELNS1_3gpuE9ELNS1_3repE0EEENS1_30default_config_static_selectorELNS0_4arch9wavefront6targetE0EEEvSW_
	.p2align	8
	.type	_ZN7rocprim17ROCPRIM_400000_NS6detail17trampoline_kernelINS0_14default_configENS1_29binary_search_config_selectorIsiEEZNS1_14transform_implILb0ES3_S5_N6thrust23THRUST_200600_302600_NS6detail15normal_iteratorINS8_7pointerIsNS8_11hip_rocprim5par_tENS8_11use_defaultESE_EEEENSA_INSB_IiSD_SE_SE_EEEEZNS1_13binary_searchIS3_S5_PsSG_SI_NS1_16binary_search_opENS9_16wrapped_functionINS8_6system6detail7generic6detail18binary_search_lessEbEEEE10hipError_tPvRmT1_T2_T3_mmT4_T5_P12ihipStream_tbEUlRKsE_EEST_SX_SY_mSZ_S12_bEUlT_E_NS1_11comp_targetILNS1_3genE5ELNS1_11target_archE942ELNS1_3gpuE9ELNS1_3repE0EEENS1_30default_config_static_selectorELNS0_4arch9wavefront6targetE0EEEvSW_,@function
_ZN7rocprim17ROCPRIM_400000_NS6detail17trampoline_kernelINS0_14default_configENS1_29binary_search_config_selectorIsiEEZNS1_14transform_implILb0ES3_S5_N6thrust23THRUST_200600_302600_NS6detail15normal_iteratorINS8_7pointerIsNS8_11hip_rocprim5par_tENS8_11use_defaultESE_EEEENSA_INSB_IiSD_SE_SE_EEEEZNS1_13binary_searchIS3_S5_PsSG_SI_NS1_16binary_search_opENS9_16wrapped_functionINS8_6system6detail7generic6detail18binary_search_lessEbEEEE10hipError_tPvRmT1_T2_T3_mmT4_T5_P12ihipStream_tbEUlRKsE_EEST_SX_SY_mSZ_S12_bEUlT_E_NS1_11comp_targetILNS1_3genE5ELNS1_11target_archE942ELNS1_3gpuE9ELNS1_3repE0EEENS1_30default_config_static_selectorELNS0_4arch9wavefront6targetE0EEEvSW_: ; @_ZN7rocprim17ROCPRIM_400000_NS6detail17trampoline_kernelINS0_14default_configENS1_29binary_search_config_selectorIsiEEZNS1_14transform_implILb0ES3_S5_N6thrust23THRUST_200600_302600_NS6detail15normal_iteratorINS8_7pointerIsNS8_11hip_rocprim5par_tENS8_11use_defaultESE_EEEENSA_INSB_IiSD_SE_SE_EEEEZNS1_13binary_searchIS3_S5_PsSG_SI_NS1_16binary_search_opENS9_16wrapped_functionINS8_6system6detail7generic6detail18binary_search_lessEbEEEE10hipError_tPvRmT1_T2_T3_mmT4_T5_P12ihipStream_tbEUlRKsE_EEST_SX_SY_mSZ_S12_bEUlT_E_NS1_11comp_targetILNS1_3genE5ELNS1_11target_archE942ELNS1_3gpuE9ELNS1_3repE0EEENS1_30default_config_static_selectorELNS0_4arch9wavefront6targetE0EEEvSW_
; %bb.0:
	.section	.rodata,"a",@progbits
	.p2align	6, 0x0
	.amdhsa_kernel _ZN7rocprim17ROCPRIM_400000_NS6detail17trampoline_kernelINS0_14default_configENS1_29binary_search_config_selectorIsiEEZNS1_14transform_implILb0ES3_S5_N6thrust23THRUST_200600_302600_NS6detail15normal_iteratorINS8_7pointerIsNS8_11hip_rocprim5par_tENS8_11use_defaultESE_EEEENSA_INSB_IiSD_SE_SE_EEEEZNS1_13binary_searchIS3_S5_PsSG_SI_NS1_16binary_search_opENS9_16wrapped_functionINS8_6system6detail7generic6detail18binary_search_lessEbEEEE10hipError_tPvRmT1_T2_T3_mmT4_T5_P12ihipStream_tbEUlRKsE_EEST_SX_SY_mSZ_S12_bEUlT_E_NS1_11comp_targetILNS1_3genE5ELNS1_11target_archE942ELNS1_3gpuE9ELNS1_3repE0EEENS1_30default_config_static_selectorELNS0_4arch9wavefront6targetE0EEEvSW_
		.amdhsa_group_segment_fixed_size 0
		.amdhsa_private_segment_fixed_size 0
		.amdhsa_kernarg_size 56
		.amdhsa_user_sgpr_count 6
		.amdhsa_user_sgpr_private_segment_buffer 1
		.amdhsa_user_sgpr_dispatch_ptr 0
		.amdhsa_user_sgpr_queue_ptr 0
		.amdhsa_user_sgpr_kernarg_segment_ptr 1
		.amdhsa_user_sgpr_dispatch_id 0
		.amdhsa_user_sgpr_flat_scratch_init 0
		.amdhsa_user_sgpr_private_segment_size 0
		.amdhsa_wavefront_size32 1
		.amdhsa_uses_dynamic_stack 0
		.amdhsa_system_sgpr_private_segment_wavefront_offset 0
		.amdhsa_system_sgpr_workgroup_id_x 1
		.amdhsa_system_sgpr_workgroup_id_y 0
		.amdhsa_system_sgpr_workgroup_id_z 0
		.amdhsa_system_sgpr_workgroup_info 0
		.amdhsa_system_vgpr_workitem_id 0
		.amdhsa_next_free_vgpr 1
		.amdhsa_next_free_sgpr 1
		.amdhsa_reserve_vcc 0
		.amdhsa_reserve_flat_scratch 0
		.amdhsa_float_round_mode_32 0
		.amdhsa_float_round_mode_16_64 0
		.amdhsa_float_denorm_mode_32 3
		.amdhsa_float_denorm_mode_16_64 3
		.amdhsa_dx10_clamp 1
		.amdhsa_ieee_mode 1
		.amdhsa_fp16_overflow 0
		.amdhsa_workgroup_processor_mode 1
		.amdhsa_memory_ordered 1
		.amdhsa_forward_progress 1
		.amdhsa_shared_vgpr_count 0
		.amdhsa_exception_fp_ieee_invalid_op 0
		.amdhsa_exception_fp_denorm_src 0
		.amdhsa_exception_fp_ieee_div_zero 0
		.amdhsa_exception_fp_ieee_overflow 0
		.amdhsa_exception_fp_ieee_underflow 0
		.amdhsa_exception_fp_ieee_inexact 0
		.amdhsa_exception_int_div_zero 0
	.end_amdhsa_kernel
	.section	.text._ZN7rocprim17ROCPRIM_400000_NS6detail17trampoline_kernelINS0_14default_configENS1_29binary_search_config_selectorIsiEEZNS1_14transform_implILb0ES3_S5_N6thrust23THRUST_200600_302600_NS6detail15normal_iteratorINS8_7pointerIsNS8_11hip_rocprim5par_tENS8_11use_defaultESE_EEEENSA_INSB_IiSD_SE_SE_EEEEZNS1_13binary_searchIS3_S5_PsSG_SI_NS1_16binary_search_opENS9_16wrapped_functionINS8_6system6detail7generic6detail18binary_search_lessEbEEEE10hipError_tPvRmT1_T2_T3_mmT4_T5_P12ihipStream_tbEUlRKsE_EEST_SX_SY_mSZ_S12_bEUlT_E_NS1_11comp_targetILNS1_3genE5ELNS1_11target_archE942ELNS1_3gpuE9ELNS1_3repE0EEENS1_30default_config_static_selectorELNS0_4arch9wavefront6targetE0EEEvSW_,"axG",@progbits,_ZN7rocprim17ROCPRIM_400000_NS6detail17trampoline_kernelINS0_14default_configENS1_29binary_search_config_selectorIsiEEZNS1_14transform_implILb0ES3_S5_N6thrust23THRUST_200600_302600_NS6detail15normal_iteratorINS8_7pointerIsNS8_11hip_rocprim5par_tENS8_11use_defaultESE_EEEENSA_INSB_IiSD_SE_SE_EEEEZNS1_13binary_searchIS3_S5_PsSG_SI_NS1_16binary_search_opENS9_16wrapped_functionINS8_6system6detail7generic6detail18binary_search_lessEbEEEE10hipError_tPvRmT1_T2_T3_mmT4_T5_P12ihipStream_tbEUlRKsE_EEST_SX_SY_mSZ_S12_bEUlT_E_NS1_11comp_targetILNS1_3genE5ELNS1_11target_archE942ELNS1_3gpuE9ELNS1_3repE0EEENS1_30default_config_static_selectorELNS0_4arch9wavefront6targetE0EEEvSW_,comdat
.Lfunc_end314:
	.size	_ZN7rocprim17ROCPRIM_400000_NS6detail17trampoline_kernelINS0_14default_configENS1_29binary_search_config_selectorIsiEEZNS1_14transform_implILb0ES3_S5_N6thrust23THRUST_200600_302600_NS6detail15normal_iteratorINS8_7pointerIsNS8_11hip_rocprim5par_tENS8_11use_defaultESE_EEEENSA_INSB_IiSD_SE_SE_EEEEZNS1_13binary_searchIS3_S5_PsSG_SI_NS1_16binary_search_opENS9_16wrapped_functionINS8_6system6detail7generic6detail18binary_search_lessEbEEEE10hipError_tPvRmT1_T2_T3_mmT4_T5_P12ihipStream_tbEUlRKsE_EEST_SX_SY_mSZ_S12_bEUlT_E_NS1_11comp_targetILNS1_3genE5ELNS1_11target_archE942ELNS1_3gpuE9ELNS1_3repE0EEENS1_30default_config_static_selectorELNS0_4arch9wavefront6targetE0EEEvSW_, .Lfunc_end314-_ZN7rocprim17ROCPRIM_400000_NS6detail17trampoline_kernelINS0_14default_configENS1_29binary_search_config_selectorIsiEEZNS1_14transform_implILb0ES3_S5_N6thrust23THRUST_200600_302600_NS6detail15normal_iteratorINS8_7pointerIsNS8_11hip_rocprim5par_tENS8_11use_defaultESE_EEEENSA_INSB_IiSD_SE_SE_EEEEZNS1_13binary_searchIS3_S5_PsSG_SI_NS1_16binary_search_opENS9_16wrapped_functionINS8_6system6detail7generic6detail18binary_search_lessEbEEEE10hipError_tPvRmT1_T2_T3_mmT4_T5_P12ihipStream_tbEUlRKsE_EEST_SX_SY_mSZ_S12_bEUlT_E_NS1_11comp_targetILNS1_3genE5ELNS1_11target_archE942ELNS1_3gpuE9ELNS1_3repE0EEENS1_30default_config_static_selectorELNS0_4arch9wavefront6targetE0EEEvSW_
                                        ; -- End function
	.set _ZN7rocprim17ROCPRIM_400000_NS6detail17trampoline_kernelINS0_14default_configENS1_29binary_search_config_selectorIsiEEZNS1_14transform_implILb0ES3_S5_N6thrust23THRUST_200600_302600_NS6detail15normal_iteratorINS8_7pointerIsNS8_11hip_rocprim5par_tENS8_11use_defaultESE_EEEENSA_INSB_IiSD_SE_SE_EEEEZNS1_13binary_searchIS3_S5_PsSG_SI_NS1_16binary_search_opENS9_16wrapped_functionINS8_6system6detail7generic6detail18binary_search_lessEbEEEE10hipError_tPvRmT1_T2_T3_mmT4_T5_P12ihipStream_tbEUlRKsE_EEST_SX_SY_mSZ_S12_bEUlT_E_NS1_11comp_targetILNS1_3genE5ELNS1_11target_archE942ELNS1_3gpuE9ELNS1_3repE0EEENS1_30default_config_static_selectorELNS0_4arch9wavefront6targetE0EEEvSW_.num_vgpr, 0
	.set _ZN7rocprim17ROCPRIM_400000_NS6detail17trampoline_kernelINS0_14default_configENS1_29binary_search_config_selectorIsiEEZNS1_14transform_implILb0ES3_S5_N6thrust23THRUST_200600_302600_NS6detail15normal_iteratorINS8_7pointerIsNS8_11hip_rocprim5par_tENS8_11use_defaultESE_EEEENSA_INSB_IiSD_SE_SE_EEEEZNS1_13binary_searchIS3_S5_PsSG_SI_NS1_16binary_search_opENS9_16wrapped_functionINS8_6system6detail7generic6detail18binary_search_lessEbEEEE10hipError_tPvRmT1_T2_T3_mmT4_T5_P12ihipStream_tbEUlRKsE_EEST_SX_SY_mSZ_S12_bEUlT_E_NS1_11comp_targetILNS1_3genE5ELNS1_11target_archE942ELNS1_3gpuE9ELNS1_3repE0EEENS1_30default_config_static_selectorELNS0_4arch9wavefront6targetE0EEEvSW_.num_agpr, 0
	.set _ZN7rocprim17ROCPRIM_400000_NS6detail17trampoline_kernelINS0_14default_configENS1_29binary_search_config_selectorIsiEEZNS1_14transform_implILb0ES3_S5_N6thrust23THRUST_200600_302600_NS6detail15normal_iteratorINS8_7pointerIsNS8_11hip_rocprim5par_tENS8_11use_defaultESE_EEEENSA_INSB_IiSD_SE_SE_EEEEZNS1_13binary_searchIS3_S5_PsSG_SI_NS1_16binary_search_opENS9_16wrapped_functionINS8_6system6detail7generic6detail18binary_search_lessEbEEEE10hipError_tPvRmT1_T2_T3_mmT4_T5_P12ihipStream_tbEUlRKsE_EEST_SX_SY_mSZ_S12_bEUlT_E_NS1_11comp_targetILNS1_3genE5ELNS1_11target_archE942ELNS1_3gpuE9ELNS1_3repE0EEENS1_30default_config_static_selectorELNS0_4arch9wavefront6targetE0EEEvSW_.numbered_sgpr, 0
	.set _ZN7rocprim17ROCPRIM_400000_NS6detail17trampoline_kernelINS0_14default_configENS1_29binary_search_config_selectorIsiEEZNS1_14transform_implILb0ES3_S5_N6thrust23THRUST_200600_302600_NS6detail15normal_iteratorINS8_7pointerIsNS8_11hip_rocprim5par_tENS8_11use_defaultESE_EEEENSA_INSB_IiSD_SE_SE_EEEEZNS1_13binary_searchIS3_S5_PsSG_SI_NS1_16binary_search_opENS9_16wrapped_functionINS8_6system6detail7generic6detail18binary_search_lessEbEEEE10hipError_tPvRmT1_T2_T3_mmT4_T5_P12ihipStream_tbEUlRKsE_EEST_SX_SY_mSZ_S12_bEUlT_E_NS1_11comp_targetILNS1_3genE5ELNS1_11target_archE942ELNS1_3gpuE9ELNS1_3repE0EEENS1_30default_config_static_selectorELNS0_4arch9wavefront6targetE0EEEvSW_.num_named_barrier, 0
	.set _ZN7rocprim17ROCPRIM_400000_NS6detail17trampoline_kernelINS0_14default_configENS1_29binary_search_config_selectorIsiEEZNS1_14transform_implILb0ES3_S5_N6thrust23THRUST_200600_302600_NS6detail15normal_iteratorINS8_7pointerIsNS8_11hip_rocprim5par_tENS8_11use_defaultESE_EEEENSA_INSB_IiSD_SE_SE_EEEEZNS1_13binary_searchIS3_S5_PsSG_SI_NS1_16binary_search_opENS9_16wrapped_functionINS8_6system6detail7generic6detail18binary_search_lessEbEEEE10hipError_tPvRmT1_T2_T3_mmT4_T5_P12ihipStream_tbEUlRKsE_EEST_SX_SY_mSZ_S12_bEUlT_E_NS1_11comp_targetILNS1_3genE5ELNS1_11target_archE942ELNS1_3gpuE9ELNS1_3repE0EEENS1_30default_config_static_selectorELNS0_4arch9wavefront6targetE0EEEvSW_.private_seg_size, 0
	.set _ZN7rocprim17ROCPRIM_400000_NS6detail17trampoline_kernelINS0_14default_configENS1_29binary_search_config_selectorIsiEEZNS1_14transform_implILb0ES3_S5_N6thrust23THRUST_200600_302600_NS6detail15normal_iteratorINS8_7pointerIsNS8_11hip_rocprim5par_tENS8_11use_defaultESE_EEEENSA_INSB_IiSD_SE_SE_EEEEZNS1_13binary_searchIS3_S5_PsSG_SI_NS1_16binary_search_opENS9_16wrapped_functionINS8_6system6detail7generic6detail18binary_search_lessEbEEEE10hipError_tPvRmT1_T2_T3_mmT4_T5_P12ihipStream_tbEUlRKsE_EEST_SX_SY_mSZ_S12_bEUlT_E_NS1_11comp_targetILNS1_3genE5ELNS1_11target_archE942ELNS1_3gpuE9ELNS1_3repE0EEENS1_30default_config_static_selectorELNS0_4arch9wavefront6targetE0EEEvSW_.uses_vcc, 0
	.set _ZN7rocprim17ROCPRIM_400000_NS6detail17trampoline_kernelINS0_14default_configENS1_29binary_search_config_selectorIsiEEZNS1_14transform_implILb0ES3_S5_N6thrust23THRUST_200600_302600_NS6detail15normal_iteratorINS8_7pointerIsNS8_11hip_rocprim5par_tENS8_11use_defaultESE_EEEENSA_INSB_IiSD_SE_SE_EEEEZNS1_13binary_searchIS3_S5_PsSG_SI_NS1_16binary_search_opENS9_16wrapped_functionINS8_6system6detail7generic6detail18binary_search_lessEbEEEE10hipError_tPvRmT1_T2_T3_mmT4_T5_P12ihipStream_tbEUlRKsE_EEST_SX_SY_mSZ_S12_bEUlT_E_NS1_11comp_targetILNS1_3genE5ELNS1_11target_archE942ELNS1_3gpuE9ELNS1_3repE0EEENS1_30default_config_static_selectorELNS0_4arch9wavefront6targetE0EEEvSW_.uses_flat_scratch, 0
	.set _ZN7rocprim17ROCPRIM_400000_NS6detail17trampoline_kernelINS0_14default_configENS1_29binary_search_config_selectorIsiEEZNS1_14transform_implILb0ES3_S5_N6thrust23THRUST_200600_302600_NS6detail15normal_iteratorINS8_7pointerIsNS8_11hip_rocprim5par_tENS8_11use_defaultESE_EEEENSA_INSB_IiSD_SE_SE_EEEEZNS1_13binary_searchIS3_S5_PsSG_SI_NS1_16binary_search_opENS9_16wrapped_functionINS8_6system6detail7generic6detail18binary_search_lessEbEEEE10hipError_tPvRmT1_T2_T3_mmT4_T5_P12ihipStream_tbEUlRKsE_EEST_SX_SY_mSZ_S12_bEUlT_E_NS1_11comp_targetILNS1_3genE5ELNS1_11target_archE942ELNS1_3gpuE9ELNS1_3repE0EEENS1_30default_config_static_selectorELNS0_4arch9wavefront6targetE0EEEvSW_.has_dyn_sized_stack, 0
	.set _ZN7rocprim17ROCPRIM_400000_NS6detail17trampoline_kernelINS0_14default_configENS1_29binary_search_config_selectorIsiEEZNS1_14transform_implILb0ES3_S5_N6thrust23THRUST_200600_302600_NS6detail15normal_iteratorINS8_7pointerIsNS8_11hip_rocprim5par_tENS8_11use_defaultESE_EEEENSA_INSB_IiSD_SE_SE_EEEEZNS1_13binary_searchIS3_S5_PsSG_SI_NS1_16binary_search_opENS9_16wrapped_functionINS8_6system6detail7generic6detail18binary_search_lessEbEEEE10hipError_tPvRmT1_T2_T3_mmT4_T5_P12ihipStream_tbEUlRKsE_EEST_SX_SY_mSZ_S12_bEUlT_E_NS1_11comp_targetILNS1_3genE5ELNS1_11target_archE942ELNS1_3gpuE9ELNS1_3repE0EEENS1_30default_config_static_selectorELNS0_4arch9wavefront6targetE0EEEvSW_.has_recursion, 0
	.set _ZN7rocprim17ROCPRIM_400000_NS6detail17trampoline_kernelINS0_14default_configENS1_29binary_search_config_selectorIsiEEZNS1_14transform_implILb0ES3_S5_N6thrust23THRUST_200600_302600_NS6detail15normal_iteratorINS8_7pointerIsNS8_11hip_rocprim5par_tENS8_11use_defaultESE_EEEENSA_INSB_IiSD_SE_SE_EEEEZNS1_13binary_searchIS3_S5_PsSG_SI_NS1_16binary_search_opENS9_16wrapped_functionINS8_6system6detail7generic6detail18binary_search_lessEbEEEE10hipError_tPvRmT1_T2_T3_mmT4_T5_P12ihipStream_tbEUlRKsE_EEST_SX_SY_mSZ_S12_bEUlT_E_NS1_11comp_targetILNS1_3genE5ELNS1_11target_archE942ELNS1_3gpuE9ELNS1_3repE0EEENS1_30default_config_static_selectorELNS0_4arch9wavefront6targetE0EEEvSW_.has_indirect_call, 0
	.section	.AMDGPU.csdata,"",@progbits
; Kernel info:
; codeLenInByte = 0
; TotalNumSgprs: 0
; NumVgprs: 0
; ScratchSize: 0
; MemoryBound: 0
; FloatMode: 240
; IeeeMode: 1
; LDSByteSize: 0 bytes/workgroup (compile time only)
; SGPRBlocks: 0
; VGPRBlocks: 0
; NumSGPRsForWavesPerEU: 1
; NumVGPRsForWavesPerEU: 1
; Occupancy: 16
; WaveLimiterHint : 0
; COMPUTE_PGM_RSRC2:SCRATCH_EN: 0
; COMPUTE_PGM_RSRC2:USER_SGPR: 6
; COMPUTE_PGM_RSRC2:TRAP_HANDLER: 0
; COMPUTE_PGM_RSRC2:TGID_X_EN: 1
; COMPUTE_PGM_RSRC2:TGID_Y_EN: 0
; COMPUTE_PGM_RSRC2:TGID_Z_EN: 0
; COMPUTE_PGM_RSRC2:TIDIG_COMP_CNT: 0
	.section	.text._ZN7rocprim17ROCPRIM_400000_NS6detail17trampoline_kernelINS0_14default_configENS1_29binary_search_config_selectorIsiEEZNS1_14transform_implILb0ES3_S5_N6thrust23THRUST_200600_302600_NS6detail15normal_iteratorINS8_7pointerIsNS8_11hip_rocprim5par_tENS8_11use_defaultESE_EEEENSA_INSB_IiSD_SE_SE_EEEEZNS1_13binary_searchIS3_S5_PsSG_SI_NS1_16binary_search_opENS9_16wrapped_functionINS8_6system6detail7generic6detail18binary_search_lessEbEEEE10hipError_tPvRmT1_T2_T3_mmT4_T5_P12ihipStream_tbEUlRKsE_EEST_SX_SY_mSZ_S12_bEUlT_E_NS1_11comp_targetILNS1_3genE4ELNS1_11target_archE910ELNS1_3gpuE8ELNS1_3repE0EEENS1_30default_config_static_selectorELNS0_4arch9wavefront6targetE0EEEvSW_,"axG",@progbits,_ZN7rocprim17ROCPRIM_400000_NS6detail17trampoline_kernelINS0_14default_configENS1_29binary_search_config_selectorIsiEEZNS1_14transform_implILb0ES3_S5_N6thrust23THRUST_200600_302600_NS6detail15normal_iteratorINS8_7pointerIsNS8_11hip_rocprim5par_tENS8_11use_defaultESE_EEEENSA_INSB_IiSD_SE_SE_EEEEZNS1_13binary_searchIS3_S5_PsSG_SI_NS1_16binary_search_opENS9_16wrapped_functionINS8_6system6detail7generic6detail18binary_search_lessEbEEEE10hipError_tPvRmT1_T2_T3_mmT4_T5_P12ihipStream_tbEUlRKsE_EEST_SX_SY_mSZ_S12_bEUlT_E_NS1_11comp_targetILNS1_3genE4ELNS1_11target_archE910ELNS1_3gpuE8ELNS1_3repE0EEENS1_30default_config_static_selectorELNS0_4arch9wavefront6targetE0EEEvSW_,comdat
	.protected	_ZN7rocprim17ROCPRIM_400000_NS6detail17trampoline_kernelINS0_14default_configENS1_29binary_search_config_selectorIsiEEZNS1_14transform_implILb0ES3_S5_N6thrust23THRUST_200600_302600_NS6detail15normal_iteratorINS8_7pointerIsNS8_11hip_rocprim5par_tENS8_11use_defaultESE_EEEENSA_INSB_IiSD_SE_SE_EEEEZNS1_13binary_searchIS3_S5_PsSG_SI_NS1_16binary_search_opENS9_16wrapped_functionINS8_6system6detail7generic6detail18binary_search_lessEbEEEE10hipError_tPvRmT1_T2_T3_mmT4_T5_P12ihipStream_tbEUlRKsE_EEST_SX_SY_mSZ_S12_bEUlT_E_NS1_11comp_targetILNS1_3genE4ELNS1_11target_archE910ELNS1_3gpuE8ELNS1_3repE0EEENS1_30default_config_static_selectorELNS0_4arch9wavefront6targetE0EEEvSW_ ; -- Begin function _ZN7rocprim17ROCPRIM_400000_NS6detail17trampoline_kernelINS0_14default_configENS1_29binary_search_config_selectorIsiEEZNS1_14transform_implILb0ES3_S5_N6thrust23THRUST_200600_302600_NS6detail15normal_iteratorINS8_7pointerIsNS8_11hip_rocprim5par_tENS8_11use_defaultESE_EEEENSA_INSB_IiSD_SE_SE_EEEEZNS1_13binary_searchIS3_S5_PsSG_SI_NS1_16binary_search_opENS9_16wrapped_functionINS8_6system6detail7generic6detail18binary_search_lessEbEEEE10hipError_tPvRmT1_T2_T3_mmT4_T5_P12ihipStream_tbEUlRKsE_EEST_SX_SY_mSZ_S12_bEUlT_E_NS1_11comp_targetILNS1_3genE4ELNS1_11target_archE910ELNS1_3gpuE8ELNS1_3repE0EEENS1_30default_config_static_selectorELNS0_4arch9wavefront6targetE0EEEvSW_
	.globl	_ZN7rocprim17ROCPRIM_400000_NS6detail17trampoline_kernelINS0_14default_configENS1_29binary_search_config_selectorIsiEEZNS1_14transform_implILb0ES3_S5_N6thrust23THRUST_200600_302600_NS6detail15normal_iteratorINS8_7pointerIsNS8_11hip_rocprim5par_tENS8_11use_defaultESE_EEEENSA_INSB_IiSD_SE_SE_EEEEZNS1_13binary_searchIS3_S5_PsSG_SI_NS1_16binary_search_opENS9_16wrapped_functionINS8_6system6detail7generic6detail18binary_search_lessEbEEEE10hipError_tPvRmT1_T2_T3_mmT4_T5_P12ihipStream_tbEUlRKsE_EEST_SX_SY_mSZ_S12_bEUlT_E_NS1_11comp_targetILNS1_3genE4ELNS1_11target_archE910ELNS1_3gpuE8ELNS1_3repE0EEENS1_30default_config_static_selectorELNS0_4arch9wavefront6targetE0EEEvSW_
	.p2align	8
	.type	_ZN7rocprim17ROCPRIM_400000_NS6detail17trampoline_kernelINS0_14default_configENS1_29binary_search_config_selectorIsiEEZNS1_14transform_implILb0ES3_S5_N6thrust23THRUST_200600_302600_NS6detail15normal_iteratorINS8_7pointerIsNS8_11hip_rocprim5par_tENS8_11use_defaultESE_EEEENSA_INSB_IiSD_SE_SE_EEEEZNS1_13binary_searchIS3_S5_PsSG_SI_NS1_16binary_search_opENS9_16wrapped_functionINS8_6system6detail7generic6detail18binary_search_lessEbEEEE10hipError_tPvRmT1_T2_T3_mmT4_T5_P12ihipStream_tbEUlRKsE_EEST_SX_SY_mSZ_S12_bEUlT_E_NS1_11comp_targetILNS1_3genE4ELNS1_11target_archE910ELNS1_3gpuE8ELNS1_3repE0EEENS1_30default_config_static_selectorELNS0_4arch9wavefront6targetE0EEEvSW_,@function
_ZN7rocprim17ROCPRIM_400000_NS6detail17trampoline_kernelINS0_14default_configENS1_29binary_search_config_selectorIsiEEZNS1_14transform_implILb0ES3_S5_N6thrust23THRUST_200600_302600_NS6detail15normal_iteratorINS8_7pointerIsNS8_11hip_rocprim5par_tENS8_11use_defaultESE_EEEENSA_INSB_IiSD_SE_SE_EEEEZNS1_13binary_searchIS3_S5_PsSG_SI_NS1_16binary_search_opENS9_16wrapped_functionINS8_6system6detail7generic6detail18binary_search_lessEbEEEE10hipError_tPvRmT1_T2_T3_mmT4_T5_P12ihipStream_tbEUlRKsE_EEST_SX_SY_mSZ_S12_bEUlT_E_NS1_11comp_targetILNS1_3genE4ELNS1_11target_archE910ELNS1_3gpuE8ELNS1_3repE0EEENS1_30default_config_static_selectorELNS0_4arch9wavefront6targetE0EEEvSW_: ; @_ZN7rocprim17ROCPRIM_400000_NS6detail17trampoline_kernelINS0_14default_configENS1_29binary_search_config_selectorIsiEEZNS1_14transform_implILb0ES3_S5_N6thrust23THRUST_200600_302600_NS6detail15normal_iteratorINS8_7pointerIsNS8_11hip_rocprim5par_tENS8_11use_defaultESE_EEEENSA_INSB_IiSD_SE_SE_EEEEZNS1_13binary_searchIS3_S5_PsSG_SI_NS1_16binary_search_opENS9_16wrapped_functionINS8_6system6detail7generic6detail18binary_search_lessEbEEEE10hipError_tPvRmT1_T2_T3_mmT4_T5_P12ihipStream_tbEUlRKsE_EEST_SX_SY_mSZ_S12_bEUlT_E_NS1_11comp_targetILNS1_3genE4ELNS1_11target_archE910ELNS1_3gpuE8ELNS1_3repE0EEENS1_30default_config_static_selectorELNS0_4arch9wavefront6targetE0EEEvSW_
; %bb.0:
	.section	.rodata,"a",@progbits
	.p2align	6, 0x0
	.amdhsa_kernel _ZN7rocprim17ROCPRIM_400000_NS6detail17trampoline_kernelINS0_14default_configENS1_29binary_search_config_selectorIsiEEZNS1_14transform_implILb0ES3_S5_N6thrust23THRUST_200600_302600_NS6detail15normal_iteratorINS8_7pointerIsNS8_11hip_rocprim5par_tENS8_11use_defaultESE_EEEENSA_INSB_IiSD_SE_SE_EEEEZNS1_13binary_searchIS3_S5_PsSG_SI_NS1_16binary_search_opENS9_16wrapped_functionINS8_6system6detail7generic6detail18binary_search_lessEbEEEE10hipError_tPvRmT1_T2_T3_mmT4_T5_P12ihipStream_tbEUlRKsE_EEST_SX_SY_mSZ_S12_bEUlT_E_NS1_11comp_targetILNS1_3genE4ELNS1_11target_archE910ELNS1_3gpuE8ELNS1_3repE0EEENS1_30default_config_static_selectorELNS0_4arch9wavefront6targetE0EEEvSW_
		.amdhsa_group_segment_fixed_size 0
		.amdhsa_private_segment_fixed_size 0
		.amdhsa_kernarg_size 56
		.amdhsa_user_sgpr_count 6
		.amdhsa_user_sgpr_private_segment_buffer 1
		.amdhsa_user_sgpr_dispatch_ptr 0
		.amdhsa_user_sgpr_queue_ptr 0
		.amdhsa_user_sgpr_kernarg_segment_ptr 1
		.amdhsa_user_sgpr_dispatch_id 0
		.amdhsa_user_sgpr_flat_scratch_init 0
		.amdhsa_user_sgpr_private_segment_size 0
		.amdhsa_wavefront_size32 1
		.amdhsa_uses_dynamic_stack 0
		.amdhsa_system_sgpr_private_segment_wavefront_offset 0
		.amdhsa_system_sgpr_workgroup_id_x 1
		.amdhsa_system_sgpr_workgroup_id_y 0
		.amdhsa_system_sgpr_workgroup_id_z 0
		.amdhsa_system_sgpr_workgroup_info 0
		.amdhsa_system_vgpr_workitem_id 0
		.amdhsa_next_free_vgpr 1
		.amdhsa_next_free_sgpr 1
		.amdhsa_reserve_vcc 0
		.amdhsa_reserve_flat_scratch 0
		.amdhsa_float_round_mode_32 0
		.amdhsa_float_round_mode_16_64 0
		.amdhsa_float_denorm_mode_32 3
		.amdhsa_float_denorm_mode_16_64 3
		.amdhsa_dx10_clamp 1
		.amdhsa_ieee_mode 1
		.amdhsa_fp16_overflow 0
		.amdhsa_workgroup_processor_mode 1
		.amdhsa_memory_ordered 1
		.amdhsa_forward_progress 1
		.amdhsa_shared_vgpr_count 0
		.amdhsa_exception_fp_ieee_invalid_op 0
		.amdhsa_exception_fp_denorm_src 0
		.amdhsa_exception_fp_ieee_div_zero 0
		.amdhsa_exception_fp_ieee_overflow 0
		.amdhsa_exception_fp_ieee_underflow 0
		.amdhsa_exception_fp_ieee_inexact 0
		.amdhsa_exception_int_div_zero 0
	.end_amdhsa_kernel
	.section	.text._ZN7rocprim17ROCPRIM_400000_NS6detail17trampoline_kernelINS0_14default_configENS1_29binary_search_config_selectorIsiEEZNS1_14transform_implILb0ES3_S5_N6thrust23THRUST_200600_302600_NS6detail15normal_iteratorINS8_7pointerIsNS8_11hip_rocprim5par_tENS8_11use_defaultESE_EEEENSA_INSB_IiSD_SE_SE_EEEEZNS1_13binary_searchIS3_S5_PsSG_SI_NS1_16binary_search_opENS9_16wrapped_functionINS8_6system6detail7generic6detail18binary_search_lessEbEEEE10hipError_tPvRmT1_T2_T3_mmT4_T5_P12ihipStream_tbEUlRKsE_EEST_SX_SY_mSZ_S12_bEUlT_E_NS1_11comp_targetILNS1_3genE4ELNS1_11target_archE910ELNS1_3gpuE8ELNS1_3repE0EEENS1_30default_config_static_selectorELNS0_4arch9wavefront6targetE0EEEvSW_,"axG",@progbits,_ZN7rocprim17ROCPRIM_400000_NS6detail17trampoline_kernelINS0_14default_configENS1_29binary_search_config_selectorIsiEEZNS1_14transform_implILb0ES3_S5_N6thrust23THRUST_200600_302600_NS6detail15normal_iteratorINS8_7pointerIsNS8_11hip_rocprim5par_tENS8_11use_defaultESE_EEEENSA_INSB_IiSD_SE_SE_EEEEZNS1_13binary_searchIS3_S5_PsSG_SI_NS1_16binary_search_opENS9_16wrapped_functionINS8_6system6detail7generic6detail18binary_search_lessEbEEEE10hipError_tPvRmT1_T2_T3_mmT4_T5_P12ihipStream_tbEUlRKsE_EEST_SX_SY_mSZ_S12_bEUlT_E_NS1_11comp_targetILNS1_3genE4ELNS1_11target_archE910ELNS1_3gpuE8ELNS1_3repE0EEENS1_30default_config_static_selectorELNS0_4arch9wavefront6targetE0EEEvSW_,comdat
.Lfunc_end315:
	.size	_ZN7rocprim17ROCPRIM_400000_NS6detail17trampoline_kernelINS0_14default_configENS1_29binary_search_config_selectorIsiEEZNS1_14transform_implILb0ES3_S5_N6thrust23THRUST_200600_302600_NS6detail15normal_iteratorINS8_7pointerIsNS8_11hip_rocprim5par_tENS8_11use_defaultESE_EEEENSA_INSB_IiSD_SE_SE_EEEEZNS1_13binary_searchIS3_S5_PsSG_SI_NS1_16binary_search_opENS9_16wrapped_functionINS8_6system6detail7generic6detail18binary_search_lessEbEEEE10hipError_tPvRmT1_T2_T3_mmT4_T5_P12ihipStream_tbEUlRKsE_EEST_SX_SY_mSZ_S12_bEUlT_E_NS1_11comp_targetILNS1_3genE4ELNS1_11target_archE910ELNS1_3gpuE8ELNS1_3repE0EEENS1_30default_config_static_selectorELNS0_4arch9wavefront6targetE0EEEvSW_, .Lfunc_end315-_ZN7rocprim17ROCPRIM_400000_NS6detail17trampoline_kernelINS0_14default_configENS1_29binary_search_config_selectorIsiEEZNS1_14transform_implILb0ES3_S5_N6thrust23THRUST_200600_302600_NS6detail15normal_iteratorINS8_7pointerIsNS8_11hip_rocprim5par_tENS8_11use_defaultESE_EEEENSA_INSB_IiSD_SE_SE_EEEEZNS1_13binary_searchIS3_S5_PsSG_SI_NS1_16binary_search_opENS9_16wrapped_functionINS8_6system6detail7generic6detail18binary_search_lessEbEEEE10hipError_tPvRmT1_T2_T3_mmT4_T5_P12ihipStream_tbEUlRKsE_EEST_SX_SY_mSZ_S12_bEUlT_E_NS1_11comp_targetILNS1_3genE4ELNS1_11target_archE910ELNS1_3gpuE8ELNS1_3repE0EEENS1_30default_config_static_selectorELNS0_4arch9wavefront6targetE0EEEvSW_
                                        ; -- End function
	.set _ZN7rocprim17ROCPRIM_400000_NS6detail17trampoline_kernelINS0_14default_configENS1_29binary_search_config_selectorIsiEEZNS1_14transform_implILb0ES3_S5_N6thrust23THRUST_200600_302600_NS6detail15normal_iteratorINS8_7pointerIsNS8_11hip_rocprim5par_tENS8_11use_defaultESE_EEEENSA_INSB_IiSD_SE_SE_EEEEZNS1_13binary_searchIS3_S5_PsSG_SI_NS1_16binary_search_opENS9_16wrapped_functionINS8_6system6detail7generic6detail18binary_search_lessEbEEEE10hipError_tPvRmT1_T2_T3_mmT4_T5_P12ihipStream_tbEUlRKsE_EEST_SX_SY_mSZ_S12_bEUlT_E_NS1_11comp_targetILNS1_3genE4ELNS1_11target_archE910ELNS1_3gpuE8ELNS1_3repE0EEENS1_30default_config_static_selectorELNS0_4arch9wavefront6targetE0EEEvSW_.num_vgpr, 0
	.set _ZN7rocprim17ROCPRIM_400000_NS6detail17trampoline_kernelINS0_14default_configENS1_29binary_search_config_selectorIsiEEZNS1_14transform_implILb0ES3_S5_N6thrust23THRUST_200600_302600_NS6detail15normal_iteratorINS8_7pointerIsNS8_11hip_rocprim5par_tENS8_11use_defaultESE_EEEENSA_INSB_IiSD_SE_SE_EEEEZNS1_13binary_searchIS3_S5_PsSG_SI_NS1_16binary_search_opENS9_16wrapped_functionINS8_6system6detail7generic6detail18binary_search_lessEbEEEE10hipError_tPvRmT1_T2_T3_mmT4_T5_P12ihipStream_tbEUlRKsE_EEST_SX_SY_mSZ_S12_bEUlT_E_NS1_11comp_targetILNS1_3genE4ELNS1_11target_archE910ELNS1_3gpuE8ELNS1_3repE0EEENS1_30default_config_static_selectorELNS0_4arch9wavefront6targetE0EEEvSW_.num_agpr, 0
	.set _ZN7rocprim17ROCPRIM_400000_NS6detail17trampoline_kernelINS0_14default_configENS1_29binary_search_config_selectorIsiEEZNS1_14transform_implILb0ES3_S5_N6thrust23THRUST_200600_302600_NS6detail15normal_iteratorINS8_7pointerIsNS8_11hip_rocprim5par_tENS8_11use_defaultESE_EEEENSA_INSB_IiSD_SE_SE_EEEEZNS1_13binary_searchIS3_S5_PsSG_SI_NS1_16binary_search_opENS9_16wrapped_functionINS8_6system6detail7generic6detail18binary_search_lessEbEEEE10hipError_tPvRmT1_T2_T3_mmT4_T5_P12ihipStream_tbEUlRKsE_EEST_SX_SY_mSZ_S12_bEUlT_E_NS1_11comp_targetILNS1_3genE4ELNS1_11target_archE910ELNS1_3gpuE8ELNS1_3repE0EEENS1_30default_config_static_selectorELNS0_4arch9wavefront6targetE0EEEvSW_.numbered_sgpr, 0
	.set _ZN7rocprim17ROCPRIM_400000_NS6detail17trampoline_kernelINS0_14default_configENS1_29binary_search_config_selectorIsiEEZNS1_14transform_implILb0ES3_S5_N6thrust23THRUST_200600_302600_NS6detail15normal_iteratorINS8_7pointerIsNS8_11hip_rocprim5par_tENS8_11use_defaultESE_EEEENSA_INSB_IiSD_SE_SE_EEEEZNS1_13binary_searchIS3_S5_PsSG_SI_NS1_16binary_search_opENS9_16wrapped_functionINS8_6system6detail7generic6detail18binary_search_lessEbEEEE10hipError_tPvRmT1_T2_T3_mmT4_T5_P12ihipStream_tbEUlRKsE_EEST_SX_SY_mSZ_S12_bEUlT_E_NS1_11comp_targetILNS1_3genE4ELNS1_11target_archE910ELNS1_3gpuE8ELNS1_3repE0EEENS1_30default_config_static_selectorELNS0_4arch9wavefront6targetE0EEEvSW_.num_named_barrier, 0
	.set _ZN7rocprim17ROCPRIM_400000_NS6detail17trampoline_kernelINS0_14default_configENS1_29binary_search_config_selectorIsiEEZNS1_14transform_implILb0ES3_S5_N6thrust23THRUST_200600_302600_NS6detail15normal_iteratorINS8_7pointerIsNS8_11hip_rocprim5par_tENS8_11use_defaultESE_EEEENSA_INSB_IiSD_SE_SE_EEEEZNS1_13binary_searchIS3_S5_PsSG_SI_NS1_16binary_search_opENS9_16wrapped_functionINS8_6system6detail7generic6detail18binary_search_lessEbEEEE10hipError_tPvRmT1_T2_T3_mmT4_T5_P12ihipStream_tbEUlRKsE_EEST_SX_SY_mSZ_S12_bEUlT_E_NS1_11comp_targetILNS1_3genE4ELNS1_11target_archE910ELNS1_3gpuE8ELNS1_3repE0EEENS1_30default_config_static_selectorELNS0_4arch9wavefront6targetE0EEEvSW_.private_seg_size, 0
	.set _ZN7rocprim17ROCPRIM_400000_NS6detail17trampoline_kernelINS0_14default_configENS1_29binary_search_config_selectorIsiEEZNS1_14transform_implILb0ES3_S5_N6thrust23THRUST_200600_302600_NS6detail15normal_iteratorINS8_7pointerIsNS8_11hip_rocprim5par_tENS8_11use_defaultESE_EEEENSA_INSB_IiSD_SE_SE_EEEEZNS1_13binary_searchIS3_S5_PsSG_SI_NS1_16binary_search_opENS9_16wrapped_functionINS8_6system6detail7generic6detail18binary_search_lessEbEEEE10hipError_tPvRmT1_T2_T3_mmT4_T5_P12ihipStream_tbEUlRKsE_EEST_SX_SY_mSZ_S12_bEUlT_E_NS1_11comp_targetILNS1_3genE4ELNS1_11target_archE910ELNS1_3gpuE8ELNS1_3repE0EEENS1_30default_config_static_selectorELNS0_4arch9wavefront6targetE0EEEvSW_.uses_vcc, 0
	.set _ZN7rocprim17ROCPRIM_400000_NS6detail17trampoline_kernelINS0_14default_configENS1_29binary_search_config_selectorIsiEEZNS1_14transform_implILb0ES3_S5_N6thrust23THRUST_200600_302600_NS6detail15normal_iteratorINS8_7pointerIsNS8_11hip_rocprim5par_tENS8_11use_defaultESE_EEEENSA_INSB_IiSD_SE_SE_EEEEZNS1_13binary_searchIS3_S5_PsSG_SI_NS1_16binary_search_opENS9_16wrapped_functionINS8_6system6detail7generic6detail18binary_search_lessEbEEEE10hipError_tPvRmT1_T2_T3_mmT4_T5_P12ihipStream_tbEUlRKsE_EEST_SX_SY_mSZ_S12_bEUlT_E_NS1_11comp_targetILNS1_3genE4ELNS1_11target_archE910ELNS1_3gpuE8ELNS1_3repE0EEENS1_30default_config_static_selectorELNS0_4arch9wavefront6targetE0EEEvSW_.uses_flat_scratch, 0
	.set _ZN7rocprim17ROCPRIM_400000_NS6detail17trampoline_kernelINS0_14default_configENS1_29binary_search_config_selectorIsiEEZNS1_14transform_implILb0ES3_S5_N6thrust23THRUST_200600_302600_NS6detail15normal_iteratorINS8_7pointerIsNS8_11hip_rocprim5par_tENS8_11use_defaultESE_EEEENSA_INSB_IiSD_SE_SE_EEEEZNS1_13binary_searchIS3_S5_PsSG_SI_NS1_16binary_search_opENS9_16wrapped_functionINS8_6system6detail7generic6detail18binary_search_lessEbEEEE10hipError_tPvRmT1_T2_T3_mmT4_T5_P12ihipStream_tbEUlRKsE_EEST_SX_SY_mSZ_S12_bEUlT_E_NS1_11comp_targetILNS1_3genE4ELNS1_11target_archE910ELNS1_3gpuE8ELNS1_3repE0EEENS1_30default_config_static_selectorELNS0_4arch9wavefront6targetE0EEEvSW_.has_dyn_sized_stack, 0
	.set _ZN7rocprim17ROCPRIM_400000_NS6detail17trampoline_kernelINS0_14default_configENS1_29binary_search_config_selectorIsiEEZNS1_14transform_implILb0ES3_S5_N6thrust23THRUST_200600_302600_NS6detail15normal_iteratorINS8_7pointerIsNS8_11hip_rocprim5par_tENS8_11use_defaultESE_EEEENSA_INSB_IiSD_SE_SE_EEEEZNS1_13binary_searchIS3_S5_PsSG_SI_NS1_16binary_search_opENS9_16wrapped_functionINS8_6system6detail7generic6detail18binary_search_lessEbEEEE10hipError_tPvRmT1_T2_T3_mmT4_T5_P12ihipStream_tbEUlRKsE_EEST_SX_SY_mSZ_S12_bEUlT_E_NS1_11comp_targetILNS1_3genE4ELNS1_11target_archE910ELNS1_3gpuE8ELNS1_3repE0EEENS1_30default_config_static_selectorELNS0_4arch9wavefront6targetE0EEEvSW_.has_recursion, 0
	.set _ZN7rocprim17ROCPRIM_400000_NS6detail17trampoline_kernelINS0_14default_configENS1_29binary_search_config_selectorIsiEEZNS1_14transform_implILb0ES3_S5_N6thrust23THRUST_200600_302600_NS6detail15normal_iteratorINS8_7pointerIsNS8_11hip_rocprim5par_tENS8_11use_defaultESE_EEEENSA_INSB_IiSD_SE_SE_EEEEZNS1_13binary_searchIS3_S5_PsSG_SI_NS1_16binary_search_opENS9_16wrapped_functionINS8_6system6detail7generic6detail18binary_search_lessEbEEEE10hipError_tPvRmT1_T2_T3_mmT4_T5_P12ihipStream_tbEUlRKsE_EEST_SX_SY_mSZ_S12_bEUlT_E_NS1_11comp_targetILNS1_3genE4ELNS1_11target_archE910ELNS1_3gpuE8ELNS1_3repE0EEENS1_30default_config_static_selectorELNS0_4arch9wavefront6targetE0EEEvSW_.has_indirect_call, 0
	.section	.AMDGPU.csdata,"",@progbits
; Kernel info:
; codeLenInByte = 0
; TotalNumSgprs: 0
; NumVgprs: 0
; ScratchSize: 0
; MemoryBound: 0
; FloatMode: 240
; IeeeMode: 1
; LDSByteSize: 0 bytes/workgroup (compile time only)
; SGPRBlocks: 0
; VGPRBlocks: 0
; NumSGPRsForWavesPerEU: 1
; NumVGPRsForWavesPerEU: 1
; Occupancy: 16
; WaveLimiterHint : 0
; COMPUTE_PGM_RSRC2:SCRATCH_EN: 0
; COMPUTE_PGM_RSRC2:USER_SGPR: 6
; COMPUTE_PGM_RSRC2:TRAP_HANDLER: 0
; COMPUTE_PGM_RSRC2:TGID_X_EN: 1
; COMPUTE_PGM_RSRC2:TGID_Y_EN: 0
; COMPUTE_PGM_RSRC2:TGID_Z_EN: 0
; COMPUTE_PGM_RSRC2:TIDIG_COMP_CNT: 0
	.section	.text._ZN7rocprim17ROCPRIM_400000_NS6detail17trampoline_kernelINS0_14default_configENS1_29binary_search_config_selectorIsiEEZNS1_14transform_implILb0ES3_S5_N6thrust23THRUST_200600_302600_NS6detail15normal_iteratorINS8_7pointerIsNS8_11hip_rocprim5par_tENS8_11use_defaultESE_EEEENSA_INSB_IiSD_SE_SE_EEEEZNS1_13binary_searchIS3_S5_PsSG_SI_NS1_16binary_search_opENS9_16wrapped_functionINS8_6system6detail7generic6detail18binary_search_lessEbEEEE10hipError_tPvRmT1_T2_T3_mmT4_T5_P12ihipStream_tbEUlRKsE_EEST_SX_SY_mSZ_S12_bEUlT_E_NS1_11comp_targetILNS1_3genE3ELNS1_11target_archE908ELNS1_3gpuE7ELNS1_3repE0EEENS1_30default_config_static_selectorELNS0_4arch9wavefront6targetE0EEEvSW_,"axG",@progbits,_ZN7rocprim17ROCPRIM_400000_NS6detail17trampoline_kernelINS0_14default_configENS1_29binary_search_config_selectorIsiEEZNS1_14transform_implILb0ES3_S5_N6thrust23THRUST_200600_302600_NS6detail15normal_iteratorINS8_7pointerIsNS8_11hip_rocprim5par_tENS8_11use_defaultESE_EEEENSA_INSB_IiSD_SE_SE_EEEEZNS1_13binary_searchIS3_S5_PsSG_SI_NS1_16binary_search_opENS9_16wrapped_functionINS8_6system6detail7generic6detail18binary_search_lessEbEEEE10hipError_tPvRmT1_T2_T3_mmT4_T5_P12ihipStream_tbEUlRKsE_EEST_SX_SY_mSZ_S12_bEUlT_E_NS1_11comp_targetILNS1_3genE3ELNS1_11target_archE908ELNS1_3gpuE7ELNS1_3repE0EEENS1_30default_config_static_selectorELNS0_4arch9wavefront6targetE0EEEvSW_,comdat
	.protected	_ZN7rocprim17ROCPRIM_400000_NS6detail17trampoline_kernelINS0_14default_configENS1_29binary_search_config_selectorIsiEEZNS1_14transform_implILb0ES3_S5_N6thrust23THRUST_200600_302600_NS6detail15normal_iteratorINS8_7pointerIsNS8_11hip_rocprim5par_tENS8_11use_defaultESE_EEEENSA_INSB_IiSD_SE_SE_EEEEZNS1_13binary_searchIS3_S5_PsSG_SI_NS1_16binary_search_opENS9_16wrapped_functionINS8_6system6detail7generic6detail18binary_search_lessEbEEEE10hipError_tPvRmT1_T2_T3_mmT4_T5_P12ihipStream_tbEUlRKsE_EEST_SX_SY_mSZ_S12_bEUlT_E_NS1_11comp_targetILNS1_3genE3ELNS1_11target_archE908ELNS1_3gpuE7ELNS1_3repE0EEENS1_30default_config_static_selectorELNS0_4arch9wavefront6targetE0EEEvSW_ ; -- Begin function _ZN7rocprim17ROCPRIM_400000_NS6detail17trampoline_kernelINS0_14default_configENS1_29binary_search_config_selectorIsiEEZNS1_14transform_implILb0ES3_S5_N6thrust23THRUST_200600_302600_NS6detail15normal_iteratorINS8_7pointerIsNS8_11hip_rocprim5par_tENS8_11use_defaultESE_EEEENSA_INSB_IiSD_SE_SE_EEEEZNS1_13binary_searchIS3_S5_PsSG_SI_NS1_16binary_search_opENS9_16wrapped_functionINS8_6system6detail7generic6detail18binary_search_lessEbEEEE10hipError_tPvRmT1_T2_T3_mmT4_T5_P12ihipStream_tbEUlRKsE_EEST_SX_SY_mSZ_S12_bEUlT_E_NS1_11comp_targetILNS1_3genE3ELNS1_11target_archE908ELNS1_3gpuE7ELNS1_3repE0EEENS1_30default_config_static_selectorELNS0_4arch9wavefront6targetE0EEEvSW_
	.globl	_ZN7rocprim17ROCPRIM_400000_NS6detail17trampoline_kernelINS0_14default_configENS1_29binary_search_config_selectorIsiEEZNS1_14transform_implILb0ES3_S5_N6thrust23THRUST_200600_302600_NS6detail15normal_iteratorINS8_7pointerIsNS8_11hip_rocprim5par_tENS8_11use_defaultESE_EEEENSA_INSB_IiSD_SE_SE_EEEEZNS1_13binary_searchIS3_S5_PsSG_SI_NS1_16binary_search_opENS9_16wrapped_functionINS8_6system6detail7generic6detail18binary_search_lessEbEEEE10hipError_tPvRmT1_T2_T3_mmT4_T5_P12ihipStream_tbEUlRKsE_EEST_SX_SY_mSZ_S12_bEUlT_E_NS1_11comp_targetILNS1_3genE3ELNS1_11target_archE908ELNS1_3gpuE7ELNS1_3repE0EEENS1_30default_config_static_selectorELNS0_4arch9wavefront6targetE0EEEvSW_
	.p2align	8
	.type	_ZN7rocprim17ROCPRIM_400000_NS6detail17trampoline_kernelINS0_14default_configENS1_29binary_search_config_selectorIsiEEZNS1_14transform_implILb0ES3_S5_N6thrust23THRUST_200600_302600_NS6detail15normal_iteratorINS8_7pointerIsNS8_11hip_rocprim5par_tENS8_11use_defaultESE_EEEENSA_INSB_IiSD_SE_SE_EEEEZNS1_13binary_searchIS3_S5_PsSG_SI_NS1_16binary_search_opENS9_16wrapped_functionINS8_6system6detail7generic6detail18binary_search_lessEbEEEE10hipError_tPvRmT1_T2_T3_mmT4_T5_P12ihipStream_tbEUlRKsE_EEST_SX_SY_mSZ_S12_bEUlT_E_NS1_11comp_targetILNS1_3genE3ELNS1_11target_archE908ELNS1_3gpuE7ELNS1_3repE0EEENS1_30default_config_static_selectorELNS0_4arch9wavefront6targetE0EEEvSW_,@function
_ZN7rocprim17ROCPRIM_400000_NS6detail17trampoline_kernelINS0_14default_configENS1_29binary_search_config_selectorIsiEEZNS1_14transform_implILb0ES3_S5_N6thrust23THRUST_200600_302600_NS6detail15normal_iteratorINS8_7pointerIsNS8_11hip_rocprim5par_tENS8_11use_defaultESE_EEEENSA_INSB_IiSD_SE_SE_EEEEZNS1_13binary_searchIS3_S5_PsSG_SI_NS1_16binary_search_opENS9_16wrapped_functionINS8_6system6detail7generic6detail18binary_search_lessEbEEEE10hipError_tPvRmT1_T2_T3_mmT4_T5_P12ihipStream_tbEUlRKsE_EEST_SX_SY_mSZ_S12_bEUlT_E_NS1_11comp_targetILNS1_3genE3ELNS1_11target_archE908ELNS1_3gpuE7ELNS1_3repE0EEENS1_30default_config_static_selectorELNS0_4arch9wavefront6targetE0EEEvSW_: ; @_ZN7rocprim17ROCPRIM_400000_NS6detail17trampoline_kernelINS0_14default_configENS1_29binary_search_config_selectorIsiEEZNS1_14transform_implILb0ES3_S5_N6thrust23THRUST_200600_302600_NS6detail15normal_iteratorINS8_7pointerIsNS8_11hip_rocprim5par_tENS8_11use_defaultESE_EEEENSA_INSB_IiSD_SE_SE_EEEEZNS1_13binary_searchIS3_S5_PsSG_SI_NS1_16binary_search_opENS9_16wrapped_functionINS8_6system6detail7generic6detail18binary_search_lessEbEEEE10hipError_tPvRmT1_T2_T3_mmT4_T5_P12ihipStream_tbEUlRKsE_EEST_SX_SY_mSZ_S12_bEUlT_E_NS1_11comp_targetILNS1_3genE3ELNS1_11target_archE908ELNS1_3gpuE7ELNS1_3repE0EEENS1_30default_config_static_selectorELNS0_4arch9wavefront6targetE0EEEvSW_
; %bb.0:
	.section	.rodata,"a",@progbits
	.p2align	6, 0x0
	.amdhsa_kernel _ZN7rocprim17ROCPRIM_400000_NS6detail17trampoline_kernelINS0_14default_configENS1_29binary_search_config_selectorIsiEEZNS1_14transform_implILb0ES3_S5_N6thrust23THRUST_200600_302600_NS6detail15normal_iteratorINS8_7pointerIsNS8_11hip_rocprim5par_tENS8_11use_defaultESE_EEEENSA_INSB_IiSD_SE_SE_EEEEZNS1_13binary_searchIS3_S5_PsSG_SI_NS1_16binary_search_opENS9_16wrapped_functionINS8_6system6detail7generic6detail18binary_search_lessEbEEEE10hipError_tPvRmT1_T2_T3_mmT4_T5_P12ihipStream_tbEUlRKsE_EEST_SX_SY_mSZ_S12_bEUlT_E_NS1_11comp_targetILNS1_3genE3ELNS1_11target_archE908ELNS1_3gpuE7ELNS1_3repE0EEENS1_30default_config_static_selectorELNS0_4arch9wavefront6targetE0EEEvSW_
		.amdhsa_group_segment_fixed_size 0
		.amdhsa_private_segment_fixed_size 0
		.amdhsa_kernarg_size 56
		.amdhsa_user_sgpr_count 6
		.amdhsa_user_sgpr_private_segment_buffer 1
		.amdhsa_user_sgpr_dispatch_ptr 0
		.amdhsa_user_sgpr_queue_ptr 0
		.amdhsa_user_sgpr_kernarg_segment_ptr 1
		.amdhsa_user_sgpr_dispatch_id 0
		.amdhsa_user_sgpr_flat_scratch_init 0
		.amdhsa_user_sgpr_private_segment_size 0
		.amdhsa_wavefront_size32 1
		.amdhsa_uses_dynamic_stack 0
		.amdhsa_system_sgpr_private_segment_wavefront_offset 0
		.amdhsa_system_sgpr_workgroup_id_x 1
		.amdhsa_system_sgpr_workgroup_id_y 0
		.amdhsa_system_sgpr_workgroup_id_z 0
		.amdhsa_system_sgpr_workgroup_info 0
		.amdhsa_system_vgpr_workitem_id 0
		.amdhsa_next_free_vgpr 1
		.amdhsa_next_free_sgpr 1
		.amdhsa_reserve_vcc 0
		.amdhsa_reserve_flat_scratch 0
		.amdhsa_float_round_mode_32 0
		.amdhsa_float_round_mode_16_64 0
		.amdhsa_float_denorm_mode_32 3
		.amdhsa_float_denorm_mode_16_64 3
		.amdhsa_dx10_clamp 1
		.amdhsa_ieee_mode 1
		.amdhsa_fp16_overflow 0
		.amdhsa_workgroup_processor_mode 1
		.amdhsa_memory_ordered 1
		.amdhsa_forward_progress 1
		.amdhsa_shared_vgpr_count 0
		.amdhsa_exception_fp_ieee_invalid_op 0
		.amdhsa_exception_fp_denorm_src 0
		.amdhsa_exception_fp_ieee_div_zero 0
		.amdhsa_exception_fp_ieee_overflow 0
		.amdhsa_exception_fp_ieee_underflow 0
		.amdhsa_exception_fp_ieee_inexact 0
		.amdhsa_exception_int_div_zero 0
	.end_amdhsa_kernel
	.section	.text._ZN7rocprim17ROCPRIM_400000_NS6detail17trampoline_kernelINS0_14default_configENS1_29binary_search_config_selectorIsiEEZNS1_14transform_implILb0ES3_S5_N6thrust23THRUST_200600_302600_NS6detail15normal_iteratorINS8_7pointerIsNS8_11hip_rocprim5par_tENS8_11use_defaultESE_EEEENSA_INSB_IiSD_SE_SE_EEEEZNS1_13binary_searchIS3_S5_PsSG_SI_NS1_16binary_search_opENS9_16wrapped_functionINS8_6system6detail7generic6detail18binary_search_lessEbEEEE10hipError_tPvRmT1_T2_T3_mmT4_T5_P12ihipStream_tbEUlRKsE_EEST_SX_SY_mSZ_S12_bEUlT_E_NS1_11comp_targetILNS1_3genE3ELNS1_11target_archE908ELNS1_3gpuE7ELNS1_3repE0EEENS1_30default_config_static_selectorELNS0_4arch9wavefront6targetE0EEEvSW_,"axG",@progbits,_ZN7rocprim17ROCPRIM_400000_NS6detail17trampoline_kernelINS0_14default_configENS1_29binary_search_config_selectorIsiEEZNS1_14transform_implILb0ES3_S5_N6thrust23THRUST_200600_302600_NS6detail15normal_iteratorINS8_7pointerIsNS8_11hip_rocprim5par_tENS8_11use_defaultESE_EEEENSA_INSB_IiSD_SE_SE_EEEEZNS1_13binary_searchIS3_S5_PsSG_SI_NS1_16binary_search_opENS9_16wrapped_functionINS8_6system6detail7generic6detail18binary_search_lessEbEEEE10hipError_tPvRmT1_T2_T3_mmT4_T5_P12ihipStream_tbEUlRKsE_EEST_SX_SY_mSZ_S12_bEUlT_E_NS1_11comp_targetILNS1_3genE3ELNS1_11target_archE908ELNS1_3gpuE7ELNS1_3repE0EEENS1_30default_config_static_selectorELNS0_4arch9wavefront6targetE0EEEvSW_,comdat
.Lfunc_end316:
	.size	_ZN7rocprim17ROCPRIM_400000_NS6detail17trampoline_kernelINS0_14default_configENS1_29binary_search_config_selectorIsiEEZNS1_14transform_implILb0ES3_S5_N6thrust23THRUST_200600_302600_NS6detail15normal_iteratorINS8_7pointerIsNS8_11hip_rocprim5par_tENS8_11use_defaultESE_EEEENSA_INSB_IiSD_SE_SE_EEEEZNS1_13binary_searchIS3_S5_PsSG_SI_NS1_16binary_search_opENS9_16wrapped_functionINS8_6system6detail7generic6detail18binary_search_lessEbEEEE10hipError_tPvRmT1_T2_T3_mmT4_T5_P12ihipStream_tbEUlRKsE_EEST_SX_SY_mSZ_S12_bEUlT_E_NS1_11comp_targetILNS1_3genE3ELNS1_11target_archE908ELNS1_3gpuE7ELNS1_3repE0EEENS1_30default_config_static_selectorELNS0_4arch9wavefront6targetE0EEEvSW_, .Lfunc_end316-_ZN7rocprim17ROCPRIM_400000_NS6detail17trampoline_kernelINS0_14default_configENS1_29binary_search_config_selectorIsiEEZNS1_14transform_implILb0ES3_S5_N6thrust23THRUST_200600_302600_NS6detail15normal_iteratorINS8_7pointerIsNS8_11hip_rocprim5par_tENS8_11use_defaultESE_EEEENSA_INSB_IiSD_SE_SE_EEEEZNS1_13binary_searchIS3_S5_PsSG_SI_NS1_16binary_search_opENS9_16wrapped_functionINS8_6system6detail7generic6detail18binary_search_lessEbEEEE10hipError_tPvRmT1_T2_T3_mmT4_T5_P12ihipStream_tbEUlRKsE_EEST_SX_SY_mSZ_S12_bEUlT_E_NS1_11comp_targetILNS1_3genE3ELNS1_11target_archE908ELNS1_3gpuE7ELNS1_3repE0EEENS1_30default_config_static_selectorELNS0_4arch9wavefront6targetE0EEEvSW_
                                        ; -- End function
	.set _ZN7rocprim17ROCPRIM_400000_NS6detail17trampoline_kernelINS0_14default_configENS1_29binary_search_config_selectorIsiEEZNS1_14transform_implILb0ES3_S5_N6thrust23THRUST_200600_302600_NS6detail15normal_iteratorINS8_7pointerIsNS8_11hip_rocprim5par_tENS8_11use_defaultESE_EEEENSA_INSB_IiSD_SE_SE_EEEEZNS1_13binary_searchIS3_S5_PsSG_SI_NS1_16binary_search_opENS9_16wrapped_functionINS8_6system6detail7generic6detail18binary_search_lessEbEEEE10hipError_tPvRmT1_T2_T3_mmT4_T5_P12ihipStream_tbEUlRKsE_EEST_SX_SY_mSZ_S12_bEUlT_E_NS1_11comp_targetILNS1_3genE3ELNS1_11target_archE908ELNS1_3gpuE7ELNS1_3repE0EEENS1_30default_config_static_selectorELNS0_4arch9wavefront6targetE0EEEvSW_.num_vgpr, 0
	.set _ZN7rocprim17ROCPRIM_400000_NS6detail17trampoline_kernelINS0_14default_configENS1_29binary_search_config_selectorIsiEEZNS1_14transform_implILb0ES3_S5_N6thrust23THRUST_200600_302600_NS6detail15normal_iteratorINS8_7pointerIsNS8_11hip_rocprim5par_tENS8_11use_defaultESE_EEEENSA_INSB_IiSD_SE_SE_EEEEZNS1_13binary_searchIS3_S5_PsSG_SI_NS1_16binary_search_opENS9_16wrapped_functionINS8_6system6detail7generic6detail18binary_search_lessEbEEEE10hipError_tPvRmT1_T2_T3_mmT4_T5_P12ihipStream_tbEUlRKsE_EEST_SX_SY_mSZ_S12_bEUlT_E_NS1_11comp_targetILNS1_3genE3ELNS1_11target_archE908ELNS1_3gpuE7ELNS1_3repE0EEENS1_30default_config_static_selectorELNS0_4arch9wavefront6targetE0EEEvSW_.num_agpr, 0
	.set _ZN7rocprim17ROCPRIM_400000_NS6detail17trampoline_kernelINS0_14default_configENS1_29binary_search_config_selectorIsiEEZNS1_14transform_implILb0ES3_S5_N6thrust23THRUST_200600_302600_NS6detail15normal_iteratorINS8_7pointerIsNS8_11hip_rocprim5par_tENS8_11use_defaultESE_EEEENSA_INSB_IiSD_SE_SE_EEEEZNS1_13binary_searchIS3_S5_PsSG_SI_NS1_16binary_search_opENS9_16wrapped_functionINS8_6system6detail7generic6detail18binary_search_lessEbEEEE10hipError_tPvRmT1_T2_T3_mmT4_T5_P12ihipStream_tbEUlRKsE_EEST_SX_SY_mSZ_S12_bEUlT_E_NS1_11comp_targetILNS1_3genE3ELNS1_11target_archE908ELNS1_3gpuE7ELNS1_3repE0EEENS1_30default_config_static_selectorELNS0_4arch9wavefront6targetE0EEEvSW_.numbered_sgpr, 0
	.set _ZN7rocprim17ROCPRIM_400000_NS6detail17trampoline_kernelINS0_14default_configENS1_29binary_search_config_selectorIsiEEZNS1_14transform_implILb0ES3_S5_N6thrust23THRUST_200600_302600_NS6detail15normal_iteratorINS8_7pointerIsNS8_11hip_rocprim5par_tENS8_11use_defaultESE_EEEENSA_INSB_IiSD_SE_SE_EEEEZNS1_13binary_searchIS3_S5_PsSG_SI_NS1_16binary_search_opENS9_16wrapped_functionINS8_6system6detail7generic6detail18binary_search_lessEbEEEE10hipError_tPvRmT1_T2_T3_mmT4_T5_P12ihipStream_tbEUlRKsE_EEST_SX_SY_mSZ_S12_bEUlT_E_NS1_11comp_targetILNS1_3genE3ELNS1_11target_archE908ELNS1_3gpuE7ELNS1_3repE0EEENS1_30default_config_static_selectorELNS0_4arch9wavefront6targetE0EEEvSW_.num_named_barrier, 0
	.set _ZN7rocprim17ROCPRIM_400000_NS6detail17trampoline_kernelINS0_14default_configENS1_29binary_search_config_selectorIsiEEZNS1_14transform_implILb0ES3_S5_N6thrust23THRUST_200600_302600_NS6detail15normal_iteratorINS8_7pointerIsNS8_11hip_rocprim5par_tENS8_11use_defaultESE_EEEENSA_INSB_IiSD_SE_SE_EEEEZNS1_13binary_searchIS3_S5_PsSG_SI_NS1_16binary_search_opENS9_16wrapped_functionINS8_6system6detail7generic6detail18binary_search_lessEbEEEE10hipError_tPvRmT1_T2_T3_mmT4_T5_P12ihipStream_tbEUlRKsE_EEST_SX_SY_mSZ_S12_bEUlT_E_NS1_11comp_targetILNS1_3genE3ELNS1_11target_archE908ELNS1_3gpuE7ELNS1_3repE0EEENS1_30default_config_static_selectorELNS0_4arch9wavefront6targetE0EEEvSW_.private_seg_size, 0
	.set _ZN7rocprim17ROCPRIM_400000_NS6detail17trampoline_kernelINS0_14default_configENS1_29binary_search_config_selectorIsiEEZNS1_14transform_implILb0ES3_S5_N6thrust23THRUST_200600_302600_NS6detail15normal_iteratorINS8_7pointerIsNS8_11hip_rocprim5par_tENS8_11use_defaultESE_EEEENSA_INSB_IiSD_SE_SE_EEEEZNS1_13binary_searchIS3_S5_PsSG_SI_NS1_16binary_search_opENS9_16wrapped_functionINS8_6system6detail7generic6detail18binary_search_lessEbEEEE10hipError_tPvRmT1_T2_T3_mmT4_T5_P12ihipStream_tbEUlRKsE_EEST_SX_SY_mSZ_S12_bEUlT_E_NS1_11comp_targetILNS1_3genE3ELNS1_11target_archE908ELNS1_3gpuE7ELNS1_3repE0EEENS1_30default_config_static_selectorELNS0_4arch9wavefront6targetE0EEEvSW_.uses_vcc, 0
	.set _ZN7rocprim17ROCPRIM_400000_NS6detail17trampoline_kernelINS0_14default_configENS1_29binary_search_config_selectorIsiEEZNS1_14transform_implILb0ES3_S5_N6thrust23THRUST_200600_302600_NS6detail15normal_iteratorINS8_7pointerIsNS8_11hip_rocprim5par_tENS8_11use_defaultESE_EEEENSA_INSB_IiSD_SE_SE_EEEEZNS1_13binary_searchIS3_S5_PsSG_SI_NS1_16binary_search_opENS9_16wrapped_functionINS8_6system6detail7generic6detail18binary_search_lessEbEEEE10hipError_tPvRmT1_T2_T3_mmT4_T5_P12ihipStream_tbEUlRKsE_EEST_SX_SY_mSZ_S12_bEUlT_E_NS1_11comp_targetILNS1_3genE3ELNS1_11target_archE908ELNS1_3gpuE7ELNS1_3repE0EEENS1_30default_config_static_selectorELNS0_4arch9wavefront6targetE0EEEvSW_.uses_flat_scratch, 0
	.set _ZN7rocprim17ROCPRIM_400000_NS6detail17trampoline_kernelINS0_14default_configENS1_29binary_search_config_selectorIsiEEZNS1_14transform_implILb0ES3_S5_N6thrust23THRUST_200600_302600_NS6detail15normal_iteratorINS8_7pointerIsNS8_11hip_rocprim5par_tENS8_11use_defaultESE_EEEENSA_INSB_IiSD_SE_SE_EEEEZNS1_13binary_searchIS3_S5_PsSG_SI_NS1_16binary_search_opENS9_16wrapped_functionINS8_6system6detail7generic6detail18binary_search_lessEbEEEE10hipError_tPvRmT1_T2_T3_mmT4_T5_P12ihipStream_tbEUlRKsE_EEST_SX_SY_mSZ_S12_bEUlT_E_NS1_11comp_targetILNS1_3genE3ELNS1_11target_archE908ELNS1_3gpuE7ELNS1_3repE0EEENS1_30default_config_static_selectorELNS0_4arch9wavefront6targetE0EEEvSW_.has_dyn_sized_stack, 0
	.set _ZN7rocprim17ROCPRIM_400000_NS6detail17trampoline_kernelINS0_14default_configENS1_29binary_search_config_selectorIsiEEZNS1_14transform_implILb0ES3_S5_N6thrust23THRUST_200600_302600_NS6detail15normal_iteratorINS8_7pointerIsNS8_11hip_rocprim5par_tENS8_11use_defaultESE_EEEENSA_INSB_IiSD_SE_SE_EEEEZNS1_13binary_searchIS3_S5_PsSG_SI_NS1_16binary_search_opENS9_16wrapped_functionINS8_6system6detail7generic6detail18binary_search_lessEbEEEE10hipError_tPvRmT1_T2_T3_mmT4_T5_P12ihipStream_tbEUlRKsE_EEST_SX_SY_mSZ_S12_bEUlT_E_NS1_11comp_targetILNS1_3genE3ELNS1_11target_archE908ELNS1_3gpuE7ELNS1_3repE0EEENS1_30default_config_static_selectorELNS0_4arch9wavefront6targetE0EEEvSW_.has_recursion, 0
	.set _ZN7rocprim17ROCPRIM_400000_NS6detail17trampoline_kernelINS0_14default_configENS1_29binary_search_config_selectorIsiEEZNS1_14transform_implILb0ES3_S5_N6thrust23THRUST_200600_302600_NS6detail15normal_iteratorINS8_7pointerIsNS8_11hip_rocprim5par_tENS8_11use_defaultESE_EEEENSA_INSB_IiSD_SE_SE_EEEEZNS1_13binary_searchIS3_S5_PsSG_SI_NS1_16binary_search_opENS9_16wrapped_functionINS8_6system6detail7generic6detail18binary_search_lessEbEEEE10hipError_tPvRmT1_T2_T3_mmT4_T5_P12ihipStream_tbEUlRKsE_EEST_SX_SY_mSZ_S12_bEUlT_E_NS1_11comp_targetILNS1_3genE3ELNS1_11target_archE908ELNS1_3gpuE7ELNS1_3repE0EEENS1_30default_config_static_selectorELNS0_4arch9wavefront6targetE0EEEvSW_.has_indirect_call, 0
	.section	.AMDGPU.csdata,"",@progbits
; Kernel info:
; codeLenInByte = 0
; TotalNumSgprs: 0
; NumVgprs: 0
; ScratchSize: 0
; MemoryBound: 0
; FloatMode: 240
; IeeeMode: 1
; LDSByteSize: 0 bytes/workgroup (compile time only)
; SGPRBlocks: 0
; VGPRBlocks: 0
; NumSGPRsForWavesPerEU: 1
; NumVGPRsForWavesPerEU: 1
; Occupancy: 16
; WaveLimiterHint : 0
; COMPUTE_PGM_RSRC2:SCRATCH_EN: 0
; COMPUTE_PGM_RSRC2:USER_SGPR: 6
; COMPUTE_PGM_RSRC2:TRAP_HANDLER: 0
; COMPUTE_PGM_RSRC2:TGID_X_EN: 1
; COMPUTE_PGM_RSRC2:TGID_Y_EN: 0
; COMPUTE_PGM_RSRC2:TGID_Z_EN: 0
; COMPUTE_PGM_RSRC2:TIDIG_COMP_CNT: 0
	.section	.text._ZN7rocprim17ROCPRIM_400000_NS6detail17trampoline_kernelINS0_14default_configENS1_29binary_search_config_selectorIsiEEZNS1_14transform_implILb0ES3_S5_N6thrust23THRUST_200600_302600_NS6detail15normal_iteratorINS8_7pointerIsNS8_11hip_rocprim5par_tENS8_11use_defaultESE_EEEENSA_INSB_IiSD_SE_SE_EEEEZNS1_13binary_searchIS3_S5_PsSG_SI_NS1_16binary_search_opENS9_16wrapped_functionINS8_6system6detail7generic6detail18binary_search_lessEbEEEE10hipError_tPvRmT1_T2_T3_mmT4_T5_P12ihipStream_tbEUlRKsE_EEST_SX_SY_mSZ_S12_bEUlT_E_NS1_11comp_targetILNS1_3genE2ELNS1_11target_archE906ELNS1_3gpuE6ELNS1_3repE0EEENS1_30default_config_static_selectorELNS0_4arch9wavefront6targetE0EEEvSW_,"axG",@progbits,_ZN7rocprim17ROCPRIM_400000_NS6detail17trampoline_kernelINS0_14default_configENS1_29binary_search_config_selectorIsiEEZNS1_14transform_implILb0ES3_S5_N6thrust23THRUST_200600_302600_NS6detail15normal_iteratorINS8_7pointerIsNS8_11hip_rocprim5par_tENS8_11use_defaultESE_EEEENSA_INSB_IiSD_SE_SE_EEEEZNS1_13binary_searchIS3_S5_PsSG_SI_NS1_16binary_search_opENS9_16wrapped_functionINS8_6system6detail7generic6detail18binary_search_lessEbEEEE10hipError_tPvRmT1_T2_T3_mmT4_T5_P12ihipStream_tbEUlRKsE_EEST_SX_SY_mSZ_S12_bEUlT_E_NS1_11comp_targetILNS1_3genE2ELNS1_11target_archE906ELNS1_3gpuE6ELNS1_3repE0EEENS1_30default_config_static_selectorELNS0_4arch9wavefront6targetE0EEEvSW_,comdat
	.protected	_ZN7rocprim17ROCPRIM_400000_NS6detail17trampoline_kernelINS0_14default_configENS1_29binary_search_config_selectorIsiEEZNS1_14transform_implILb0ES3_S5_N6thrust23THRUST_200600_302600_NS6detail15normal_iteratorINS8_7pointerIsNS8_11hip_rocprim5par_tENS8_11use_defaultESE_EEEENSA_INSB_IiSD_SE_SE_EEEEZNS1_13binary_searchIS3_S5_PsSG_SI_NS1_16binary_search_opENS9_16wrapped_functionINS8_6system6detail7generic6detail18binary_search_lessEbEEEE10hipError_tPvRmT1_T2_T3_mmT4_T5_P12ihipStream_tbEUlRKsE_EEST_SX_SY_mSZ_S12_bEUlT_E_NS1_11comp_targetILNS1_3genE2ELNS1_11target_archE906ELNS1_3gpuE6ELNS1_3repE0EEENS1_30default_config_static_selectorELNS0_4arch9wavefront6targetE0EEEvSW_ ; -- Begin function _ZN7rocprim17ROCPRIM_400000_NS6detail17trampoline_kernelINS0_14default_configENS1_29binary_search_config_selectorIsiEEZNS1_14transform_implILb0ES3_S5_N6thrust23THRUST_200600_302600_NS6detail15normal_iteratorINS8_7pointerIsNS8_11hip_rocprim5par_tENS8_11use_defaultESE_EEEENSA_INSB_IiSD_SE_SE_EEEEZNS1_13binary_searchIS3_S5_PsSG_SI_NS1_16binary_search_opENS9_16wrapped_functionINS8_6system6detail7generic6detail18binary_search_lessEbEEEE10hipError_tPvRmT1_T2_T3_mmT4_T5_P12ihipStream_tbEUlRKsE_EEST_SX_SY_mSZ_S12_bEUlT_E_NS1_11comp_targetILNS1_3genE2ELNS1_11target_archE906ELNS1_3gpuE6ELNS1_3repE0EEENS1_30default_config_static_selectorELNS0_4arch9wavefront6targetE0EEEvSW_
	.globl	_ZN7rocprim17ROCPRIM_400000_NS6detail17trampoline_kernelINS0_14default_configENS1_29binary_search_config_selectorIsiEEZNS1_14transform_implILb0ES3_S5_N6thrust23THRUST_200600_302600_NS6detail15normal_iteratorINS8_7pointerIsNS8_11hip_rocprim5par_tENS8_11use_defaultESE_EEEENSA_INSB_IiSD_SE_SE_EEEEZNS1_13binary_searchIS3_S5_PsSG_SI_NS1_16binary_search_opENS9_16wrapped_functionINS8_6system6detail7generic6detail18binary_search_lessEbEEEE10hipError_tPvRmT1_T2_T3_mmT4_T5_P12ihipStream_tbEUlRKsE_EEST_SX_SY_mSZ_S12_bEUlT_E_NS1_11comp_targetILNS1_3genE2ELNS1_11target_archE906ELNS1_3gpuE6ELNS1_3repE0EEENS1_30default_config_static_selectorELNS0_4arch9wavefront6targetE0EEEvSW_
	.p2align	8
	.type	_ZN7rocprim17ROCPRIM_400000_NS6detail17trampoline_kernelINS0_14default_configENS1_29binary_search_config_selectorIsiEEZNS1_14transform_implILb0ES3_S5_N6thrust23THRUST_200600_302600_NS6detail15normal_iteratorINS8_7pointerIsNS8_11hip_rocprim5par_tENS8_11use_defaultESE_EEEENSA_INSB_IiSD_SE_SE_EEEEZNS1_13binary_searchIS3_S5_PsSG_SI_NS1_16binary_search_opENS9_16wrapped_functionINS8_6system6detail7generic6detail18binary_search_lessEbEEEE10hipError_tPvRmT1_T2_T3_mmT4_T5_P12ihipStream_tbEUlRKsE_EEST_SX_SY_mSZ_S12_bEUlT_E_NS1_11comp_targetILNS1_3genE2ELNS1_11target_archE906ELNS1_3gpuE6ELNS1_3repE0EEENS1_30default_config_static_selectorELNS0_4arch9wavefront6targetE0EEEvSW_,@function
_ZN7rocprim17ROCPRIM_400000_NS6detail17trampoline_kernelINS0_14default_configENS1_29binary_search_config_selectorIsiEEZNS1_14transform_implILb0ES3_S5_N6thrust23THRUST_200600_302600_NS6detail15normal_iteratorINS8_7pointerIsNS8_11hip_rocprim5par_tENS8_11use_defaultESE_EEEENSA_INSB_IiSD_SE_SE_EEEEZNS1_13binary_searchIS3_S5_PsSG_SI_NS1_16binary_search_opENS9_16wrapped_functionINS8_6system6detail7generic6detail18binary_search_lessEbEEEE10hipError_tPvRmT1_T2_T3_mmT4_T5_P12ihipStream_tbEUlRKsE_EEST_SX_SY_mSZ_S12_bEUlT_E_NS1_11comp_targetILNS1_3genE2ELNS1_11target_archE906ELNS1_3gpuE6ELNS1_3repE0EEENS1_30default_config_static_selectorELNS0_4arch9wavefront6targetE0EEEvSW_: ; @_ZN7rocprim17ROCPRIM_400000_NS6detail17trampoline_kernelINS0_14default_configENS1_29binary_search_config_selectorIsiEEZNS1_14transform_implILb0ES3_S5_N6thrust23THRUST_200600_302600_NS6detail15normal_iteratorINS8_7pointerIsNS8_11hip_rocprim5par_tENS8_11use_defaultESE_EEEENSA_INSB_IiSD_SE_SE_EEEEZNS1_13binary_searchIS3_S5_PsSG_SI_NS1_16binary_search_opENS9_16wrapped_functionINS8_6system6detail7generic6detail18binary_search_lessEbEEEE10hipError_tPvRmT1_T2_T3_mmT4_T5_P12ihipStream_tbEUlRKsE_EEST_SX_SY_mSZ_S12_bEUlT_E_NS1_11comp_targetILNS1_3genE2ELNS1_11target_archE906ELNS1_3gpuE6ELNS1_3repE0EEENS1_30default_config_static_selectorELNS0_4arch9wavefront6targetE0EEEvSW_
; %bb.0:
	.section	.rodata,"a",@progbits
	.p2align	6, 0x0
	.amdhsa_kernel _ZN7rocprim17ROCPRIM_400000_NS6detail17trampoline_kernelINS0_14default_configENS1_29binary_search_config_selectorIsiEEZNS1_14transform_implILb0ES3_S5_N6thrust23THRUST_200600_302600_NS6detail15normal_iteratorINS8_7pointerIsNS8_11hip_rocprim5par_tENS8_11use_defaultESE_EEEENSA_INSB_IiSD_SE_SE_EEEEZNS1_13binary_searchIS3_S5_PsSG_SI_NS1_16binary_search_opENS9_16wrapped_functionINS8_6system6detail7generic6detail18binary_search_lessEbEEEE10hipError_tPvRmT1_T2_T3_mmT4_T5_P12ihipStream_tbEUlRKsE_EEST_SX_SY_mSZ_S12_bEUlT_E_NS1_11comp_targetILNS1_3genE2ELNS1_11target_archE906ELNS1_3gpuE6ELNS1_3repE0EEENS1_30default_config_static_selectorELNS0_4arch9wavefront6targetE0EEEvSW_
		.amdhsa_group_segment_fixed_size 0
		.amdhsa_private_segment_fixed_size 0
		.amdhsa_kernarg_size 56
		.amdhsa_user_sgpr_count 6
		.amdhsa_user_sgpr_private_segment_buffer 1
		.amdhsa_user_sgpr_dispatch_ptr 0
		.amdhsa_user_sgpr_queue_ptr 0
		.amdhsa_user_sgpr_kernarg_segment_ptr 1
		.amdhsa_user_sgpr_dispatch_id 0
		.amdhsa_user_sgpr_flat_scratch_init 0
		.amdhsa_user_sgpr_private_segment_size 0
		.amdhsa_wavefront_size32 1
		.amdhsa_uses_dynamic_stack 0
		.amdhsa_system_sgpr_private_segment_wavefront_offset 0
		.amdhsa_system_sgpr_workgroup_id_x 1
		.amdhsa_system_sgpr_workgroup_id_y 0
		.amdhsa_system_sgpr_workgroup_id_z 0
		.amdhsa_system_sgpr_workgroup_info 0
		.amdhsa_system_vgpr_workitem_id 0
		.amdhsa_next_free_vgpr 1
		.amdhsa_next_free_sgpr 1
		.amdhsa_reserve_vcc 0
		.amdhsa_reserve_flat_scratch 0
		.amdhsa_float_round_mode_32 0
		.amdhsa_float_round_mode_16_64 0
		.amdhsa_float_denorm_mode_32 3
		.amdhsa_float_denorm_mode_16_64 3
		.amdhsa_dx10_clamp 1
		.amdhsa_ieee_mode 1
		.amdhsa_fp16_overflow 0
		.amdhsa_workgroup_processor_mode 1
		.amdhsa_memory_ordered 1
		.amdhsa_forward_progress 1
		.amdhsa_shared_vgpr_count 0
		.amdhsa_exception_fp_ieee_invalid_op 0
		.amdhsa_exception_fp_denorm_src 0
		.amdhsa_exception_fp_ieee_div_zero 0
		.amdhsa_exception_fp_ieee_overflow 0
		.amdhsa_exception_fp_ieee_underflow 0
		.amdhsa_exception_fp_ieee_inexact 0
		.amdhsa_exception_int_div_zero 0
	.end_amdhsa_kernel
	.section	.text._ZN7rocprim17ROCPRIM_400000_NS6detail17trampoline_kernelINS0_14default_configENS1_29binary_search_config_selectorIsiEEZNS1_14transform_implILb0ES3_S5_N6thrust23THRUST_200600_302600_NS6detail15normal_iteratorINS8_7pointerIsNS8_11hip_rocprim5par_tENS8_11use_defaultESE_EEEENSA_INSB_IiSD_SE_SE_EEEEZNS1_13binary_searchIS3_S5_PsSG_SI_NS1_16binary_search_opENS9_16wrapped_functionINS8_6system6detail7generic6detail18binary_search_lessEbEEEE10hipError_tPvRmT1_T2_T3_mmT4_T5_P12ihipStream_tbEUlRKsE_EEST_SX_SY_mSZ_S12_bEUlT_E_NS1_11comp_targetILNS1_3genE2ELNS1_11target_archE906ELNS1_3gpuE6ELNS1_3repE0EEENS1_30default_config_static_selectorELNS0_4arch9wavefront6targetE0EEEvSW_,"axG",@progbits,_ZN7rocprim17ROCPRIM_400000_NS6detail17trampoline_kernelINS0_14default_configENS1_29binary_search_config_selectorIsiEEZNS1_14transform_implILb0ES3_S5_N6thrust23THRUST_200600_302600_NS6detail15normal_iteratorINS8_7pointerIsNS8_11hip_rocprim5par_tENS8_11use_defaultESE_EEEENSA_INSB_IiSD_SE_SE_EEEEZNS1_13binary_searchIS3_S5_PsSG_SI_NS1_16binary_search_opENS9_16wrapped_functionINS8_6system6detail7generic6detail18binary_search_lessEbEEEE10hipError_tPvRmT1_T2_T3_mmT4_T5_P12ihipStream_tbEUlRKsE_EEST_SX_SY_mSZ_S12_bEUlT_E_NS1_11comp_targetILNS1_3genE2ELNS1_11target_archE906ELNS1_3gpuE6ELNS1_3repE0EEENS1_30default_config_static_selectorELNS0_4arch9wavefront6targetE0EEEvSW_,comdat
.Lfunc_end317:
	.size	_ZN7rocprim17ROCPRIM_400000_NS6detail17trampoline_kernelINS0_14default_configENS1_29binary_search_config_selectorIsiEEZNS1_14transform_implILb0ES3_S5_N6thrust23THRUST_200600_302600_NS6detail15normal_iteratorINS8_7pointerIsNS8_11hip_rocprim5par_tENS8_11use_defaultESE_EEEENSA_INSB_IiSD_SE_SE_EEEEZNS1_13binary_searchIS3_S5_PsSG_SI_NS1_16binary_search_opENS9_16wrapped_functionINS8_6system6detail7generic6detail18binary_search_lessEbEEEE10hipError_tPvRmT1_T2_T3_mmT4_T5_P12ihipStream_tbEUlRKsE_EEST_SX_SY_mSZ_S12_bEUlT_E_NS1_11comp_targetILNS1_3genE2ELNS1_11target_archE906ELNS1_3gpuE6ELNS1_3repE0EEENS1_30default_config_static_selectorELNS0_4arch9wavefront6targetE0EEEvSW_, .Lfunc_end317-_ZN7rocprim17ROCPRIM_400000_NS6detail17trampoline_kernelINS0_14default_configENS1_29binary_search_config_selectorIsiEEZNS1_14transform_implILb0ES3_S5_N6thrust23THRUST_200600_302600_NS6detail15normal_iteratorINS8_7pointerIsNS8_11hip_rocprim5par_tENS8_11use_defaultESE_EEEENSA_INSB_IiSD_SE_SE_EEEEZNS1_13binary_searchIS3_S5_PsSG_SI_NS1_16binary_search_opENS9_16wrapped_functionINS8_6system6detail7generic6detail18binary_search_lessEbEEEE10hipError_tPvRmT1_T2_T3_mmT4_T5_P12ihipStream_tbEUlRKsE_EEST_SX_SY_mSZ_S12_bEUlT_E_NS1_11comp_targetILNS1_3genE2ELNS1_11target_archE906ELNS1_3gpuE6ELNS1_3repE0EEENS1_30default_config_static_selectorELNS0_4arch9wavefront6targetE0EEEvSW_
                                        ; -- End function
	.set _ZN7rocprim17ROCPRIM_400000_NS6detail17trampoline_kernelINS0_14default_configENS1_29binary_search_config_selectorIsiEEZNS1_14transform_implILb0ES3_S5_N6thrust23THRUST_200600_302600_NS6detail15normal_iteratorINS8_7pointerIsNS8_11hip_rocprim5par_tENS8_11use_defaultESE_EEEENSA_INSB_IiSD_SE_SE_EEEEZNS1_13binary_searchIS3_S5_PsSG_SI_NS1_16binary_search_opENS9_16wrapped_functionINS8_6system6detail7generic6detail18binary_search_lessEbEEEE10hipError_tPvRmT1_T2_T3_mmT4_T5_P12ihipStream_tbEUlRKsE_EEST_SX_SY_mSZ_S12_bEUlT_E_NS1_11comp_targetILNS1_3genE2ELNS1_11target_archE906ELNS1_3gpuE6ELNS1_3repE0EEENS1_30default_config_static_selectorELNS0_4arch9wavefront6targetE0EEEvSW_.num_vgpr, 0
	.set _ZN7rocprim17ROCPRIM_400000_NS6detail17trampoline_kernelINS0_14default_configENS1_29binary_search_config_selectorIsiEEZNS1_14transform_implILb0ES3_S5_N6thrust23THRUST_200600_302600_NS6detail15normal_iteratorINS8_7pointerIsNS8_11hip_rocprim5par_tENS8_11use_defaultESE_EEEENSA_INSB_IiSD_SE_SE_EEEEZNS1_13binary_searchIS3_S5_PsSG_SI_NS1_16binary_search_opENS9_16wrapped_functionINS8_6system6detail7generic6detail18binary_search_lessEbEEEE10hipError_tPvRmT1_T2_T3_mmT4_T5_P12ihipStream_tbEUlRKsE_EEST_SX_SY_mSZ_S12_bEUlT_E_NS1_11comp_targetILNS1_3genE2ELNS1_11target_archE906ELNS1_3gpuE6ELNS1_3repE0EEENS1_30default_config_static_selectorELNS0_4arch9wavefront6targetE0EEEvSW_.num_agpr, 0
	.set _ZN7rocprim17ROCPRIM_400000_NS6detail17trampoline_kernelINS0_14default_configENS1_29binary_search_config_selectorIsiEEZNS1_14transform_implILb0ES3_S5_N6thrust23THRUST_200600_302600_NS6detail15normal_iteratorINS8_7pointerIsNS8_11hip_rocprim5par_tENS8_11use_defaultESE_EEEENSA_INSB_IiSD_SE_SE_EEEEZNS1_13binary_searchIS3_S5_PsSG_SI_NS1_16binary_search_opENS9_16wrapped_functionINS8_6system6detail7generic6detail18binary_search_lessEbEEEE10hipError_tPvRmT1_T2_T3_mmT4_T5_P12ihipStream_tbEUlRKsE_EEST_SX_SY_mSZ_S12_bEUlT_E_NS1_11comp_targetILNS1_3genE2ELNS1_11target_archE906ELNS1_3gpuE6ELNS1_3repE0EEENS1_30default_config_static_selectorELNS0_4arch9wavefront6targetE0EEEvSW_.numbered_sgpr, 0
	.set _ZN7rocprim17ROCPRIM_400000_NS6detail17trampoline_kernelINS0_14default_configENS1_29binary_search_config_selectorIsiEEZNS1_14transform_implILb0ES3_S5_N6thrust23THRUST_200600_302600_NS6detail15normal_iteratorINS8_7pointerIsNS8_11hip_rocprim5par_tENS8_11use_defaultESE_EEEENSA_INSB_IiSD_SE_SE_EEEEZNS1_13binary_searchIS3_S5_PsSG_SI_NS1_16binary_search_opENS9_16wrapped_functionINS8_6system6detail7generic6detail18binary_search_lessEbEEEE10hipError_tPvRmT1_T2_T3_mmT4_T5_P12ihipStream_tbEUlRKsE_EEST_SX_SY_mSZ_S12_bEUlT_E_NS1_11comp_targetILNS1_3genE2ELNS1_11target_archE906ELNS1_3gpuE6ELNS1_3repE0EEENS1_30default_config_static_selectorELNS0_4arch9wavefront6targetE0EEEvSW_.num_named_barrier, 0
	.set _ZN7rocprim17ROCPRIM_400000_NS6detail17trampoline_kernelINS0_14default_configENS1_29binary_search_config_selectorIsiEEZNS1_14transform_implILb0ES3_S5_N6thrust23THRUST_200600_302600_NS6detail15normal_iteratorINS8_7pointerIsNS8_11hip_rocprim5par_tENS8_11use_defaultESE_EEEENSA_INSB_IiSD_SE_SE_EEEEZNS1_13binary_searchIS3_S5_PsSG_SI_NS1_16binary_search_opENS9_16wrapped_functionINS8_6system6detail7generic6detail18binary_search_lessEbEEEE10hipError_tPvRmT1_T2_T3_mmT4_T5_P12ihipStream_tbEUlRKsE_EEST_SX_SY_mSZ_S12_bEUlT_E_NS1_11comp_targetILNS1_3genE2ELNS1_11target_archE906ELNS1_3gpuE6ELNS1_3repE0EEENS1_30default_config_static_selectorELNS0_4arch9wavefront6targetE0EEEvSW_.private_seg_size, 0
	.set _ZN7rocprim17ROCPRIM_400000_NS6detail17trampoline_kernelINS0_14default_configENS1_29binary_search_config_selectorIsiEEZNS1_14transform_implILb0ES3_S5_N6thrust23THRUST_200600_302600_NS6detail15normal_iteratorINS8_7pointerIsNS8_11hip_rocprim5par_tENS8_11use_defaultESE_EEEENSA_INSB_IiSD_SE_SE_EEEEZNS1_13binary_searchIS3_S5_PsSG_SI_NS1_16binary_search_opENS9_16wrapped_functionINS8_6system6detail7generic6detail18binary_search_lessEbEEEE10hipError_tPvRmT1_T2_T3_mmT4_T5_P12ihipStream_tbEUlRKsE_EEST_SX_SY_mSZ_S12_bEUlT_E_NS1_11comp_targetILNS1_3genE2ELNS1_11target_archE906ELNS1_3gpuE6ELNS1_3repE0EEENS1_30default_config_static_selectorELNS0_4arch9wavefront6targetE0EEEvSW_.uses_vcc, 0
	.set _ZN7rocprim17ROCPRIM_400000_NS6detail17trampoline_kernelINS0_14default_configENS1_29binary_search_config_selectorIsiEEZNS1_14transform_implILb0ES3_S5_N6thrust23THRUST_200600_302600_NS6detail15normal_iteratorINS8_7pointerIsNS8_11hip_rocprim5par_tENS8_11use_defaultESE_EEEENSA_INSB_IiSD_SE_SE_EEEEZNS1_13binary_searchIS3_S5_PsSG_SI_NS1_16binary_search_opENS9_16wrapped_functionINS8_6system6detail7generic6detail18binary_search_lessEbEEEE10hipError_tPvRmT1_T2_T3_mmT4_T5_P12ihipStream_tbEUlRKsE_EEST_SX_SY_mSZ_S12_bEUlT_E_NS1_11comp_targetILNS1_3genE2ELNS1_11target_archE906ELNS1_3gpuE6ELNS1_3repE0EEENS1_30default_config_static_selectorELNS0_4arch9wavefront6targetE0EEEvSW_.uses_flat_scratch, 0
	.set _ZN7rocprim17ROCPRIM_400000_NS6detail17trampoline_kernelINS0_14default_configENS1_29binary_search_config_selectorIsiEEZNS1_14transform_implILb0ES3_S5_N6thrust23THRUST_200600_302600_NS6detail15normal_iteratorINS8_7pointerIsNS8_11hip_rocprim5par_tENS8_11use_defaultESE_EEEENSA_INSB_IiSD_SE_SE_EEEEZNS1_13binary_searchIS3_S5_PsSG_SI_NS1_16binary_search_opENS9_16wrapped_functionINS8_6system6detail7generic6detail18binary_search_lessEbEEEE10hipError_tPvRmT1_T2_T3_mmT4_T5_P12ihipStream_tbEUlRKsE_EEST_SX_SY_mSZ_S12_bEUlT_E_NS1_11comp_targetILNS1_3genE2ELNS1_11target_archE906ELNS1_3gpuE6ELNS1_3repE0EEENS1_30default_config_static_selectorELNS0_4arch9wavefront6targetE0EEEvSW_.has_dyn_sized_stack, 0
	.set _ZN7rocprim17ROCPRIM_400000_NS6detail17trampoline_kernelINS0_14default_configENS1_29binary_search_config_selectorIsiEEZNS1_14transform_implILb0ES3_S5_N6thrust23THRUST_200600_302600_NS6detail15normal_iteratorINS8_7pointerIsNS8_11hip_rocprim5par_tENS8_11use_defaultESE_EEEENSA_INSB_IiSD_SE_SE_EEEEZNS1_13binary_searchIS3_S5_PsSG_SI_NS1_16binary_search_opENS9_16wrapped_functionINS8_6system6detail7generic6detail18binary_search_lessEbEEEE10hipError_tPvRmT1_T2_T3_mmT4_T5_P12ihipStream_tbEUlRKsE_EEST_SX_SY_mSZ_S12_bEUlT_E_NS1_11comp_targetILNS1_3genE2ELNS1_11target_archE906ELNS1_3gpuE6ELNS1_3repE0EEENS1_30default_config_static_selectorELNS0_4arch9wavefront6targetE0EEEvSW_.has_recursion, 0
	.set _ZN7rocprim17ROCPRIM_400000_NS6detail17trampoline_kernelINS0_14default_configENS1_29binary_search_config_selectorIsiEEZNS1_14transform_implILb0ES3_S5_N6thrust23THRUST_200600_302600_NS6detail15normal_iteratorINS8_7pointerIsNS8_11hip_rocprim5par_tENS8_11use_defaultESE_EEEENSA_INSB_IiSD_SE_SE_EEEEZNS1_13binary_searchIS3_S5_PsSG_SI_NS1_16binary_search_opENS9_16wrapped_functionINS8_6system6detail7generic6detail18binary_search_lessEbEEEE10hipError_tPvRmT1_T2_T3_mmT4_T5_P12ihipStream_tbEUlRKsE_EEST_SX_SY_mSZ_S12_bEUlT_E_NS1_11comp_targetILNS1_3genE2ELNS1_11target_archE906ELNS1_3gpuE6ELNS1_3repE0EEENS1_30default_config_static_selectorELNS0_4arch9wavefront6targetE0EEEvSW_.has_indirect_call, 0
	.section	.AMDGPU.csdata,"",@progbits
; Kernel info:
; codeLenInByte = 0
; TotalNumSgprs: 0
; NumVgprs: 0
; ScratchSize: 0
; MemoryBound: 0
; FloatMode: 240
; IeeeMode: 1
; LDSByteSize: 0 bytes/workgroup (compile time only)
; SGPRBlocks: 0
; VGPRBlocks: 0
; NumSGPRsForWavesPerEU: 1
; NumVGPRsForWavesPerEU: 1
; Occupancy: 16
; WaveLimiterHint : 0
; COMPUTE_PGM_RSRC2:SCRATCH_EN: 0
; COMPUTE_PGM_RSRC2:USER_SGPR: 6
; COMPUTE_PGM_RSRC2:TRAP_HANDLER: 0
; COMPUTE_PGM_RSRC2:TGID_X_EN: 1
; COMPUTE_PGM_RSRC2:TGID_Y_EN: 0
; COMPUTE_PGM_RSRC2:TGID_Z_EN: 0
; COMPUTE_PGM_RSRC2:TIDIG_COMP_CNT: 0
	.section	.text._ZN7rocprim17ROCPRIM_400000_NS6detail17trampoline_kernelINS0_14default_configENS1_29binary_search_config_selectorIsiEEZNS1_14transform_implILb0ES3_S5_N6thrust23THRUST_200600_302600_NS6detail15normal_iteratorINS8_7pointerIsNS8_11hip_rocprim5par_tENS8_11use_defaultESE_EEEENSA_INSB_IiSD_SE_SE_EEEEZNS1_13binary_searchIS3_S5_PsSG_SI_NS1_16binary_search_opENS9_16wrapped_functionINS8_6system6detail7generic6detail18binary_search_lessEbEEEE10hipError_tPvRmT1_T2_T3_mmT4_T5_P12ihipStream_tbEUlRKsE_EEST_SX_SY_mSZ_S12_bEUlT_E_NS1_11comp_targetILNS1_3genE10ELNS1_11target_archE1201ELNS1_3gpuE5ELNS1_3repE0EEENS1_30default_config_static_selectorELNS0_4arch9wavefront6targetE0EEEvSW_,"axG",@progbits,_ZN7rocprim17ROCPRIM_400000_NS6detail17trampoline_kernelINS0_14default_configENS1_29binary_search_config_selectorIsiEEZNS1_14transform_implILb0ES3_S5_N6thrust23THRUST_200600_302600_NS6detail15normal_iteratorINS8_7pointerIsNS8_11hip_rocprim5par_tENS8_11use_defaultESE_EEEENSA_INSB_IiSD_SE_SE_EEEEZNS1_13binary_searchIS3_S5_PsSG_SI_NS1_16binary_search_opENS9_16wrapped_functionINS8_6system6detail7generic6detail18binary_search_lessEbEEEE10hipError_tPvRmT1_T2_T3_mmT4_T5_P12ihipStream_tbEUlRKsE_EEST_SX_SY_mSZ_S12_bEUlT_E_NS1_11comp_targetILNS1_3genE10ELNS1_11target_archE1201ELNS1_3gpuE5ELNS1_3repE0EEENS1_30default_config_static_selectorELNS0_4arch9wavefront6targetE0EEEvSW_,comdat
	.protected	_ZN7rocprim17ROCPRIM_400000_NS6detail17trampoline_kernelINS0_14default_configENS1_29binary_search_config_selectorIsiEEZNS1_14transform_implILb0ES3_S5_N6thrust23THRUST_200600_302600_NS6detail15normal_iteratorINS8_7pointerIsNS8_11hip_rocprim5par_tENS8_11use_defaultESE_EEEENSA_INSB_IiSD_SE_SE_EEEEZNS1_13binary_searchIS3_S5_PsSG_SI_NS1_16binary_search_opENS9_16wrapped_functionINS8_6system6detail7generic6detail18binary_search_lessEbEEEE10hipError_tPvRmT1_T2_T3_mmT4_T5_P12ihipStream_tbEUlRKsE_EEST_SX_SY_mSZ_S12_bEUlT_E_NS1_11comp_targetILNS1_3genE10ELNS1_11target_archE1201ELNS1_3gpuE5ELNS1_3repE0EEENS1_30default_config_static_selectorELNS0_4arch9wavefront6targetE0EEEvSW_ ; -- Begin function _ZN7rocprim17ROCPRIM_400000_NS6detail17trampoline_kernelINS0_14default_configENS1_29binary_search_config_selectorIsiEEZNS1_14transform_implILb0ES3_S5_N6thrust23THRUST_200600_302600_NS6detail15normal_iteratorINS8_7pointerIsNS8_11hip_rocprim5par_tENS8_11use_defaultESE_EEEENSA_INSB_IiSD_SE_SE_EEEEZNS1_13binary_searchIS3_S5_PsSG_SI_NS1_16binary_search_opENS9_16wrapped_functionINS8_6system6detail7generic6detail18binary_search_lessEbEEEE10hipError_tPvRmT1_T2_T3_mmT4_T5_P12ihipStream_tbEUlRKsE_EEST_SX_SY_mSZ_S12_bEUlT_E_NS1_11comp_targetILNS1_3genE10ELNS1_11target_archE1201ELNS1_3gpuE5ELNS1_3repE0EEENS1_30default_config_static_selectorELNS0_4arch9wavefront6targetE0EEEvSW_
	.globl	_ZN7rocprim17ROCPRIM_400000_NS6detail17trampoline_kernelINS0_14default_configENS1_29binary_search_config_selectorIsiEEZNS1_14transform_implILb0ES3_S5_N6thrust23THRUST_200600_302600_NS6detail15normal_iteratorINS8_7pointerIsNS8_11hip_rocprim5par_tENS8_11use_defaultESE_EEEENSA_INSB_IiSD_SE_SE_EEEEZNS1_13binary_searchIS3_S5_PsSG_SI_NS1_16binary_search_opENS9_16wrapped_functionINS8_6system6detail7generic6detail18binary_search_lessEbEEEE10hipError_tPvRmT1_T2_T3_mmT4_T5_P12ihipStream_tbEUlRKsE_EEST_SX_SY_mSZ_S12_bEUlT_E_NS1_11comp_targetILNS1_3genE10ELNS1_11target_archE1201ELNS1_3gpuE5ELNS1_3repE0EEENS1_30default_config_static_selectorELNS0_4arch9wavefront6targetE0EEEvSW_
	.p2align	8
	.type	_ZN7rocprim17ROCPRIM_400000_NS6detail17trampoline_kernelINS0_14default_configENS1_29binary_search_config_selectorIsiEEZNS1_14transform_implILb0ES3_S5_N6thrust23THRUST_200600_302600_NS6detail15normal_iteratorINS8_7pointerIsNS8_11hip_rocprim5par_tENS8_11use_defaultESE_EEEENSA_INSB_IiSD_SE_SE_EEEEZNS1_13binary_searchIS3_S5_PsSG_SI_NS1_16binary_search_opENS9_16wrapped_functionINS8_6system6detail7generic6detail18binary_search_lessEbEEEE10hipError_tPvRmT1_T2_T3_mmT4_T5_P12ihipStream_tbEUlRKsE_EEST_SX_SY_mSZ_S12_bEUlT_E_NS1_11comp_targetILNS1_3genE10ELNS1_11target_archE1201ELNS1_3gpuE5ELNS1_3repE0EEENS1_30default_config_static_selectorELNS0_4arch9wavefront6targetE0EEEvSW_,@function
_ZN7rocprim17ROCPRIM_400000_NS6detail17trampoline_kernelINS0_14default_configENS1_29binary_search_config_selectorIsiEEZNS1_14transform_implILb0ES3_S5_N6thrust23THRUST_200600_302600_NS6detail15normal_iteratorINS8_7pointerIsNS8_11hip_rocprim5par_tENS8_11use_defaultESE_EEEENSA_INSB_IiSD_SE_SE_EEEEZNS1_13binary_searchIS3_S5_PsSG_SI_NS1_16binary_search_opENS9_16wrapped_functionINS8_6system6detail7generic6detail18binary_search_lessEbEEEE10hipError_tPvRmT1_T2_T3_mmT4_T5_P12ihipStream_tbEUlRKsE_EEST_SX_SY_mSZ_S12_bEUlT_E_NS1_11comp_targetILNS1_3genE10ELNS1_11target_archE1201ELNS1_3gpuE5ELNS1_3repE0EEENS1_30default_config_static_selectorELNS0_4arch9wavefront6targetE0EEEvSW_: ; @_ZN7rocprim17ROCPRIM_400000_NS6detail17trampoline_kernelINS0_14default_configENS1_29binary_search_config_selectorIsiEEZNS1_14transform_implILb0ES3_S5_N6thrust23THRUST_200600_302600_NS6detail15normal_iteratorINS8_7pointerIsNS8_11hip_rocprim5par_tENS8_11use_defaultESE_EEEENSA_INSB_IiSD_SE_SE_EEEEZNS1_13binary_searchIS3_S5_PsSG_SI_NS1_16binary_search_opENS9_16wrapped_functionINS8_6system6detail7generic6detail18binary_search_lessEbEEEE10hipError_tPvRmT1_T2_T3_mmT4_T5_P12ihipStream_tbEUlRKsE_EEST_SX_SY_mSZ_S12_bEUlT_E_NS1_11comp_targetILNS1_3genE10ELNS1_11target_archE1201ELNS1_3gpuE5ELNS1_3repE0EEENS1_30default_config_static_selectorELNS0_4arch9wavefront6targetE0EEEvSW_
; %bb.0:
	.section	.rodata,"a",@progbits
	.p2align	6, 0x0
	.amdhsa_kernel _ZN7rocprim17ROCPRIM_400000_NS6detail17trampoline_kernelINS0_14default_configENS1_29binary_search_config_selectorIsiEEZNS1_14transform_implILb0ES3_S5_N6thrust23THRUST_200600_302600_NS6detail15normal_iteratorINS8_7pointerIsNS8_11hip_rocprim5par_tENS8_11use_defaultESE_EEEENSA_INSB_IiSD_SE_SE_EEEEZNS1_13binary_searchIS3_S5_PsSG_SI_NS1_16binary_search_opENS9_16wrapped_functionINS8_6system6detail7generic6detail18binary_search_lessEbEEEE10hipError_tPvRmT1_T2_T3_mmT4_T5_P12ihipStream_tbEUlRKsE_EEST_SX_SY_mSZ_S12_bEUlT_E_NS1_11comp_targetILNS1_3genE10ELNS1_11target_archE1201ELNS1_3gpuE5ELNS1_3repE0EEENS1_30default_config_static_selectorELNS0_4arch9wavefront6targetE0EEEvSW_
		.amdhsa_group_segment_fixed_size 0
		.amdhsa_private_segment_fixed_size 0
		.amdhsa_kernarg_size 56
		.amdhsa_user_sgpr_count 6
		.amdhsa_user_sgpr_private_segment_buffer 1
		.amdhsa_user_sgpr_dispatch_ptr 0
		.amdhsa_user_sgpr_queue_ptr 0
		.amdhsa_user_sgpr_kernarg_segment_ptr 1
		.amdhsa_user_sgpr_dispatch_id 0
		.amdhsa_user_sgpr_flat_scratch_init 0
		.amdhsa_user_sgpr_private_segment_size 0
		.amdhsa_wavefront_size32 1
		.amdhsa_uses_dynamic_stack 0
		.amdhsa_system_sgpr_private_segment_wavefront_offset 0
		.amdhsa_system_sgpr_workgroup_id_x 1
		.amdhsa_system_sgpr_workgroup_id_y 0
		.amdhsa_system_sgpr_workgroup_id_z 0
		.amdhsa_system_sgpr_workgroup_info 0
		.amdhsa_system_vgpr_workitem_id 0
		.amdhsa_next_free_vgpr 1
		.amdhsa_next_free_sgpr 1
		.amdhsa_reserve_vcc 0
		.amdhsa_reserve_flat_scratch 0
		.amdhsa_float_round_mode_32 0
		.amdhsa_float_round_mode_16_64 0
		.amdhsa_float_denorm_mode_32 3
		.amdhsa_float_denorm_mode_16_64 3
		.amdhsa_dx10_clamp 1
		.amdhsa_ieee_mode 1
		.amdhsa_fp16_overflow 0
		.amdhsa_workgroup_processor_mode 1
		.amdhsa_memory_ordered 1
		.amdhsa_forward_progress 1
		.amdhsa_shared_vgpr_count 0
		.amdhsa_exception_fp_ieee_invalid_op 0
		.amdhsa_exception_fp_denorm_src 0
		.amdhsa_exception_fp_ieee_div_zero 0
		.amdhsa_exception_fp_ieee_overflow 0
		.amdhsa_exception_fp_ieee_underflow 0
		.amdhsa_exception_fp_ieee_inexact 0
		.amdhsa_exception_int_div_zero 0
	.end_amdhsa_kernel
	.section	.text._ZN7rocprim17ROCPRIM_400000_NS6detail17trampoline_kernelINS0_14default_configENS1_29binary_search_config_selectorIsiEEZNS1_14transform_implILb0ES3_S5_N6thrust23THRUST_200600_302600_NS6detail15normal_iteratorINS8_7pointerIsNS8_11hip_rocprim5par_tENS8_11use_defaultESE_EEEENSA_INSB_IiSD_SE_SE_EEEEZNS1_13binary_searchIS3_S5_PsSG_SI_NS1_16binary_search_opENS9_16wrapped_functionINS8_6system6detail7generic6detail18binary_search_lessEbEEEE10hipError_tPvRmT1_T2_T3_mmT4_T5_P12ihipStream_tbEUlRKsE_EEST_SX_SY_mSZ_S12_bEUlT_E_NS1_11comp_targetILNS1_3genE10ELNS1_11target_archE1201ELNS1_3gpuE5ELNS1_3repE0EEENS1_30default_config_static_selectorELNS0_4arch9wavefront6targetE0EEEvSW_,"axG",@progbits,_ZN7rocprim17ROCPRIM_400000_NS6detail17trampoline_kernelINS0_14default_configENS1_29binary_search_config_selectorIsiEEZNS1_14transform_implILb0ES3_S5_N6thrust23THRUST_200600_302600_NS6detail15normal_iteratorINS8_7pointerIsNS8_11hip_rocprim5par_tENS8_11use_defaultESE_EEEENSA_INSB_IiSD_SE_SE_EEEEZNS1_13binary_searchIS3_S5_PsSG_SI_NS1_16binary_search_opENS9_16wrapped_functionINS8_6system6detail7generic6detail18binary_search_lessEbEEEE10hipError_tPvRmT1_T2_T3_mmT4_T5_P12ihipStream_tbEUlRKsE_EEST_SX_SY_mSZ_S12_bEUlT_E_NS1_11comp_targetILNS1_3genE10ELNS1_11target_archE1201ELNS1_3gpuE5ELNS1_3repE0EEENS1_30default_config_static_selectorELNS0_4arch9wavefront6targetE0EEEvSW_,comdat
.Lfunc_end318:
	.size	_ZN7rocprim17ROCPRIM_400000_NS6detail17trampoline_kernelINS0_14default_configENS1_29binary_search_config_selectorIsiEEZNS1_14transform_implILb0ES3_S5_N6thrust23THRUST_200600_302600_NS6detail15normal_iteratorINS8_7pointerIsNS8_11hip_rocprim5par_tENS8_11use_defaultESE_EEEENSA_INSB_IiSD_SE_SE_EEEEZNS1_13binary_searchIS3_S5_PsSG_SI_NS1_16binary_search_opENS9_16wrapped_functionINS8_6system6detail7generic6detail18binary_search_lessEbEEEE10hipError_tPvRmT1_T2_T3_mmT4_T5_P12ihipStream_tbEUlRKsE_EEST_SX_SY_mSZ_S12_bEUlT_E_NS1_11comp_targetILNS1_3genE10ELNS1_11target_archE1201ELNS1_3gpuE5ELNS1_3repE0EEENS1_30default_config_static_selectorELNS0_4arch9wavefront6targetE0EEEvSW_, .Lfunc_end318-_ZN7rocprim17ROCPRIM_400000_NS6detail17trampoline_kernelINS0_14default_configENS1_29binary_search_config_selectorIsiEEZNS1_14transform_implILb0ES3_S5_N6thrust23THRUST_200600_302600_NS6detail15normal_iteratorINS8_7pointerIsNS8_11hip_rocprim5par_tENS8_11use_defaultESE_EEEENSA_INSB_IiSD_SE_SE_EEEEZNS1_13binary_searchIS3_S5_PsSG_SI_NS1_16binary_search_opENS9_16wrapped_functionINS8_6system6detail7generic6detail18binary_search_lessEbEEEE10hipError_tPvRmT1_T2_T3_mmT4_T5_P12ihipStream_tbEUlRKsE_EEST_SX_SY_mSZ_S12_bEUlT_E_NS1_11comp_targetILNS1_3genE10ELNS1_11target_archE1201ELNS1_3gpuE5ELNS1_3repE0EEENS1_30default_config_static_selectorELNS0_4arch9wavefront6targetE0EEEvSW_
                                        ; -- End function
	.set _ZN7rocprim17ROCPRIM_400000_NS6detail17trampoline_kernelINS0_14default_configENS1_29binary_search_config_selectorIsiEEZNS1_14transform_implILb0ES3_S5_N6thrust23THRUST_200600_302600_NS6detail15normal_iteratorINS8_7pointerIsNS8_11hip_rocprim5par_tENS8_11use_defaultESE_EEEENSA_INSB_IiSD_SE_SE_EEEEZNS1_13binary_searchIS3_S5_PsSG_SI_NS1_16binary_search_opENS9_16wrapped_functionINS8_6system6detail7generic6detail18binary_search_lessEbEEEE10hipError_tPvRmT1_T2_T3_mmT4_T5_P12ihipStream_tbEUlRKsE_EEST_SX_SY_mSZ_S12_bEUlT_E_NS1_11comp_targetILNS1_3genE10ELNS1_11target_archE1201ELNS1_3gpuE5ELNS1_3repE0EEENS1_30default_config_static_selectorELNS0_4arch9wavefront6targetE0EEEvSW_.num_vgpr, 0
	.set _ZN7rocprim17ROCPRIM_400000_NS6detail17trampoline_kernelINS0_14default_configENS1_29binary_search_config_selectorIsiEEZNS1_14transform_implILb0ES3_S5_N6thrust23THRUST_200600_302600_NS6detail15normal_iteratorINS8_7pointerIsNS8_11hip_rocprim5par_tENS8_11use_defaultESE_EEEENSA_INSB_IiSD_SE_SE_EEEEZNS1_13binary_searchIS3_S5_PsSG_SI_NS1_16binary_search_opENS9_16wrapped_functionINS8_6system6detail7generic6detail18binary_search_lessEbEEEE10hipError_tPvRmT1_T2_T3_mmT4_T5_P12ihipStream_tbEUlRKsE_EEST_SX_SY_mSZ_S12_bEUlT_E_NS1_11comp_targetILNS1_3genE10ELNS1_11target_archE1201ELNS1_3gpuE5ELNS1_3repE0EEENS1_30default_config_static_selectorELNS0_4arch9wavefront6targetE0EEEvSW_.num_agpr, 0
	.set _ZN7rocprim17ROCPRIM_400000_NS6detail17trampoline_kernelINS0_14default_configENS1_29binary_search_config_selectorIsiEEZNS1_14transform_implILb0ES3_S5_N6thrust23THRUST_200600_302600_NS6detail15normal_iteratorINS8_7pointerIsNS8_11hip_rocprim5par_tENS8_11use_defaultESE_EEEENSA_INSB_IiSD_SE_SE_EEEEZNS1_13binary_searchIS3_S5_PsSG_SI_NS1_16binary_search_opENS9_16wrapped_functionINS8_6system6detail7generic6detail18binary_search_lessEbEEEE10hipError_tPvRmT1_T2_T3_mmT4_T5_P12ihipStream_tbEUlRKsE_EEST_SX_SY_mSZ_S12_bEUlT_E_NS1_11comp_targetILNS1_3genE10ELNS1_11target_archE1201ELNS1_3gpuE5ELNS1_3repE0EEENS1_30default_config_static_selectorELNS0_4arch9wavefront6targetE0EEEvSW_.numbered_sgpr, 0
	.set _ZN7rocprim17ROCPRIM_400000_NS6detail17trampoline_kernelINS0_14default_configENS1_29binary_search_config_selectorIsiEEZNS1_14transform_implILb0ES3_S5_N6thrust23THRUST_200600_302600_NS6detail15normal_iteratorINS8_7pointerIsNS8_11hip_rocprim5par_tENS8_11use_defaultESE_EEEENSA_INSB_IiSD_SE_SE_EEEEZNS1_13binary_searchIS3_S5_PsSG_SI_NS1_16binary_search_opENS9_16wrapped_functionINS8_6system6detail7generic6detail18binary_search_lessEbEEEE10hipError_tPvRmT1_T2_T3_mmT4_T5_P12ihipStream_tbEUlRKsE_EEST_SX_SY_mSZ_S12_bEUlT_E_NS1_11comp_targetILNS1_3genE10ELNS1_11target_archE1201ELNS1_3gpuE5ELNS1_3repE0EEENS1_30default_config_static_selectorELNS0_4arch9wavefront6targetE0EEEvSW_.num_named_barrier, 0
	.set _ZN7rocprim17ROCPRIM_400000_NS6detail17trampoline_kernelINS0_14default_configENS1_29binary_search_config_selectorIsiEEZNS1_14transform_implILb0ES3_S5_N6thrust23THRUST_200600_302600_NS6detail15normal_iteratorINS8_7pointerIsNS8_11hip_rocprim5par_tENS8_11use_defaultESE_EEEENSA_INSB_IiSD_SE_SE_EEEEZNS1_13binary_searchIS3_S5_PsSG_SI_NS1_16binary_search_opENS9_16wrapped_functionINS8_6system6detail7generic6detail18binary_search_lessEbEEEE10hipError_tPvRmT1_T2_T3_mmT4_T5_P12ihipStream_tbEUlRKsE_EEST_SX_SY_mSZ_S12_bEUlT_E_NS1_11comp_targetILNS1_3genE10ELNS1_11target_archE1201ELNS1_3gpuE5ELNS1_3repE0EEENS1_30default_config_static_selectorELNS0_4arch9wavefront6targetE0EEEvSW_.private_seg_size, 0
	.set _ZN7rocprim17ROCPRIM_400000_NS6detail17trampoline_kernelINS0_14default_configENS1_29binary_search_config_selectorIsiEEZNS1_14transform_implILb0ES3_S5_N6thrust23THRUST_200600_302600_NS6detail15normal_iteratorINS8_7pointerIsNS8_11hip_rocprim5par_tENS8_11use_defaultESE_EEEENSA_INSB_IiSD_SE_SE_EEEEZNS1_13binary_searchIS3_S5_PsSG_SI_NS1_16binary_search_opENS9_16wrapped_functionINS8_6system6detail7generic6detail18binary_search_lessEbEEEE10hipError_tPvRmT1_T2_T3_mmT4_T5_P12ihipStream_tbEUlRKsE_EEST_SX_SY_mSZ_S12_bEUlT_E_NS1_11comp_targetILNS1_3genE10ELNS1_11target_archE1201ELNS1_3gpuE5ELNS1_3repE0EEENS1_30default_config_static_selectorELNS0_4arch9wavefront6targetE0EEEvSW_.uses_vcc, 0
	.set _ZN7rocprim17ROCPRIM_400000_NS6detail17trampoline_kernelINS0_14default_configENS1_29binary_search_config_selectorIsiEEZNS1_14transform_implILb0ES3_S5_N6thrust23THRUST_200600_302600_NS6detail15normal_iteratorINS8_7pointerIsNS8_11hip_rocprim5par_tENS8_11use_defaultESE_EEEENSA_INSB_IiSD_SE_SE_EEEEZNS1_13binary_searchIS3_S5_PsSG_SI_NS1_16binary_search_opENS9_16wrapped_functionINS8_6system6detail7generic6detail18binary_search_lessEbEEEE10hipError_tPvRmT1_T2_T3_mmT4_T5_P12ihipStream_tbEUlRKsE_EEST_SX_SY_mSZ_S12_bEUlT_E_NS1_11comp_targetILNS1_3genE10ELNS1_11target_archE1201ELNS1_3gpuE5ELNS1_3repE0EEENS1_30default_config_static_selectorELNS0_4arch9wavefront6targetE0EEEvSW_.uses_flat_scratch, 0
	.set _ZN7rocprim17ROCPRIM_400000_NS6detail17trampoline_kernelINS0_14default_configENS1_29binary_search_config_selectorIsiEEZNS1_14transform_implILb0ES3_S5_N6thrust23THRUST_200600_302600_NS6detail15normal_iteratorINS8_7pointerIsNS8_11hip_rocprim5par_tENS8_11use_defaultESE_EEEENSA_INSB_IiSD_SE_SE_EEEEZNS1_13binary_searchIS3_S5_PsSG_SI_NS1_16binary_search_opENS9_16wrapped_functionINS8_6system6detail7generic6detail18binary_search_lessEbEEEE10hipError_tPvRmT1_T2_T3_mmT4_T5_P12ihipStream_tbEUlRKsE_EEST_SX_SY_mSZ_S12_bEUlT_E_NS1_11comp_targetILNS1_3genE10ELNS1_11target_archE1201ELNS1_3gpuE5ELNS1_3repE0EEENS1_30default_config_static_selectorELNS0_4arch9wavefront6targetE0EEEvSW_.has_dyn_sized_stack, 0
	.set _ZN7rocprim17ROCPRIM_400000_NS6detail17trampoline_kernelINS0_14default_configENS1_29binary_search_config_selectorIsiEEZNS1_14transform_implILb0ES3_S5_N6thrust23THRUST_200600_302600_NS6detail15normal_iteratorINS8_7pointerIsNS8_11hip_rocprim5par_tENS8_11use_defaultESE_EEEENSA_INSB_IiSD_SE_SE_EEEEZNS1_13binary_searchIS3_S5_PsSG_SI_NS1_16binary_search_opENS9_16wrapped_functionINS8_6system6detail7generic6detail18binary_search_lessEbEEEE10hipError_tPvRmT1_T2_T3_mmT4_T5_P12ihipStream_tbEUlRKsE_EEST_SX_SY_mSZ_S12_bEUlT_E_NS1_11comp_targetILNS1_3genE10ELNS1_11target_archE1201ELNS1_3gpuE5ELNS1_3repE0EEENS1_30default_config_static_selectorELNS0_4arch9wavefront6targetE0EEEvSW_.has_recursion, 0
	.set _ZN7rocprim17ROCPRIM_400000_NS6detail17trampoline_kernelINS0_14default_configENS1_29binary_search_config_selectorIsiEEZNS1_14transform_implILb0ES3_S5_N6thrust23THRUST_200600_302600_NS6detail15normal_iteratorINS8_7pointerIsNS8_11hip_rocprim5par_tENS8_11use_defaultESE_EEEENSA_INSB_IiSD_SE_SE_EEEEZNS1_13binary_searchIS3_S5_PsSG_SI_NS1_16binary_search_opENS9_16wrapped_functionINS8_6system6detail7generic6detail18binary_search_lessEbEEEE10hipError_tPvRmT1_T2_T3_mmT4_T5_P12ihipStream_tbEUlRKsE_EEST_SX_SY_mSZ_S12_bEUlT_E_NS1_11comp_targetILNS1_3genE10ELNS1_11target_archE1201ELNS1_3gpuE5ELNS1_3repE0EEENS1_30default_config_static_selectorELNS0_4arch9wavefront6targetE0EEEvSW_.has_indirect_call, 0
	.section	.AMDGPU.csdata,"",@progbits
; Kernel info:
; codeLenInByte = 0
; TotalNumSgprs: 0
; NumVgprs: 0
; ScratchSize: 0
; MemoryBound: 0
; FloatMode: 240
; IeeeMode: 1
; LDSByteSize: 0 bytes/workgroup (compile time only)
; SGPRBlocks: 0
; VGPRBlocks: 0
; NumSGPRsForWavesPerEU: 1
; NumVGPRsForWavesPerEU: 1
; Occupancy: 16
; WaveLimiterHint : 0
; COMPUTE_PGM_RSRC2:SCRATCH_EN: 0
; COMPUTE_PGM_RSRC2:USER_SGPR: 6
; COMPUTE_PGM_RSRC2:TRAP_HANDLER: 0
; COMPUTE_PGM_RSRC2:TGID_X_EN: 1
; COMPUTE_PGM_RSRC2:TGID_Y_EN: 0
; COMPUTE_PGM_RSRC2:TGID_Z_EN: 0
; COMPUTE_PGM_RSRC2:TIDIG_COMP_CNT: 0
	.section	.text._ZN7rocprim17ROCPRIM_400000_NS6detail17trampoline_kernelINS0_14default_configENS1_29binary_search_config_selectorIsiEEZNS1_14transform_implILb0ES3_S5_N6thrust23THRUST_200600_302600_NS6detail15normal_iteratorINS8_7pointerIsNS8_11hip_rocprim5par_tENS8_11use_defaultESE_EEEENSA_INSB_IiSD_SE_SE_EEEEZNS1_13binary_searchIS3_S5_PsSG_SI_NS1_16binary_search_opENS9_16wrapped_functionINS8_6system6detail7generic6detail18binary_search_lessEbEEEE10hipError_tPvRmT1_T2_T3_mmT4_T5_P12ihipStream_tbEUlRKsE_EEST_SX_SY_mSZ_S12_bEUlT_E_NS1_11comp_targetILNS1_3genE10ELNS1_11target_archE1200ELNS1_3gpuE4ELNS1_3repE0EEENS1_30default_config_static_selectorELNS0_4arch9wavefront6targetE0EEEvSW_,"axG",@progbits,_ZN7rocprim17ROCPRIM_400000_NS6detail17trampoline_kernelINS0_14default_configENS1_29binary_search_config_selectorIsiEEZNS1_14transform_implILb0ES3_S5_N6thrust23THRUST_200600_302600_NS6detail15normal_iteratorINS8_7pointerIsNS8_11hip_rocprim5par_tENS8_11use_defaultESE_EEEENSA_INSB_IiSD_SE_SE_EEEEZNS1_13binary_searchIS3_S5_PsSG_SI_NS1_16binary_search_opENS9_16wrapped_functionINS8_6system6detail7generic6detail18binary_search_lessEbEEEE10hipError_tPvRmT1_T2_T3_mmT4_T5_P12ihipStream_tbEUlRKsE_EEST_SX_SY_mSZ_S12_bEUlT_E_NS1_11comp_targetILNS1_3genE10ELNS1_11target_archE1200ELNS1_3gpuE4ELNS1_3repE0EEENS1_30default_config_static_selectorELNS0_4arch9wavefront6targetE0EEEvSW_,comdat
	.protected	_ZN7rocprim17ROCPRIM_400000_NS6detail17trampoline_kernelINS0_14default_configENS1_29binary_search_config_selectorIsiEEZNS1_14transform_implILb0ES3_S5_N6thrust23THRUST_200600_302600_NS6detail15normal_iteratorINS8_7pointerIsNS8_11hip_rocprim5par_tENS8_11use_defaultESE_EEEENSA_INSB_IiSD_SE_SE_EEEEZNS1_13binary_searchIS3_S5_PsSG_SI_NS1_16binary_search_opENS9_16wrapped_functionINS8_6system6detail7generic6detail18binary_search_lessEbEEEE10hipError_tPvRmT1_T2_T3_mmT4_T5_P12ihipStream_tbEUlRKsE_EEST_SX_SY_mSZ_S12_bEUlT_E_NS1_11comp_targetILNS1_3genE10ELNS1_11target_archE1200ELNS1_3gpuE4ELNS1_3repE0EEENS1_30default_config_static_selectorELNS0_4arch9wavefront6targetE0EEEvSW_ ; -- Begin function _ZN7rocprim17ROCPRIM_400000_NS6detail17trampoline_kernelINS0_14default_configENS1_29binary_search_config_selectorIsiEEZNS1_14transform_implILb0ES3_S5_N6thrust23THRUST_200600_302600_NS6detail15normal_iteratorINS8_7pointerIsNS8_11hip_rocprim5par_tENS8_11use_defaultESE_EEEENSA_INSB_IiSD_SE_SE_EEEEZNS1_13binary_searchIS3_S5_PsSG_SI_NS1_16binary_search_opENS9_16wrapped_functionINS8_6system6detail7generic6detail18binary_search_lessEbEEEE10hipError_tPvRmT1_T2_T3_mmT4_T5_P12ihipStream_tbEUlRKsE_EEST_SX_SY_mSZ_S12_bEUlT_E_NS1_11comp_targetILNS1_3genE10ELNS1_11target_archE1200ELNS1_3gpuE4ELNS1_3repE0EEENS1_30default_config_static_selectorELNS0_4arch9wavefront6targetE0EEEvSW_
	.globl	_ZN7rocprim17ROCPRIM_400000_NS6detail17trampoline_kernelINS0_14default_configENS1_29binary_search_config_selectorIsiEEZNS1_14transform_implILb0ES3_S5_N6thrust23THRUST_200600_302600_NS6detail15normal_iteratorINS8_7pointerIsNS8_11hip_rocprim5par_tENS8_11use_defaultESE_EEEENSA_INSB_IiSD_SE_SE_EEEEZNS1_13binary_searchIS3_S5_PsSG_SI_NS1_16binary_search_opENS9_16wrapped_functionINS8_6system6detail7generic6detail18binary_search_lessEbEEEE10hipError_tPvRmT1_T2_T3_mmT4_T5_P12ihipStream_tbEUlRKsE_EEST_SX_SY_mSZ_S12_bEUlT_E_NS1_11comp_targetILNS1_3genE10ELNS1_11target_archE1200ELNS1_3gpuE4ELNS1_3repE0EEENS1_30default_config_static_selectorELNS0_4arch9wavefront6targetE0EEEvSW_
	.p2align	8
	.type	_ZN7rocprim17ROCPRIM_400000_NS6detail17trampoline_kernelINS0_14default_configENS1_29binary_search_config_selectorIsiEEZNS1_14transform_implILb0ES3_S5_N6thrust23THRUST_200600_302600_NS6detail15normal_iteratorINS8_7pointerIsNS8_11hip_rocprim5par_tENS8_11use_defaultESE_EEEENSA_INSB_IiSD_SE_SE_EEEEZNS1_13binary_searchIS3_S5_PsSG_SI_NS1_16binary_search_opENS9_16wrapped_functionINS8_6system6detail7generic6detail18binary_search_lessEbEEEE10hipError_tPvRmT1_T2_T3_mmT4_T5_P12ihipStream_tbEUlRKsE_EEST_SX_SY_mSZ_S12_bEUlT_E_NS1_11comp_targetILNS1_3genE10ELNS1_11target_archE1200ELNS1_3gpuE4ELNS1_3repE0EEENS1_30default_config_static_selectorELNS0_4arch9wavefront6targetE0EEEvSW_,@function
_ZN7rocprim17ROCPRIM_400000_NS6detail17trampoline_kernelINS0_14default_configENS1_29binary_search_config_selectorIsiEEZNS1_14transform_implILb0ES3_S5_N6thrust23THRUST_200600_302600_NS6detail15normal_iteratorINS8_7pointerIsNS8_11hip_rocprim5par_tENS8_11use_defaultESE_EEEENSA_INSB_IiSD_SE_SE_EEEEZNS1_13binary_searchIS3_S5_PsSG_SI_NS1_16binary_search_opENS9_16wrapped_functionINS8_6system6detail7generic6detail18binary_search_lessEbEEEE10hipError_tPvRmT1_T2_T3_mmT4_T5_P12ihipStream_tbEUlRKsE_EEST_SX_SY_mSZ_S12_bEUlT_E_NS1_11comp_targetILNS1_3genE10ELNS1_11target_archE1200ELNS1_3gpuE4ELNS1_3repE0EEENS1_30default_config_static_selectorELNS0_4arch9wavefront6targetE0EEEvSW_: ; @_ZN7rocprim17ROCPRIM_400000_NS6detail17trampoline_kernelINS0_14default_configENS1_29binary_search_config_selectorIsiEEZNS1_14transform_implILb0ES3_S5_N6thrust23THRUST_200600_302600_NS6detail15normal_iteratorINS8_7pointerIsNS8_11hip_rocprim5par_tENS8_11use_defaultESE_EEEENSA_INSB_IiSD_SE_SE_EEEEZNS1_13binary_searchIS3_S5_PsSG_SI_NS1_16binary_search_opENS9_16wrapped_functionINS8_6system6detail7generic6detail18binary_search_lessEbEEEE10hipError_tPvRmT1_T2_T3_mmT4_T5_P12ihipStream_tbEUlRKsE_EEST_SX_SY_mSZ_S12_bEUlT_E_NS1_11comp_targetILNS1_3genE10ELNS1_11target_archE1200ELNS1_3gpuE4ELNS1_3repE0EEENS1_30default_config_static_selectorELNS0_4arch9wavefront6targetE0EEEvSW_
; %bb.0:
	.section	.rodata,"a",@progbits
	.p2align	6, 0x0
	.amdhsa_kernel _ZN7rocprim17ROCPRIM_400000_NS6detail17trampoline_kernelINS0_14default_configENS1_29binary_search_config_selectorIsiEEZNS1_14transform_implILb0ES3_S5_N6thrust23THRUST_200600_302600_NS6detail15normal_iteratorINS8_7pointerIsNS8_11hip_rocprim5par_tENS8_11use_defaultESE_EEEENSA_INSB_IiSD_SE_SE_EEEEZNS1_13binary_searchIS3_S5_PsSG_SI_NS1_16binary_search_opENS9_16wrapped_functionINS8_6system6detail7generic6detail18binary_search_lessEbEEEE10hipError_tPvRmT1_T2_T3_mmT4_T5_P12ihipStream_tbEUlRKsE_EEST_SX_SY_mSZ_S12_bEUlT_E_NS1_11comp_targetILNS1_3genE10ELNS1_11target_archE1200ELNS1_3gpuE4ELNS1_3repE0EEENS1_30default_config_static_selectorELNS0_4arch9wavefront6targetE0EEEvSW_
		.amdhsa_group_segment_fixed_size 0
		.amdhsa_private_segment_fixed_size 0
		.amdhsa_kernarg_size 56
		.amdhsa_user_sgpr_count 6
		.amdhsa_user_sgpr_private_segment_buffer 1
		.amdhsa_user_sgpr_dispatch_ptr 0
		.amdhsa_user_sgpr_queue_ptr 0
		.amdhsa_user_sgpr_kernarg_segment_ptr 1
		.amdhsa_user_sgpr_dispatch_id 0
		.amdhsa_user_sgpr_flat_scratch_init 0
		.amdhsa_user_sgpr_private_segment_size 0
		.amdhsa_wavefront_size32 1
		.amdhsa_uses_dynamic_stack 0
		.amdhsa_system_sgpr_private_segment_wavefront_offset 0
		.amdhsa_system_sgpr_workgroup_id_x 1
		.amdhsa_system_sgpr_workgroup_id_y 0
		.amdhsa_system_sgpr_workgroup_id_z 0
		.amdhsa_system_sgpr_workgroup_info 0
		.amdhsa_system_vgpr_workitem_id 0
		.amdhsa_next_free_vgpr 1
		.amdhsa_next_free_sgpr 1
		.amdhsa_reserve_vcc 0
		.amdhsa_reserve_flat_scratch 0
		.amdhsa_float_round_mode_32 0
		.amdhsa_float_round_mode_16_64 0
		.amdhsa_float_denorm_mode_32 3
		.amdhsa_float_denorm_mode_16_64 3
		.amdhsa_dx10_clamp 1
		.amdhsa_ieee_mode 1
		.amdhsa_fp16_overflow 0
		.amdhsa_workgroup_processor_mode 1
		.amdhsa_memory_ordered 1
		.amdhsa_forward_progress 1
		.amdhsa_shared_vgpr_count 0
		.amdhsa_exception_fp_ieee_invalid_op 0
		.amdhsa_exception_fp_denorm_src 0
		.amdhsa_exception_fp_ieee_div_zero 0
		.amdhsa_exception_fp_ieee_overflow 0
		.amdhsa_exception_fp_ieee_underflow 0
		.amdhsa_exception_fp_ieee_inexact 0
		.amdhsa_exception_int_div_zero 0
	.end_amdhsa_kernel
	.section	.text._ZN7rocprim17ROCPRIM_400000_NS6detail17trampoline_kernelINS0_14default_configENS1_29binary_search_config_selectorIsiEEZNS1_14transform_implILb0ES3_S5_N6thrust23THRUST_200600_302600_NS6detail15normal_iteratorINS8_7pointerIsNS8_11hip_rocprim5par_tENS8_11use_defaultESE_EEEENSA_INSB_IiSD_SE_SE_EEEEZNS1_13binary_searchIS3_S5_PsSG_SI_NS1_16binary_search_opENS9_16wrapped_functionINS8_6system6detail7generic6detail18binary_search_lessEbEEEE10hipError_tPvRmT1_T2_T3_mmT4_T5_P12ihipStream_tbEUlRKsE_EEST_SX_SY_mSZ_S12_bEUlT_E_NS1_11comp_targetILNS1_3genE10ELNS1_11target_archE1200ELNS1_3gpuE4ELNS1_3repE0EEENS1_30default_config_static_selectorELNS0_4arch9wavefront6targetE0EEEvSW_,"axG",@progbits,_ZN7rocprim17ROCPRIM_400000_NS6detail17trampoline_kernelINS0_14default_configENS1_29binary_search_config_selectorIsiEEZNS1_14transform_implILb0ES3_S5_N6thrust23THRUST_200600_302600_NS6detail15normal_iteratorINS8_7pointerIsNS8_11hip_rocprim5par_tENS8_11use_defaultESE_EEEENSA_INSB_IiSD_SE_SE_EEEEZNS1_13binary_searchIS3_S5_PsSG_SI_NS1_16binary_search_opENS9_16wrapped_functionINS8_6system6detail7generic6detail18binary_search_lessEbEEEE10hipError_tPvRmT1_T2_T3_mmT4_T5_P12ihipStream_tbEUlRKsE_EEST_SX_SY_mSZ_S12_bEUlT_E_NS1_11comp_targetILNS1_3genE10ELNS1_11target_archE1200ELNS1_3gpuE4ELNS1_3repE0EEENS1_30default_config_static_selectorELNS0_4arch9wavefront6targetE0EEEvSW_,comdat
.Lfunc_end319:
	.size	_ZN7rocprim17ROCPRIM_400000_NS6detail17trampoline_kernelINS0_14default_configENS1_29binary_search_config_selectorIsiEEZNS1_14transform_implILb0ES3_S5_N6thrust23THRUST_200600_302600_NS6detail15normal_iteratorINS8_7pointerIsNS8_11hip_rocprim5par_tENS8_11use_defaultESE_EEEENSA_INSB_IiSD_SE_SE_EEEEZNS1_13binary_searchIS3_S5_PsSG_SI_NS1_16binary_search_opENS9_16wrapped_functionINS8_6system6detail7generic6detail18binary_search_lessEbEEEE10hipError_tPvRmT1_T2_T3_mmT4_T5_P12ihipStream_tbEUlRKsE_EEST_SX_SY_mSZ_S12_bEUlT_E_NS1_11comp_targetILNS1_3genE10ELNS1_11target_archE1200ELNS1_3gpuE4ELNS1_3repE0EEENS1_30default_config_static_selectorELNS0_4arch9wavefront6targetE0EEEvSW_, .Lfunc_end319-_ZN7rocprim17ROCPRIM_400000_NS6detail17trampoline_kernelINS0_14default_configENS1_29binary_search_config_selectorIsiEEZNS1_14transform_implILb0ES3_S5_N6thrust23THRUST_200600_302600_NS6detail15normal_iteratorINS8_7pointerIsNS8_11hip_rocprim5par_tENS8_11use_defaultESE_EEEENSA_INSB_IiSD_SE_SE_EEEEZNS1_13binary_searchIS3_S5_PsSG_SI_NS1_16binary_search_opENS9_16wrapped_functionINS8_6system6detail7generic6detail18binary_search_lessEbEEEE10hipError_tPvRmT1_T2_T3_mmT4_T5_P12ihipStream_tbEUlRKsE_EEST_SX_SY_mSZ_S12_bEUlT_E_NS1_11comp_targetILNS1_3genE10ELNS1_11target_archE1200ELNS1_3gpuE4ELNS1_3repE0EEENS1_30default_config_static_selectorELNS0_4arch9wavefront6targetE0EEEvSW_
                                        ; -- End function
	.set _ZN7rocprim17ROCPRIM_400000_NS6detail17trampoline_kernelINS0_14default_configENS1_29binary_search_config_selectorIsiEEZNS1_14transform_implILb0ES3_S5_N6thrust23THRUST_200600_302600_NS6detail15normal_iteratorINS8_7pointerIsNS8_11hip_rocprim5par_tENS8_11use_defaultESE_EEEENSA_INSB_IiSD_SE_SE_EEEEZNS1_13binary_searchIS3_S5_PsSG_SI_NS1_16binary_search_opENS9_16wrapped_functionINS8_6system6detail7generic6detail18binary_search_lessEbEEEE10hipError_tPvRmT1_T2_T3_mmT4_T5_P12ihipStream_tbEUlRKsE_EEST_SX_SY_mSZ_S12_bEUlT_E_NS1_11comp_targetILNS1_3genE10ELNS1_11target_archE1200ELNS1_3gpuE4ELNS1_3repE0EEENS1_30default_config_static_selectorELNS0_4arch9wavefront6targetE0EEEvSW_.num_vgpr, 0
	.set _ZN7rocprim17ROCPRIM_400000_NS6detail17trampoline_kernelINS0_14default_configENS1_29binary_search_config_selectorIsiEEZNS1_14transform_implILb0ES3_S5_N6thrust23THRUST_200600_302600_NS6detail15normal_iteratorINS8_7pointerIsNS8_11hip_rocprim5par_tENS8_11use_defaultESE_EEEENSA_INSB_IiSD_SE_SE_EEEEZNS1_13binary_searchIS3_S5_PsSG_SI_NS1_16binary_search_opENS9_16wrapped_functionINS8_6system6detail7generic6detail18binary_search_lessEbEEEE10hipError_tPvRmT1_T2_T3_mmT4_T5_P12ihipStream_tbEUlRKsE_EEST_SX_SY_mSZ_S12_bEUlT_E_NS1_11comp_targetILNS1_3genE10ELNS1_11target_archE1200ELNS1_3gpuE4ELNS1_3repE0EEENS1_30default_config_static_selectorELNS0_4arch9wavefront6targetE0EEEvSW_.num_agpr, 0
	.set _ZN7rocprim17ROCPRIM_400000_NS6detail17trampoline_kernelINS0_14default_configENS1_29binary_search_config_selectorIsiEEZNS1_14transform_implILb0ES3_S5_N6thrust23THRUST_200600_302600_NS6detail15normal_iteratorINS8_7pointerIsNS8_11hip_rocprim5par_tENS8_11use_defaultESE_EEEENSA_INSB_IiSD_SE_SE_EEEEZNS1_13binary_searchIS3_S5_PsSG_SI_NS1_16binary_search_opENS9_16wrapped_functionINS8_6system6detail7generic6detail18binary_search_lessEbEEEE10hipError_tPvRmT1_T2_T3_mmT4_T5_P12ihipStream_tbEUlRKsE_EEST_SX_SY_mSZ_S12_bEUlT_E_NS1_11comp_targetILNS1_3genE10ELNS1_11target_archE1200ELNS1_3gpuE4ELNS1_3repE0EEENS1_30default_config_static_selectorELNS0_4arch9wavefront6targetE0EEEvSW_.numbered_sgpr, 0
	.set _ZN7rocprim17ROCPRIM_400000_NS6detail17trampoline_kernelINS0_14default_configENS1_29binary_search_config_selectorIsiEEZNS1_14transform_implILb0ES3_S5_N6thrust23THRUST_200600_302600_NS6detail15normal_iteratorINS8_7pointerIsNS8_11hip_rocprim5par_tENS8_11use_defaultESE_EEEENSA_INSB_IiSD_SE_SE_EEEEZNS1_13binary_searchIS3_S5_PsSG_SI_NS1_16binary_search_opENS9_16wrapped_functionINS8_6system6detail7generic6detail18binary_search_lessEbEEEE10hipError_tPvRmT1_T2_T3_mmT4_T5_P12ihipStream_tbEUlRKsE_EEST_SX_SY_mSZ_S12_bEUlT_E_NS1_11comp_targetILNS1_3genE10ELNS1_11target_archE1200ELNS1_3gpuE4ELNS1_3repE0EEENS1_30default_config_static_selectorELNS0_4arch9wavefront6targetE0EEEvSW_.num_named_barrier, 0
	.set _ZN7rocprim17ROCPRIM_400000_NS6detail17trampoline_kernelINS0_14default_configENS1_29binary_search_config_selectorIsiEEZNS1_14transform_implILb0ES3_S5_N6thrust23THRUST_200600_302600_NS6detail15normal_iteratorINS8_7pointerIsNS8_11hip_rocprim5par_tENS8_11use_defaultESE_EEEENSA_INSB_IiSD_SE_SE_EEEEZNS1_13binary_searchIS3_S5_PsSG_SI_NS1_16binary_search_opENS9_16wrapped_functionINS8_6system6detail7generic6detail18binary_search_lessEbEEEE10hipError_tPvRmT1_T2_T3_mmT4_T5_P12ihipStream_tbEUlRKsE_EEST_SX_SY_mSZ_S12_bEUlT_E_NS1_11comp_targetILNS1_3genE10ELNS1_11target_archE1200ELNS1_3gpuE4ELNS1_3repE0EEENS1_30default_config_static_selectorELNS0_4arch9wavefront6targetE0EEEvSW_.private_seg_size, 0
	.set _ZN7rocprim17ROCPRIM_400000_NS6detail17trampoline_kernelINS0_14default_configENS1_29binary_search_config_selectorIsiEEZNS1_14transform_implILb0ES3_S5_N6thrust23THRUST_200600_302600_NS6detail15normal_iteratorINS8_7pointerIsNS8_11hip_rocprim5par_tENS8_11use_defaultESE_EEEENSA_INSB_IiSD_SE_SE_EEEEZNS1_13binary_searchIS3_S5_PsSG_SI_NS1_16binary_search_opENS9_16wrapped_functionINS8_6system6detail7generic6detail18binary_search_lessEbEEEE10hipError_tPvRmT1_T2_T3_mmT4_T5_P12ihipStream_tbEUlRKsE_EEST_SX_SY_mSZ_S12_bEUlT_E_NS1_11comp_targetILNS1_3genE10ELNS1_11target_archE1200ELNS1_3gpuE4ELNS1_3repE0EEENS1_30default_config_static_selectorELNS0_4arch9wavefront6targetE0EEEvSW_.uses_vcc, 0
	.set _ZN7rocprim17ROCPRIM_400000_NS6detail17trampoline_kernelINS0_14default_configENS1_29binary_search_config_selectorIsiEEZNS1_14transform_implILb0ES3_S5_N6thrust23THRUST_200600_302600_NS6detail15normal_iteratorINS8_7pointerIsNS8_11hip_rocprim5par_tENS8_11use_defaultESE_EEEENSA_INSB_IiSD_SE_SE_EEEEZNS1_13binary_searchIS3_S5_PsSG_SI_NS1_16binary_search_opENS9_16wrapped_functionINS8_6system6detail7generic6detail18binary_search_lessEbEEEE10hipError_tPvRmT1_T2_T3_mmT4_T5_P12ihipStream_tbEUlRKsE_EEST_SX_SY_mSZ_S12_bEUlT_E_NS1_11comp_targetILNS1_3genE10ELNS1_11target_archE1200ELNS1_3gpuE4ELNS1_3repE0EEENS1_30default_config_static_selectorELNS0_4arch9wavefront6targetE0EEEvSW_.uses_flat_scratch, 0
	.set _ZN7rocprim17ROCPRIM_400000_NS6detail17trampoline_kernelINS0_14default_configENS1_29binary_search_config_selectorIsiEEZNS1_14transform_implILb0ES3_S5_N6thrust23THRUST_200600_302600_NS6detail15normal_iteratorINS8_7pointerIsNS8_11hip_rocprim5par_tENS8_11use_defaultESE_EEEENSA_INSB_IiSD_SE_SE_EEEEZNS1_13binary_searchIS3_S5_PsSG_SI_NS1_16binary_search_opENS9_16wrapped_functionINS8_6system6detail7generic6detail18binary_search_lessEbEEEE10hipError_tPvRmT1_T2_T3_mmT4_T5_P12ihipStream_tbEUlRKsE_EEST_SX_SY_mSZ_S12_bEUlT_E_NS1_11comp_targetILNS1_3genE10ELNS1_11target_archE1200ELNS1_3gpuE4ELNS1_3repE0EEENS1_30default_config_static_selectorELNS0_4arch9wavefront6targetE0EEEvSW_.has_dyn_sized_stack, 0
	.set _ZN7rocprim17ROCPRIM_400000_NS6detail17trampoline_kernelINS0_14default_configENS1_29binary_search_config_selectorIsiEEZNS1_14transform_implILb0ES3_S5_N6thrust23THRUST_200600_302600_NS6detail15normal_iteratorINS8_7pointerIsNS8_11hip_rocprim5par_tENS8_11use_defaultESE_EEEENSA_INSB_IiSD_SE_SE_EEEEZNS1_13binary_searchIS3_S5_PsSG_SI_NS1_16binary_search_opENS9_16wrapped_functionINS8_6system6detail7generic6detail18binary_search_lessEbEEEE10hipError_tPvRmT1_T2_T3_mmT4_T5_P12ihipStream_tbEUlRKsE_EEST_SX_SY_mSZ_S12_bEUlT_E_NS1_11comp_targetILNS1_3genE10ELNS1_11target_archE1200ELNS1_3gpuE4ELNS1_3repE0EEENS1_30default_config_static_selectorELNS0_4arch9wavefront6targetE0EEEvSW_.has_recursion, 0
	.set _ZN7rocprim17ROCPRIM_400000_NS6detail17trampoline_kernelINS0_14default_configENS1_29binary_search_config_selectorIsiEEZNS1_14transform_implILb0ES3_S5_N6thrust23THRUST_200600_302600_NS6detail15normal_iteratorINS8_7pointerIsNS8_11hip_rocprim5par_tENS8_11use_defaultESE_EEEENSA_INSB_IiSD_SE_SE_EEEEZNS1_13binary_searchIS3_S5_PsSG_SI_NS1_16binary_search_opENS9_16wrapped_functionINS8_6system6detail7generic6detail18binary_search_lessEbEEEE10hipError_tPvRmT1_T2_T3_mmT4_T5_P12ihipStream_tbEUlRKsE_EEST_SX_SY_mSZ_S12_bEUlT_E_NS1_11comp_targetILNS1_3genE10ELNS1_11target_archE1200ELNS1_3gpuE4ELNS1_3repE0EEENS1_30default_config_static_selectorELNS0_4arch9wavefront6targetE0EEEvSW_.has_indirect_call, 0
	.section	.AMDGPU.csdata,"",@progbits
; Kernel info:
; codeLenInByte = 0
; TotalNumSgprs: 0
; NumVgprs: 0
; ScratchSize: 0
; MemoryBound: 0
; FloatMode: 240
; IeeeMode: 1
; LDSByteSize: 0 bytes/workgroup (compile time only)
; SGPRBlocks: 0
; VGPRBlocks: 0
; NumSGPRsForWavesPerEU: 1
; NumVGPRsForWavesPerEU: 1
; Occupancy: 16
; WaveLimiterHint : 0
; COMPUTE_PGM_RSRC2:SCRATCH_EN: 0
; COMPUTE_PGM_RSRC2:USER_SGPR: 6
; COMPUTE_PGM_RSRC2:TRAP_HANDLER: 0
; COMPUTE_PGM_RSRC2:TGID_X_EN: 1
; COMPUTE_PGM_RSRC2:TGID_Y_EN: 0
; COMPUTE_PGM_RSRC2:TGID_Z_EN: 0
; COMPUTE_PGM_RSRC2:TIDIG_COMP_CNT: 0
	.section	.text._ZN7rocprim17ROCPRIM_400000_NS6detail17trampoline_kernelINS0_14default_configENS1_29binary_search_config_selectorIsiEEZNS1_14transform_implILb0ES3_S5_N6thrust23THRUST_200600_302600_NS6detail15normal_iteratorINS8_7pointerIsNS8_11hip_rocprim5par_tENS8_11use_defaultESE_EEEENSA_INSB_IiSD_SE_SE_EEEEZNS1_13binary_searchIS3_S5_PsSG_SI_NS1_16binary_search_opENS9_16wrapped_functionINS8_6system6detail7generic6detail18binary_search_lessEbEEEE10hipError_tPvRmT1_T2_T3_mmT4_T5_P12ihipStream_tbEUlRKsE_EEST_SX_SY_mSZ_S12_bEUlT_E_NS1_11comp_targetILNS1_3genE9ELNS1_11target_archE1100ELNS1_3gpuE3ELNS1_3repE0EEENS1_30default_config_static_selectorELNS0_4arch9wavefront6targetE0EEEvSW_,"axG",@progbits,_ZN7rocprim17ROCPRIM_400000_NS6detail17trampoline_kernelINS0_14default_configENS1_29binary_search_config_selectorIsiEEZNS1_14transform_implILb0ES3_S5_N6thrust23THRUST_200600_302600_NS6detail15normal_iteratorINS8_7pointerIsNS8_11hip_rocprim5par_tENS8_11use_defaultESE_EEEENSA_INSB_IiSD_SE_SE_EEEEZNS1_13binary_searchIS3_S5_PsSG_SI_NS1_16binary_search_opENS9_16wrapped_functionINS8_6system6detail7generic6detail18binary_search_lessEbEEEE10hipError_tPvRmT1_T2_T3_mmT4_T5_P12ihipStream_tbEUlRKsE_EEST_SX_SY_mSZ_S12_bEUlT_E_NS1_11comp_targetILNS1_3genE9ELNS1_11target_archE1100ELNS1_3gpuE3ELNS1_3repE0EEENS1_30default_config_static_selectorELNS0_4arch9wavefront6targetE0EEEvSW_,comdat
	.protected	_ZN7rocprim17ROCPRIM_400000_NS6detail17trampoline_kernelINS0_14default_configENS1_29binary_search_config_selectorIsiEEZNS1_14transform_implILb0ES3_S5_N6thrust23THRUST_200600_302600_NS6detail15normal_iteratorINS8_7pointerIsNS8_11hip_rocprim5par_tENS8_11use_defaultESE_EEEENSA_INSB_IiSD_SE_SE_EEEEZNS1_13binary_searchIS3_S5_PsSG_SI_NS1_16binary_search_opENS9_16wrapped_functionINS8_6system6detail7generic6detail18binary_search_lessEbEEEE10hipError_tPvRmT1_T2_T3_mmT4_T5_P12ihipStream_tbEUlRKsE_EEST_SX_SY_mSZ_S12_bEUlT_E_NS1_11comp_targetILNS1_3genE9ELNS1_11target_archE1100ELNS1_3gpuE3ELNS1_3repE0EEENS1_30default_config_static_selectorELNS0_4arch9wavefront6targetE0EEEvSW_ ; -- Begin function _ZN7rocprim17ROCPRIM_400000_NS6detail17trampoline_kernelINS0_14default_configENS1_29binary_search_config_selectorIsiEEZNS1_14transform_implILb0ES3_S5_N6thrust23THRUST_200600_302600_NS6detail15normal_iteratorINS8_7pointerIsNS8_11hip_rocprim5par_tENS8_11use_defaultESE_EEEENSA_INSB_IiSD_SE_SE_EEEEZNS1_13binary_searchIS3_S5_PsSG_SI_NS1_16binary_search_opENS9_16wrapped_functionINS8_6system6detail7generic6detail18binary_search_lessEbEEEE10hipError_tPvRmT1_T2_T3_mmT4_T5_P12ihipStream_tbEUlRKsE_EEST_SX_SY_mSZ_S12_bEUlT_E_NS1_11comp_targetILNS1_3genE9ELNS1_11target_archE1100ELNS1_3gpuE3ELNS1_3repE0EEENS1_30default_config_static_selectorELNS0_4arch9wavefront6targetE0EEEvSW_
	.globl	_ZN7rocprim17ROCPRIM_400000_NS6detail17trampoline_kernelINS0_14default_configENS1_29binary_search_config_selectorIsiEEZNS1_14transform_implILb0ES3_S5_N6thrust23THRUST_200600_302600_NS6detail15normal_iteratorINS8_7pointerIsNS8_11hip_rocprim5par_tENS8_11use_defaultESE_EEEENSA_INSB_IiSD_SE_SE_EEEEZNS1_13binary_searchIS3_S5_PsSG_SI_NS1_16binary_search_opENS9_16wrapped_functionINS8_6system6detail7generic6detail18binary_search_lessEbEEEE10hipError_tPvRmT1_T2_T3_mmT4_T5_P12ihipStream_tbEUlRKsE_EEST_SX_SY_mSZ_S12_bEUlT_E_NS1_11comp_targetILNS1_3genE9ELNS1_11target_archE1100ELNS1_3gpuE3ELNS1_3repE0EEENS1_30default_config_static_selectorELNS0_4arch9wavefront6targetE0EEEvSW_
	.p2align	8
	.type	_ZN7rocprim17ROCPRIM_400000_NS6detail17trampoline_kernelINS0_14default_configENS1_29binary_search_config_selectorIsiEEZNS1_14transform_implILb0ES3_S5_N6thrust23THRUST_200600_302600_NS6detail15normal_iteratorINS8_7pointerIsNS8_11hip_rocprim5par_tENS8_11use_defaultESE_EEEENSA_INSB_IiSD_SE_SE_EEEEZNS1_13binary_searchIS3_S5_PsSG_SI_NS1_16binary_search_opENS9_16wrapped_functionINS8_6system6detail7generic6detail18binary_search_lessEbEEEE10hipError_tPvRmT1_T2_T3_mmT4_T5_P12ihipStream_tbEUlRKsE_EEST_SX_SY_mSZ_S12_bEUlT_E_NS1_11comp_targetILNS1_3genE9ELNS1_11target_archE1100ELNS1_3gpuE3ELNS1_3repE0EEENS1_30default_config_static_selectorELNS0_4arch9wavefront6targetE0EEEvSW_,@function
_ZN7rocprim17ROCPRIM_400000_NS6detail17trampoline_kernelINS0_14default_configENS1_29binary_search_config_selectorIsiEEZNS1_14transform_implILb0ES3_S5_N6thrust23THRUST_200600_302600_NS6detail15normal_iteratorINS8_7pointerIsNS8_11hip_rocprim5par_tENS8_11use_defaultESE_EEEENSA_INSB_IiSD_SE_SE_EEEEZNS1_13binary_searchIS3_S5_PsSG_SI_NS1_16binary_search_opENS9_16wrapped_functionINS8_6system6detail7generic6detail18binary_search_lessEbEEEE10hipError_tPvRmT1_T2_T3_mmT4_T5_P12ihipStream_tbEUlRKsE_EEST_SX_SY_mSZ_S12_bEUlT_E_NS1_11comp_targetILNS1_3genE9ELNS1_11target_archE1100ELNS1_3gpuE3ELNS1_3repE0EEENS1_30default_config_static_selectorELNS0_4arch9wavefront6targetE0EEEvSW_: ; @_ZN7rocprim17ROCPRIM_400000_NS6detail17trampoline_kernelINS0_14default_configENS1_29binary_search_config_selectorIsiEEZNS1_14transform_implILb0ES3_S5_N6thrust23THRUST_200600_302600_NS6detail15normal_iteratorINS8_7pointerIsNS8_11hip_rocprim5par_tENS8_11use_defaultESE_EEEENSA_INSB_IiSD_SE_SE_EEEEZNS1_13binary_searchIS3_S5_PsSG_SI_NS1_16binary_search_opENS9_16wrapped_functionINS8_6system6detail7generic6detail18binary_search_lessEbEEEE10hipError_tPvRmT1_T2_T3_mmT4_T5_P12ihipStream_tbEUlRKsE_EEST_SX_SY_mSZ_S12_bEUlT_E_NS1_11comp_targetILNS1_3genE9ELNS1_11target_archE1100ELNS1_3gpuE3ELNS1_3repE0EEENS1_30default_config_static_selectorELNS0_4arch9wavefront6targetE0EEEvSW_
; %bb.0:
	.section	.rodata,"a",@progbits
	.p2align	6, 0x0
	.amdhsa_kernel _ZN7rocprim17ROCPRIM_400000_NS6detail17trampoline_kernelINS0_14default_configENS1_29binary_search_config_selectorIsiEEZNS1_14transform_implILb0ES3_S5_N6thrust23THRUST_200600_302600_NS6detail15normal_iteratorINS8_7pointerIsNS8_11hip_rocprim5par_tENS8_11use_defaultESE_EEEENSA_INSB_IiSD_SE_SE_EEEEZNS1_13binary_searchIS3_S5_PsSG_SI_NS1_16binary_search_opENS9_16wrapped_functionINS8_6system6detail7generic6detail18binary_search_lessEbEEEE10hipError_tPvRmT1_T2_T3_mmT4_T5_P12ihipStream_tbEUlRKsE_EEST_SX_SY_mSZ_S12_bEUlT_E_NS1_11comp_targetILNS1_3genE9ELNS1_11target_archE1100ELNS1_3gpuE3ELNS1_3repE0EEENS1_30default_config_static_selectorELNS0_4arch9wavefront6targetE0EEEvSW_
		.amdhsa_group_segment_fixed_size 0
		.amdhsa_private_segment_fixed_size 0
		.amdhsa_kernarg_size 56
		.amdhsa_user_sgpr_count 6
		.amdhsa_user_sgpr_private_segment_buffer 1
		.amdhsa_user_sgpr_dispatch_ptr 0
		.amdhsa_user_sgpr_queue_ptr 0
		.amdhsa_user_sgpr_kernarg_segment_ptr 1
		.amdhsa_user_sgpr_dispatch_id 0
		.amdhsa_user_sgpr_flat_scratch_init 0
		.amdhsa_user_sgpr_private_segment_size 0
		.amdhsa_wavefront_size32 1
		.amdhsa_uses_dynamic_stack 0
		.amdhsa_system_sgpr_private_segment_wavefront_offset 0
		.amdhsa_system_sgpr_workgroup_id_x 1
		.amdhsa_system_sgpr_workgroup_id_y 0
		.amdhsa_system_sgpr_workgroup_id_z 0
		.amdhsa_system_sgpr_workgroup_info 0
		.amdhsa_system_vgpr_workitem_id 0
		.amdhsa_next_free_vgpr 1
		.amdhsa_next_free_sgpr 1
		.amdhsa_reserve_vcc 0
		.amdhsa_reserve_flat_scratch 0
		.amdhsa_float_round_mode_32 0
		.amdhsa_float_round_mode_16_64 0
		.amdhsa_float_denorm_mode_32 3
		.amdhsa_float_denorm_mode_16_64 3
		.amdhsa_dx10_clamp 1
		.amdhsa_ieee_mode 1
		.amdhsa_fp16_overflow 0
		.amdhsa_workgroup_processor_mode 1
		.amdhsa_memory_ordered 1
		.amdhsa_forward_progress 1
		.amdhsa_shared_vgpr_count 0
		.amdhsa_exception_fp_ieee_invalid_op 0
		.amdhsa_exception_fp_denorm_src 0
		.amdhsa_exception_fp_ieee_div_zero 0
		.amdhsa_exception_fp_ieee_overflow 0
		.amdhsa_exception_fp_ieee_underflow 0
		.amdhsa_exception_fp_ieee_inexact 0
		.amdhsa_exception_int_div_zero 0
	.end_amdhsa_kernel
	.section	.text._ZN7rocprim17ROCPRIM_400000_NS6detail17trampoline_kernelINS0_14default_configENS1_29binary_search_config_selectorIsiEEZNS1_14transform_implILb0ES3_S5_N6thrust23THRUST_200600_302600_NS6detail15normal_iteratorINS8_7pointerIsNS8_11hip_rocprim5par_tENS8_11use_defaultESE_EEEENSA_INSB_IiSD_SE_SE_EEEEZNS1_13binary_searchIS3_S5_PsSG_SI_NS1_16binary_search_opENS9_16wrapped_functionINS8_6system6detail7generic6detail18binary_search_lessEbEEEE10hipError_tPvRmT1_T2_T3_mmT4_T5_P12ihipStream_tbEUlRKsE_EEST_SX_SY_mSZ_S12_bEUlT_E_NS1_11comp_targetILNS1_3genE9ELNS1_11target_archE1100ELNS1_3gpuE3ELNS1_3repE0EEENS1_30default_config_static_selectorELNS0_4arch9wavefront6targetE0EEEvSW_,"axG",@progbits,_ZN7rocprim17ROCPRIM_400000_NS6detail17trampoline_kernelINS0_14default_configENS1_29binary_search_config_selectorIsiEEZNS1_14transform_implILb0ES3_S5_N6thrust23THRUST_200600_302600_NS6detail15normal_iteratorINS8_7pointerIsNS8_11hip_rocprim5par_tENS8_11use_defaultESE_EEEENSA_INSB_IiSD_SE_SE_EEEEZNS1_13binary_searchIS3_S5_PsSG_SI_NS1_16binary_search_opENS9_16wrapped_functionINS8_6system6detail7generic6detail18binary_search_lessEbEEEE10hipError_tPvRmT1_T2_T3_mmT4_T5_P12ihipStream_tbEUlRKsE_EEST_SX_SY_mSZ_S12_bEUlT_E_NS1_11comp_targetILNS1_3genE9ELNS1_11target_archE1100ELNS1_3gpuE3ELNS1_3repE0EEENS1_30default_config_static_selectorELNS0_4arch9wavefront6targetE0EEEvSW_,comdat
.Lfunc_end320:
	.size	_ZN7rocprim17ROCPRIM_400000_NS6detail17trampoline_kernelINS0_14default_configENS1_29binary_search_config_selectorIsiEEZNS1_14transform_implILb0ES3_S5_N6thrust23THRUST_200600_302600_NS6detail15normal_iteratorINS8_7pointerIsNS8_11hip_rocprim5par_tENS8_11use_defaultESE_EEEENSA_INSB_IiSD_SE_SE_EEEEZNS1_13binary_searchIS3_S5_PsSG_SI_NS1_16binary_search_opENS9_16wrapped_functionINS8_6system6detail7generic6detail18binary_search_lessEbEEEE10hipError_tPvRmT1_T2_T3_mmT4_T5_P12ihipStream_tbEUlRKsE_EEST_SX_SY_mSZ_S12_bEUlT_E_NS1_11comp_targetILNS1_3genE9ELNS1_11target_archE1100ELNS1_3gpuE3ELNS1_3repE0EEENS1_30default_config_static_selectorELNS0_4arch9wavefront6targetE0EEEvSW_, .Lfunc_end320-_ZN7rocprim17ROCPRIM_400000_NS6detail17trampoline_kernelINS0_14default_configENS1_29binary_search_config_selectorIsiEEZNS1_14transform_implILb0ES3_S5_N6thrust23THRUST_200600_302600_NS6detail15normal_iteratorINS8_7pointerIsNS8_11hip_rocprim5par_tENS8_11use_defaultESE_EEEENSA_INSB_IiSD_SE_SE_EEEEZNS1_13binary_searchIS3_S5_PsSG_SI_NS1_16binary_search_opENS9_16wrapped_functionINS8_6system6detail7generic6detail18binary_search_lessEbEEEE10hipError_tPvRmT1_T2_T3_mmT4_T5_P12ihipStream_tbEUlRKsE_EEST_SX_SY_mSZ_S12_bEUlT_E_NS1_11comp_targetILNS1_3genE9ELNS1_11target_archE1100ELNS1_3gpuE3ELNS1_3repE0EEENS1_30default_config_static_selectorELNS0_4arch9wavefront6targetE0EEEvSW_
                                        ; -- End function
	.set _ZN7rocprim17ROCPRIM_400000_NS6detail17trampoline_kernelINS0_14default_configENS1_29binary_search_config_selectorIsiEEZNS1_14transform_implILb0ES3_S5_N6thrust23THRUST_200600_302600_NS6detail15normal_iteratorINS8_7pointerIsNS8_11hip_rocprim5par_tENS8_11use_defaultESE_EEEENSA_INSB_IiSD_SE_SE_EEEEZNS1_13binary_searchIS3_S5_PsSG_SI_NS1_16binary_search_opENS9_16wrapped_functionINS8_6system6detail7generic6detail18binary_search_lessEbEEEE10hipError_tPvRmT1_T2_T3_mmT4_T5_P12ihipStream_tbEUlRKsE_EEST_SX_SY_mSZ_S12_bEUlT_E_NS1_11comp_targetILNS1_3genE9ELNS1_11target_archE1100ELNS1_3gpuE3ELNS1_3repE0EEENS1_30default_config_static_selectorELNS0_4arch9wavefront6targetE0EEEvSW_.num_vgpr, 0
	.set _ZN7rocprim17ROCPRIM_400000_NS6detail17trampoline_kernelINS0_14default_configENS1_29binary_search_config_selectorIsiEEZNS1_14transform_implILb0ES3_S5_N6thrust23THRUST_200600_302600_NS6detail15normal_iteratorINS8_7pointerIsNS8_11hip_rocprim5par_tENS8_11use_defaultESE_EEEENSA_INSB_IiSD_SE_SE_EEEEZNS1_13binary_searchIS3_S5_PsSG_SI_NS1_16binary_search_opENS9_16wrapped_functionINS8_6system6detail7generic6detail18binary_search_lessEbEEEE10hipError_tPvRmT1_T2_T3_mmT4_T5_P12ihipStream_tbEUlRKsE_EEST_SX_SY_mSZ_S12_bEUlT_E_NS1_11comp_targetILNS1_3genE9ELNS1_11target_archE1100ELNS1_3gpuE3ELNS1_3repE0EEENS1_30default_config_static_selectorELNS0_4arch9wavefront6targetE0EEEvSW_.num_agpr, 0
	.set _ZN7rocprim17ROCPRIM_400000_NS6detail17trampoline_kernelINS0_14default_configENS1_29binary_search_config_selectorIsiEEZNS1_14transform_implILb0ES3_S5_N6thrust23THRUST_200600_302600_NS6detail15normal_iteratorINS8_7pointerIsNS8_11hip_rocprim5par_tENS8_11use_defaultESE_EEEENSA_INSB_IiSD_SE_SE_EEEEZNS1_13binary_searchIS3_S5_PsSG_SI_NS1_16binary_search_opENS9_16wrapped_functionINS8_6system6detail7generic6detail18binary_search_lessEbEEEE10hipError_tPvRmT1_T2_T3_mmT4_T5_P12ihipStream_tbEUlRKsE_EEST_SX_SY_mSZ_S12_bEUlT_E_NS1_11comp_targetILNS1_3genE9ELNS1_11target_archE1100ELNS1_3gpuE3ELNS1_3repE0EEENS1_30default_config_static_selectorELNS0_4arch9wavefront6targetE0EEEvSW_.numbered_sgpr, 0
	.set _ZN7rocprim17ROCPRIM_400000_NS6detail17trampoline_kernelINS0_14default_configENS1_29binary_search_config_selectorIsiEEZNS1_14transform_implILb0ES3_S5_N6thrust23THRUST_200600_302600_NS6detail15normal_iteratorINS8_7pointerIsNS8_11hip_rocprim5par_tENS8_11use_defaultESE_EEEENSA_INSB_IiSD_SE_SE_EEEEZNS1_13binary_searchIS3_S5_PsSG_SI_NS1_16binary_search_opENS9_16wrapped_functionINS8_6system6detail7generic6detail18binary_search_lessEbEEEE10hipError_tPvRmT1_T2_T3_mmT4_T5_P12ihipStream_tbEUlRKsE_EEST_SX_SY_mSZ_S12_bEUlT_E_NS1_11comp_targetILNS1_3genE9ELNS1_11target_archE1100ELNS1_3gpuE3ELNS1_3repE0EEENS1_30default_config_static_selectorELNS0_4arch9wavefront6targetE0EEEvSW_.num_named_barrier, 0
	.set _ZN7rocprim17ROCPRIM_400000_NS6detail17trampoline_kernelINS0_14default_configENS1_29binary_search_config_selectorIsiEEZNS1_14transform_implILb0ES3_S5_N6thrust23THRUST_200600_302600_NS6detail15normal_iteratorINS8_7pointerIsNS8_11hip_rocprim5par_tENS8_11use_defaultESE_EEEENSA_INSB_IiSD_SE_SE_EEEEZNS1_13binary_searchIS3_S5_PsSG_SI_NS1_16binary_search_opENS9_16wrapped_functionINS8_6system6detail7generic6detail18binary_search_lessEbEEEE10hipError_tPvRmT1_T2_T3_mmT4_T5_P12ihipStream_tbEUlRKsE_EEST_SX_SY_mSZ_S12_bEUlT_E_NS1_11comp_targetILNS1_3genE9ELNS1_11target_archE1100ELNS1_3gpuE3ELNS1_3repE0EEENS1_30default_config_static_selectorELNS0_4arch9wavefront6targetE0EEEvSW_.private_seg_size, 0
	.set _ZN7rocprim17ROCPRIM_400000_NS6detail17trampoline_kernelINS0_14default_configENS1_29binary_search_config_selectorIsiEEZNS1_14transform_implILb0ES3_S5_N6thrust23THRUST_200600_302600_NS6detail15normal_iteratorINS8_7pointerIsNS8_11hip_rocprim5par_tENS8_11use_defaultESE_EEEENSA_INSB_IiSD_SE_SE_EEEEZNS1_13binary_searchIS3_S5_PsSG_SI_NS1_16binary_search_opENS9_16wrapped_functionINS8_6system6detail7generic6detail18binary_search_lessEbEEEE10hipError_tPvRmT1_T2_T3_mmT4_T5_P12ihipStream_tbEUlRKsE_EEST_SX_SY_mSZ_S12_bEUlT_E_NS1_11comp_targetILNS1_3genE9ELNS1_11target_archE1100ELNS1_3gpuE3ELNS1_3repE0EEENS1_30default_config_static_selectorELNS0_4arch9wavefront6targetE0EEEvSW_.uses_vcc, 0
	.set _ZN7rocprim17ROCPRIM_400000_NS6detail17trampoline_kernelINS0_14default_configENS1_29binary_search_config_selectorIsiEEZNS1_14transform_implILb0ES3_S5_N6thrust23THRUST_200600_302600_NS6detail15normal_iteratorINS8_7pointerIsNS8_11hip_rocprim5par_tENS8_11use_defaultESE_EEEENSA_INSB_IiSD_SE_SE_EEEEZNS1_13binary_searchIS3_S5_PsSG_SI_NS1_16binary_search_opENS9_16wrapped_functionINS8_6system6detail7generic6detail18binary_search_lessEbEEEE10hipError_tPvRmT1_T2_T3_mmT4_T5_P12ihipStream_tbEUlRKsE_EEST_SX_SY_mSZ_S12_bEUlT_E_NS1_11comp_targetILNS1_3genE9ELNS1_11target_archE1100ELNS1_3gpuE3ELNS1_3repE0EEENS1_30default_config_static_selectorELNS0_4arch9wavefront6targetE0EEEvSW_.uses_flat_scratch, 0
	.set _ZN7rocprim17ROCPRIM_400000_NS6detail17trampoline_kernelINS0_14default_configENS1_29binary_search_config_selectorIsiEEZNS1_14transform_implILb0ES3_S5_N6thrust23THRUST_200600_302600_NS6detail15normal_iteratorINS8_7pointerIsNS8_11hip_rocprim5par_tENS8_11use_defaultESE_EEEENSA_INSB_IiSD_SE_SE_EEEEZNS1_13binary_searchIS3_S5_PsSG_SI_NS1_16binary_search_opENS9_16wrapped_functionINS8_6system6detail7generic6detail18binary_search_lessEbEEEE10hipError_tPvRmT1_T2_T3_mmT4_T5_P12ihipStream_tbEUlRKsE_EEST_SX_SY_mSZ_S12_bEUlT_E_NS1_11comp_targetILNS1_3genE9ELNS1_11target_archE1100ELNS1_3gpuE3ELNS1_3repE0EEENS1_30default_config_static_selectorELNS0_4arch9wavefront6targetE0EEEvSW_.has_dyn_sized_stack, 0
	.set _ZN7rocprim17ROCPRIM_400000_NS6detail17trampoline_kernelINS0_14default_configENS1_29binary_search_config_selectorIsiEEZNS1_14transform_implILb0ES3_S5_N6thrust23THRUST_200600_302600_NS6detail15normal_iteratorINS8_7pointerIsNS8_11hip_rocprim5par_tENS8_11use_defaultESE_EEEENSA_INSB_IiSD_SE_SE_EEEEZNS1_13binary_searchIS3_S5_PsSG_SI_NS1_16binary_search_opENS9_16wrapped_functionINS8_6system6detail7generic6detail18binary_search_lessEbEEEE10hipError_tPvRmT1_T2_T3_mmT4_T5_P12ihipStream_tbEUlRKsE_EEST_SX_SY_mSZ_S12_bEUlT_E_NS1_11comp_targetILNS1_3genE9ELNS1_11target_archE1100ELNS1_3gpuE3ELNS1_3repE0EEENS1_30default_config_static_selectorELNS0_4arch9wavefront6targetE0EEEvSW_.has_recursion, 0
	.set _ZN7rocprim17ROCPRIM_400000_NS6detail17trampoline_kernelINS0_14default_configENS1_29binary_search_config_selectorIsiEEZNS1_14transform_implILb0ES3_S5_N6thrust23THRUST_200600_302600_NS6detail15normal_iteratorINS8_7pointerIsNS8_11hip_rocprim5par_tENS8_11use_defaultESE_EEEENSA_INSB_IiSD_SE_SE_EEEEZNS1_13binary_searchIS3_S5_PsSG_SI_NS1_16binary_search_opENS9_16wrapped_functionINS8_6system6detail7generic6detail18binary_search_lessEbEEEE10hipError_tPvRmT1_T2_T3_mmT4_T5_P12ihipStream_tbEUlRKsE_EEST_SX_SY_mSZ_S12_bEUlT_E_NS1_11comp_targetILNS1_3genE9ELNS1_11target_archE1100ELNS1_3gpuE3ELNS1_3repE0EEENS1_30default_config_static_selectorELNS0_4arch9wavefront6targetE0EEEvSW_.has_indirect_call, 0
	.section	.AMDGPU.csdata,"",@progbits
; Kernel info:
; codeLenInByte = 0
; TotalNumSgprs: 0
; NumVgprs: 0
; ScratchSize: 0
; MemoryBound: 0
; FloatMode: 240
; IeeeMode: 1
; LDSByteSize: 0 bytes/workgroup (compile time only)
; SGPRBlocks: 0
; VGPRBlocks: 0
; NumSGPRsForWavesPerEU: 1
; NumVGPRsForWavesPerEU: 1
; Occupancy: 16
; WaveLimiterHint : 0
; COMPUTE_PGM_RSRC2:SCRATCH_EN: 0
; COMPUTE_PGM_RSRC2:USER_SGPR: 6
; COMPUTE_PGM_RSRC2:TRAP_HANDLER: 0
; COMPUTE_PGM_RSRC2:TGID_X_EN: 1
; COMPUTE_PGM_RSRC2:TGID_Y_EN: 0
; COMPUTE_PGM_RSRC2:TGID_Z_EN: 0
; COMPUTE_PGM_RSRC2:TIDIG_COMP_CNT: 0
	.section	.text._ZN7rocprim17ROCPRIM_400000_NS6detail17trampoline_kernelINS0_14default_configENS1_29binary_search_config_selectorIsiEEZNS1_14transform_implILb0ES3_S5_N6thrust23THRUST_200600_302600_NS6detail15normal_iteratorINS8_7pointerIsNS8_11hip_rocprim5par_tENS8_11use_defaultESE_EEEENSA_INSB_IiSD_SE_SE_EEEEZNS1_13binary_searchIS3_S5_PsSG_SI_NS1_16binary_search_opENS9_16wrapped_functionINS8_6system6detail7generic6detail18binary_search_lessEbEEEE10hipError_tPvRmT1_T2_T3_mmT4_T5_P12ihipStream_tbEUlRKsE_EEST_SX_SY_mSZ_S12_bEUlT_E_NS1_11comp_targetILNS1_3genE8ELNS1_11target_archE1030ELNS1_3gpuE2ELNS1_3repE0EEENS1_30default_config_static_selectorELNS0_4arch9wavefront6targetE0EEEvSW_,"axG",@progbits,_ZN7rocprim17ROCPRIM_400000_NS6detail17trampoline_kernelINS0_14default_configENS1_29binary_search_config_selectorIsiEEZNS1_14transform_implILb0ES3_S5_N6thrust23THRUST_200600_302600_NS6detail15normal_iteratorINS8_7pointerIsNS8_11hip_rocprim5par_tENS8_11use_defaultESE_EEEENSA_INSB_IiSD_SE_SE_EEEEZNS1_13binary_searchIS3_S5_PsSG_SI_NS1_16binary_search_opENS9_16wrapped_functionINS8_6system6detail7generic6detail18binary_search_lessEbEEEE10hipError_tPvRmT1_T2_T3_mmT4_T5_P12ihipStream_tbEUlRKsE_EEST_SX_SY_mSZ_S12_bEUlT_E_NS1_11comp_targetILNS1_3genE8ELNS1_11target_archE1030ELNS1_3gpuE2ELNS1_3repE0EEENS1_30default_config_static_selectorELNS0_4arch9wavefront6targetE0EEEvSW_,comdat
	.protected	_ZN7rocprim17ROCPRIM_400000_NS6detail17trampoline_kernelINS0_14default_configENS1_29binary_search_config_selectorIsiEEZNS1_14transform_implILb0ES3_S5_N6thrust23THRUST_200600_302600_NS6detail15normal_iteratorINS8_7pointerIsNS8_11hip_rocprim5par_tENS8_11use_defaultESE_EEEENSA_INSB_IiSD_SE_SE_EEEEZNS1_13binary_searchIS3_S5_PsSG_SI_NS1_16binary_search_opENS9_16wrapped_functionINS8_6system6detail7generic6detail18binary_search_lessEbEEEE10hipError_tPvRmT1_T2_T3_mmT4_T5_P12ihipStream_tbEUlRKsE_EEST_SX_SY_mSZ_S12_bEUlT_E_NS1_11comp_targetILNS1_3genE8ELNS1_11target_archE1030ELNS1_3gpuE2ELNS1_3repE0EEENS1_30default_config_static_selectorELNS0_4arch9wavefront6targetE0EEEvSW_ ; -- Begin function _ZN7rocprim17ROCPRIM_400000_NS6detail17trampoline_kernelINS0_14default_configENS1_29binary_search_config_selectorIsiEEZNS1_14transform_implILb0ES3_S5_N6thrust23THRUST_200600_302600_NS6detail15normal_iteratorINS8_7pointerIsNS8_11hip_rocprim5par_tENS8_11use_defaultESE_EEEENSA_INSB_IiSD_SE_SE_EEEEZNS1_13binary_searchIS3_S5_PsSG_SI_NS1_16binary_search_opENS9_16wrapped_functionINS8_6system6detail7generic6detail18binary_search_lessEbEEEE10hipError_tPvRmT1_T2_T3_mmT4_T5_P12ihipStream_tbEUlRKsE_EEST_SX_SY_mSZ_S12_bEUlT_E_NS1_11comp_targetILNS1_3genE8ELNS1_11target_archE1030ELNS1_3gpuE2ELNS1_3repE0EEENS1_30default_config_static_selectorELNS0_4arch9wavefront6targetE0EEEvSW_
	.globl	_ZN7rocprim17ROCPRIM_400000_NS6detail17trampoline_kernelINS0_14default_configENS1_29binary_search_config_selectorIsiEEZNS1_14transform_implILb0ES3_S5_N6thrust23THRUST_200600_302600_NS6detail15normal_iteratorINS8_7pointerIsNS8_11hip_rocprim5par_tENS8_11use_defaultESE_EEEENSA_INSB_IiSD_SE_SE_EEEEZNS1_13binary_searchIS3_S5_PsSG_SI_NS1_16binary_search_opENS9_16wrapped_functionINS8_6system6detail7generic6detail18binary_search_lessEbEEEE10hipError_tPvRmT1_T2_T3_mmT4_T5_P12ihipStream_tbEUlRKsE_EEST_SX_SY_mSZ_S12_bEUlT_E_NS1_11comp_targetILNS1_3genE8ELNS1_11target_archE1030ELNS1_3gpuE2ELNS1_3repE0EEENS1_30default_config_static_selectorELNS0_4arch9wavefront6targetE0EEEvSW_
	.p2align	8
	.type	_ZN7rocprim17ROCPRIM_400000_NS6detail17trampoline_kernelINS0_14default_configENS1_29binary_search_config_selectorIsiEEZNS1_14transform_implILb0ES3_S5_N6thrust23THRUST_200600_302600_NS6detail15normal_iteratorINS8_7pointerIsNS8_11hip_rocprim5par_tENS8_11use_defaultESE_EEEENSA_INSB_IiSD_SE_SE_EEEEZNS1_13binary_searchIS3_S5_PsSG_SI_NS1_16binary_search_opENS9_16wrapped_functionINS8_6system6detail7generic6detail18binary_search_lessEbEEEE10hipError_tPvRmT1_T2_T3_mmT4_T5_P12ihipStream_tbEUlRKsE_EEST_SX_SY_mSZ_S12_bEUlT_E_NS1_11comp_targetILNS1_3genE8ELNS1_11target_archE1030ELNS1_3gpuE2ELNS1_3repE0EEENS1_30default_config_static_selectorELNS0_4arch9wavefront6targetE0EEEvSW_,@function
_ZN7rocprim17ROCPRIM_400000_NS6detail17trampoline_kernelINS0_14default_configENS1_29binary_search_config_selectorIsiEEZNS1_14transform_implILb0ES3_S5_N6thrust23THRUST_200600_302600_NS6detail15normal_iteratorINS8_7pointerIsNS8_11hip_rocprim5par_tENS8_11use_defaultESE_EEEENSA_INSB_IiSD_SE_SE_EEEEZNS1_13binary_searchIS3_S5_PsSG_SI_NS1_16binary_search_opENS9_16wrapped_functionINS8_6system6detail7generic6detail18binary_search_lessEbEEEE10hipError_tPvRmT1_T2_T3_mmT4_T5_P12ihipStream_tbEUlRKsE_EEST_SX_SY_mSZ_S12_bEUlT_E_NS1_11comp_targetILNS1_3genE8ELNS1_11target_archE1030ELNS1_3gpuE2ELNS1_3repE0EEENS1_30default_config_static_selectorELNS0_4arch9wavefront6targetE0EEEvSW_: ; @_ZN7rocprim17ROCPRIM_400000_NS6detail17trampoline_kernelINS0_14default_configENS1_29binary_search_config_selectorIsiEEZNS1_14transform_implILb0ES3_S5_N6thrust23THRUST_200600_302600_NS6detail15normal_iteratorINS8_7pointerIsNS8_11hip_rocprim5par_tENS8_11use_defaultESE_EEEENSA_INSB_IiSD_SE_SE_EEEEZNS1_13binary_searchIS3_S5_PsSG_SI_NS1_16binary_search_opENS9_16wrapped_functionINS8_6system6detail7generic6detail18binary_search_lessEbEEEE10hipError_tPvRmT1_T2_T3_mmT4_T5_P12ihipStream_tbEUlRKsE_EEST_SX_SY_mSZ_S12_bEUlT_E_NS1_11comp_targetILNS1_3genE8ELNS1_11target_archE1030ELNS1_3gpuE2ELNS1_3repE0EEENS1_30default_config_static_selectorELNS0_4arch9wavefront6targetE0EEEvSW_
; %bb.0:
	s_clause 0x2
	s_load_dwordx8 s[8:15], s[4:5], 0x0
	s_load_dword s2, s[4:5], 0x38
	s_load_dwordx4 s[16:19], s[4:5], 0x20
	s_mov_b32 s5, 0
	s_waitcnt lgkmcnt(0)
	s_lshl_b64 s[0:1], s[10:11], 1
	s_add_u32 s3, s8, s0
	s_addc_u32 s13, s9, s1
	s_lshl_b64 s[0:1], s[10:11], 2
	s_add_u32 s7, s14, s0
	s_addc_u32 s8, s15, s1
	s_lshl_b32 s4, s6, 9
	s_add_i32 s2, s2, -1
	s_lshl_b64 s[0:1], s[4:5], 1
	s_add_u32 s9, s3, s0
	s_addc_u32 s10, s13, s1
	s_cmp_lg_u32 s6, s2
	s_mov_b32 s0, -1
	s_cbranch_scc0 .LBB321_26
; %bb.1:
	v_lshlrev_b32_e32 v1, 1, v0
	s_cmp_lg_u64 s[18:19], 0
	v_add_co_u32 v1, s0, s9, v1
	v_add_co_ci_u32_e64 v2, null, s10, 0, s0
	s_cselect_b32 s0, -1, 0
	s_cmp_eq_u64 s[18:19], 0
	s_clause 0x3
	flat_load_ushort v8, v[1:2]
	flat_load_ushort v10, v[1:2] offset:256
	flat_load_ushort v7, v[1:2] offset:512
	;; [unrolled: 1-line block ×3, first 2 shown]
	v_mov_b32_e32 v1, 0
	v_mov_b32_e32 v2, 0
	s_cbranch_scc1 .LBB321_5
; %bb.2:
	v_mov_b32_e32 v3, s18
	v_mov_b32_e32 v4, s19
	s_mov_b32 s1, 0
	s_inst_prefetch 0x1
	.p2align	6
.LBB321_3:                              ; =>This Inner Loop Header: Depth=1
	v_sub_co_u32 v11, vcc_lo, v3, v1
	v_sub_co_ci_u32_e64 v12, null, v4, v2, vcc_lo
	v_lshrrev_b64 v[13:14], 1, v[11:12]
	v_lshrrev_b64 v[11:12], 6, v[11:12]
	v_add_co_u32 v6, vcc_lo, v13, v1
	v_add_co_ci_u32_e64 v9, null, v14, v2, vcc_lo
	v_add_co_u32 v11, vcc_lo, v6, v11
	v_add_co_ci_u32_e64 v12, null, v9, v12, vcc_lo
	v_lshlrev_b64 v[13:14], 1, v[11:12]
	v_add_co_u32 v13, vcc_lo, s16, v13
	v_add_co_ci_u32_e64 v14, null, s17, v14, vcc_lo
	v_add_co_u32 v9, vcc_lo, v11, 1
	global_load_ushort v6, v[13:14], off
	v_add_co_ci_u32_e64 v13, null, 0, v12, vcc_lo
	s_waitcnt vmcnt(0) lgkmcnt(3)
	v_cmp_lt_i16_e32 vcc_lo, v6, v8
	v_cndmask_b32_e32 v4, v12, v4, vcc_lo
	v_cndmask_b32_e32 v3, v11, v3, vcc_lo
	;; [unrolled: 1-line block ×4, first 2 shown]
	v_cmp_ge_u64_e32 vcc_lo, v[1:2], v[3:4]
	s_or_b32 s1, vcc_lo, s1
	s_andn2_b32 exec_lo, exec_lo, s1
	s_cbranch_execnz .LBB321_3
; %bb.4:
	s_inst_prefetch 0x2
	s_or_b32 exec_lo, exec_lo, s1
.LBB321_5:
	v_mov_b32_e32 v6, 0
	s_mov_b32 s1, exec_lo
	v_cmpx_ne_u64_e64 s[18:19], v[1:2]
	s_cbranch_execz .LBB321_7
; %bb.6:
	v_lshlrev_b64 v[1:2], 1, v[1:2]
	v_add_co_u32 v1, vcc_lo, s16, v1
	v_add_co_ci_u32_e64 v2, null, s17, v2, vcc_lo
	global_load_ushort v1, v[1:2], off
	s_waitcnt vmcnt(0) lgkmcnt(3)
	v_cmp_ge_i16_e32 vcc_lo, v8, v1
	v_cndmask_b32_e64 v6, 0, 1, vcc_lo
.LBB321_7:
	s_or_b32 exec_lo, exec_lo, s1
	v_mov_b32_e32 v1, 0
	v_cndmask_b32_e64 v9, 0, 1, s0
	v_mov_b32_e32 v2, 0
	s_andn2_b32 vcc_lo, exec_lo, s0
	s_cbranch_vccnz .LBB321_11
; %bb.8:
	v_mov_b32_e32 v3, s18
	v_mov_b32_e32 v4, s19
	s_mov_b32 s0, 0
	s_inst_prefetch 0x1
	.p2align	6
.LBB321_9:                              ; =>This Inner Loop Header: Depth=1
	v_sub_co_u32 v11, vcc_lo, v3, v1
	v_sub_co_ci_u32_e64 v12, null, v4, v2, vcc_lo
	v_lshrrev_b64 v[13:14], 1, v[11:12]
	v_lshrrev_b64 v[11:12], 6, v[11:12]
	s_waitcnt vmcnt(3) lgkmcnt(3)
	v_add_co_u32 v8, vcc_lo, v13, v1
	v_add_co_ci_u32_e64 v13, null, v14, v2, vcc_lo
	v_add_co_u32 v11, vcc_lo, v8, v11
	v_add_co_ci_u32_e64 v12, null, v13, v12, vcc_lo
	v_lshlrev_b64 v[13:14], 1, v[11:12]
	v_add_co_u32 v13, vcc_lo, s16, v13
	v_add_co_ci_u32_e64 v14, null, s17, v14, vcc_lo
	global_load_ushort v8, v[13:14], off
	v_add_co_u32 v13, vcc_lo, v11, 1
	v_add_co_ci_u32_e64 v14, null, 0, v12, vcc_lo
	s_waitcnt vmcnt(0) lgkmcnt(2)
	v_cmp_lt_i16_e32 vcc_lo, v8, v10
	v_cndmask_b32_e32 v4, v12, v4, vcc_lo
	v_cndmask_b32_e32 v3, v11, v3, vcc_lo
	v_cndmask_b32_e32 v2, v2, v14, vcc_lo
	v_cndmask_b32_e32 v1, v1, v13, vcc_lo
	v_cmp_ge_u64_e32 vcc_lo, v[1:2], v[3:4]
	s_or_b32 s0, vcc_lo, s0
	s_andn2_b32 exec_lo, exec_lo, s0
	s_cbranch_execnz .LBB321_9
; %bb.10:
	s_inst_prefetch 0x2
	s_or_b32 exec_lo, exec_lo, s0
.LBB321_11:
	s_waitcnt vmcnt(3) lgkmcnt(3)
	v_mov_b32_e32 v8, 0
	s_mov_b32 s0, exec_lo
	v_cmpx_ne_u64_e64 s[18:19], v[1:2]
	s_cbranch_execz .LBB321_13
; %bb.12:
	v_lshlrev_b64 v[1:2], 1, v[1:2]
	v_add_co_u32 v1, vcc_lo, s16, v1
	v_add_co_ci_u32_e64 v2, null, s17, v2, vcc_lo
	global_load_ushort v1, v[1:2], off
	s_waitcnt vmcnt(0) lgkmcnt(2)
	v_cmp_ge_i16_e32 vcc_lo, v10, v1
	v_cndmask_b32_e64 v8, 0, 1, vcc_lo
.LBB321_13:
	s_or_b32 exec_lo, exec_lo, s0
	v_cmp_ne_u32_e32 vcc_lo, 1, v9
	v_mov_b32_e32 v1, 0
	v_mov_b32_e32 v2, 0
	s_cbranch_vccnz .LBB321_17
; %bb.14:
	v_mov_b32_e32 v3, s18
	v_mov_b32_e32 v4, s19
	s_mov_b32 s0, 0
	s_inst_prefetch 0x1
	.p2align	6
.LBB321_15:                             ; =>This Inner Loop Header: Depth=1
	s_waitcnt vmcnt(2) lgkmcnt(2)
	v_sub_co_u32 v10, vcc_lo, v3, v1
	v_sub_co_ci_u32_e64 v11, null, v4, v2, vcc_lo
	v_lshrrev_b64 v[12:13], 1, v[10:11]
	v_lshrrev_b64 v[10:11], 6, v[10:11]
	v_add_co_u32 v12, vcc_lo, v12, v1
	v_add_co_ci_u32_e64 v13, null, v13, v2, vcc_lo
	v_add_co_u32 v10, vcc_lo, v12, v10
	v_add_co_ci_u32_e64 v11, null, v13, v11, vcc_lo
	v_lshlrev_b64 v[12:13], 1, v[10:11]
	v_add_co_u32 v12, vcc_lo, s16, v12
	v_add_co_ci_u32_e64 v13, null, s17, v13, vcc_lo
	global_load_ushort v12, v[12:13], off
	v_add_co_u32 v13, vcc_lo, v10, 1
	v_add_co_ci_u32_e64 v14, null, 0, v11, vcc_lo
	s_waitcnt vmcnt(0) lgkmcnt(1)
	v_cmp_lt_i16_e32 vcc_lo, v12, v7
	v_cndmask_b32_e32 v4, v11, v4, vcc_lo
	v_cndmask_b32_e32 v3, v10, v3, vcc_lo
	;; [unrolled: 1-line block ×4, first 2 shown]
	v_cmp_ge_u64_e32 vcc_lo, v[1:2], v[3:4]
	s_or_b32 s0, vcc_lo, s0
	s_andn2_b32 exec_lo, exec_lo, s0
	s_cbranch_execnz .LBB321_15
; %bb.16:
	s_inst_prefetch 0x2
	s_or_b32 exec_lo, exec_lo, s0
.LBB321_17:
	s_waitcnt vmcnt(2) lgkmcnt(2)
	v_mov_b32_e32 v10, 0
	s_mov_b32 s0, exec_lo
	v_cmpx_ne_u64_e64 s[18:19], v[1:2]
	s_cbranch_execz .LBB321_19
; %bb.18:
	v_lshlrev_b64 v[1:2], 1, v[1:2]
	v_add_co_u32 v1, vcc_lo, s16, v1
	v_add_co_ci_u32_e64 v2, null, s17, v2, vcc_lo
	global_load_ushort v1, v[1:2], off
	s_waitcnt vmcnt(0) lgkmcnt(1)
	v_cmp_ge_i16_e32 vcc_lo, v7, v1
	v_cndmask_b32_e64 v10, 0, 1, vcc_lo
.LBB321_19:
	s_or_b32 exec_lo, exec_lo, s0
	v_cmp_ne_u32_e32 vcc_lo, 1, v9
	v_mov_b32_e32 v1, 0
	v_mov_b32_e32 v2, 0
	s_cbranch_vccnz .LBB321_23
; %bb.20:
	v_mov_b32_e32 v3, s18
	v_mov_b32_e32 v4, s19
	s_mov_b32 s0, 0
	s_inst_prefetch 0x1
	.p2align	6
.LBB321_21:                             ; =>This Inner Loop Header: Depth=1
	v_sub_co_u32 v11, vcc_lo, v3, v1
	v_sub_co_ci_u32_e64 v12, null, v4, v2, vcc_lo
	v_lshrrev_b64 v[13:14], 1, v[11:12]
	v_lshrrev_b64 v[11:12], 6, v[11:12]
	s_waitcnt vmcnt(1) lgkmcnt(1)
	v_add_co_u32 v7, vcc_lo, v13, v1
	v_add_co_ci_u32_e64 v9, null, v14, v2, vcc_lo
	v_add_co_u32 v11, vcc_lo, v7, v11
	v_add_co_ci_u32_e64 v12, null, v9, v12, vcc_lo
	v_lshlrev_b64 v[13:14], 1, v[11:12]
	v_add_co_u32 v13, vcc_lo, s16, v13
	v_add_co_ci_u32_e64 v14, null, s17, v14, vcc_lo
	v_add_co_u32 v9, vcc_lo, v11, 1
	global_load_ushort v7, v[13:14], off
	v_add_co_ci_u32_e64 v13, null, 0, v12, vcc_lo
	s_waitcnt vmcnt(0) lgkmcnt(0)
	v_cmp_lt_i16_e32 vcc_lo, v7, v5
	v_cndmask_b32_e32 v4, v12, v4, vcc_lo
	v_cndmask_b32_e32 v3, v11, v3, vcc_lo
	;; [unrolled: 1-line block ×4, first 2 shown]
	v_cmp_ge_u64_e32 vcc_lo, v[1:2], v[3:4]
	s_or_b32 s0, vcc_lo, s0
	s_andn2_b32 exec_lo, exec_lo, s0
	s_cbranch_execnz .LBB321_21
; %bb.22:
	s_inst_prefetch 0x2
	s_or_b32 exec_lo, exec_lo, s0
.LBB321_23:
	s_waitcnt vmcnt(1) lgkmcnt(1)
	v_mov_b32_e32 v7, 0
	s_mov_b32 s0, exec_lo
	v_cmpx_ne_u64_e64 s[18:19], v[1:2]
	s_cbranch_execz .LBB321_25
; %bb.24:
	v_lshlrev_b64 v[1:2], 1, v[1:2]
	v_add_co_u32 v1, vcc_lo, s16, v1
	v_add_co_ci_u32_e64 v2, null, s17, v2, vcc_lo
	global_load_ushort v1, v[1:2], off
	s_waitcnt vmcnt(0) lgkmcnt(0)
	v_cmp_ge_i16_e32 vcc_lo, v5, v1
	v_cndmask_b32_e64 v7, 0, 1, vcc_lo
.LBB321_25:
	s_or_b32 exec_lo, exec_lo, s0
	v_lshlrev_b32_e32 v1, 2, v0
	s_lshl_b64 s[0:1], s[4:5], 2
	s_mov_b32 s6, -1
	s_add_u32 s0, s7, s0
	s_addc_u32 s1, s8, s1
	v_add_co_u32 v1, s0, s0, v1
	v_add_co_ci_u32_e64 v2, null, s1, 0, s0
	flat_store_dword v[1:2], v6
	flat_store_dword v[1:2], v8 offset:512
	flat_store_dword v[1:2], v10 offset:1024
	s_branch .LBB321_73
.LBB321_26:
	s_mov_b32 s6, s5
                                        ; implicit-def: $vgpr7
                                        ; implicit-def: $vgpr1_vgpr2
	s_and_b32 vcc_lo, exec_lo, s0
	s_cbranch_vccz .LBB321_73
; %bb.27:
	v_mov_b32_e32 v1, 0
	s_sub_i32 s3, s12, s4
	v_cmp_gt_u32_e64 s0, s3, v0
	v_mov_b32_e32 v2, v1
	s_and_saveexec_b32 s1, s0
	s_cbranch_execz .LBB321_29
; %bb.28:
	v_lshlrev_b32_e32 v2, 1, v0
	v_mov_b32_e32 v4, v1
	s_waitcnt vmcnt(0) lgkmcnt(3)
	v_mov_b32_e32 v5, v1
	v_add_co_u32 v2, s2, s9, v2
	v_add_co_ci_u32_e64 v3, null, s10, 0, s2
	flat_load_short_d16 v4, v[2:3]
	s_waitcnt vmcnt(0) lgkmcnt(0)
	v_mov_b32_e32 v1, v4
	v_mov_b32_e32 v2, v5
.LBB321_29:
	s_or_b32 exec_lo, exec_lo, s1
	v_or_b32_e32 v3, 0x80, v0
	v_cmp_gt_u32_e64 s1, s3, v3
	s_and_saveexec_b32 s2, s1
	s_cbranch_execz .LBB321_31
; %bb.30:
	v_lshlrev_b32_e32 v3, 1, v0
	v_add_co_u32 v3, s11, s9, v3
	v_add_co_ci_u32_e64 v4, null, s10, 0, s11
	flat_load_short_d16_hi v1, v[3:4] offset:256
.LBB321_31:
	s_or_b32 exec_lo, exec_lo, s2
	v_or_b32_e32 v3, 0x100, v0
	v_cmp_gt_u32_e64 s2, s3, v3
	s_and_saveexec_b32 s11, s2
	s_cbranch_execz .LBB321_33
; %bb.32:
	v_lshlrev_b32_e32 v3, 1, v0
	v_add_co_u32 v3, s12, s9, v3
	v_add_co_ci_u32_e64 v4, null, s10, 0, s12
	flat_load_short_d16 v2, v[3:4] offset:512
.LBB321_33:
	s_or_b32 exec_lo, exec_lo, s11
	v_or_b32_e32 v3, 0x180, v0
	v_cmp_gt_u32_e64 s3, s3, v3
	s_and_saveexec_b32 s11, s3
	s_cbranch_execz .LBB321_35
; %bb.34:
	v_lshlrev_b32_e32 v3, 1, v0
	v_add_co_u32 v3, s9, s9, v3
	v_add_co_ci_u32_e64 v4, null, s10, 0, s9
	s_waitcnt vmcnt(0) lgkmcnt(0)
	flat_load_short_d16_hi v2, v[3:4] offset:768
.LBB321_35:
	s_or_b32 exec_lo, exec_lo, s11
	v_mov_b32_e32 v8, 0
	s_cmp_lg_u64 s[18:19], 0
	s_cselect_b32 s9, -1, 0
	v_mov_b32_e32 v9, v8
	v_mov_b32_e32 v10, v8
	;; [unrolled: 1-line block ×3, first 2 shown]
	s_and_saveexec_b32 s10, s0
	s_cbranch_execnz .LBB321_39
; %bb.36:
	s_or_b32 exec_lo, exec_lo, s10
	s_and_saveexec_b32 s10, s1
	s_cbranch_execnz .LBB321_46
.LBB321_37:
	s_or_b32 exec_lo, exec_lo, s10
	s_and_saveexec_b32 s10, s2
	s_cbranch_execnz .LBB321_53
.LBB321_38:
	s_or_b32 exec_lo, exec_lo, s10
	s_and_saveexec_b32 s10, s3
	s_cbranch_execnz .LBB321_60
	s_branch .LBB321_67
.LBB321_39:
	v_mov_b32_e32 v3, 0
	v_mov_b32_e32 v4, 0
	s_andn2_b32 vcc_lo, exec_lo, s9
	s_cbranch_vccnz .LBB321_43
; %bb.40:
	s_waitcnt vmcnt(0) lgkmcnt(3)
	v_mov_b32_e32 v5, s18
	v_mov_b32_e32 v6, s19
	s_mov_b32 s11, 0
	s_inst_prefetch 0x1
	.p2align	6
.LBB321_41:                             ; =>This Inner Loop Header: Depth=1
	v_sub_co_u32 v7, vcc_lo, v5, v3
	v_sub_co_ci_u32_e64 v8, null, v6, v4, vcc_lo
	v_lshrrev_b64 v[9:10], 1, v[7:8]
	v_lshrrev_b64 v[7:8], 6, v[7:8]
	v_add_co_u32 v9, vcc_lo, v9, v3
	v_add_co_ci_u32_e64 v10, null, v10, v4, vcc_lo
	v_add_co_u32 v7, vcc_lo, v9, v7
	v_add_co_ci_u32_e64 v8, null, v10, v8, vcc_lo
	v_lshlrev_b64 v[9:10], 1, v[7:8]
	v_add_co_u32 v9, vcc_lo, s16, v9
	v_add_co_ci_u32_e64 v10, null, s17, v10, vcc_lo
	global_load_ushort v9, v[9:10], off
	v_add_co_u32 v10, vcc_lo, v7, 1
	v_add_co_ci_u32_e64 v11, null, 0, v8, vcc_lo
	s_waitcnt vmcnt(0) lgkmcnt(0)
	v_cmp_lt_i16_e32 vcc_lo, v9, v1
	v_cndmask_b32_e32 v6, v8, v6, vcc_lo
	v_cndmask_b32_e32 v5, v7, v5, vcc_lo
	;; [unrolled: 1-line block ×4, first 2 shown]
	v_cmp_ge_u64_e32 vcc_lo, v[3:4], v[5:6]
	s_or_b32 s11, vcc_lo, s11
	s_andn2_b32 exec_lo, exec_lo, s11
	s_cbranch_execnz .LBB321_41
; %bb.42:
	s_inst_prefetch 0x2
	s_or_b32 exec_lo, exec_lo, s11
.LBB321_43:
	v_mov_b32_e32 v9, 0
	v_mov_b32_e32 v8, 0
	s_mov_b32 s11, exec_lo
	v_cmpx_ne_u64_e64 s[18:19], v[3:4]
	s_cbranch_execz .LBB321_45
; %bb.44:
	v_lshlrev_b64 v[3:4], 1, v[3:4]
	v_add_co_u32 v3, vcc_lo, s16, v3
	v_add_co_ci_u32_e64 v4, null, s17, v4, vcc_lo
	global_load_ushort v3, v[3:4], off
	s_waitcnt vmcnt(0) lgkmcnt(0)
	v_cmp_ge_i16_e32 vcc_lo, v1, v3
	v_cndmask_b32_e64 v8, 0, 1, vcc_lo
.LBB321_45:
	s_or_b32 exec_lo, exec_lo, s11
	v_mov_b32_e32 v10, v9
	v_mov_b32_e32 v7, v9
	s_or_b32 exec_lo, exec_lo, s10
	s_and_saveexec_b32 s10, s1
	s_cbranch_execz .LBB321_37
.LBB321_46:
	v_mov_b32_e32 v3, 0
	v_mov_b32_e32 v4, 0
	s_andn2_b32 vcc_lo, exec_lo, s9
	s_cbranch_vccnz .LBB321_50
; %bb.47:
	s_waitcnt vmcnt(0) lgkmcnt(3)
	v_mov_b32_e32 v5, s18
	v_mov_b32_e32 v6, s19
	s_mov_b32 s11, 0
	s_inst_prefetch 0x1
	.p2align	6
.LBB321_48:                             ; =>This Inner Loop Header: Depth=1
	v_sub_co_u32 v11, vcc_lo, v5, v3
	v_sub_co_ci_u32_e64 v12, null, v6, v4, vcc_lo
	v_lshrrev_b64 v[13:14], 1, v[11:12]
	v_lshrrev_b64 v[11:12], 6, v[11:12]
	v_add_co_u32 v9, vcc_lo, v13, v3
	v_add_co_ci_u32_e64 v13, null, v14, v4, vcc_lo
	v_add_co_u32 v11, vcc_lo, v9, v11
	v_add_co_ci_u32_e64 v12, null, v13, v12, vcc_lo
	v_lshlrev_b64 v[13:14], 1, v[11:12]
	v_add_co_u32 v13, vcc_lo, s16, v13
	v_add_co_ci_u32_e64 v14, null, s17, v14, vcc_lo
	global_load_ushort v9, v[13:14], off
	v_add_co_u32 v13, vcc_lo, v11, 1
	v_add_co_ci_u32_e64 v14, null, 0, v12, vcc_lo
	s_waitcnt vmcnt(0) lgkmcnt(0)
	v_cmp_lt_i16_sdwa vcc_lo, v9, v1 src0_sel:DWORD src1_sel:WORD_1
	v_cndmask_b32_e32 v6, v12, v6, vcc_lo
	v_cndmask_b32_e32 v5, v11, v5, vcc_lo
	;; [unrolled: 1-line block ×4, first 2 shown]
	v_cmp_ge_u64_e32 vcc_lo, v[3:4], v[5:6]
	s_or_b32 s11, vcc_lo, s11
	s_andn2_b32 exec_lo, exec_lo, s11
	s_cbranch_execnz .LBB321_48
; %bb.49:
	s_inst_prefetch 0x2
	s_or_b32 exec_lo, exec_lo, s11
.LBB321_50:
	v_mov_b32_e32 v9, 0
	s_mov_b32 s11, exec_lo
	v_cmpx_ne_u64_e64 s[18:19], v[3:4]
	s_cbranch_execz .LBB321_52
; %bb.51:
	v_lshlrev_b64 v[3:4], 1, v[3:4]
	v_add_co_u32 v3, vcc_lo, s16, v3
	v_add_co_ci_u32_e64 v4, null, s17, v4, vcc_lo
	global_load_ushort v3, v[3:4], off
	s_waitcnt vmcnt(0) lgkmcnt(0)
	v_cmp_ge_i16_sdwa s12, v1, v3 src0_sel:WORD_1 src1_sel:DWORD
	v_cndmask_b32_e64 v9, 0, 1, s12
.LBB321_52:
	s_or_b32 exec_lo, exec_lo, s11
	s_or_b32 exec_lo, exec_lo, s10
	s_and_saveexec_b32 s10, s2
	s_cbranch_execz .LBB321_38
.LBB321_53:
	v_mov_b32_e32 v3, 0
	v_mov_b32_e32 v4, 0
	s_andn2_b32 vcc_lo, exec_lo, s9
	s_cbranch_vccnz .LBB321_57
; %bb.54:
	s_waitcnt vmcnt(0) lgkmcnt(3)
	v_mov_b32_e32 v5, s18
	v_mov_b32_e32 v6, s19
	s_mov_b32 s11, 0
	s_inst_prefetch 0x1
	.p2align	6
.LBB321_55:                             ; =>This Inner Loop Header: Depth=1
	v_sub_co_u32 v10, vcc_lo, v5, v3
	v_sub_co_ci_u32_e64 v11, null, v6, v4, vcc_lo
	v_lshrrev_b64 v[12:13], 1, v[10:11]
	v_lshrrev_b64 v[10:11], 6, v[10:11]
	s_waitcnt lgkmcnt(0)
	v_add_co_u32 v1, vcc_lo, v12, v3
	v_add_co_ci_u32_e64 v12, null, v13, v4, vcc_lo
	v_add_co_u32 v10, vcc_lo, v1, v10
	v_add_co_ci_u32_e64 v11, null, v12, v11, vcc_lo
	v_lshlrev_b64 v[12:13], 1, v[10:11]
	v_add_co_u32 v12, vcc_lo, s16, v12
	v_add_co_ci_u32_e64 v13, null, s17, v13, vcc_lo
	global_load_ushort v1, v[12:13], off
	v_add_co_u32 v12, vcc_lo, v10, 1
	v_add_co_ci_u32_e64 v13, null, 0, v11, vcc_lo
	s_waitcnt vmcnt(0)
	v_cmp_lt_i16_e32 vcc_lo, v1, v2
	v_cndmask_b32_e32 v6, v11, v6, vcc_lo
	v_cndmask_b32_e32 v5, v10, v5, vcc_lo
	;; [unrolled: 1-line block ×4, first 2 shown]
	v_cmp_ge_u64_e32 vcc_lo, v[3:4], v[5:6]
	s_or_b32 s11, vcc_lo, s11
	s_andn2_b32 exec_lo, exec_lo, s11
	s_cbranch_execnz .LBB321_55
; %bb.56:
	s_inst_prefetch 0x2
	s_or_b32 exec_lo, exec_lo, s11
.LBB321_57:
	v_mov_b32_e32 v10, 0
	s_mov_b32 s11, exec_lo
	v_cmpx_ne_u64_e64 s[18:19], v[3:4]
	s_cbranch_execz .LBB321_59
; %bb.58:
	v_lshlrev_b64 v[3:4], 1, v[3:4]
	v_add_co_u32 v3, vcc_lo, s16, v3
	v_add_co_ci_u32_e64 v4, null, s17, v4, vcc_lo
	s_waitcnt lgkmcnt(0)
	global_load_ushort v1, v[3:4], off
	s_waitcnt vmcnt(0)
	v_cmp_ge_i16_e32 vcc_lo, v2, v1
	v_cndmask_b32_e64 v10, 0, 1, vcc_lo
.LBB321_59:
	s_or_b32 exec_lo, exec_lo, s11
	s_or_b32 exec_lo, exec_lo, s10
	s_and_saveexec_b32 s10, s3
	s_cbranch_execz .LBB321_67
.LBB321_60:
	v_mov_b32_e32 v3, 0
	v_mov_b32_e32 v4, 0
	s_andn2_b32 vcc_lo, exec_lo, s9
	s_cbranch_vccnz .LBB321_64
; %bb.61:
	s_waitcnt vmcnt(0) lgkmcnt(3)
	v_mov_b32_e32 v5, s18
	v_mov_b32_e32 v6, s19
	s_mov_b32 s9, 0
	s_inst_prefetch 0x1
	.p2align	6
.LBB321_62:                             ; =>This Inner Loop Header: Depth=1
	v_sub_co_u32 v11, vcc_lo, v5, v3
	v_sub_co_ci_u32_e64 v12, null, v6, v4, vcc_lo
	v_lshrrev_b64 v[13:14], 1, v[11:12]
	v_lshrrev_b64 v[11:12], 6, v[11:12]
	s_waitcnt lgkmcnt(0)
	v_add_co_u32 v1, vcc_lo, v13, v3
	v_add_co_ci_u32_e64 v7, null, v14, v4, vcc_lo
	v_add_co_u32 v11, vcc_lo, v1, v11
	v_add_co_ci_u32_e64 v12, null, v7, v12, vcc_lo
	v_lshlrev_b64 v[13:14], 1, v[11:12]
	v_add_co_u32 v13, vcc_lo, s16, v13
	v_add_co_ci_u32_e64 v14, null, s17, v14, vcc_lo
	v_add_co_u32 v7, vcc_lo, v11, 1
	global_load_ushort v1, v[13:14], off
	v_add_co_ci_u32_e64 v13, null, 0, v12, vcc_lo
	s_waitcnt vmcnt(0)
	v_cmp_lt_i16_sdwa vcc_lo, v1, v2 src0_sel:DWORD src1_sel:WORD_1
	v_cndmask_b32_e32 v6, v12, v6, vcc_lo
	v_cndmask_b32_e32 v5, v11, v5, vcc_lo
	;; [unrolled: 1-line block ×4, first 2 shown]
	v_cmp_ge_u64_e32 vcc_lo, v[3:4], v[5:6]
	s_or_b32 s9, vcc_lo, s9
	s_andn2_b32 exec_lo, exec_lo, s9
	s_cbranch_execnz .LBB321_62
; %bb.63:
	s_inst_prefetch 0x2
	s_or_b32 exec_lo, exec_lo, s9
.LBB321_64:
	v_mov_b32_e32 v7, 0
	s_mov_b32 s9, exec_lo
	v_cmpx_ne_u64_e64 s[18:19], v[3:4]
	s_cbranch_execz .LBB321_66
; %bb.65:
	v_lshlrev_b64 v[3:4], 1, v[3:4]
	v_add_co_u32 v3, vcc_lo, s16, v3
	v_add_co_ci_u32_e64 v4, null, s17, v4, vcc_lo
	s_waitcnt lgkmcnt(0)
	global_load_ushort v1, v[3:4], off
	s_waitcnt vmcnt(0)
	v_cmp_ge_i16_sdwa s11, v2, v1 src0_sel:WORD_1 src1_sel:DWORD
	v_cndmask_b32_e64 v7, 0, 1, s11
.LBB321_66:
	s_or_b32 exec_lo, exec_lo, s9
.LBB321_67:
	s_or_b32 exec_lo, exec_lo, s10
	v_lshlrev_b32_e32 v0, 2, v0
	s_lshl_b64 s[4:5], s[4:5], 2
	s_add_u32 s4, s7, s4
	s_addc_u32 s5, s8, s5
	s_waitcnt vmcnt(0) lgkmcnt(0)
	v_add_co_u32 v1, s4, s4, v0
	v_add_co_ci_u32_e64 v2, null, s5, 0, s4
	s_and_saveexec_b32 s4, s0
	s_xor_b32 s0, exec_lo, s4
	s_cbranch_execnz .LBB321_76
; %bb.68:
	s_or_b32 exec_lo, exec_lo, s0
	s_and_saveexec_b32 s0, s1
	s_cbranch_execnz .LBB321_77
.LBB321_69:
	s_or_b32 exec_lo, exec_lo, s0
	s_and_saveexec_b32 s0, s2
	s_cbranch_execnz .LBB321_78
.LBB321_70:
	s_or_b32 exec_lo, exec_lo, s0
	s_and_saveexec_b32 s0, s3
.LBB321_71:
	s_or_b32 s6, s6, exec_lo
.LBB321_72:
	s_or_b32 exec_lo, exec_lo, s0
.LBB321_73:
	s_and_saveexec_b32 s0, s6
	s_cbranch_execnz .LBB321_75
; %bb.74:
	s_endpgm
.LBB321_75:
	flat_store_dword v[1:2], v7 offset:1536
	s_endpgm
.LBB321_76:
	flat_store_dword v[1:2], v8
	s_or_b32 exec_lo, exec_lo, s0
	s_and_saveexec_b32 s0, s1
	s_cbranch_execz .LBB321_69
.LBB321_77:
	flat_store_dword v[1:2], v9 offset:512
	s_or_b32 exec_lo, exec_lo, s0
	s_and_saveexec_b32 s0, s2
	s_cbranch_execz .LBB321_70
.LBB321_78:
	flat_store_dword v[1:2], v10 offset:1024
	s_or_b32 exec_lo, exec_lo, s0
	s_and_saveexec_b32 s0, s3
	s_cbranch_execnz .LBB321_71
	s_branch .LBB321_72
	.section	.rodata,"a",@progbits
	.p2align	6, 0x0
	.amdhsa_kernel _ZN7rocprim17ROCPRIM_400000_NS6detail17trampoline_kernelINS0_14default_configENS1_29binary_search_config_selectorIsiEEZNS1_14transform_implILb0ES3_S5_N6thrust23THRUST_200600_302600_NS6detail15normal_iteratorINS8_7pointerIsNS8_11hip_rocprim5par_tENS8_11use_defaultESE_EEEENSA_INSB_IiSD_SE_SE_EEEEZNS1_13binary_searchIS3_S5_PsSG_SI_NS1_16binary_search_opENS9_16wrapped_functionINS8_6system6detail7generic6detail18binary_search_lessEbEEEE10hipError_tPvRmT1_T2_T3_mmT4_T5_P12ihipStream_tbEUlRKsE_EEST_SX_SY_mSZ_S12_bEUlT_E_NS1_11comp_targetILNS1_3genE8ELNS1_11target_archE1030ELNS1_3gpuE2ELNS1_3repE0EEENS1_30default_config_static_selectorELNS0_4arch9wavefront6targetE0EEEvSW_
		.amdhsa_group_segment_fixed_size 0
		.amdhsa_private_segment_fixed_size 0
		.amdhsa_kernarg_size 312
		.amdhsa_user_sgpr_count 6
		.amdhsa_user_sgpr_private_segment_buffer 1
		.amdhsa_user_sgpr_dispatch_ptr 0
		.amdhsa_user_sgpr_queue_ptr 0
		.amdhsa_user_sgpr_kernarg_segment_ptr 1
		.amdhsa_user_sgpr_dispatch_id 0
		.amdhsa_user_sgpr_flat_scratch_init 0
		.amdhsa_user_sgpr_private_segment_size 0
		.amdhsa_wavefront_size32 1
		.amdhsa_uses_dynamic_stack 0
		.amdhsa_system_sgpr_private_segment_wavefront_offset 0
		.amdhsa_system_sgpr_workgroup_id_x 1
		.amdhsa_system_sgpr_workgroup_id_y 0
		.amdhsa_system_sgpr_workgroup_id_z 0
		.amdhsa_system_sgpr_workgroup_info 0
		.amdhsa_system_vgpr_workitem_id 0
		.amdhsa_next_free_vgpr 15
		.amdhsa_next_free_sgpr 20
		.amdhsa_reserve_vcc 1
		.amdhsa_reserve_flat_scratch 1
		.amdhsa_float_round_mode_32 0
		.amdhsa_float_round_mode_16_64 0
		.amdhsa_float_denorm_mode_32 3
		.amdhsa_float_denorm_mode_16_64 3
		.amdhsa_dx10_clamp 1
		.amdhsa_ieee_mode 1
		.amdhsa_fp16_overflow 0
		.amdhsa_workgroup_processor_mode 1
		.amdhsa_memory_ordered 1
		.amdhsa_forward_progress 1
		.amdhsa_shared_vgpr_count 0
		.amdhsa_exception_fp_ieee_invalid_op 0
		.amdhsa_exception_fp_denorm_src 0
		.amdhsa_exception_fp_ieee_div_zero 0
		.amdhsa_exception_fp_ieee_overflow 0
		.amdhsa_exception_fp_ieee_underflow 0
		.amdhsa_exception_fp_ieee_inexact 0
		.amdhsa_exception_int_div_zero 0
	.end_amdhsa_kernel
	.section	.text._ZN7rocprim17ROCPRIM_400000_NS6detail17trampoline_kernelINS0_14default_configENS1_29binary_search_config_selectorIsiEEZNS1_14transform_implILb0ES3_S5_N6thrust23THRUST_200600_302600_NS6detail15normal_iteratorINS8_7pointerIsNS8_11hip_rocprim5par_tENS8_11use_defaultESE_EEEENSA_INSB_IiSD_SE_SE_EEEEZNS1_13binary_searchIS3_S5_PsSG_SI_NS1_16binary_search_opENS9_16wrapped_functionINS8_6system6detail7generic6detail18binary_search_lessEbEEEE10hipError_tPvRmT1_T2_T3_mmT4_T5_P12ihipStream_tbEUlRKsE_EEST_SX_SY_mSZ_S12_bEUlT_E_NS1_11comp_targetILNS1_3genE8ELNS1_11target_archE1030ELNS1_3gpuE2ELNS1_3repE0EEENS1_30default_config_static_selectorELNS0_4arch9wavefront6targetE0EEEvSW_,"axG",@progbits,_ZN7rocprim17ROCPRIM_400000_NS6detail17trampoline_kernelINS0_14default_configENS1_29binary_search_config_selectorIsiEEZNS1_14transform_implILb0ES3_S5_N6thrust23THRUST_200600_302600_NS6detail15normal_iteratorINS8_7pointerIsNS8_11hip_rocprim5par_tENS8_11use_defaultESE_EEEENSA_INSB_IiSD_SE_SE_EEEEZNS1_13binary_searchIS3_S5_PsSG_SI_NS1_16binary_search_opENS9_16wrapped_functionINS8_6system6detail7generic6detail18binary_search_lessEbEEEE10hipError_tPvRmT1_T2_T3_mmT4_T5_P12ihipStream_tbEUlRKsE_EEST_SX_SY_mSZ_S12_bEUlT_E_NS1_11comp_targetILNS1_3genE8ELNS1_11target_archE1030ELNS1_3gpuE2ELNS1_3repE0EEENS1_30default_config_static_selectorELNS0_4arch9wavefront6targetE0EEEvSW_,comdat
.Lfunc_end321:
	.size	_ZN7rocprim17ROCPRIM_400000_NS6detail17trampoline_kernelINS0_14default_configENS1_29binary_search_config_selectorIsiEEZNS1_14transform_implILb0ES3_S5_N6thrust23THRUST_200600_302600_NS6detail15normal_iteratorINS8_7pointerIsNS8_11hip_rocprim5par_tENS8_11use_defaultESE_EEEENSA_INSB_IiSD_SE_SE_EEEEZNS1_13binary_searchIS3_S5_PsSG_SI_NS1_16binary_search_opENS9_16wrapped_functionINS8_6system6detail7generic6detail18binary_search_lessEbEEEE10hipError_tPvRmT1_T2_T3_mmT4_T5_P12ihipStream_tbEUlRKsE_EEST_SX_SY_mSZ_S12_bEUlT_E_NS1_11comp_targetILNS1_3genE8ELNS1_11target_archE1030ELNS1_3gpuE2ELNS1_3repE0EEENS1_30default_config_static_selectorELNS0_4arch9wavefront6targetE0EEEvSW_, .Lfunc_end321-_ZN7rocprim17ROCPRIM_400000_NS6detail17trampoline_kernelINS0_14default_configENS1_29binary_search_config_selectorIsiEEZNS1_14transform_implILb0ES3_S5_N6thrust23THRUST_200600_302600_NS6detail15normal_iteratorINS8_7pointerIsNS8_11hip_rocprim5par_tENS8_11use_defaultESE_EEEENSA_INSB_IiSD_SE_SE_EEEEZNS1_13binary_searchIS3_S5_PsSG_SI_NS1_16binary_search_opENS9_16wrapped_functionINS8_6system6detail7generic6detail18binary_search_lessEbEEEE10hipError_tPvRmT1_T2_T3_mmT4_T5_P12ihipStream_tbEUlRKsE_EEST_SX_SY_mSZ_S12_bEUlT_E_NS1_11comp_targetILNS1_3genE8ELNS1_11target_archE1030ELNS1_3gpuE2ELNS1_3repE0EEENS1_30default_config_static_selectorELNS0_4arch9wavefront6targetE0EEEvSW_
                                        ; -- End function
	.set _ZN7rocprim17ROCPRIM_400000_NS6detail17trampoline_kernelINS0_14default_configENS1_29binary_search_config_selectorIsiEEZNS1_14transform_implILb0ES3_S5_N6thrust23THRUST_200600_302600_NS6detail15normal_iteratorINS8_7pointerIsNS8_11hip_rocprim5par_tENS8_11use_defaultESE_EEEENSA_INSB_IiSD_SE_SE_EEEEZNS1_13binary_searchIS3_S5_PsSG_SI_NS1_16binary_search_opENS9_16wrapped_functionINS8_6system6detail7generic6detail18binary_search_lessEbEEEE10hipError_tPvRmT1_T2_T3_mmT4_T5_P12ihipStream_tbEUlRKsE_EEST_SX_SY_mSZ_S12_bEUlT_E_NS1_11comp_targetILNS1_3genE8ELNS1_11target_archE1030ELNS1_3gpuE2ELNS1_3repE0EEENS1_30default_config_static_selectorELNS0_4arch9wavefront6targetE0EEEvSW_.num_vgpr, 15
	.set _ZN7rocprim17ROCPRIM_400000_NS6detail17trampoline_kernelINS0_14default_configENS1_29binary_search_config_selectorIsiEEZNS1_14transform_implILb0ES3_S5_N6thrust23THRUST_200600_302600_NS6detail15normal_iteratorINS8_7pointerIsNS8_11hip_rocprim5par_tENS8_11use_defaultESE_EEEENSA_INSB_IiSD_SE_SE_EEEEZNS1_13binary_searchIS3_S5_PsSG_SI_NS1_16binary_search_opENS9_16wrapped_functionINS8_6system6detail7generic6detail18binary_search_lessEbEEEE10hipError_tPvRmT1_T2_T3_mmT4_T5_P12ihipStream_tbEUlRKsE_EEST_SX_SY_mSZ_S12_bEUlT_E_NS1_11comp_targetILNS1_3genE8ELNS1_11target_archE1030ELNS1_3gpuE2ELNS1_3repE0EEENS1_30default_config_static_selectorELNS0_4arch9wavefront6targetE0EEEvSW_.num_agpr, 0
	.set _ZN7rocprim17ROCPRIM_400000_NS6detail17trampoline_kernelINS0_14default_configENS1_29binary_search_config_selectorIsiEEZNS1_14transform_implILb0ES3_S5_N6thrust23THRUST_200600_302600_NS6detail15normal_iteratorINS8_7pointerIsNS8_11hip_rocprim5par_tENS8_11use_defaultESE_EEEENSA_INSB_IiSD_SE_SE_EEEEZNS1_13binary_searchIS3_S5_PsSG_SI_NS1_16binary_search_opENS9_16wrapped_functionINS8_6system6detail7generic6detail18binary_search_lessEbEEEE10hipError_tPvRmT1_T2_T3_mmT4_T5_P12ihipStream_tbEUlRKsE_EEST_SX_SY_mSZ_S12_bEUlT_E_NS1_11comp_targetILNS1_3genE8ELNS1_11target_archE1030ELNS1_3gpuE2ELNS1_3repE0EEENS1_30default_config_static_selectorELNS0_4arch9wavefront6targetE0EEEvSW_.numbered_sgpr, 20
	.set _ZN7rocprim17ROCPRIM_400000_NS6detail17trampoline_kernelINS0_14default_configENS1_29binary_search_config_selectorIsiEEZNS1_14transform_implILb0ES3_S5_N6thrust23THRUST_200600_302600_NS6detail15normal_iteratorINS8_7pointerIsNS8_11hip_rocprim5par_tENS8_11use_defaultESE_EEEENSA_INSB_IiSD_SE_SE_EEEEZNS1_13binary_searchIS3_S5_PsSG_SI_NS1_16binary_search_opENS9_16wrapped_functionINS8_6system6detail7generic6detail18binary_search_lessEbEEEE10hipError_tPvRmT1_T2_T3_mmT4_T5_P12ihipStream_tbEUlRKsE_EEST_SX_SY_mSZ_S12_bEUlT_E_NS1_11comp_targetILNS1_3genE8ELNS1_11target_archE1030ELNS1_3gpuE2ELNS1_3repE0EEENS1_30default_config_static_selectorELNS0_4arch9wavefront6targetE0EEEvSW_.num_named_barrier, 0
	.set _ZN7rocprim17ROCPRIM_400000_NS6detail17trampoline_kernelINS0_14default_configENS1_29binary_search_config_selectorIsiEEZNS1_14transform_implILb0ES3_S5_N6thrust23THRUST_200600_302600_NS6detail15normal_iteratorINS8_7pointerIsNS8_11hip_rocprim5par_tENS8_11use_defaultESE_EEEENSA_INSB_IiSD_SE_SE_EEEEZNS1_13binary_searchIS3_S5_PsSG_SI_NS1_16binary_search_opENS9_16wrapped_functionINS8_6system6detail7generic6detail18binary_search_lessEbEEEE10hipError_tPvRmT1_T2_T3_mmT4_T5_P12ihipStream_tbEUlRKsE_EEST_SX_SY_mSZ_S12_bEUlT_E_NS1_11comp_targetILNS1_3genE8ELNS1_11target_archE1030ELNS1_3gpuE2ELNS1_3repE0EEENS1_30default_config_static_selectorELNS0_4arch9wavefront6targetE0EEEvSW_.private_seg_size, 0
	.set _ZN7rocprim17ROCPRIM_400000_NS6detail17trampoline_kernelINS0_14default_configENS1_29binary_search_config_selectorIsiEEZNS1_14transform_implILb0ES3_S5_N6thrust23THRUST_200600_302600_NS6detail15normal_iteratorINS8_7pointerIsNS8_11hip_rocprim5par_tENS8_11use_defaultESE_EEEENSA_INSB_IiSD_SE_SE_EEEEZNS1_13binary_searchIS3_S5_PsSG_SI_NS1_16binary_search_opENS9_16wrapped_functionINS8_6system6detail7generic6detail18binary_search_lessEbEEEE10hipError_tPvRmT1_T2_T3_mmT4_T5_P12ihipStream_tbEUlRKsE_EEST_SX_SY_mSZ_S12_bEUlT_E_NS1_11comp_targetILNS1_3genE8ELNS1_11target_archE1030ELNS1_3gpuE2ELNS1_3repE0EEENS1_30default_config_static_selectorELNS0_4arch9wavefront6targetE0EEEvSW_.uses_vcc, 1
	.set _ZN7rocprim17ROCPRIM_400000_NS6detail17trampoline_kernelINS0_14default_configENS1_29binary_search_config_selectorIsiEEZNS1_14transform_implILb0ES3_S5_N6thrust23THRUST_200600_302600_NS6detail15normal_iteratorINS8_7pointerIsNS8_11hip_rocprim5par_tENS8_11use_defaultESE_EEEENSA_INSB_IiSD_SE_SE_EEEEZNS1_13binary_searchIS3_S5_PsSG_SI_NS1_16binary_search_opENS9_16wrapped_functionINS8_6system6detail7generic6detail18binary_search_lessEbEEEE10hipError_tPvRmT1_T2_T3_mmT4_T5_P12ihipStream_tbEUlRKsE_EEST_SX_SY_mSZ_S12_bEUlT_E_NS1_11comp_targetILNS1_3genE8ELNS1_11target_archE1030ELNS1_3gpuE2ELNS1_3repE0EEENS1_30default_config_static_selectorELNS0_4arch9wavefront6targetE0EEEvSW_.uses_flat_scratch, 1
	.set _ZN7rocprim17ROCPRIM_400000_NS6detail17trampoline_kernelINS0_14default_configENS1_29binary_search_config_selectorIsiEEZNS1_14transform_implILb0ES3_S5_N6thrust23THRUST_200600_302600_NS6detail15normal_iteratorINS8_7pointerIsNS8_11hip_rocprim5par_tENS8_11use_defaultESE_EEEENSA_INSB_IiSD_SE_SE_EEEEZNS1_13binary_searchIS3_S5_PsSG_SI_NS1_16binary_search_opENS9_16wrapped_functionINS8_6system6detail7generic6detail18binary_search_lessEbEEEE10hipError_tPvRmT1_T2_T3_mmT4_T5_P12ihipStream_tbEUlRKsE_EEST_SX_SY_mSZ_S12_bEUlT_E_NS1_11comp_targetILNS1_3genE8ELNS1_11target_archE1030ELNS1_3gpuE2ELNS1_3repE0EEENS1_30default_config_static_selectorELNS0_4arch9wavefront6targetE0EEEvSW_.has_dyn_sized_stack, 0
	.set _ZN7rocprim17ROCPRIM_400000_NS6detail17trampoline_kernelINS0_14default_configENS1_29binary_search_config_selectorIsiEEZNS1_14transform_implILb0ES3_S5_N6thrust23THRUST_200600_302600_NS6detail15normal_iteratorINS8_7pointerIsNS8_11hip_rocprim5par_tENS8_11use_defaultESE_EEEENSA_INSB_IiSD_SE_SE_EEEEZNS1_13binary_searchIS3_S5_PsSG_SI_NS1_16binary_search_opENS9_16wrapped_functionINS8_6system6detail7generic6detail18binary_search_lessEbEEEE10hipError_tPvRmT1_T2_T3_mmT4_T5_P12ihipStream_tbEUlRKsE_EEST_SX_SY_mSZ_S12_bEUlT_E_NS1_11comp_targetILNS1_3genE8ELNS1_11target_archE1030ELNS1_3gpuE2ELNS1_3repE0EEENS1_30default_config_static_selectorELNS0_4arch9wavefront6targetE0EEEvSW_.has_recursion, 0
	.set _ZN7rocprim17ROCPRIM_400000_NS6detail17trampoline_kernelINS0_14default_configENS1_29binary_search_config_selectorIsiEEZNS1_14transform_implILb0ES3_S5_N6thrust23THRUST_200600_302600_NS6detail15normal_iteratorINS8_7pointerIsNS8_11hip_rocprim5par_tENS8_11use_defaultESE_EEEENSA_INSB_IiSD_SE_SE_EEEEZNS1_13binary_searchIS3_S5_PsSG_SI_NS1_16binary_search_opENS9_16wrapped_functionINS8_6system6detail7generic6detail18binary_search_lessEbEEEE10hipError_tPvRmT1_T2_T3_mmT4_T5_P12ihipStream_tbEUlRKsE_EEST_SX_SY_mSZ_S12_bEUlT_E_NS1_11comp_targetILNS1_3genE8ELNS1_11target_archE1030ELNS1_3gpuE2ELNS1_3repE0EEENS1_30default_config_static_selectorELNS0_4arch9wavefront6targetE0EEEvSW_.has_indirect_call, 0
	.section	.AMDGPU.csdata,"",@progbits
; Kernel info:
; codeLenInByte = 3244
; TotalNumSgprs: 22
; NumVgprs: 15
; ScratchSize: 0
; MemoryBound: 0
; FloatMode: 240
; IeeeMode: 1
; LDSByteSize: 0 bytes/workgroup (compile time only)
; SGPRBlocks: 0
; VGPRBlocks: 1
; NumSGPRsForWavesPerEU: 22
; NumVGPRsForWavesPerEU: 15
; Occupancy: 16
; WaveLimiterHint : 1
; COMPUTE_PGM_RSRC2:SCRATCH_EN: 0
; COMPUTE_PGM_RSRC2:USER_SGPR: 6
; COMPUTE_PGM_RSRC2:TRAP_HANDLER: 0
; COMPUTE_PGM_RSRC2:TGID_X_EN: 1
; COMPUTE_PGM_RSRC2:TGID_Y_EN: 0
; COMPUTE_PGM_RSRC2:TGID_Z_EN: 0
; COMPUTE_PGM_RSRC2:TIDIG_COMP_CNT: 0
	.section	.text._ZN7rocprim17ROCPRIM_400000_NS6detail17trampoline_kernelINS0_14default_configENS1_27lower_bound_config_selectorIdlEEZNS1_14transform_implILb0ES3_S5_N6thrust23THRUST_200600_302600_NS6detail15normal_iteratorINS8_7pointerIdNS8_11hip_rocprim5par_tENS8_11use_defaultESE_EEEENSA_INSB_IlSD_SE_SE_EEEEZNS1_13binary_searchIS3_S5_NSA_INS8_10device_ptrIdEEEESG_SI_NS1_21lower_bound_search_opENS9_16wrapped_functionINS8_6system6detail7generic6detail18binary_search_lessEbEEEE10hipError_tPvRmT1_T2_T3_mmT4_T5_P12ihipStream_tbEUlRKdE_EESV_SZ_S10_mS11_S14_bEUlT_E_NS1_11comp_targetILNS1_3genE0ELNS1_11target_archE4294967295ELNS1_3gpuE0ELNS1_3repE0EEENS1_30default_config_static_selectorELNS0_4arch9wavefront6targetE0EEEvSY_,"axG",@progbits,_ZN7rocprim17ROCPRIM_400000_NS6detail17trampoline_kernelINS0_14default_configENS1_27lower_bound_config_selectorIdlEEZNS1_14transform_implILb0ES3_S5_N6thrust23THRUST_200600_302600_NS6detail15normal_iteratorINS8_7pointerIdNS8_11hip_rocprim5par_tENS8_11use_defaultESE_EEEENSA_INSB_IlSD_SE_SE_EEEEZNS1_13binary_searchIS3_S5_NSA_INS8_10device_ptrIdEEEESG_SI_NS1_21lower_bound_search_opENS9_16wrapped_functionINS8_6system6detail7generic6detail18binary_search_lessEbEEEE10hipError_tPvRmT1_T2_T3_mmT4_T5_P12ihipStream_tbEUlRKdE_EESV_SZ_S10_mS11_S14_bEUlT_E_NS1_11comp_targetILNS1_3genE0ELNS1_11target_archE4294967295ELNS1_3gpuE0ELNS1_3repE0EEENS1_30default_config_static_selectorELNS0_4arch9wavefront6targetE0EEEvSY_,comdat
	.protected	_ZN7rocprim17ROCPRIM_400000_NS6detail17trampoline_kernelINS0_14default_configENS1_27lower_bound_config_selectorIdlEEZNS1_14transform_implILb0ES3_S5_N6thrust23THRUST_200600_302600_NS6detail15normal_iteratorINS8_7pointerIdNS8_11hip_rocprim5par_tENS8_11use_defaultESE_EEEENSA_INSB_IlSD_SE_SE_EEEEZNS1_13binary_searchIS3_S5_NSA_INS8_10device_ptrIdEEEESG_SI_NS1_21lower_bound_search_opENS9_16wrapped_functionINS8_6system6detail7generic6detail18binary_search_lessEbEEEE10hipError_tPvRmT1_T2_T3_mmT4_T5_P12ihipStream_tbEUlRKdE_EESV_SZ_S10_mS11_S14_bEUlT_E_NS1_11comp_targetILNS1_3genE0ELNS1_11target_archE4294967295ELNS1_3gpuE0ELNS1_3repE0EEENS1_30default_config_static_selectorELNS0_4arch9wavefront6targetE0EEEvSY_ ; -- Begin function _ZN7rocprim17ROCPRIM_400000_NS6detail17trampoline_kernelINS0_14default_configENS1_27lower_bound_config_selectorIdlEEZNS1_14transform_implILb0ES3_S5_N6thrust23THRUST_200600_302600_NS6detail15normal_iteratorINS8_7pointerIdNS8_11hip_rocprim5par_tENS8_11use_defaultESE_EEEENSA_INSB_IlSD_SE_SE_EEEEZNS1_13binary_searchIS3_S5_NSA_INS8_10device_ptrIdEEEESG_SI_NS1_21lower_bound_search_opENS9_16wrapped_functionINS8_6system6detail7generic6detail18binary_search_lessEbEEEE10hipError_tPvRmT1_T2_T3_mmT4_T5_P12ihipStream_tbEUlRKdE_EESV_SZ_S10_mS11_S14_bEUlT_E_NS1_11comp_targetILNS1_3genE0ELNS1_11target_archE4294967295ELNS1_3gpuE0ELNS1_3repE0EEENS1_30default_config_static_selectorELNS0_4arch9wavefront6targetE0EEEvSY_
	.globl	_ZN7rocprim17ROCPRIM_400000_NS6detail17trampoline_kernelINS0_14default_configENS1_27lower_bound_config_selectorIdlEEZNS1_14transform_implILb0ES3_S5_N6thrust23THRUST_200600_302600_NS6detail15normal_iteratorINS8_7pointerIdNS8_11hip_rocprim5par_tENS8_11use_defaultESE_EEEENSA_INSB_IlSD_SE_SE_EEEEZNS1_13binary_searchIS3_S5_NSA_INS8_10device_ptrIdEEEESG_SI_NS1_21lower_bound_search_opENS9_16wrapped_functionINS8_6system6detail7generic6detail18binary_search_lessEbEEEE10hipError_tPvRmT1_T2_T3_mmT4_T5_P12ihipStream_tbEUlRKdE_EESV_SZ_S10_mS11_S14_bEUlT_E_NS1_11comp_targetILNS1_3genE0ELNS1_11target_archE4294967295ELNS1_3gpuE0ELNS1_3repE0EEENS1_30default_config_static_selectorELNS0_4arch9wavefront6targetE0EEEvSY_
	.p2align	8
	.type	_ZN7rocprim17ROCPRIM_400000_NS6detail17trampoline_kernelINS0_14default_configENS1_27lower_bound_config_selectorIdlEEZNS1_14transform_implILb0ES3_S5_N6thrust23THRUST_200600_302600_NS6detail15normal_iteratorINS8_7pointerIdNS8_11hip_rocprim5par_tENS8_11use_defaultESE_EEEENSA_INSB_IlSD_SE_SE_EEEEZNS1_13binary_searchIS3_S5_NSA_INS8_10device_ptrIdEEEESG_SI_NS1_21lower_bound_search_opENS9_16wrapped_functionINS8_6system6detail7generic6detail18binary_search_lessEbEEEE10hipError_tPvRmT1_T2_T3_mmT4_T5_P12ihipStream_tbEUlRKdE_EESV_SZ_S10_mS11_S14_bEUlT_E_NS1_11comp_targetILNS1_3genE0ELNS1_11target_archE4294967295ELNS1_3gpuE0ELNS1_3repE0EEENS1_30default_config_static_selectorELNS0_4arch9wavefront6targetE0EEEvSY_,@function
_ZN7rocprim17ROCPRIM_400000_NS6detail17trampoline_kernelINS0_14default_configENS1_27lower_bound_config_selectorIdlEEZNS1_14transform_implILb0ES3_S5_N6thrust23THRUST_200600_302600_NS6detail15normal_iteratorINS8_7pointerIdNS8_11hip_rocprim5par_tENS8_11use_defaultESE_EEEENSA_INSB_IlSD_SE_SE_EEEEZNS1_13binary_searchIS3_S5_NSA_INS8_10device_ptrIdEEEESG_SI_NS1_21lower_bound_search_opENS9_16wrapped_functionINS8_6system6detail7generic6detail18binary_search_lessEbEEEE10hipError_tPvRmT1_T2_T3_mmT4_T5_P12ihipStream_tbEUlRKdE_EESV_SZ_S10_mS11_S14_bEUlT_E_NS1_11comp_targetILNS1_3genE0ELNS1_11target_archE4294967295ELNS1_3gpuE0ELNS1_3repE0EEENS1_30default_config_static_selectorELNS0_4arch9wavefront6targetE0EEEvSY_: ; @_ZN7rocprim17ROCPRIM_400000_NS6detail17trampoline_kernelINS0_14default_configENS1_27lower_bound_config_selectorIdlEEZNS1_14transform_implILb0ES3_S5_N6thrust23THRUST_200600_302600_NS6detail15normal_iteratorINS8_7pointerIdNS8_11hip_rocprim5par_tENS8_11use_defaultESE_EEEENSA_INSB_IlSD_SE_SE_EEEEZNS1_13binary_searchIS3_S5_NSA_INS8_10device_ptrIdEEEESG_SI_NS1_21lower_bound_search_opENS9_16wrapped_functionINS8_6system6detail7generic6detail18binary_search_lessEbEEEE10hipError_tPvRmT1_T2_T3_mmT4_T5_P12ihipStream_tbEUlRKdE_EESV_SZ_S10_mS11_S14_bEUlT_E_NS1_11comp_targetILNS1_3genE0ELNS1_11target_archE4294967295ELNS1_3gpuE0ELNS1_3repE0EEENS1_30default_config_static_selectorELNS0_4arch9wavefront6targetE0EEEvSY_
; %bb.0:
	.section	.rodata,"a",@progbits
	.p2align	6, 0x0
	.amdhsa_kernel _ZN7rocprim17ROCPRIM_400000_NS6detail17trampoline_kernelINS0_14default_configENS1_27lower_bound_config_selectorIdlEEZNS1_14transform_implILb0ES3_S5_N6thrust23THRUST_200600_302600_NS6detail15normal_iteratorINS8_7pointerIdNS8_11hip_rocprim5par_tENS8_11use_defaultESE_EEEENSA_INSB_IlSD_SE_SE_EEEEZNS1_13binary_searchIS3_S5_NSA_INS8_10device_ptrIdEEEESG_SI_NS1_21lower_bound_search_opENS9_16wrapped_functionINS8_6system6detail7generic6detail18binary_search_lessEbEEEE10hipError_tPvRmT1_T2_T3_mmT4_T5_P12ihipStream_tbEUlRKdE_EESV_SZ_S10_mS11_S14_bEUlT_E_NS1_11comp_targetILNS1_3genE0ELNS1_11target_archE4294967295ELNS1_3gpuE0ELNS1_3repE0EEENS1_30default_config_static_selectorELNS0_4arch9wavefront6targetE0EEEvSY_
		.amdhsa_group_segment_fixed_size 0
		.amdhsa_private_segment_fixed_size 0
		.amdhsa_kernarg_size 56
		.amdhsa_user_sgpr_count 6
		.amdhsa_user_sgpr_private_segment_buffer 1
		.amdhsa_user_sgpr_dispatch_ptr 0
		.amdhsa_user_sgpr_queue_ptr 0
		.amdhsa_user_sgpr_kernarg_segment_ptr 1
		.amdhsa_user_sgpr_dispatch_id 0
		.amdhsa_user_sgpr_flat_scratch_init 0
		.amdhsa_user_sgpr_private_segment_size 0
		.amdhsa_wavefront_size32 1
		.amdhsa_uses_dynamic_stack 0
		.amdhsa_system_sgpr_private_segment_wavefront_offset 0
		.amdhsa_system_sgpr_workgroup_id_x 1
		.amdhsa_system_sgpr_workgroup_id_y 0
		.amdhsa_system_sgpr_workgroup_id_z 0
		.amdhsa_system_sgpr_workgroup_info 0
		.amdhsa_system_vgpr_workitem_id 0
		.amdhsa_next_free_vgpr 1
		.amdhsa_next_free_sgpr 1
		.amdhsa_reserve_vcc 0
		.amdhsa_reserve_flat_scratch 0
		.amdhsa_float_round_mode_32 0
		.amdhsa_float_round_mode_16_64 0
		.amdhsa_float_denorm_mode_32 3
		.amdhsa_float_denorm_mode_16_64 3
		.amdhsa_dx10_clamp 1
		.amdhsa_ieee_mode 1
		.amdhsa_fp16_overflow 0
		.amdhsa_workgroup_processor_mode 1
		.amdhsa_memory_ordered 1
		.amdhsa_forward_progress 1
		.amdhsa_shared_vgpr_count 0
		.amdhsa_exception_fp_ieee_invalid_op 0
		.amdhsa_exception_fp_denorm_src 0
		.amdhsa_exception_fp_ieee_div_zero 0
		.amdhsa_exception_fp_ieee_overflow 0
		.amdhsa_exception_fp_ieee_underflow 0
		.amdhsa_exception_fp_ieee_inexact 0
		.amdhsa_exception_int_div_zero 0
	.end_amdhsa_kernel
	.section	.text._ZN7rocprim17ROCPRIM_400000_NS6detail17trampoline_kernelINS0_14default_configENS1_27lower_bound_config_selectorIdlEEZNS1_14transform_implILb0ES3_S5_N6thrust23THRUST_200600_302600_NS6detail15normal_iteratorINS8_7pointerIdNS8_11hip_rocprim5par_tENS8_11use_defaultESE_EEEENSA_INSB_IlSD_SE_SE_EEEEZNS1_13binary_searchIS3_S5_NSA_INS8_10device_ptrIdEEEESG_SI_NS1_21lower_bound_search_opENS9_16wrapped_functionINS8_6system6detail7generic6detail18binary_search_lessEbEEEE10hipError_tPvRmT1_T2_T3_mmT4_T5_P12ihipStream_tbEUlRKdE_EESV_SZ_S10_mS11_S14_bEUlT_E_NS1_11comp_targetILNS1_3genE0ELNS1_11target_archE4294967295ELNS1_3gpuE0ELNS1_3repE0EEENS1_30default_config_static_selectorELNS0_4arch9wavefront6targetE0EEEvSY_,"axG",@progbits,_ZN7rocprim17ROCPRIM_400000_NS6detail17trampoline_kernelINS0_14default_configENS1_27lower_bound_config_selectorIdlEEZNS1_14transform_implILb0ES3_S5_N6thrust23THRUST_200600_302600_NS6detail15normal_iteratorINS8_7pointerIdNS8_11hip_rocprim5par_tENS8_11use_defaultESE_EEEENSA_INSB_IlSD_SE_SE_EEEEZNS1_13binary_searchIS3_S5_NSA_INS8_10device_ptrIdEEEESG_SI_NS1_21lower_bound_search_opENS9_16wrapped_functionINS8_6system6detail7generic6detail18binary_search_lessEbEEEE10hipError_tPvRmT1_T2_T3_mmT4_T5_P12ihipStream_tbEUlRKdE_EESV_SZ_S10_mS11_S14_bEUlT_E_NS1_11comp_targetILNS1_3genE0ELNS1_11target_archE4294967295ELNS1_3gpuE0ELNS1_3repE0EEENS1_30default_config_static_selectorELNS0_4arch9wavefront6targetE0EEEvSY_,comdat
.Lfunc_end322:
	.size	_ZN7rocprim17ROCPRIM_400000_NS6detail17trampoline_kernelINS0_14default_configENS1_27lower_bound_config_selectorIdlEEZNS1_14transform_implILb0ES3_S5_N6thrust23THRUST_200600_302600_NS6detail15normal_iteratorINS8_7pointerIdNS8_11hip_rocprim5par_tENS8_11use_defaultESE_EEEENSA_INSB_IlSD_SE_SE_EEEEZNS1_13binary_searchIS3_S5_NSA_INS8_10device_ptrIdEEEESG_SI_NS1_21lower_bound_search_opENS9_16wrapped_functionINS8_6system6detail7generic6detail18binary_search_lessEbEEEE10hipError_tPvRmT1_T2_T3_mmT4_T5_P12ihipStream_tbEUlRKdE_EESV_SZ_S10_mS11_S14_bEUlT_E_NS1_11comp_targetILNS1_3genE0ELNS1_11target_archE4294967295ELNS1_3gpuE0ELNS1_3repE0EEENS1_30default_config_static_selectorELNS0_4arch9wavefront6targetE0EEEvSY_, .Lfunc_end322-_ZN7rocprim17ROCPRIM_400000_NS6detail17trampoline_kernelINS0_14default_configENS1_27lower_bound_config_selectorIdlEEZNS1_14transform_implILb0ES3_S5_N6thrust23THRUST_200600_302600_NS6detail15normal_iteratorINS8_7pointerIdNS8_11hip_rocprim5par_tENS8_11use_defaultESE_EEEENSA_INSB_IlSD_SE_SE_EEEEZNS1_13binary_searchIS3_S5_NSA_INS8_10device_ptrIdEEEESG_SI_NS1_21lower_bound_search_opENS9_16wrapped_functionINS8_6system6detail7generic6detail18binary_search_lessEbEEEE10hipError_tPvRmT1_T2_T3_mmT4_T5_P12ihipStream_tbEUlRKdE_EESV_SZ_S10_mS11_S14_bEUlT_E_NS1_11comp_targetILNS1_3genE0ELNS1_11target_archE4294967295ELNS1_3gpuE0ELNS1_3repE0EEENS1_30default_config_static_selectorELNS0_4arch9wavefront6targetE0EEEvSY_
                                        ; -- End function
	.set _ZN7rocprim17ROCPRIM_400000_NS6detail17trampoline_kernelINS0_14default_configENS1_27lower_bound_config_selectorIdlEEZNS1_14transform_implILb0ES3_S5_N6thrust23THRUST_200600_302600_NS6detail15normal_iteratorINS8_7pointerIdNS8_11hip_rocprim5par_tENS8_11use_defaultESE_EEEENSA_INSB_IlSD_SE_SE_EEEEZNS1_13binary_searchIS3_S5_NSA_INS8_10device_ptrIdEEEESG_SI_NS1_21lower_bound_search_opENS9_16wrapped_functionINS8_6system6detail7generic6detail18binary_search_lessEbEEEE10hipError_tPvRmT1_T2_T3_mmT4_T5_P12ihipStream_tbEUlRKdE_EESV_SZ_S10_mS11_S14_bEUlT_E_NS1_11comp_targetILNS1_3genE0ELNS1_11target_archE4294967295ELNS1_3gpuE0ELNS1_3repE0EEENS1_30default_config_static_selectorELNS0_4arch9wavefront6targetE0EEEvSY_.num_vgpr, 0
	.set _ZN7rocprim17ROCPRIM_400000_NS6detail17trampoline_kernelINS0_14default_configENS1_27lower_bound_config_selectorIdlEEZNS1_14transform_implILb0ES3_S5_N6thrust23THRUST_200600_302600_NS6detail15normal_iteratorINS8_7pointerIdNS8_11hip_rocprim5par_tENS8_11use_defaultESE_EEEENSA_INSB_IlSD_SE_SE_EEEEZNS1_13binary_searchIS3_S5_NSA_INS8_10device_ptrIdEEEESG_SI_NS1_21lower_bound_search_opENS9_16wrapped_functionINS8_6system6detail7generic6detail18binary_search_lessEbEEEE10hipError_tPvRmT1_T2_T3_mmT4_T5_P12ihipStream_tbEUlRKdE_EESV_SZ_S10_mS11_S14_bEUlT_E_NS1_11comp_targetILNS1_3genE0ELNS1_11target_archE4294967295ELNS1_3gpuE0ELNS1_3repE0EEENS1_30default_config_static_selectorELNS0_4arch9wavefront6targetE0EEEvSY_.num_agpr, 0
	.set _ZN7rocprim17ROCPRIM_400000_NS6detail17trampoline_kernelINS0_14default_configENS1_27lower_bound_config_selectorIdlEEZNS1_14transform_implILb0ES3_S5_N6thrust23THRUST_200600_302600_NS6detail15normal_iteratorINS8_7pointerIdNS8_11hip_rocprim5par_tENS8_11use_defaultESE_EEEENSA_INSB_IlSD_SE_SE_EEEEZNS1_13binary_searchIS3_S5_NSA_INS8_10device_ptrIdEEEESG_SI_NS1_21lower_bound_search_opENS9_16wrapped_functionINS8_6system6detail7generic6detail18binary_search_lessEbEEEE10hipError_tPvRmT1_T2_T3_mmT4_T5_P12ihipStream_tbEUlRKdE_EESV_SZ_S10_mS11_S14_bEUlT_E_NS1_11comp_targetILNS1_3genE0ELNS1_11target_archE4294967295ELNS1_3gpuE0ELNS1_3repE0EEENS1_30default_config_static_selectorELNS0_4arch9wavefront6targetE0EEEvSY_.numbered_sgpr, 0
	.set _ZN7rocprim17ROCPRIM_400000_NS6detail17trampoline_kernelINS0_14default_configENS1_27lower_bound_config_selectorIdlEEZNS1_14transform_implILb0ES3_S5_N6thrust23THRUST_200600_302600_NS6detail15normal_iteratorINS8_7pointerIdNS8_11hip_rocprim5par_tENS8_11use_defaultESE_EEEENSA_INSB_IlSD_SE_SE_EEEEZNS1_13binary_searchIS3_S5_NSA_INS8_10device_ptrIdEEEESG_SI_NS1_21lower_bound_search_opENS9_16wrapped_functionINS8_6system6detail7generic6detail18binary_search_lessEbEEEE10hipError_tPvRmT1_T2_T3_mmT4_T5_P12ihipStream_tbEUlRKdE_EESV_SZ_S10_mS11_S14_bEUlT_E_NS1_11comp_targetILNS1_3genE0ELNS1_11target_archE4294967295ELNS1_3gpuE0ELNS1_3repE0EEENS1_30default_config_static_selectorELNS0_4arch9wavefront6targetE0EEEvSY_.num_named_barrier, 0
	.set _ZN7rocprim17ROCPRIM_400000_NS6detail17trampoline_kernelINS0_14default_configENS1_27lower_bound_config_selectorIdlEEZNS1_14transform_implILb0ES3_S5_N6thrust23THRUST_200600_302600_NS6detail15normal_iteratorINS8_7pointerIdNS8_11hip_rocprim5par_tENS8_11use_defaultESE_EEEENSA_INSB_IlSD_SE_SE_EEEEZNS1_13binary_searchIS3_S5_NSA_INS8_10device_ptrIdEEEESG_SI_NS1_21lower_bound_search_opENS9_16wrapped_functionINS8_6system6detail7generic6detail18binary_search_lessEbEEEE10hipError_tPvRmT1_T2_T3_mmT4_T5_P12ihipStream_tbEUlRKdE_EESV_SZ_S10_mS11_S14_bEUlT_E_NS1_11comp_targetILNS1_3genE0ELNS1_11target_archE4294967295ELNS1_3gpuE0ELNS1_3repE0EEENS1_30default_config_static_selectorELNS0_4arch9wavefront6targetE0EEEvSY_.private_seg_size, 0
	.set _ZN7rocprim17ROCPRIM_400000_NS6detail17trampoline_kernelINS0_14default_configENS1_27lower_bound_config_selectorIdlEEZNS1_14transform_implILb0ES3_S5_N6thrust23THRUST_200600_302600_NS6detail15normal_iteratorINS8_7pointerIdNS8_11hip_rocprim5par_tENS8_11use_defaultESE_EEEENSA_INSB_IlSD_SE_SE_EEEEZNS1_13binary_searchIS3_S5_NSA_INS8_10device_ptrIdEEEESG_SI_NS1_21lower_bound_search_opENS9_16wrapped_functionINS8_6system6detail7generic6detail18binary_search_lessEbEEEE10hipError_tPvRmT1_T2_T3_mmT4_T5_P12ihipStream_tbEUlRKdE_EESV_SZ_S10_mS11_S14_bEUlT_E_NS1_11comp_targetILNS1_3genE0ELNS1_11target_archE4294967295ELNS1_3gpuE0ELNS1_3repE0EEENS1_30default_config_static_selectorELNS0_4arch9wavefront6targetE0EEEvSY_.uses_vcc, 0
	.set _ZN7rocprim17ROCPRIM_400000_NS6detail17trampoline_kernelINS0_14default_configENS1_27lower_bound_config_selectorIdlEEZNS1_14transform_implILb0ES3_S5_N6thrust23THRUST_200600_302600_NS6detail15normal_iteratorINS8_7pointerIdNS8_11hip_rocprim5par_tENS8_11use_defaultESE_EEEENSA_INSB_IlSD_SE_SE_EEEEZNS1_13binary_searchIS3_S5_NSA_INS8_10device_ptrIdEEEESG_SI_NS1_21lower_bound_search_opENS9_16wrapped_functionINS8_6system6detail7generic6detail18binary_search_lessEbEEEE10hipError_tPvRmT1_T2_T3_mmT4_T5_P12ihipStream_tbEUlRKdE_EESV_SZ_S10_mS11_S14_bEUlT_E_NS1_11comp_targetILNS1_3genE0ELNS1_11target_archE4294967295ELNS1_3gpuE0ELNS1_3repE0EEENS1_30default_config_static_selectorELNS0_4arch9wavefront6targetE0EEEvSY_.uses_flat_scratch, 0
	.set _ZN7rocprim17ROCPRIM_400000_NS6detail17trampoline_kernelINS0_14default_configENS1_27lower_bound_config_selectorIdlEEZNS1_14transform_implILb0ES3_S5_N6thrust23THRUST_200600_302600_NS6detail15normal_iteratorINS8_7pointerIdNS8_11hip_rocprim5par_tENS8_11use_defaultESE_EEEENSA_INSB_IlSD_SE_SE_EEEEZNS1_13binary_searchIS3_S5_NSA_INS8_10device_ptrIdEEEESG_SI_NS1_21lower_bound_search_opENS9_16wrapped_functionINS8_6system6detail7generic6detail18binary_search_lessEbEEEE10hipError_tPvRmT1_T2_T3_mmT4_T5_P12ihipStream_tbEUlRKdE_EESV_SZ_S10_mS11_S14_bEUlT_E_NS1_11comp_targetILNS1_3genE0ELNS1_11target_archE4294967295ELNS1_3gpuE0ELNS1_3repE0EEENS1_30default_config_static_selectorELNS0_4arch9wavefront6targetE0EEEvSY_.has_dyn_sized_stack, 0
	.set _ZN7rocprim17ROCPRIM_400000_NS6detail17trampoline_kernelINS0_14default_configENS1_27lower_bound_config_selectorIdlEEZNS1_14transform_implILb0ES3_S5_N6thrust23THRUST_200600_302600_NS6detail15normal_iteratorINS8_7pointerIdNS8_11hip_rocprim5par_tENS8_11use_defaultESE_EEEENSA_INSB_IlSD_SE_SE_EEEEZNS1_13binary_searchIS3_S5_NSA_INS8_10device_ptrIdEEEESG_SI_NS1_21lower_bound_search_opENS9_16wrapped_functionINS8_6system6detail7generic6detail18binary_search_lessEbEEEE10hipError_tPvRmT1_T2_T3_mmT4_T5_P12ihipStream_tbEUlRKdE_EESV_SZ_S10_mS11_S14_bEUlT_E_NS1_11comp_targetILNS1_3genE0ELNS1_11target_archE4294967295ELNS1_3gpuE0ELNS1_3repE0EEENS1_30default_config_static_selectorELNS0_4arch9wavefront6targetE0EEEvSY_.has_recursion, 0
	.set _ZN7rocprim17ROCPRIM_400000_NS6detail17trampoline_kernelINS0_14default_configENS1_27lower_bound_config_selectorIdlEEZNS1_14transform_implILb0ES3_S5_N6thrust23THRUST_200600_302600_NS6detail15normal_iteratorINS8_7pointerIdNS8_11hip_rocprim5par_tENS8_11use_defaultESE_EEEENSA_INSB_IlSD_SE_SE_EEEEZNS1_13binary_searchIS3_S5_NSA_INS8_10device_ptrIdEEEESG_SI_NS1_21lower_bound_search_opENS9_16wrapped_functionINS8_6system6detail7generic6detail18binary_search_lessEbEEEE10hipError_tPvRmT1_T2_T3_mmT4_T5_P12ihipStream_tbEUlRKdE_EESV_SZ_S10_mS11_S14_bEUlT_E_NS1_11comp_targetILNS1_3genE0ELNS1_11target_archE4294967295ELNS1_3gpuE0ELNS1_3repE0EEENS1_30default_config_static_selectorELNS0_4arch9wavefront6targetE0EEEvSY_.has_indirect_call, 0
	.section	.AMDGPU.csdata,"",@progbits
; Kernel info:
; codeLenInByte = 0
; TotalNumSgprs: 0
; NumVgprs: 0
; ScratchSize: 0
; MemoryBound: 0
; FloatMode: 240
; IeeeMode: 1
; LDSByteSize: 0 bytes/workgroup (compile time only)
; SGPRBlocks: 0
; VGPRBlocks: 0
; NumSGPRsForWavesPerEU: 1
; NumVGPRsForWavesPerEU: 1
; Occupancy: 16
; WaveLimiterHint : 0
; COMPUTE_PGM_RSRC2:SCRATCH_EN: 0
; COMPUTE_PGM_RSRC2:USER_SGPR: 6
; COMPUTE_PGM_RSRC2:TRAP_HANDLER: 0
; COMPUTE_PGM_RSRC2:TGID_X_EN: 1
; COMPUTE_PGM_RSRC2:TGID_Y_EN: 0
; COMPUTE_PGM_RSRC2:TGID_Z_EN: 0
; COMPUTE_PGM_RSRC2:TIDIG_COMP_CNT: 0
	.section	.text._ZN7rocprim17ROCPRIM_400000_NS6detail17trampoline_kernelINS0_14default_configENS1_27lower_bound_config_selectorIdlEEZNS1_14transform_implILb0ES3_S5_N6thrust23THRUST_200600_302600_NS6detail15normal_iteratorINS8_7pointerIdNS8_11hip_rocprim5par_tENS8_11use_defaultESE_EEEENSA_INSB_IlSD_SE_SE_EEEEZNS1_13binary_searchIS3_S5_NSA_INS8_10device_ptrIdEEEESG_SI_NS1_21lower_bound_search_opENS9_16wrapped_functionINS8_6system6detail7generic6detail18binary_search_lessEbEEEE10hipError_tPvRmT1_T2_T3_mmT4_T5_P12ihipStream_tbEUlRKdE_EESV_SZ_S10_mS11_S14_bEUlT_E_NS1_11comp_targetILNS1_3genE5ELNS1_11target_archE942ELNS1_3gpuE9ELNS1_3repE0EEENS1_30default_config_static_selectorELNS0_4arch9wavefront6targetE0EEEvSY_,"axG",@progbits,_ZN7rocprim17ROCPRIM_400000_NS6detail17trampoline_kernelINS0_14default_configENS1_27lower_bound_config_selectorIdlEEZNS1_14transform_implILb0ES3_S5_N6thrust23THRUST_200600_302600_NS6detail15normal_iteratorINS8_7pointerIdNS8_11hip_rocprim5par_tENS8_11use_defaultESE_EEEENSA_INSB_IlSD_SE_SE_EEEEZNS1_13binary_searchIS3_S5_NSA_INS8_10device_ptrIdEEEESG_SI_NS1_21lower_bound_search_opENS9_16wrapped_functionINS8_6system6detail7generic6detail18binary_search_lessEbEEEE10hipError_tPvRmT1_T2_T3_mmT4_T5_P12ihipStream_tbEUlRKdE_EESV_SZ_S10_mS11_S14_bEUlT_E_NS1_11comp_targetILNS1_3genE5ELNS1_11target_archE942ELNS1_3gpuE9ELNS1_3repE0EEENS1_30default_config_static_selectorELNS0_4arch9wavefront6targetE0EEEvSY_,comdat
	.protected	_ZN7rocprim17ROCPRIM_400000_NS6detail17trampoline_kernelINS0_14default_configENS1_27lower_bound_config_selectorIdlEEZNS1_14transform_implILb0ES3_S5_N6thrust23THRUST_200600_302600_NS6detail15normal_iteratorINS8_7pointerIdNS8_11hip_rocprim5par_tENS8_11use_defaultESE_EEEENSA_INSB_IlSD_SE_SE_EEEEZNS1_13binary_searchIS3_S5_NSA_INS8_10device_ptrIdEEEESG_SI_NS1_21lower_bound_search_opENS9_16wrapped_functionINS8_6system6detail7generic6detail18binary_search_lessEbEEEE10hipError_tPvRmT1_T2_T3_mmT4_T5_P12ihipStream_tbEUlRKdE_EESV_SZ_S10_mS11_S14_bEUlT_E_NS1_11comp_targetILNS1_3genE5ELNS1_11target_archE942ELNS1_3gpuE9ELNS1_3repE0EEENS1_30default_config_static_selectorELNS0_4arch9wavefront6targetE0EEEvSY_ ; -- Begin function _ZN7rocprim17ROCPRIM_400000_NS6detail17trampoline_kernelINS0_14default_configENS1_27lower_bound_config_selectorIdlEEZNS1_14transform_implILb0ES3_S5_N6thrust23THRUST_200600_302600_NS6detail15normal_iteratorINS8_7pointerIdNS8_11hip_rocprim5par_tENS8_11use_defaultESE_EEEENSA_INSB_IlSD_SE_SE_EEEEZNS1_13binary_searchIS3_S5_NSA_INS8_10device_ptrIdEEEESG_SI_NS1_21lower_bound_search_opENS9_16wrapped_functionINS8_6system6detail7generic6detail18binary_search_lessEbEEEE10hipError_tPvRmT1_T2_T3_mmT4_T5_P12ihipStream_tbEUlRKdE_EESV_SZ_S10_mS11_S14_bEUlT_E_NS1_11comp_targetILNS1_3genE5ELNS1_11target_archE942ELNS1_3gpuE9ELNS1_3repE0EEENS1_30default_config_static_selectorELNS0_4arch9wavefront6targetE0EEEvSY_
	.globl	_ZN7rocprim17ROCPRIM_400000_NS6detail17trampoline_kernelINS0_14default_configENS1_27lower_bound_config_selectorIdlEEZNS1_14transform_implILb0ES3_S5_N6thrust23THRUST_200600_302600_NS6detail15normal_iteratorINS8_7pointerIdNS8_11hip_rocprim5par_tENS8_11use_defaultESE_EEEENSA_INSB_IlSD_SE_SE_EEEEZNS1_13binary_searchIS3_S5_NSA_INS8_10device_ptrIdEEEESG_SI_NS1_21lower_bound_search_opENS9_16wrapped_functionINS8_6system6detail7generic6detail18binary_search_lessEbEEEE10hipError_tPvRmT1_T2_T3_mmT4_T5_P12ihipStream_tbEUlRKdE_EESV_SZ_S10_mS11_S14_bEUlT_E_NS1_11comp_targetILNS1_3genE5ELNS1_11target_archE942ELNS1_3gpuE9ELNS1_3repE0EEENS1_30default_config_static_selectorELNS0_4arch9wavefront6targetE0EEEvSY_
	.p2align	8
	.type	_ZN7rocprim17ROCPRIM_400000_NS6detail17trampoline_kernelINS0_14default_configENS1_27lower_bound_config_selectorIdlEEZNS1_14transform_implILb0ES3_S5_N6thrust23THRUST_200600_302600_NS6detail15normal_iteratorINS8_7pointerIdNS8_11hip_rocprim5par_tENS8_11use_defaultESE_EEEENSA_INSB_IlSD_SE_SE_EEEEZNS1_13binary_searchIS3_S5_NSA_INS8_10device_ptrIdEEEESG_SI_NS1_21lower_bound_search_opENS9_16wrapped_functionINS8_6system6detail7generic6detail18binary_search_lessEbEEEE10hipError_tPvRmT1_T2_T3_mmT4_T5_P12ihipStream_tbEUlRKdE_EESV_SZ_S10_mS11_S14_bEUlT_E_NS1_11comp_targetILNS1_3genE5ELNS1_11target_archE942ELNS1_3gpuE9ELNS1_3repE0EEENS1_30default_config_static_selectorELNS0_4arch9wavefront6targetE0EEEvSY_,@function
_ZN7rocprim17ROCPRIM_400000_NS6detail17trampoline_kernelINS0_14default_configENS1_27lower_bound_config_selectorIdlEEZNS1_14transform_implILb0ES3_S5_N6thrust23THRUST_200600_302600_NS6detail15normal_iteratorINS8_7pointerIdNS8_11hip_rocprim5par_tENS8_11use_defaultESE_EEEENSA_INSB_IlSD_SE_SE_EEEEZNS1_13binary_searchIS3_S5_NSA_INS8_10device_ptrIdEEEESG_SI_NS1_21lower_bound_search_opENS9_16wrapped_functionINS8_6system6detail7generic6detail18binary_search_lessEbEEEE10hipError_tPvRmT1_T2_T3_mmT4_T5_P12ihipStream_tbEUlRKdE_EESV_SZ_S10_mS11_S14_bEUlT_E_NS1_11comp_targetILNS1_3genE5ELNS1_11target_archE942ELNS1_3gpuE9ELNS1_3repE0EEENS1_30default_config_static_selectorELNS0_4arch9wavefront6targetE0EEEvSY_: ; @_ZN7rocprim17ROCPRIM_400000_NS6detail17trampoline_kernelINS0_14default_configENS1_27lower_bound_config_selectorIdlEEZNS1_14transform_implILb0ES3_S5_N6thrust23THRUST_200600_302600_NS6detail15normal_iteratorINS8_7pointerIdNS8_11hip_rocprim5par_tENS8_11use_defaultESE_EEEENSA_INSB_IlSD_SE_SE_EEEEZNS1_13binary_searchIS3_S5_NSA_INS8_10device_ptrIdEEEESG_SI_NS1_21lower_bound_search_opENS9_16wrapped_functionINS8_6system6detail7generic6detail18binary_search_lessEbEEEE10hipError_tPvRmT1_T2_T3_mmT4_T5_P12ihipStream_tbEUlRKdE_EESV_SZ_S10_mS11_S14_bEUlT_E_NS1_11comp_targetILNS1_3genE5ELNS1_11target_archE942ELNS1_3gpuE9ELNS1_3repE0EEENS1_30default_config_static_selectorELNS0_4arch9wavefront6targetE0EEEvSY_
; %bb.0:
	.section	.rodata,"a",@progbits
	.p2align	6, 0x0
	.amdhsa_kernel _ZN7rocprim17ROCPRIM_400000_NS6detail17trampoline_kernelINS0_14default_configENS1_27lower_bound_config_selectorIdlEEZNS1_14transform_implILb0ES3_S5_N6thrust23THRUST_200600_302600_NS6detail15normal_iteratorINS8_7pointerIdNS8_11hip_rocprim5par_tENS8_11use_defaultESE_EEEENSA_INSB_IlSD_SE_SE_EEEEZNS1_13binary_searchIS3_S5_NSA_INS8_10device_ptrIdEEEESG_SI_NS1_21lower_bound_search_opENS9_16wrapped_functionINS8_6system6detail7generic6detail18binary_search_lessEbEEEE10hipError_tPvRmT1_T2_T3_mmT4_T5_P12ihipStream_tbEUlRKdE_EESV_SZ_S10_mS11_S14_bEUlT_E_NS1_11comp_targetILNS1_3genE5ELNS1_11target_archE942ELNS1_3gpuE9ELNS1_3repE0EEENS1_30default_config_static_selectorELNS0_4arch9wavefront6targetE0EEEvSY_
		.amdhsa_group_segment_fixed_size 0
		.amdhsa_private_segment_fixed_size 0
		.amdhsa_kernarg_size 56
		.amdhsa_user_sgpr_count 6
		.amdhsa_user_sgpr_private_segment_buffer 1
		.amdhsa_user_sgpr_dispatch_ptr 0
		.amdhsa_user_sgpr_queue_ptr 0
		.amdhsa_user_sgpr_kernarg_segment_ptr 1
		.amdhsa_user_sgpr_dispatch_id 0
		.amdhsa_user_sgpr_flat_scratch_init 0
		.amdhsa_user_sgpr_private_segment_size 0
		.amdhsa_wavefront_size32 1
		.amdhsa_uses_dynamic_stack 0
		.amdhsa_system_sgpr_private_segment_wavefront_offset 0
		.amdhsa_system_sgpr_workgroup_id_x 1
		.amdhsa_system_sgpr_workgroup_id_y 0
		.amdhsa_system_sgpr_workgroup_id_z 0
		.amdhsa_system_sgpr_workgroup_info 0
		.amdhsa_system_vgpr_workitem_id 0
		.amdhsa_next_free_vgpr 1
		.amdhsa_next_free_sgpr 1
		.amdhsa_reserve_vcc 0
		.amdhsa_reserve_flat_scratch 0
		.amdhsa_float_round_mode_32 0
		.amdhsa_float_round_mode_16_64 0
		.amdhsa_float_denorm_mode_32 3
		.amdhsa_float_denorm_mode_16_64 3
		.amdhsa_dx10_clamp 1
		.amdhsa_ieee_mode 1
		.amdhsa_fp16_overflow 0
		.amdhsa_workgroup_processor_mode 1
		.amdhsa_memory_ordered 1
		.amdhsa_forward_progress 1
		.amdhsa_shared_vgpr_count 0
		.amdhsa_exception_fp_ieee_invalid_op 0
		.amdhsa_exception_fp_denorm_src 0
		.amdhsa_exception_fp_ieee_div_zero 0
		.amdhsa_exception_fp_ieee_overflow 0
		.amdhsa_exception_fp_ieee_underflow 0
		.amdhsa_exception_fp_ieee_inexact 0
		.amdhsa_exception_int_div_zero 0
	.end_amdhsa_kernel
	.section	.text._ZN7rocprim17ROCPRIM_400000_NS6detail17trampoline_kernelINS0_14default_configENS1_27lower_bound_config_selectorIdlEEZNS1_14transform_implILb0ES3_S5_N6thrust23THRUST_200600_302600_NS6detail15normal_iteratorINS8_7pointerIdNS8_11hip_rocprim5par_tENS8_11use_defaultESE_EEEENSA_INSB_IlSD_SE_SE_EEEEZNS1_13binary_searchIS3_S5_NSA_INS8_10device_ptrIdEEEESG_SI_NS1_21lower_bound_search_opENS9_16wrapped_functionINS8_6system6detail7generic6detail18binary_search_lessEbEEEE10hipError_tPvRmT1_T2_T3_mmT4_T5_P12ihipStream_tbEUlRKdE_EESV_SZ_S10_mS11_S14_bEUlT_E_NS1_11comp_targetILNS1_3genE5ELNS1_11target_archE942ELNS1_3gpuE9ELNS1_3repE0EEENS1_30default_config_static_selectorELNS0_4arch9wavefront6targetE0EEEvSY_,"axG",@progbits,_ZN7rocprim17ROCPRIM_400000_NS6detail17trampoline_kernelINS0_14default_configENS1_27lower_bound_config_selectorIdlEEZNS1_14transform_implILb0ES3_S5_N6thrust23THRUST_200600_302600_NS6detail15normal_iteratorINS8_7pointerIdNS8_11hip_rocprim5par_tENS8_11use_defaultESE_EEEENSA_INSB_IlSD_SE_SE_EEEEZNS1_13binary_searchIS3_S5_NSA_INS8_10device_ptrIdEEEESG_SI_NS1_21lower_bound_search_opENS9_16wrapped_functionINS8_6system6detail7generic6detail18binary_search_lessEbEEEE10hipError_tPvRmT1_T2_T3_mmT4_T5_P12ihipStream_tbEUlRKdE_EESV_SZ_S10_mS11_S14_bEUlT_E_NS1_11comp_targetILNS1_3genE5ELNS1_11target_archE942ELNS1_3gpuE9ELNS1_3repE0EEENS1_30default_config_static_selectorELNS0_4arch9wavefront6targetE0EEEvSY_,comdat
.Lfunc_end323:
	.size	_ZN7rocprim17ROCPRIM_400000_NS6detail17trampoline_kernelINS0_14default_configENS1_27lower_bound_config_selectorIdlEEZNS1_14transform_implILb0ES3_S5_N6thrust23THRUST_200600_302600_NS6detail15normal_iteratorINS8_7pointerIdNS8_11hip_rocprim5par_tENS8_11use_defaultESE_EEEENSA_INSB_IlSD_SE_SE_EEEEZNS1_13binary_searchIS3_S5_NSA_INS8_10device_ptrIdEEEESG_SI_NS1_21lower_bound_search_opENS9_16wrapped_functionINS8_6system6detail7generic6detail18binary_search_lessEbEEEE10hipError_tPvRmT1_T2_T3_mmT4_T5_P12ihipStream_tbEUlRKdE_EESV_SZ_S10_mS11_S14_bEUlT_E_NS1_11comp_targetILNS1_3genE5ELNS1_11target_archE942ELNS1_3gpuE9ELNS1_3repE0EEENS1_30default_config_static_selectorELNS0_4arch9wavefront6targetE0EEEvSY_, .Lfunc_end323-_ZN7rocprim17ROCPRIM_400000_NS6detail17trampoline_kernelINS0_14default_configENS1_27lower_bound_config_selectorIdlEEZNS1_14transform_implILb0ES3_S5_N6thrust23THRUST_200600_302600_NS6detail15normal_iteratorINS8_7pointerIdNS8_11hip_rocprim5par_tENS8_11use_defaultESE_EEEENSA_INSB_IlSD_SE_SE_EEEEZNS1_13binary_searchIS3_S5_NSA_INS8_10device_ptrIdEEEESG_SI_NS1_21lower_bound_search_opENS9_16wrapped_functionINS8_6system6detail7generic6detail18binary_search_lessEbEEEE10hipError_tPvRmT1_T2_T3_mmT4_T5_P12ihipStream_tbEUlRKdE_EESV_SZ_S10_mS11_S14_bEUlT_E_NS1_11comp_targetILNS1_3genE5ELNS1_11target_archE942ELNS1_3gpuE9ELNS1_3repE0EEENS1_30default_config_static_selectorELNS0_4arch9wavefront6targetE0EEEvSY_
                                        ; -- End function
	.set _ZN7rocprim17ROCPRIM_400000_NS6detail17trampoline_kernelINS0_14default_configENS1_27lower_bound_config_selectorIdlEEZNS1_14transform_implILb0ES3_S5_N6thrust23THRUST_200600_302600_NS6detail15normal_iteratorINS8_7pointerIdNS8_11hip_rocprim5par_tENS8_11use_defaultESE_EEEENSA_INSB_IlSD_SE_SE_EEEEZNS1_13binary_searchIS3_S5_NSA_INS8_10device_ptrIdEEEESG_SI_NS1_21lower_bound_search_opENS9_16wrapped_functionINS8_6system6detail7generic6detail18binary_search_lessEbEEEE10hipError_tPvRmT1_T2_T3_mmT4_T5_P12ihipStream_tbEUlRKdE_EESV_SZ_S10_mS11_S14_bEUlT_E_NS1_11comp_targetILNS1_3genE5ELNS1_11target_archE942ELNS1_3gpuE9ELNS1_3repE0EEENS1_30default_config_static_selectorELNS0_4arch9wavefront6targetE0EEEvSY_.num_vgpr, 0
	.set _ZN7rocprim17ROCPRIM_400000_NS6detail17trampoline_kernelINS0_14default_configENS1_27lower_bound_config_selectorIdlEEZNS1_14transform_implILb0ES3_S5_N6thrust23THRUST_200600_302600_NS6detail15normal_iteratorINS8_7pointerIdNS8_11hip_rocprim5par_tENS8_11use_defaultESE_EEEENSA_INSB_IlSD_SE_SE_EEEEZNS1_13binary_searchIS3_S5_NSA_INS8_10device_ptrIdEEEESG_SI_NS1_21lower_bound_search_opENS9_16wrapped_functionINS8_6system6detail7generic6detail18binary_search_lessEbEEEE10hipError_tPvRmT1_T2_T3_mmT4_T5_P12ihipStream_tbEUlRKdE_EESV_SZ_S10_mS11_S14_bEUlT_E_NS1_11comp_targetILNS1_3genE5ELNS1_11target_archE942ELNS1_3gpuE9ELNS1_3repE0EEENS1_30default_config_static_selectorELNS0_4arch9wavefront6targetE0EEEvSY_.num_agpr, 0
	.set _ZN7rocprim17ROCPRIM_400000_NS6detail17trampoline_kernelINS0_14default_configENS1_27lower_bound_config_selectorIdlEEZNS1_14transform_implILb0ES3_S5_N6thrust23THRUST_200600_302600_NS6detail15normal_iteratorINS8_7pointerIdNS8_11hip_rocprim5par_tENS8_11use_defaultESE_EEEENSA_INSB_IlSD_SE_SE_EEEEZNS1_13binary_searchIS3_S5_NSA_INS8_10device_ptrIdEEEESG_SI_NS1_21lower_bound_search_opENS9_16wrapped_functionINS8_6system6detail7generic6detail18binary_search_lessEbEEEE10hipError_tPvRmT1_T2_T3_mmT4_T5_P12ihipStream_tbEUlRKdE_EESV_SZ_S10_mS11_S14_bEUlT_E_NS1_11comp_targetILNS1_3genE5ELNS1_11target_archE942ELNS1_3gpuE9ELNS1_3repE0EEENS1_30default_config_static_selectorELNS0_4arch9wavefront6targetE0EEEvSY_.numbered_sgpr, 0
	.set _ZN7rocprim17ROCPRIM_400000_NS6detail17trampoline_kernelINS0_14default_configENS1_27lower_bound_config_selectorIdlEEZNS1_14transform_implILb0ES3_S5_N6thrust23THRUST_200600_302600_NS6detail15normal_iteratorINS8_7pointerIdNS8_11hip_rocprim5par_tENS8_11use_defaultESE_EEEENSA_INSB_IlSD_SE_SE_EEEEZNS1_13binary_searchIS3_S5_NSA_INS8_10device_ptrIdEEEESG_SI_NS1_21lower_bound_search_opENS9_16wrapped_functionINS8_6system6detail7generic6detail18binary_search_lessEbEEEE10hipError_tPvRmT1_T2_T3_mmT4_T5_P12ihipStream_tbEUlRKdE_EESV_SZ_S10_mS11_S14_bEUlT_E_NS1_11comp_targetILNS1_3genE5ELNS1_11target_archE942ELNS1_3gpuE9ELNS1_3repE0EEENS1_30default_config_static_selectorELNS0_4arch9wavefront6targetE0EEEvSY_.num_named_barrier, 0
	.set _ZN7rocprim17ROCPRIM_400000_NS6detail17trampoline_kernelINS0_14default_configENS1_27lower_bound_config_selectorIdlEEZNS1_14transform_implILb0ES3_S5_N6thrust23THRUST_200600_302600_NS6detail15normal_iteratorINS8_7pointerIdNS8_11hip_rocprim5par_tENS8_11use_defaultESE_EEEENSA_INSB_IlSD_SE_SE_EEEEZNS1_13binary_searchIS3_S5_NSA_INS8_10device_ptrIdEEEESG_SI_NS1_21lower_bound_search_opENS9_16wrapped_functionINS8_6system6detail7generic6detail18binary_search_lessEbEEEE10hipError_tPvRmT1_T2_T3_mmT4_T5_P12ihipStream_tbEUlRKdE_EESV_SZ_S10_mS11_S14_bEUlT_E_NS1_11comp_targetILNS1_3genE5ELNS1_11target_archE942ELNS1_3gpuE9ELNS1_3repE0EEENS1_30default_config_static_selectorELNS0_4arch9wavefront6targetE0EEEvSY_.private_seg_size, 0
	.set _ZN7rocprim17ROCPRIM_400000_NS6detail17trampoline_kernelINS0_14default_configENS1_27lower_bound_config_selectorIdlEEZNS1_14transform_implILb0ES3_S5_N6thrust23THRUST_200600_302600_NS6detail15normal_iteratorINS8_7pointerIdNS8_11hip_rocprim5par_tENS8_11use_defaultESE_EEEENSA_INSB_IlSD_SE_SE_EEEEZNS1_13binary_searchIS3_S5_NSA_INS8_10device_ptrIdEEEESG_SI_NS1_21lower_bound_search_opENS9_16wrapped_functionINS8_6system6detail7generic6detail18binary_search_lessEbEEEE10hipError_tPvRmT1_T2_T3_mmT4_T5_P12ihipStream_tbEUlRKdE_EESV_SZ_S10_mS11_S14_bEUlT_E_NS1_11comp_targetILNS1_3genE5ELNS1_11target_archE942ELNS1_3gpuE9ELNS1_3repE0EEENS1_30default_config_static_selectorELNS0_4arch9wavefront6targetE0EEEvSY_.uses_vcc, 0
	.set _ZN7rocprim17ROCPRIM_400000_NS6detail17trampoline_kernelINS0_14default_configENS1_27lower_bound_config_selectorIdlEEZNS1_14transform_implILb0ES3_S5_N6thrust23THRUST_200600_302600_NS6detail15normal_iteratorINS8_7pointerIdNS8_11hip_rocprim5par_tENS8_11use_defaultESE_EEEENSA_INSB_IlSD_SE_SE_EEEEZNS1_13binary_searchIS3_S5_NSA_INS8_10device_ptrIdEEEESG_SI_NS1_21lower_bound_search_opENS9_16wrapped_functionINS8_6system6detail7generic6detail18binary_search_lessEbEEEE10hipError_tPvRmT1_T2_T3_mmT4_T5_P12ihipStream_tbEUlRKdE_EESV_SZ_S10_mS11_S14_bEUlT_E_NS1_11comp_targetILNS1_3genE5ELNS1_11target_archE942ELNS1_3gpuE9ELNS1_3repE0EEENS1_30default_config_static_selectorELNS0_4arch9wavefront6targetE0EEEvSY_.uses_flat_scratch, 0
	.set _ZN7rocprim17ROCPRIM_400000_NS6detail17trampoline_kernelINS0_14default_configENS1_27lower_bound_config_selectorIdlEEZNS1_14transform_implILb0ES3_S5_N6thrust23THRUST_200600_302600_NS6detail15normal_iteratorINS8_7pointerIdNS8_11hip_rocprim5par_tENS8_11use_defaultESE_EEEENSA_INSB_IlSD_SE_SE_EEEEZNS1_13binary_searchIS3_S5_NSA_INS8_10device_ptrIdEEEESG_SI_NS1_21lower_bound_search_opENS9_16wrapped_functionINS8_6system6detail7generic6detail18binary_search_lessEbEEEE10hipError_tPvRmT1_T2_T3_mmT4_T5_P12ihipStream_tbEUlRKdE_EESV_SZ_S10_mS11_S14_bEUlT_E_NS1_11comp_targetILNS1_3genE5ELNS1_11target_archE942ELNS1_3gpuE9ELNS1_3repE0EEENS1_30default_config_static_selectorELNS0_4arch9wavefront6targetE0EEEvSY_.has_dyn_sized_stack, 0
	.set _ZN7rocprim17ROCPRIM_400000_NS6detail17trampoline_kernelINS0_14default_configENS1_27lower_bound_config_selectorIdlEEZNS1_14transform_implILb0ES3_S5_N6thrust23THRUST_200600_302600_NS6detail15normal_iteratorINS8_7pointerIdNS8_11hip_rocprim5par_tENS8_11use_defaultESE_EEEENSA_INSB_IlSD_SE_SE_EEEEZNS1_13binary_searchIS3_S5_NSA_INS8_10device_ptrIdEEEESG_SI_NS1_21lower_bound_search_opENS9_16wrapped_functionINS8_6system6detail7generic6detail18binary_search_lessEbEEEE10hipError_tPvRmT1_T2_T3_mmT4_T5_P12ihipStream_tbEUlRKdE_EESV_SZ_S10_mS11_S14_bEUlT_E_NS1_11comp_targetILNS1_3genE5ELNS1_11target_archE942ELNS1_3gpuE9ELNS1_3repE0EEENS1_30default_config_static_selectorELNS0_4arch9wavefront6targetE0EEEvSY_.has_recursion, 0
	.set _ZN7rocprim17ROCPRIM_400000_NS6detail17trampoline_kernelINS0_14default_configENS1_27lower_bound_config_selectorIdlEEZNS1_14transform_implILb0ES3_S5_N6thrust23THRUST_200600_302600_NS6detail15normal_iteratorINS8_7pointerIdNS8_11hip_rocprim5par_tENS8_11use_defaultESE_EEEENSA_INSB_IlSD_SE_SE_EEEEZNS1_13binary_searchIS3_S5_NSA_INS8_10device_ptrIdEEEESG_SI_NS1_21lower_bound_search_opENS9_16wrapped_functionINS8_6system6detail7generic6detail18binary_search_lessEbEEEE10hipError_tPvRmT1_T2_T3_mmT4_T5_P12ihipStream_tbEUlRKdE_EESV_SZ_S10_mS11_S14_bEUlT_E_NS1_11comp_targetILNS1_3genE5ELNS1_11target_archE942ELNS1_3gpuE9ELNS1_3repE0EEENS1_30default_config_static_selectorELNS0_4arch9wavefront6targetE0EEEvSY_.has_indirect_call, 0
	.section	.AMDGPU.csdata,"",@progbits
; Kernel info:
; codeLenInByte = 0
; TotalNumSgprs: 0
; NumVgprs: 0
; ScratchSize: 0
; MemoryBound: 0
; FloatMode: 240
; IeeeMode: 1
; LDSByteSize: 0 bytes/workgroup (compile time only)
; SGPRBlocks: 0
; VGPRBlocks: 0
; NumSGPRsForWavesPerEU: 1
; NumVGPRsForWavesPerEU: 1
; Occupancy: 16
; WaveLimiterHint : 0
; COMPUTE_PGM_RSRC2:SCRATCH_EN: 0
; COMPUTE_PGM_RSRC2:USER_SGPR: 6
; COMPUTE_PGM_RSRC2:TRAP_HANDLER: 0
; COMPUTE_PGM_RSRC2:TGID_X_EN: 1
; COMPUTE_PGM_RSRC2:TGID_Y_EN: 0
; COMPUTE_PGM_RSRC2:TGID_Z_EN: 0
; COMPUTE_PGM_RSRC2:TIDIG_COMP_CNT: 0
	.section	.text._ZN7rocprim17ROCPRIM_400000_NS6detail17trampoline_kernelINS0_14default_configENS1_27lower_bound_config_selectorIdlEEZNS1_14transform_implILb0ES3_S5_N6thrust23THRUST_200600_302600_NS6detail15normal_iteratorINS8_7pointerIdNS8_11hip_rocprim5par_tENS8_11use_defaultESE_EEEENSA_INSB_IlSD_SE_SE_EEEEZNS1_13binary_searchIS3_S5_NSA_INS8_10device_ptrIdEEEESG_SI_NS1_21lower_bound_search_opENS9_16wrapped_functionINS8_6system6detail7generic6detail18binary_search_lessEbEEEE10hipError_tPvRmT1_T2_T3_mmT4_T5_P12ihipStream_tbEUlRKdE_EESV_SZ_S10_mS11_S14_bEUlT_E_NS1_11comp_targetILNS1_3genE4ELNS1_11target_archE910ELNS1_3gpuE8ELNS1_3repE0EEENS1_30default_config_static_selectorELNS0_4arch9wavefront6targetE0EEEvSY_,"axG",@progbits,_ZN7rocprim17ROCPRIM_400000_NS6detail17trampoline_kernelINS0_14default_configENS1_27lower_bound_config_selectorIdlEEZNS1_14transform_implILb0ES3_S5_N6thrust23THRUST_200600_302600_NS6detail15normal_iteratorINS8_7pointerIdNS8_11hip_rocprim5par_tENS8_11use_defaultESE_EEEENSA_INSB_IlSD_SE_SE_EEEEZNS1_13binary_searchIS3_S5_NSA_INS8_10device_ptrIdEEEESG_SI_NS1_21lower_bound_search_opENS9_16wrapped_functionINS8_6system6detail7generic6detail18binary_search_lessEbEEEE10hipError_tPvRmT1_T2_T3_mmT4_T5_P12ihipStream_tbEUlRKdE_EESV_SZ_S10_mS11_S14_bEUlT_E_NS1_11comp_targetILNS1_3genE4ELNS1_11target_archE910ELNS1_3gpuE8ELNS1_3repE0EEENS1_30default_config_static_selectorELNS0_4arch9wavefront6targetE0EEEvSY_,comdat
	.protected	_ZN7rocprim17ROCPRIM_400000_NS6detail17trampoline_kernelINS0_14default_configENS1_27lower_bound_config_selectorIdlEEZNS1_14transform_implILb0ES3_S5_N6thrust23THRUST_200600_302600_NS6detail15normal_iteratorINS8_7pointerIdNS8_11hip_rocprim5par_tENS8_11use_defaultESE_EEEENSA_INSB_IlSD_SE_SE_EEEEZNS1_13binary_searchIS3_S5_NSA_INS8_10device_ptrIdEEEESG_SI_NS1_21lower_bound_search_opENS9_16wrapped_functionINS8_6system6detail7generic6detail18binary_search_lessEbEEEE10hipError_tPvRmT1_T2_T3_mmT4_T5_P12ihipStream_tbEUlRKdE_EESV_SZ_S10_mS11_S14_bEUlT_E_NS1_11comp_targetILNS1_3genE4ELNS1_11target_archE910ELNS1_3gpuE8ELNS1_3repE0EEENS1_30default_config_static_selectorELNS0_4arch9wavefront6targetE0EEEvSY_ ; -- Begin function _ZN7rocprim17ROCPRIM_400000_NS6detail17trampoline_kernelINS0_14default_configENS1_27lower_bound_config_selectorIdlEEZNS1_14transform_implILb0ES3_S5_N6thrust23THRUST_200600_302600_NS6detail15normal_iteratorINS8_7pointerIdNS8_11hip_rocprim5par_tENS8_11use_defaultESE_EEEENSA_INSB_IlSD_SE_SE_EEEEZNS1_13binary_searchIS3_S5_NSA_INS8_10device_ptrIdEEEESG_SI_NS1_21lower_bound_search_opENS9_16wrapped_functionINS8_6system6detail7generic6detail18binary_search_lessEbEEEE10hipError_tPvRmT1_T2_T3_mmT4_T5_P12ihipStream_tbEUlRKdE_EESV_SZ_S10_mS11_S14_bEUlT_E_NS1_11comp_targetILNS1_3genE4ELNS1_11target_archE910ELNS1_3gpuE8ELNS1_3repE0EEENS1_30default_config_static_selectorELNS0_4arch9wavefront6targetE0EEEvSY_
	.globl	_ZN7rocprim17ROCPRIM_400000_NS6detail17trampoline_kernelINS0_14default_configENS1_27lower_bound_config_selectorIdlEEZNS1_14transform_implILb0ES3_S5_N6thrust23THRUST_200600_302600_NS6detail15normal_iteratorINS8_7pointerIdNS8_11hip_rocprim5par_tENS8_11use_defaultESE_EEEENSA_INSB_IlSD_SE_SE_EEEEZNS1_13binary_searchIS3_S5_NSA_INS8_10device_ptrIdEEEESG_SI_NS1_21lower_bound_search_opENS9_16wrapped_functionINS8_6system6detail7generic6detail18binary_search_lessEbEEEE10hipError_tPvRmT1_T2_T3_mmT4_T5_P12ihipStream_tbEUlRKdE_EESV_SZ_S10_mS11_S14_bEUlT_E_NS1_11comp_targetILNS1_3genE4ELNS1_11target_archE910ELNS1_3gpuE8ELNS1_3repE0EEENS1_30default_config_static_selectorELNS0_4arch9wavefront6targetE0EEEvSY_
	.p2align	8
	.type	_ZN7rocprim17ROCPRIM_400000_NS6detail17trampoline_kernelINS0_14default_configENS1_27lower_bound_config_selectorIdlEEZNS1_14transform_implILb0ES3_S5_N6thrust23THRUST_200600_302600_NS6detail15normal_iteratorINS8_7pointerIdNS8_11hip_rocprim5par_tENS8_11use_defaultESE_EEEENSA_INSB_IlSD_SE_SE_EEEEZNS1_13binary_searchIS3_S5_NSA_INS8_10device_ptrIdEEEESG_SI_NS1_21lower_bound_search_opENS9_16wrapped_functionINS8_6system6detail7generic6detail18binary_search_lessEbEEEE10hipError_tPvRmT1_T2_T3_mmT4_T5_P12ihipStream_tbEUlRKdE_EESV_SZ_S10_mS11_S14_bEUlT_E_NS1_11comp_targetILNS1_3genE4ELNS1_11target_archE910ELNS1_3gpuE8ELNS1_3repE0EEENS1_30default_config_static_selectorELNS0_4arch9wavefront6targetE0EEEvSY_,@function
_ZN7rocprim17ROCPRIM_400000_NS6detail17trampoline_kernelINS0_14default_configENS1_27lower_bound_config_selectorIdlEEZNS1_14transform_implILb0ES3_S5_N6thrust23THRUST_200600_302600_NS6detail15normal_iteratorINS8_7pointerIdNS8_11hip_rocprim5par_tENS8_11use_defaultESE_EEEENSA_INSB_IlSD_SE_SE_EEEEZNS1_13binary_searchIS3_S5_NSA_INS8_10device_ptrIdEEEESG_SI_NS1_21lower_bound_search_opENS9_16wrapped_functionINS8_6system6detail7generic6detail18binary_search_lessEbEEEE10hipError_tPvRmT1_T2_T3_mmT4_T5_P12ihipStream_tbEUlRKdE_EESV_SZ_S10_mS11_S14_bEUlT_E_NS1_11comp_targetILNS1_3genE4ELNS1_11target_archE910ELNS1_3gpuE8ELNS1_3repE0EEENS1_30default_config_static_selectorELNS0_4arch9wavefront6targetE0EEEvSY_: ; @_ZN7rocprim17ROCPRIM_400000_NS6detail17trampoline_kernelINS0_14default_configENS1_27lower_bound_config_selectorIdlEEZNS1_14transform_implILb0ES3_S5_N6thrust23THRUST_200600_302600_NS6detail15normal_iteratorINS8_7pointerIdNS8_11hip_rocprim5par_tENS8_11use_defaultESE_EEEENSA_INSB_IlSD_SE_SE_EEEEZNS1_13binary_searchIS3_S5_NSA_INS8_10device_ptrIdEEEESG_SI_NS1_21lower_bound_search_opENS9_16wrapped_functionINS8_6system6detail7generic6detail18binary_search_lessEbEEEE10hipError_tPvRmT1_T2_T3_mmT4_T5_P12ihipStream_tbEUlRKdE_EESV_SZ_S10_mS11_S14_bEUlT_E_NS1_11comp_targetILNS1_3genE4ELNS1_11target_archE910ELNS1_3gpuE8ELNS1_3repE0EEENS1_30default_config_static_selectorELNS0_4arch9wavefront6targetE0EEEvSY_
; %bb.0:
	.section	.rodata,"a",@progbits
	.p2align	6, 0x0
	.amdhsa_kernel _ZN7rocprim17ROCPRIM_400000_NS6detail17trampoline_kernelINS0_14default_configENS1_27lower_bound_config_selectorIdlEEZNS1_14transform_implILb0ES3_S5_N6thrust23THRUST_200600_302600_NS6detail15normal_iteratorINS8_7pointerIdNS8_11hip_rocprim5par_tENS8_11use_defaultESE_EEEENSA_INSB_IlSD_SE_SE_EEEEZNS1_13binary_searchIS3_S5_NSA_INS8_10device_ptrIdEEEESG_SI_NS1_21lower_bound_search_opENS9_16wrapped_functionINS8_6system6detail7generic6detail18binary_search_lessEbEEEE10hipError_tPvRmT1_T2_T3_mmT4_T5_P12ihipStream_tbEUlRKdE_EESV_SZ_S10_mS11_S14_bEUlT_E_NS1_11comp_targetILNS1_3genE4ELNS1_11target_archE910ELNS1_3gpuE8ELNS1_3repE0EEENS1_30default_config_static_selectorELNS0_4arch9wavefront6targetE0EEEvSY_
		.amdhsa_group_segment_fixed_size 0
		.amdhsa_private_segment_fixed_size 0
		.amdhsa_kernarg_size 56
		.amdhsa_user_sgpr_count 6
		.amdhsa_user_sgpr_private_segment_buffer 1
		.amdhsa_user_sgpr_dispatch_ptr 0
		.amdhsa_user_sgpr_queue_ptr 0
		.amdhsa_user_sgpr_kernarg_segment_ptr 1
		.amdhsa_user_sgpr_dispatch_id 0
		.amdhsa_user_sgpr_flat_scratch_init 0
		.amdhsa_user_sgpr_private_segment_size 0
		.amdhsa_wavefront_size32 1
		.amdhsa_uses_dynamic_stack 0
		.amdhsa_system_sgpr_private_segment_wavefront_offset 0
		.amdhsa_system_sgpr_workgroup_id_x 1
		.amdhsa_system_sgpr_workgroup_id_y 0
		.amdhsa_system_sgpr_workgroup_id_z 0
		.amdhsa_system_sgpr_workgroup_info 0
		.amdhsa_system_vgpr_workitem_id 0
		.amdhsa_next_free_vgpr 1
		.amdhsa_next_free_sgpr 1
		.amdhsa_reserve_vcc 0
		.amdhsa_reserve_flat_scratch 0
		.amdhsa_float_round_mode_32 0
		.amdhsa_float_round_mode_16_64 0
		.amdhsa_float_denorm_mode_32 3
		.amdhsa_float_denorm_mode_16_64 3
		.amdhsa_dx10_clamp 1
		.amdhsa_ieee_mode 1
		.amdhsa_fp16_overflow 0
		.amdhsa_workgroup_processor_mode 1
		.amdhsa_memory_ordered 1
		.amdhsa_forward_progress 1
		.amdhsa_shared_vgpr_count 0
		.amdhsa_exception_fp_ieee_invalid_op 0
		.amdhsa_exception_fp_denorm_src 0
		.amdhsa_exception_fp_ieee_div_zero 0
		.amdhsa_exception_fp_ieee_overflow 0
		.amdhsa_exception_fp_ieee_underflow 0
		.amdhsa_exception_fp_ieee_inexact 0
		.amdhsa_exception_int_div_zero 0
	.end_amdhsa_kernel
	.section	.text._ZN7rocprim17ROCPRIM_400000_NS6detail17trampoline_kernelINS0_14default_configENS1_27lower_bound_config_selectorIdlEEZNS1_14transform_implILb0ES3_S5_N6thrust23THRUST_200600_302600_NS6detail15normal_iteratorINS8_7pointerIdNS8_11hip_rocprim5par_tENS8_11use_defaultESE_EEEENSA_INSB_IlSD_SE_SE_EEEEZNS1_13binary_searchIS3_S5_NSA_INS8_10device_ptrIdEEEESG_SI_NS1_21lower_bound_search_opENS9_16wrapped_functionINS8_6system6detail7generic6detail18binary_search_lessEbEEEE10hipError_tPvRmT1_T2_T3_mmT4_T5_P12ihipStream_tbEUlRKdE_EESV_SZ_S10_mS11_S14_bEUlT_E_NS1_11comp_targetILNS1_3genE4ELNS1_11target_archE910ELNS1_3gpuE8ELNS1_3repE0EEENS1_30default_config_static_selectorELNS0_4arch9wavefront6targetE0EEEvSY_,"axG",@progbits,_ZN7rocprim17ROCPRIM_400000_NS6detail17trampoline_kernelINS0_14default_configENS1_27lower_bound_config_selectorIdlEEZNS1_14transform_implILb0ES3_S5_N6thrust23THRUST_200600_302600_NS6detail15normal_iteratorINS8_7pointerIdNS8_11hip_rocprim5par_tENS8_11use_defaultESE_EEEENSA_INSB_IlSD_SE_SE_EEEEZNS1_13binary_searchIS3_S5_NSA_INS8_10device_ptrIdEEEESG_SI_NS1_21lower_bound_search_opENS9_16wrapped_functionINS8_6system6detail7generic6detail18binary_search_lessEbEEEE10hipError_tPvRmT1_T2_T3_mmT4_T5_P12ihipStream_tbEUlRKdE_EESV_SZ_S10_mS11_S14_bEUlT_E_NS1_11comp_targetILNS1_3genE4ELNS1_11target_archE910ELNS1_3gpuE8ELNS1_3repE0EEENS1_30default_config_static_selectorELNS0_4arch9wavefront6targetE0EEEvSY_,comdat
.Lfunc_end324:
	.size	_ZN7rocprim17ROCPRIM_400000_NS6detail17trampoline_kernelINS0_14default_configENS1_27lower_bound_config_selectorIdlEEZNS1_14transform_implILb0ES3_S5_N6thrust23THRUST_200600_302600_NS6detail15normal_iteratorINS8_7pointerIdNS8_11hip_rocprim5par_tENS8_11use_defaultESE_EEEENSA_INSB_IlSD_SE_SE_EEEEZNS1_13binary_searchIS3_S5_NSA_INS8_10device_ptrIdEEEESG_SI_NS1_21lower_bound_search_opENS9_16wrapped_functionINS8_6system6detail7generic6detail18binary_search_lessEbEEEE10hipError_tPvRmT1_T2_T3_mmT4_T5_P12ihipStream_tbEUlRKdE_EESV_SZ_S10_mS11_S14_bEUlT_E_NS1_11comp_targetILNS1_3genE4ELNS1_11target_archE910ELNS1_3gpuE8ELNS1_3repE0EEENS1_30default_config_static_selectorELNS0_4arch9wavefront6targetE0EEEvSY_, .Lfunc_end324-_ZN7rocprim17ROCPRIM_400000_NS6detail17trampoline_kernelINS0_14default_configENS1_27lower_bound_config_selectorIdlEEZNS1_14transform_implILb0ES3_S5_N6thrust23THRUST_200600_302600_NS6detail15normal_iteratorINS8_7pointerIdNS8_11hip_rocprim5par_tENS8_11use_defaultESE_EEEENSA_INSB_IlSD_SE_SE_EEEEZNS1_13binary_searchIS3_S5_NSA_INS8_10device_ptrIdEEEESG_SI_NS1_21lower_bound_search_opENS9_16wrapped_functionINS8_6system6detail7generic6detail18binary_search_lessEbEEEE10hipError_tPvRmT1_T2_T3_mmT4_T5_P12ihipStream_tbEUlRKdE_EESV_SZ_S10_mS11_S14_bEUlT_E_NS1_11comp_targetILNS1_3genE4ELNS1_11target_archE910ELNS1_3gpuE8ELNS1_3repE0EEENS1_30default_config_static_selectorELNS0_4arch9wavefront6targetE0EEEvSY_
                                        ; -- End function
	.set _ZN7rocprim17ROCPRIM_400000_NS6detail17trampoline_kernelINS0_14default_configENS1_27lower_bound_config_selectorIdlEEZNS1_14transform_implILb0ES3_S5_N6thrust23THRUST_200600_302600_NS6detail15normal_iteratorINS8_7pointerIdNS8_11hip_rocprim5par_tENS8_11use_defaultESE_EEEENSA_INSB_IlSD_SE_SE_EEEEZNS1_13binary_searchIS3_S5_NSA_INS8_10device_ptrIdEEEESG_SI_NS1_21lower_bound_search_opENS9_16wrapped_functionINS8_6system6detail7generic6detail18binary_search_lessEbEEEE10hipError_tPvRmT1_T2_T3_mmT4_T5_P12ihipStream_tbEUlRKdE_EESV_SZ_S10_mS11_S14_bEUlT_E_NS1_11comp_targetILNS1_3genE4ELNS1_11target_archE910ELNS1_3gpuE8ELNS1_3repE0EEENS1_30default_config_static_selectorELNS0_4arch9wavefront6targetE0EEEvSY_.num_vgpr, 0
	.set _ZN7rocprim17ROCPRIM_400000_NS6detail17trampoline_kernelINS0_14default_configENS1_27lower_bound_config_selectorIdlEEZNS1_14transform_implILb0ES3_S5_N6thrust23THRUST_200600_302600_NS6detail15normal_iteratorINS8_7pointerIdNS8_11hip_rocprim5par_tENS8_11use_defaultESE_EEEENSA_INSB_IlSD_SE_SE_EEEEZNS1_13binary_searchIS3_S5_NSA_INS8_10device_ptrIdEEEESG_SI_NS1_21lower_bound_search_opENS9_16wrapped_functionINS8_6system6detail7generic6detail18binary_search_lessEbEEEE10hipError_tPvRmT1_T2_T3_mmT4_T5_P12ihipStream_tbEUlRKdE_EESV_SZ_S10_mS11_S14_bEUlT_E_NS1_11comp_targetILNS1_3genE4ELNS1_11target_archE910ELNS1_3gpuE8ELNS1_3repE0EEENS1_30default_config_static_selectorELNS0_4arch9wavefront6targetE0EEEvSY_.num_agpr, 0
	.set _ZN7rocprim17ROCPRIM_400000_NS6detail17trampoline_kernelINS0_14default_configENS1_27lower_bound_config_selectorIdlEEZNS1_14transform_implILb0ES3_S5_N6thrust23THRUST_200600_302600_NS6detail15normal_iteratorINS8_7pointerIdNS8_11hip_rocprim5par_tENS8_11use_defaultESE_EEEENSA_INSB_IlSD_SE_SE_EEEEZNS1_13binary_searchIS3_S5_NSA_INS8_10device_ptrIdEEEESG_SI_NS1_21lower_bound_search_opENS9_16wrapped_functionINS8_6system6detail7generic6detail18binary_search_lessEbEEEE10hipError_tPvRmT1_T2_T3_mmT4_T5_P12ihipStream_tbEUlRKdE_EESV_SZ_S10_mS11_S14_bEUlT_E_NS1_11comp_targetILNS1_3genE4ELNS1_11target_archE910ELNS1_3gpuE8ELNS1_3repE0EEENS1_30default_config_static_selectorELNS0_4arch9wavefront6targetE0EEEvSY_.numbered_sgpr, 0
	.set _ZN7rocprim17ROCPRIM_400000_NS6detail17trampoline_kernelINS0_14default_configENS1_27lower_bound_config_selectorIdlEEZNS1_14transform_implILb0ES3_S5_N6thrust23THRUST_200600_302600_NS6detail15normal_iteratorINS8_7pointerIdNS8_11hip_rocprim5par_tENS8_11use_defaultESE_EEEENSA_INSB_IlSD_SE_SE_EEEEZNS1_13binary_searchIS3_S5_NSA_INS8_10device_ptrIdEEEESG_SI_NS1_21lower_bound_search_opENS9_16wrapped_functionINS8_6system6detail7generic6detail18binary_search_lessEbEEEE10hipError_tPvRmT1_T2_T3_mmT4_T5_P12ihipStream_tbEUlRKdE_EESV_SZ_S10_mS11_S14_bEUlT_E_NS1_11comp_targetILNS1_3genE4ELNS1_11target_archE910ELNS1_3gpuE8ELNS1_3repE0EEENS1_30default_config_static_selectorELNS0_4arch9wavefront6targetE0EEEvSY_.num_named_barrier, 0
	.set _ZN7rocprim17ROCPRIM_400000_NS6detail17trampoline_kernelINS0_14default_configENS1_27lower_bound_config_selectorIdlEEZNS1_14transform_implILb0ES3_S5_N6thrust23THRUST_200600_302600_NS6detail15normal_iteratorINS8_7pointerIdNS8_11hip_rocprim5par_tENS8_11use_defaultESE_EEEENSA_INSB_IlSD_SE_SE_EEEEZNS1_13binary_searchIS3_S5_NSA_INS8_10device_ptrIdEEEESG_SI_NS1_21lower_bound_search_opENS9_16wrapped_functionINS8_6system6detail7generic6detail18binary_search_lessEbEEEE10hipError_tPvRmT1_T2_T3_mmT4_T5_P12ihipStream_tbEUlRKdE_EESV_SZ_S10_mS11_S14_bEUlT_E_NS1_11comp_targetILNS1_3genE4ELNS1_11target_archE910ELNS1_3gpuE8ELNS1_3repE0EEENS1_30default_config_static_selectorELNS0_4arch9wavefront6targetE0EEEvSY_.private_seg_size, 0
	.set _ZN7rocprim17ROCPRIM_400000_NS6detail17trampoline_kernelINS0_14default_configENS1_27lower_bound_config_selectorIdlEEZNS1_14transform_implILb0ES3_S5_N6thrust23THRUST_200600_302600_NS6detail15normal_iteratorINS8_7pointerIdNS8_11hip_rocprim5par_tENS8_11use_defaultESE_EEEENSA_INSB_IlSD_SE_SE_EEEEZNS1_13binary_searchIS3_S5_NSA_INS8_10device_ptrIdEEEESG_SI_NS1_21lower_bound_search_opENS9_16wrapped_functionINS8_6system6detail7generic6detail18binary_search_lessEbEEEE10hipError_tPvRmT1_T2_T3_mmT4_T5_P12ihipStream_tbEUlRKdE_EESV_SZ_S10_mS11_S14_bEUlT_E_NS1_11comp_targetILNS1_3genE4ELNS1_11target_archE910ELNS1_3gpuE8ELNS1_3repE0EEENS1_30default_config_static_selectorELNS0_4arch9wavefront6targetE0EEEvSY_.uses_vcc, 0
	.set _ZN7rocprim17ROCPRIM_400000_NS6detail17trampoline_kernelINS0_14default_configENS1_27lower_bound_config_selectorIdlEEZNS1_14transform_implILb0ES3_S5_N6thrust23THRUST_200600_302600_NS6detail15normal_iteratorINS8_7pointerIdNS8_11hip_rocprim5par_tENS8_11use_defaultESE_EEEENSA_INSB_IlSD_SE_SE_EEEEZNS1_13binary_searchIS3_S5_NSA_INS8_10device_ptrIdEEEESG_SI_NS1_21lower_bound_search_opENS9_16wrapped_functionINS8_6system6detail7generic6detail18binary_search_lessEbEEEE10hipError_tPvRmT1_T2_T3_mmT4_T5_P12ihipStream_tbEUlRKdE_EESV_SZ_S10_mS11_S14_bEUlT_E_NS1_11comp_targetILNS1_3genE4ELNS1_11target_archE910ELNS1_3gpuE8ELNS1_3repE0EEENS1_30default_config_static_selectorELNS0_4arch9wavefront6targetE0EEEvSY_.uses_flat_scratch, 0
	.set _ZN7rocprim17ROCPRIM_400000_NS6detail17trampoline_kernelINS0_14default_configENS1_27lower_bound_config_selectorIdlEEZNS1_14transform_implILb0ES3_S5_N6thrust23THRUST_200600_302600_NS6detail15normal_iteratorINS8_7pointerIdNS8_11hip_rocprim5par_tENS8_11use_defaultESE_EEEENSA_INSB_IlSD_SE_SE_EEEEZNS1_13binary_searchIS3_S5_NSA_INS8_10device_ptrIdEEEESG_SI_NS1_21lower_bound_search_opENS9_16wrapped_functionINS8_6system6detail7generic6detail18binary_search_lessEbEEEE10hipError_tPvRmT1_T2_T3_mmT4_T5_P12ihipStream_tbEUlRKdE_EESV_SZ_S10_mS11_S14_bEUlT_E_NS1_11comp_targetILNS1_3genE4ELNS1_11target_archE910ELNS1_3gpuE8ELNS1_3repE0EEENS1_30default_config_static_selectorELNS0_4arch9wavefront6targetE0EEEvSY_.has_dyn_sized_stack, 0
	.set _ZN7rocprim17ROCPRIM_400000_NS6detail17trampoline_kernelINS0_14default_configENS1_27lower_bound_config_selectorIdlEEZNS1_14transform_implILb0ES3_S5_N6thrust23THRUST_200600_302600_NS6detail15normal_iteratorINS8_7pointerIdNS8_11hip_rocprim5par_tENS8_11use_defaultESE_EEEENSA_INSB_IlSD_SE_SE_EEEEZNS1_13binary_searchIS3_S5_NSA_INS8_10device_ptrIdEEEESG_SI_NS1_21lower_bound_search_opENS9_16wrapped_functionINS8_6system6detail7generic6detail18binary_search_lessEbEEEE10hipError_tPvRmT1_T2_T3_mmT4_T5_P12ihipStream_tbEUlRKdE_EESV_SZ_S10_mS11_S14_bEUlT_E_NS1_11comp_targetILNS1_3genE4ELNS1_11target_archE910ELNS1_3gpuE8ELNS1_3repE0EEENS1_30default_config_static_selectorELNS0_4arch9wavefront6targetE0EEEvSY_.has_recursion, 0
	.set _ZN7rocprim17ROCPRIM_400000_NS6detail17trampoline_kernelINS0_14default_configENS1_27lower_bound_config_selectorIdlEEZNS1_14transform_implILb0ES3_S5_N6thrust23THRUST_200600_302600_NS6detail15normal_iteratorINS8_7pointerIdNS8_11hip_rocprim5par_tENS8_11use_defaultESE_EEEENSA_INSB_IlSD_SE_SE_EEEEZNS1_13binary_searchIS3_S5_NSA_INS8_10device_ptrIdEEEESG_SI_NS1_21lower_bound_search_opENS9_16wrapped_functionINS8_6system6detail7generic6detail18binary_search_lessEbEEEE10hipError_tPvRmT1_T2_T3_mmT4_T5_P12ihipStream_tbEUlRKdE_EESV_SZ_S10_mS11_S14_bEUlT_E_NS1_11comp_targetILNS1_3genE4ELNS1_11target_archE910ELNS1_3gpuE8ELNS1_3repE0EEENS1_30default_config_static_selectorELNS0_4arch9wavefront6targetE0EEEvSY_.has_indirect_call, 0
	.section	.AMDGPU.csdata,"",@progbits
; Kernel info:
; codeLenInByte = 0
; TotalNumSgprs: 0
; NumVgprs: 0
; ScratchSize: 0
; MemoryBound: 0
; FloatMode: 240
; IeeeMode: 1
; LDSByteSize: 0 bytes/workgroup (compile time only)
; SGPRBlocks: 0
; VGPRBlocks: 0
; NumSGPRsForWavesPerEU: 1
; NumVGPRsForWavesPerEU: 1
; Occupancy: 16
; WaveLimiterHint : 0
; COMPUTE_PGM_RSRC2:SCRATCH_EN: 0
; COMPUTE_PGM_RSRC2:USER_SGPR: 6
; COMPUTE_PGM_RSRC2:TRAP_HANDLER: 0
; COMPUTE_PGM_RSRC2:TGID_X_EN: 1
; COMPUTE_PGM_RSRC2:TGID_Y_EN: 0
; COMPUTE_PGM_RSRC2:TGID_Z_EN: 0
; COMPUTE_PGM_RSRC2:TIDIG_COMP_CNT: 0
	.section	.text._ZN7rocprim17ROCPRIM_400000_NS6detail17trampoline_kernelINS0_14default_configENS1_27lower_bound_config_selectorIdlEEZNS1_14transform_implILb0ES3_S5_N6thrust23THRUST_200600_302600_NS6detail15normal_iteratorINS8_7pointerIdNS8_11hip_rocprim5par_tENS8_11use_defaultESE_EEEENSA_INSB_IlSD_SE_SE_EEEEZNS1_13binary_searchIS3_S5_NSA_INS8_10device_ptrIdEEEESG_SI_NS1_21lower_bound_search_opENS9_16wrapped_functionINS8_6system6detail7generic6detail18binary_search_lessEbEEEE10hipError_tPvRmT1_T2_T3_mmT4_T5_P12ihipStream_tbEUlRKdE_EESV_SZ_S10_mS11_S14_bEUlT_E_NS1_11comp_targetILNS1_3genE3ELNS1_11target_archE908ELNS1_3gpuE7ELNS1_3repE0EEENS1_30default_config_static_selectorELNS0_4arch9wavefront6targetE0EEEvSY_,"axG",@progbits,_ZN7rocprim17ROCPRIM_400000_NS6detail17trampoline_kernelINS0_14default_configENS1_27lower_bound_config_selectorIdlEEZNS1_14transform_implILb0ES3_S5_N6thrust23THRUST_200600_302600_NS6detail15normal_iteratorINS8_7pointerIdNS8_11hip_rocprim5par_tENS8_11use_defaultESE_EEEENSA_INSB_IlSD_SE_SE_EEEEZNS1_13binary_searchIS3_S5_NSA_INS8_10device_ptrIdEEEESG_SI_NS1_21lower_bound_search_opENS9_16wrapped_functionINS8_6system6detail7generic6detail18binary_search_lessEbEEEE10hipError_tPvRmT1_T2_T3_mmT4_T5_P12ihipStream_tbEUlRKdE_EESV_SZ_S10_mS11_S14_bEUlT_E_NS1_11comp_targetILNS1_3genE3ELNS1_11target_archE908ELNS1_3gpuE7ELNS1_3repE0EEENS1_30default_config_static_selectorELNS0_4arch9wavefront6targetE0EEEvSY_,comdat
	.protected	_ZN7rocprim17ROCPRIM_400000_NS6detail17trampoline_kernelINS0_14default_configENS1_27lower_bound_config_selectorIdlEEZNS1_14transform_implILb0ES3_S5_N6thrust23THRUST_200600_302600_NS6detail15normal_iteratorINS8_7pointerIdNS8_11hip_rocprim5par_tENS8_11use_defaultESE_EEEENSA_INSB_IlSD_SE_SE_EEEEZNS1_13binary_searchIS3_S5_NSA_INS8_10device_ptrIdEEEESG_SI_NS1_21lower_bound_search_opENS9_16wrapped_functionINS8_6system6detail7generic6detail18binary_search_lessEbEEEE10hipError_tPvRmT1_T2_T3_mmT4_T5_P12ihipStream_tbEUlRKdE_EESV_SZ_S10_mS11_S14_bEUlT_E_NS1_11comp_targetILNS1_3genE3ELNS1_11target_archE908ELNS1_3gpuE7ELNS1_3repE0EEENS1_30default_config_static_selectorELNS0_4arch9wavefront6targetE0EEEvSY_ ; -- Begin function _ZN7rocprim17ROCPRIM_400000_NS6detail17trampoline_kernelINS0_14default_configENS1_27lower_bound_config_selectorIdlEEZNS1_14transform_implILb0ES3_S5_N6thrust23THRUST_200600_302600_NS6detail15normal_iteratorINS8_7pointerIdNS8_11hip_rocprim5par_tENS8_11use_defaultESE_EEEENSA_INSB_IlSD_SE_SE_EEEEZNS1_13binary_searchIS3_S5_NSA_INS8_10device_ptrIdEEEESG_SI_NS1_21lower_bound_search_opENS9_16wrapped_functionINS8_6system6detail7generic6detail18binary_search_lessEbEEEE10hipError_tPvRmT1_T2_T3_mmT4_T5_P12ihipStream_tbEUlRKdE_EESV_SZ_S10_mS11_S14_bEUlT_E_NS1_11comp_targetILNS1_3genE3ELNS1_11target_archE908ELNS1_3gpuE7ELNS1_3repE0EEENS1_30default_config_static_selectorELNS0_4arch9wavefront6targetE0EEEvSY_
	.globl	_ZN7rocprim17ROCPRIM_400000_NS6detail17trampoline_kernelINS0_14default_configENS1_27lower_bound_config_selectorIdlEEZNS1_14transform_implILb0ES3_S5_N6thrust23THRUST_200600_302600_NS6detail15normal_iteratorINS8_7pointerIdNS8_11hip_rocprim5par_tENS8_11use_defaultESE_EEEENSA_INSB_IlSD_SE_SE_EEEEZNS1_13binary_searchIS3_S5_NSA_INS8_10device_ptrIdEEEESG_SI_NS1_21lower_bound_search_opENS9_16wrapped_functionINS8_6system6detail7generic6detail18binary_search_lessEbEEEE10hipError_tPvRmT1_T2_T3_mmT4_T5_P12ihipStream_tbEUlRKdE_EESV_SZ_S10_mS11_S14_bEUlT_E_NS1_11comp_targetILNS1_3genE3ELNS1_11target_archE908ELNS1_3gpuE7ELNS1_3repE0EEENS1_30default_config_static_selectorELNS0_4arch9wavefront6targetE0EEEvSY_
	.p2align	8
	.type	_ZN7rocprim17ROCPRIM_400000_NS6detail17trampoline_kernelINS0_14default_configENS1_27lower_bound_config_selectorIdlEEZNS1_14transform_implILb0ES3_S5_N6thrust23THRUST_200600_302600_NS6detail15normal_iteratorINS8_7pointerIdNS8_11hip_rocprim5par_tENS8_11use_defaultESE_EEEENSA_INSB_IlSD_SE_SE_EEEEZNS1_13binary_searchIS3_S5_NSA_INS8_10device_ptrIdEEEESG_SI_NS1_21lower_bound_search_opENS9_16wrapped_functionINS8_6system6detail7generic6detail18binary_search_lessEbEEEE10hipError_tPvRmT1_T2_T3_mmT4_T5_P12ihipStream_tbEUlRKdE_EESV_SZ_S10_mS11_S14_bEUlT_E_NS1_11comp_targetILNS1_3genE3ELNS1_11target_archE908ELNS1_3gpuE7ELNS1_3repE0EEENS1_30default_config_static_selectorELNS0_4arch9wavefront6targetE0EEEvSY_,@function
_ZN7rocprim17ROCPRIM_400000_NS6detail17trampoline_kernelINS0_14default_configENS1_27lower_bound_config_selectorIdlEEZNS1_14transform_implILb0ES3_S5_N6thrust23THRUST_200600_302600_NS6detail15normal_iteratorINS8_7pointerIdNS8_11hip_rocprim5par_tENS8_11use_defaultESE_EEEENSA_INSB_IlSD_SE_SE_EEEEZNS1_13binary_searchIS3_S5_NSA_INS8_10device_ptrIdEEEESG_SI_NS1_21lower_bound_search_opENS9_16wrapped_functionINS8_6system6detail7generic6detail18binary_search_lessEbEEEE10hipError_tPvRmT1_T2_T3_mmT4_T5_P12ihipStream_tbEUlRKdE_EESV_SZ_S10_mS11_S14_bEUlT_E_NS1_11comp_targetILNS1_3genE3ELNS1_11target_archE908ELNS1_3gpuE7ELNS1_3repE0EEENS1_30default_config_static_selectorELNS0_4arch9wavefront6targetE0EEEvSY_: ; @_ZN7rocprim17ROCPRIM_400000_NS6detail17trampoline_kernelINS0_14default_configENS1_27lower_bound_config_selectorIdlEEZNS1_14transform_implILb0ES3_S5_N6thrust23THRUST_200600_302600_NS6detail15normal_iteratorINS8_7pointerIdNS8_11hip_rocprim5par_tENS8_11use_defaultESE_EEEENSA_INSB_IlSD_SE_SE_EEEEZNS1_13binary_searchIS3_S5_NSA_INS8_10device_ptrIdEEEESG_SI_NS1_21lower_bound_search_opENS9_16wrapped_functionINS8_6system6detail7generic6detail18binary_search_lessEbEEEE10hipError_tPvRmT1_T2_T3_mmT4_T5_P12ihipStream_tbEUlRKdE_EESV_SZ_S10_mS11_S14_bEUlT_E_NS1_11comp_targetILNS1_3genE3ELNS1_11target_archE908ELNS1_3gpuE7ELNS1_3repE0EEENS1_30default_config_static_selectorELNS0_4arch9wavefront6targetE0EEEvSY_
; %bb.0:
	.section	.rodata,"a",@progbits
	.p2align	6, 0x0
	.amdhsa_kernel _ZN7rocprim17ROCPRIM_400000_NS6detail17trampoline_kernelINS0_14default_configENS1_27lower_bound_config_selectorIdlEEZNS1_14transform_implILb0ES3_S5_N6thrust23THRUST_200600_302600_NS6detail15normal_iteratorINS8_7pointerIdNS8_11hip_rocprim5par_tENS8_11use_defaultESE_EEEENSA_INSB_IlSD_SE_SE_EEEEZNS1_13binary_searchIS3_S5_NSA_INS8_10device_ptrIdEEEESG_SI_NS1_21lower_bound_search_opENS9_16wrapped_functionINS8_6system6detail7generic6detail18binary_search_lessEbEEEE10hipError_tPvRmT1_T2_T3_mmT4_T5_P12ihipStream_tbEUlRKdE_EESV_SZ_S10_mS11_S14_bEUlT_E_NS1_11comp_targetILNS1_3genE3ELNS1_11target_archE908ELNS1_3gpuE7ELNS1_3repE0EEENS1_30default_config_static_selectorELNS0_4arch9wavefront6targetE0EEEvSY_
		.amdhsa_group_segment_fixed_size 0
		.amdhsa_private_segment_fixed_size 0
		.amdhsa_kernarg_size 56
		.amdhsa_user_sgpr_count 6
		.amdhsa_user_sgpr_private_segment_buffer 1
		.amdhsa_user_sgpr_dispatch_ptr 0
		.amdhsa_user_sgpr_queue_ptr 0
		.amdhsa_user_sgpr_kernarg_segment_ptr 1
		.amdhsa_user_sgpr_dispatch_id 0
		.amdhsa_user_sgpr_flat_scratch_init 0
		.amdhsa_user_sgpr_private_segment_size 0
		.amdhsa_wavefront_size32 1
		.amdhsa_uses_dynamic_stack 0
		.amdhsa_system_sgpr_private_segment_wavefront_offset 0
		.amdhsa_system_sgpr_workgroup_id_x 1
		.amdhsa_system_sgpr_workgroup_id_y 0
		.amdhsa_system_sgpr_workgroup_id_z 0
		.amdhsa_system_sgpr_workgroup_info 0
		.amdhsa_system_vgpr_workitem_id 0
		.amdhsa_next_free_vgpr 1
		.amdhsa_next_free_sgpr 1
		.amdhsa_reserve_vcc 0
		.amdhsa_reserve_flat_scratch 0
		.amdhsa_float_round_mode_32 0
		.amdhsa_float_round_mode_16_64 0
		.amdhsa_float_denorm_mode_32 3
		.amdhsa_float_denorm_mode_16_64 3
		.amdhsa_dx10_clamp 1
		.amdhsa_ieee_mode 1
		.amdhsa_fp16_overflow 0
		.amdhsa_workgroup_processor_mode 1
		.amdhsa_memory_ordered 1
		.amdhsa_forward_progress 1
		.amdhsa_shared_vgpr_count 0
		.amdhsa_exception_fp_ieee_invalid_op 0
		.amdhsa_exception_fp_denorm_src 0
		.amdhsa_exception_fp_ieee_div_zero 0
		.amdhsa_exception_fp_ieee_overflow 0
		.amdhsa_exception_fp_ieee_underflow 0
		.amdhsa_exception_fp_ieee_inexact 0
		.amdhsa_exception_int_div_zero 0
	.end_amdhsa_kernel
	.section	.text._ZN7rocprim17ROCPRIM_400000_NS6detail17trampoline_kernelINS0_14default_configENS1_27lower_bound_config_selectorIdlEEZNS1_14transform_implILb0ES3_S5_N6thrust23THRUST_200600_302600_NS6detail15normal_iteratorINS8_7pointerIdNS8_11hip_rocprim5par_tENS8_11use_defaultESE_EEEENSA_INSB_IlSD_SE_SE_EEEEZNS1_13binary_searchIS3_S5_NSA_INS8_10device_ptrIdEEEESG_SI_NS1_21lower_bound_search_opENS9_16wrapped_functionINS8_6system6detail7generic6detail18binary_search_lessEbEEEE10hipError_tPvRmT1_T2_T3_mmT4_T5_P12ihipStream_tbEUlRKdE_EESV_SZ_S10_mS11_S14_bEUlT_E_NS1_11comp_targetILNS1_3genE3ELNS1_11target_archE908ELNS1_3gpuE7ELNS1_3repE0EEENS1_30default_config_static_selectorELNS0_4arch9wavefront6targetE0EEEvSY_,"axG",@progbits,_ZN7rocprim17ROCPRIM_400000_NS6detail17trampoline_kernelINS0_14default_configENS1_27lower_bound_config_selectorIdlEEZNS1_14transform_implILb0ES3_S5_N6thrust23THRUST_200600_302600_NS6detail15normal_iteratorINS8_7pointerIdNS8_11hip_rocprim5par_tENS8_11use_defaultESE_EEEENSA_INSB_IlSD_SE_SE_EEEEZNS1_13binary_searchIS3_S5_NSA_INS8_10device_ptrIdEEEESG_SI_NS1_21lower_bound_search_opENS9_16wrapped_functionINS8_6system6detail7generic6detail18binary_search_lessEbEEEE10hipError_tPvRmT1_T2_T3_mmT4_T5_P12ihipStream_tbEUlRKdE_EESV_SZ_S10_mS11_S14_bEUlT_E_NS1_11comp_targetILNS1_3genE3ELNS1_11target_archE908ELNS1_3gpuE7ELNS1_3repE0EEENS1_30default_config_static_selectorELNS0_4arch9wavefront6targetE0EEEvSY_,comdat
.Lfunc_end325:
	.size	_ZN7rocprim17ROCPRIM_400000_NS6detail17trampoline_kernelINS0_14default_configENS1_27lower_bound_config_selectorIdlEEZNS1_14transform_implILb0ES3_S5_N6thrust23THRUST_200600_302600_NS6detail15normal_iteratorINS8_7pointerIdNS8_11hip_rocprim5par_tENS8_11use_defaultESE_EEEENSA_INSB_IlSD_SE_SE_EEEEZNS1_13binary_searchIS3_S5_NSA_INS8_10device_ptrIdEEEESG_SI_NS1_21lower_bound_search_opENS9_16wrapped_functionINS8_6system6detail7generic6detail18binary_search_lessEbEEEE10hipError_tPvRmT1_T2_T3_mmT4_T5_P12ihipStream_tbEUlRKdE_EESV_SZ_S10_mS11_S14_bEUlT_E_NS1_11comp_targetILNS1_3genE3ELNS1_11target_archE908ELNS1_3gpuE7ELNS1_3repE0EEENS1_30default_config_static_selectorELNS0_4arch9wavefront6targetE0EEEvSY_, .Lfunc_end325-_ZN7rocprim17ROCPRIM_400000_NS6detail17trampoline_kernelINS0_14default_configENS1_27lower_bound_config_selectorIdlEEZNS1_14transform_implILb0ES3_S5_N6thrust23THRUST_200600_302600_NS6detail15normal_iteratorINS8_7pointerIdNS8_11hip_rocprim5par_tENS8_11use_defaultESE_EEEENSA_INSB_IlSD_SE_SE_EEEEZNS1_13binary_searchIS3_S5_NSA_INS8_10device_ptrIdEEEESG_SI_NS1_21lower_bound_search_opENS9_16wrapped_functionINS8_6system6detail7generic6detail18binary_search_lessEbEEEE10hipError_tPvRmT1_T2_T3_mmT4_T5_P12ihipStream_tbEUlRKdE_EESV_SZ_S10_mS11_S14_bEUlT_E_NS1_11comp_targetILNS1_3genE3ELNS1_11target_archE908ELNS1_3gpuE7ELNS1_3repE0EEENS1_30default_config_static_selectorELNS0_4arch9wavefront6targetE0EEEvSY_
                                        ; -- End function
	.set _ZN7rocprim17ROCPRIM_400000_NS6detail17trampoline_kernelINS0_14default_configENS1_27lower_bound_config_selectorIdlEEZNS1_14transform_implILb0ES3_S5_N6thrust23THRUST_200600_302600_NS6detail15normal_iteratorINS8_7pointerIdNS8_11hip_rocprim5par_tENS8_11use_defaultESE_EEEENSA_INSB_IlSD_SE_SE_EEEEZNS1_13binary_searchIS3_S5_NSA_INS8_10device_ptrIdEEEESG_SI_NS1_21lower_bound_search_opENS9_16wrapped_functionINS8_6system6detail7generic6detail18binary_search_lessEbEEEE10hipError_tPvRmT1_T2_T3_mmT4_T5_P12ihipStream_tbEUlRKdE_EESV_SZ_S10_mS11_S14_bEUlT_E_NS1_11comp_targetILNS1_3genE3ELNS1_11target_archE908ELNS1_3gpuE7ELNS1_3repE0EEENS1_30default_config_static_selectorELNS0_4arch9wavefront6targetE0EEEvSY_.num_vgpr, 0
	.set _ZN7rocprim17ROCPRIM_400000_NS6detail17trampoline_kernelINS0_14default_configENS1_27lower_bound_config_selectorIdlEEZNS1_14transform_implILb0ES3_S5_N6thrust23THRUST_200600_302600_NS6detail15normal_iteratorINS8_7pointerIdNS8_11hip_rocprim5par_tENS8_11use_defaultESE_EEEENSA_INSB_IlSD_SE_SE_EEEEZNS1_13binary_searchIS3_S5_NSA_INS8_10device_ptrIdEEEESG_SI_NS1_21lower_bound_search_opENS9_16wrapped_functionINS8_6system6detail7generic6detail18binary_search_lessEbEEEE10hipError_tPvRmT1_T2_T3_mmT4_T5_P12ihipStream_tbEUlRKdE_EESV_SZ_S10_mS11_S14_bEUlT_E_NS1_11comp_targetILNS1_3genE3ELNS1_11target_archE908ELNS1_3gpuE7ELNS1_3repE0EEENS1_30default_config_static_selectorELNS0_4arch9wavefront6targetE0EEEvSY_.num_agpr, 0
	.set _ZN7rocprim17ROCPRIM_400000_NS6detail17trampoline_kernelINS0_14default_configENS1_27lower_bound_config_selectorIdlEEZNS1_14transform_implILb0ES3_S5_N6thrust23THRUST_200600_302600_NS6detail15normal_iteratorINS8_7pointerIdNS8_11hip_rocprim5par_tENS8_11use_defaultESE_EEEENSA_INSB_IlSD_SE_SE_EEEEZNS1_13binary_searchIS3_S5_NSA_INS8_10device_ptrIdEEEESG_SI_NS1_21lower_bound_search_opENS9_16wrapped_functionINS8_6system6detail7generic6detail18binary_search_lessEbEEEE10hipError_tPvRmT1_T2_T3_mmT4_T5_P12ihipStream_tbEUlRKdE_EESV_SZ_S10_mS11_S14_bEUlT_E_NS1_11comp_targetILNS1_3genE3ELNS1_11target_archE908ELNS1_3gpuE7ELNS1_3repE0EEENS1_30default_config_static_selectorELNS0_4arch9wavefront6targetE0EEEvSY_.numbered_sgpr, 0
	.set _ZN7rocprim17ROCPRIM_400000_NS6detail17trampoline_kernelINS0_14default_configENS1_27lower_bound_config_selectorIdlEEZNS1_14transform_implILb0ES3_S5_N6thrust23THRUST_200600_302600_NS6detail15normal_iteratorINS8_7pointerIdNS8_11hip_rocprim5par_tENS8_11use_defaultESE_EEEENSA_INSB_IlSD_SE_SE_EEEEZNS1_13binary_searchIS3_S5_NSA_INS8_10device_ptrIdEEEESG_SI_NS1_21lower_bound_search_opENS9_16wrapped_functionINS8_6system6detail7generic6detail18binary_search_lessEbEEEE10hipError_tPvRmT1_T2_T3_mmT4_T5_P12ihipStream_tbEUlRKdE_EESV_SZ_S10_mS11_S14_bEUlT_E_NS1_11comp_targetILNS1_3genE3ELNS1_11target_archE908ELNS1_3gpuE7ELNS1_3repE0EEENS1_30default_config_static_selectorELNS0_4arch9wavefront6targetE0EEEvSY_.num_named_barrier, 0
	.set _ZN7rocprim17ROCPRIM_400000_NS6detail17trampoline_kernelINS0_14default_configENS1_27lower_bound_config_selectorIdlEEZNS1_14transform_implILb0ES3_S5_N6thrust23THRUST_200600_302600_NS6detail15normal_iteratorINS8_7pointerIdNS8_11hip_rocprim5par_tENS8_11use_defaultESE_EEEENSA_INSB_IlSD_SE_SE_EEEEZNS1_13binary_searchIS3_S5_NSA_INS8_10device_ptrIdEEEESG_SI_NS1_21lower_bound_search_opENS9_16wrapped_functionINS8_6system6detail7generic6detail18binary_search_lessEbEEEE10hipError_tPvRmT1_T2_T3_mmT4_T5_P12ihipStream_tbEUlRKdE_EESV_SZ_S10_mS11_S14_bEUlT_E_NS1_11comp_targetILNS1_3genE3ELNS1_11target_archE908ELNS1_3gpuE7ELNS1_3repE0EEENS1_30default_config_static_selectorELNS0_4arch9wavefront6targetE0EEEvSY_.private_seg_size, 0
	.set _ZN7rocprim17ROCPRIM_400000_NS6detail17trampoline_kernelINS0_14default_configENS1_27lower_bound_config_selectorIdlEEZNS1_14transform_implILb0ES3_S5_N6thrust23THRUST_200600_302600_NS6detail15normal_iteratorINS8_7pointerIdNS8_11hip_rocprim5par_tENS8_11use_defaultESE_EEEENSA_INSB_IlSD_SE_SE_EEEEZNS1_13binary_searchIS3_S5_NSA_INS8_10device_ptrIdEEEESG_SI_NS1_21lower_bound_search_opENS9_16wrapped_functionINS8_6system6detail7generic6detail18binary_search_lessEbEEEE10hipError_tPvRmT1_T2_T3_mmT4_T5_P12ihipStream_tbEUlRKdE_EESV_SZ_S10_mS11_S14_bEUlT_E_NS1_11comp_targetILNS1_3genE3ELNS1_11target_archE908ELNS1_3gpuE7ELNS1_3repE0EEENS1_30default_config_static_selectorELNS0_4arch9wavefront6targetE0EEEvSY_.uses_vcc, 0
	.set _ZN7rocprim17ROCPRIM_400000_NS6detail17trampoline_kernelINS0_14default_configENS1_27lower_bound_config_selectorIdlEEZNS1_14transform_implILb0ES3_S5_N6thrust23THRUST_200600_302600_NS6detail15normal_iteratorINS8_7pointerIdNS8_11hip_rocprim5par_tENS8_11use_defaultESE_EEEENSA_INSB_IlSD_SE_SE_EEEEZNS1_13binary_searchIS3_S5_NSA_INS8_10device_ptrIdEEEESG_SI_NS1_21lower_bound_search_opENS9_16wrapped_functionINS8_6system6detail7generic6detail18binary_search_lessEbEEEE10hipError_tPvRmT1_T2_T3_mmT4_T5_P12ihipStream_tbEUlRKdE_EESV_SZ_S10_mS11_S14_bEUlT_E_NS1_11comp_targetILNS1_3genE3ELNS1_11target_archE908ELNS1_3gpuE7ELNS1_3repE0EEENS1_30default_config_static_selectorELNS0_4arch9wavefront6targetE0EEEvSY_.uses_flat_scratch, 0
	.set _ZN7rocprim17ROCPRIM_400000_NS6detail17trampoline_kernelINS0_14default_configENS1_27lower_bound_config_selectorIdlEEZNS1_14transform_implILb0ES3_S5_N6thrust23THRUST_200600_302600_NS6detail15normal_iteratorINS8_7pointerIdNS8_11hip_rocprim5par_tENS8_11use_defaultESE_EEEENSA_INSB_IlSD_SE_SE_EEEEZNS1_13binary_searchIS3_S5_NSA_INS8_10device_ptrIdEEEESG_SI_NS1_21lower_bound_search_opENS9_16wrapped_functionINS8_6system6detail7generic6detail18binary_search_lessEbEEEE10hipError_tPvRmT1_T2_T3_mmT4_T5_P12ihipStream_tbEUlRKdE_EESV_SZ_S10_mS11_S14_bEUlT_E_NS1_11comp_targetILNS1_3genE3ELNS1_11target_archE908ELNS1_3gpuE7ELNS1_3repE0EEENS1_30default_config_static_selectorELNS0_4arch9wavefront6targetE0EEEvSY_.has_dyn_sized_stack, 0
	.set _ZN7rocprim17ROCPRIM_400000_NS6detail17trampoline_kernelINS0_14default_configENS1_27lower_bound_config_selectorIdlEEZNS1_14transform_implILb0ES3_S5_N6thrust23THRUST_200600_302600_NS6detail15normal_iteratorINS8_7pointerIdNS8_11hip_rocprim5par_tENS8_11use_defaultESE_EEEENSA_INSB_IlSD_SE_SE_EEEEZNS1_13binary_searchIS3_S5_NSA_INS8_10device_ptrIdEEEESG_SI_NS1_21lower_bound_search_opENS9_16wrapped_functionINS8_6system6detail7generic6detail18binary_search_lessEbEEEE10hipError_tPvRmT1_T2_T3_mmT4_T5_P12ihipStream_tbEUlRKdE_EESV_SZ_S10_mS11_S14_bEUlT_E_NS1_11comp_targetILNS1_3genE3ELNS1_11target_archE908ELNS1_3gpuE7ELNS1_3repE0EEENS1_30default_config_static_selectorELNS0_4arch9wavefront6targetE0EEEvSY_.has_recursion, 0
	.set _ZN7rocprim17ROCPRIM_400000_NS6detail17trampoline_kernelINS0_14default_configENS1_27lower_bound_config_selectorIdlEEZNS1_14transform_implILb0ES3_S5_N6thrust23THRUST_200600_302600_NS6detail15normal_iteratorINS8_7pointerIdNS8_11hip_rocprim5par_tENS8_11use_defaultESE_EEEENSA_INSB_IlSD_SE_SE_EEEEZNS1_13binary_searchIS3_S5_NSA_INS8_10device_ptrIdEEEESG_SI_NS1_21lower_bound_search_opENS9_16wrapped_functionINS8_6system6detail7generic6detail18binary_search_lessEbEEEE10hipError_tPvRmT1_T2_T3_mmT4_T5_P12ihipStream_tbEUlRKdE_EESV_SZ_S10_mS11_S14_bEUlT_E_NS1_11comp_targetILNS1_3genE3ELNS1_11target_archE908ELNS1_3gpuE7ELNS1_3repE0EEENS1_30default_config_static_selectorELNS0_4arch9wavefront6targetE0EEEvSY_.has_indirect_call, 0
	.section	.AMDGPU.csdata,"",@progbits
; Kernel info:
; codeLenInByte = 0
; TotalNumSgprs: 0
; NumVgprs: 0
; ScratchSize: 0
; MemoryBound: 0
; FloatMode: 240
; IeeeMode: 1
; LDSByteSize: 0 bytes/workgroup (compile time only)
; SGPRBlocks: 0
; VGPRBlocks: 0
; NumSGPRsForWavesPerEU: 1
; NumVGPRsForWavesPerEU: 1
; Occupancy: 16
; WaveLimiterHint : 0
; COMPUTE_PGM_RSRC2:SCRATCH_EN: 0
; COMPUTE_PGM_RSRC2:USER_SGPR: 6
; COMPUTE_PGM_RSRC2:TRAP_HANDLER: 0
; COMPUTE_PGM_RSRC2:TGID_X_EN: 1
; COMPUTE_PGM_RSRC2:TGID_Y_EN: 0
; COMPUTE_PGM_RSRC2:TGID_Z_EN: 0
; COMPUTE_PGM_RSRC2:TIDIG_COMP_CNT: 0
	.section	.text._ZN7rocprim17ROCPRIM_400000_NS6detail17trampoline_kernelINS0_14default_configENS1_27lower_bound_config_selectorIdlEEZNS1_14transform_implILb0ES3_S5_N6thrust23THRUST_200600_302600_NS6detail15normal_iteratorINS8_7pointerIdNS8_11hip_rocprim5par_tENS8_11use_defaultESE_EEEENSA_INSB_IlSD_SE_SE_EEEEZNS1_13binary_searchIS3_S5_NSA_INS8_10device_ptrIdEEEESG_SI_NS1_21lower_bound_search_opENS9_16wrapped_functionINS8_6system6detail7generic6detail18binary_search_lessEbEEEE10hipError_tPvRmT1_T2_T3_mmT4_T5_P12ihipStream_tbEUlRKdE_EESV_SZ_S10_mS11_S14_bEUlT_E_NS1_11comp_targetILNS1_3genE2ELNS1_11target_archE906ELNS1_3gpuE6ELNS1_3repE0EEENS1_30default_config_static_selectorELNS0_4arch9wavefront6targetE0EEEvSY_,"axG",@progbits,_ZN7rocprim17ROCPRIM_400000_NS6detail17trampoline_kernelINS0_14default_configENS1_27lower_bound_config_selectorIdlEEZNS1_14transform_implILb0ES3_S5_N6thrust23THRUST_200600_302600_NS6detail15normal_iteratorINS8_7pointerIdNS8_11hip_rocprim5par_tENS8_11use_defaultESE_EEEENSA_INSB_IlSD_SE_SE_EEEEZNS1_13binary_searchIS3_S5_NSA_INS8_10device_ptrIdEEEESG_SI_NS1_21lower_bound_search_opENS9_16wrapped_functionINS8_6system6detail7generic6detail18binary_search_lessEbEEEE10hipError_tPvRmT1_T2_T3_mmT4_T5_P12ihipStream_tbEUlRKdE_EESV_SZ_S10_mS11_S14_bEUlT_E_NS1_11comp_targetILNS1_3genE2ELNS1_11target_archE906ELNS1_3gpuE6ELNS1_3repE0EEENS1_30default_config_static_selectorELNS0_4arch9wavefront6targetE0EEEvSY_,comdat
	.protected	_ZN7rocprim17ROCPRIM_400000_NS6detail17trampoline_kernelINS0_14default_configENS1_27lower_bound_config_selectorIdlEEZNS1_14transform_implILb0ES3_S5_N6thrust23THRUST_200600_302600_NS6detail15normal_iteratorINS8_7pointerIdNS8_11hip_rocprim5par_tENS8_11use_defaultESE_EEEENSA_INSB_IlSD_SE_SE_EEEEZNS1_13binary_searchIS3_S5_NSA_INS8_10device_ptrIdEEEESG_SI_NS1_21lower_bound_search_opENS9_16wrapped_functionINS8_6system6detail7generic6detail18binary_search_lessEbEEEE10hipError_tPvRmT1_T2_T3_mmT4_T5_P12ihipStream_tbEUlRKdE_EESV_SZ_S10_mS11_S14_bEUlT_E_NS1_11comp_targetILNS1_3genE2ELNS1_11target_archE906ELNS1_3gpuE6ELNS1_3repE0EEENS1_30default_config_static_selectorELNS0_4arch9wavefront6targetE0EEEvSY_ ; -- Begin function _ZN7rocprim17ROCPRIM_400000_NS6detail17trampoline_kernelINS0_14default_configENS1_27lower_bound_config_selectorIdlEEZNS1_14transform_implILb0ES3_S5_N6thrust23THRUST_200600_302600_NS6detail15normal_iteratorINS8_7pointerIdNS8_11hip_rocprim5par_tENS8_11use_defaultESE_EEEENSA_INSB_IlSD_SE_SE_EEEEZNS1_13binary_searchIS3_S5_NSA_INS8_10device_ptrIdEEEESG_SI_NS1_21lower_bound_search_opENS9_16wrapped_functionINS8_6system6detail7generic6detail18binary_search_lessEbEEEE10hipError_tPvRmT1_T2_T3_mmT4_T5_P12ihipStream_tbEUlRKdE_EESV_SZ_S10_mS11_S14_bEUlT_E_NS1_11comp_targetILNS1_3genE2ELNS1_11target_archE906ELNS1_3gpuE6ELNS1_3repE0EEENS1_30default_config_static_selectorELNS0_4arch9wavefront6targetE0EEEvSY_
	.globl	_ZN7rocprim17ROCPRIM_400000_NS6detail17trampoline_kernelINS0_14default_configENS1_27lower_bound_config_selectorIdlEEZNS1_14transform_implILb0ES3_S5_N6thrust23THRUST_200600_302600_NS6detail15normal_iteratorINS8_7pointerIdNS8_11hip_rocprim5par_tENS8_11use_defaultESE_EEEENSA_INSB_IlSD_SE_SE_EEEEZNS1_13binary_searchIS3_S5_NSA_INS8_10device_ptrIdEEEESG_SI_NS1_21lower_bound_search_opENS9_16wrapped_functionINS8_6system6detail7generic6detail18binary_search_lessEbEEEE10hipError_tPvRmT1_T2_T3_mmT4_T5_P12ihipStream_tbEUlRKdE_EESV_SZ_S10_mS11_S14_bEUlT_E_NS1_11comp_targetILNS1_3genE2ELNS1_11target_archE906ELNS1_3gpuE6ELNS1_3repE0EEENS1_30default_config_static_selectorELNS0_4arch9wavefront6targetE0EEEvSY_
	.p2align	8
	.type	_ZN7rocprim17ROCPRIM_400000_NS6detail17trampoline_kernelINS0_14default_configENS1_27lower_bound_config_selectorIdlEEZNS1_14transform_implILb0ES3_S5_N6thrust23THRUST_200600_302600_NS6detail15normal_iteratorINS8_7pointerIdNS8_11hip_rocprim5par_tENS8_11use_defaultESE_EEEENSA_INSB_IlSD_SE_SE_EEEEZNS1_13binary_searchIS3_S5_NSA_INS8_10device_ptrIdEEEESG_SI_NS1_21lower_bound_search_opENS9_16wrapped_functionINS8_6system6detail7generic6detail18binary_search_lessEbEEEE10hipError_tPvRmT1_T2_T3_mmT4_T5_P12ihipStream_tbEUlRKdE_EESV_SZ_S10_mS11_S14_bEUlT_E_NS1_11comp_targetILNS1_3genE2ELNS1_11target_archE906ELNS1_3gpuE6ELNS1_3repE0EEENS1_30default_config_static_selectorELNS0_4arch9wavefront6targetE0EEEvSY_,@function
_ZN7rocprim17ROCPRIM_400000_NS6detail17trampoline_kernelINS0_14default_configENS1_27lower_bound_config_selectorIdlEEZNS1_14transform_implILb0ES3_S5_N6thrust23THRUST_200600_302600_NS6detail15normal_iteratorINS8_7pointerIdNS8_11hip_rocprim5par_tENS8_11use_defaultESE_EEEENSA_INSB_IlSD_SE_SE_EEEEZNS1_13binary_searchIS3_S5_NSA_INS8_10device_ptrIdEEEESG_SI_NS1_21lower_bound_search_opENS9_16wrapped_functionINS8_6system6detail7generic6detail18binary_search_lessEbEEEE10hipError_tPvRmT1_T2_T3_mmT4_T5_P12ihipStream_tbEUlRKdE_EESV_SZ_S10_mS11_S14_bEUlT_E_NS1_11comp_targetILNS1_3genE2ELNS1_11target_archE906ELNS1_3gpuE6ELNS1_3repE0EEENS1_30default_config_static_selectorELNS0_4arch9wavefront6targetE0EEEvSY_: ; @_ZN7rocprim17ROCPRIM_400000_NS6detail17trampoline_kernelINS0_14default_configENS1_27lower_bound_config_selectorIdlEEZNS1_14transform_implILb0ES3_S5_N6thrust23THRUST_200600_302600_NS6detail15normal_iteratorINS8_7pointerIdNS8_11hip_rocprim5par_tENS8_11use_defaultESE_EEEENSA_INSB_IlSD_SE_SE_EEEEZNS1_13binary_searchIS3_S5_NSA_INS8_10device_ptrIdEEEESG_SI_NS1_21lower_bound_search_opENS9_16wrapped_functionINS8_6system6detail7generic6detail18binary_search_lessEbEEEE10hipError_tPvRmT1_T2_T3_mmT4_T5_P12ihipStream_tbEUlRKdE_EESV_SZ_S10_mS11_S14_bEUlT_E_NS1_11comp_targetILNS1_3genE2ELNS1_11target_archE906ELNS1_3gpuE6ELNS1_3repE0EEENS1_30default_config_static_selectorELNS0_4arch9wavefront6targetE0EEEvSY_
; %bb.0:
	.section	.rodata,"a",@progbits
	.p2align	6, 0x0
	.amdhsa_kernel _ZN7rocprim17ROCPRIM_400000_NS6detail17trampoline_kernelINS0_14default_configENS1_27lower_bound_config_selectorIdlEEZNS1_14transform_implILb0ES3_S5_N6thrust23THRUST_200600_302600_NS6detail15normal_iteratorINS8_7pointerIdNS8_11hip_rocprim5par_tENS8_11use_defaultESE_EEEENSA_INSB_IlSD_SE_SE_EEEEZNS1_13binary_searchIS3_S5_NSA_INS8_10device_ptrIdEEEESG_SI_NS1_21lower_bound_search_opENS9_16wrapped_functionINS8_6system6detail7generic6detail18binary_search_lessEbEEEE10hipError_tPvRmT1_T2_T3_mmT4_T5_P12ihipStream_tbEUlRKdE_EESV_SZ_S10_mS11_S14_bEUlT_E_NS1_11comp_targetILNS1_3genE2ELNS1_11target_archE906ELNS1_3gpuE6ELNS1_3repE0EEENS1_30default_config_static_selectorELNS0_4arch9wavefront6targetE0EEEvSY_
		.amdhsa_group_segment_fixed_size 0
		.amdhsa_private_segment_fixed_size 0
		.amdhsa_kernarg_size 56
		.amdhsa_user_sgpr_count 6
		.amdhsa_user_sgpr_private_segment_buffer 1
		.amdhsa_user_sgpr_dispatch_ptr 0
		.amdhsa_user_sgpr_queue_ptr 0
		.amdhsa_user_sgpr_kernarg_segment_ptr 1
		.amdhsa_user_sgpr_dispatch_id 0
		.amdhsa_user_sgpr_flat_scratch_init 0
		.amdhsa_user_sgpr_private_segment_size 0
		.amdhsa_wavefront_size32 1
		.amdhsa_uses_dynamic_stack 0
		.amdhsa_system_sgpr_private_segment_wavefront_offset 0
		.amdhsa_system_sgpr_workgroup_id_x 1
		.amdhsa_system_sgpr_workgroup_id_y 0
		.amdhsa_system_sgpr_workgroup_id_z 0
		.amdhsa_system_sgpr_workgroup_info 0
		.amdhsa_system_vgpr_workitem_id 0
		.amdhsa_next_free_vgpr 1
		.amdhsa_next_free_sgpr 1
		.amdhsa_reserve_vcc 0
		.amdhsa_reserve_flat_scratch 0
		.amdhsa_float_round_mode_32 0
		.amdhsa_float_round_mode_16_64 0
		.amdhsa_float_denorm_mode_32 3
		.amdhsa_float_denorm_mode_16_64 3
		.amdhsa_dx10_clamp 1
		.amdhsa_ieee_mode 1
		.amdhsa_fp16_overflow 0
		.amdhsa_workgroup_processor_mode 1
		.amdhsa_memory_ordered 1
		.amdhsa_forward_progress 1
		.amdhsa_shared_vgpr_count 0
		.amdhsa_exception_fp_ieee_invalid_op 0
		.amdhsa_exception_fp_denorm_src 0
		.amdhsa_exception_fp_ieee_div_zero 0
		.amdhsa_exception_fp_ieee_overflow 0
		.amdhsa_exception_fp_ieee_underflow 0
		.amdhsa_exception_fp_ieee_inexact 0
		.amdhsa_exception_int_div_zero 0
	.end_amdhsa_kernel
	.section	.text._ZN7rocprim17ROCPRIM_400000_NS6detail17trampoline_kernelINS0_14default_configENS1_27lower_bound_config_selectorIdlEEZNS1_14transform_implILb0ES3_S5_N6thrust23THRUST_200600_302600_NS6detail15normal_iteratorINS8_7pointerIdNS8_11hip_rocprim5par_tENS8_11use_defaultESE_EEEENSA_INSB_IlSD_SE_SE_EEEEZNS1_13binary_searchIS3_S5_NSA_INS8_10device_ptrIdEEEESG_SI_NS1_21lower_bound_search_opENS9_16wrapped_functionINS8_6system6detail7generic6detail18binary_search_lessEbEEEE10hipError_tPvRmT1_T2_T3_mmT4_T5_P12ihipStream_tbEUlRKdE_EESV_SZ_S10_mS11_S14_bEUlT_E_NS1_11comp_targetILNS1_3genE2ELNS1_11target_archE906ELNS1_3gpuE6ELNS1_3repE0EEENS1_30default_config_static_selectorELNS0_4arch9wavefront6targetE0EEEvSY_,"axG",@progbits,_ZN7rocprim17ROCPRIM_400000_NS6detail17trampoline_kernelINS0_14default_configENS1_27lower_bound_config_selectorIdlEEZNS1_14transform_implILb0ES3_S5_N6thrust23THRUST_200600_302600_NS6detail15normal_iteratorINS8_7pointerIdNS8_11hip_rocprim5par_tENS8_11use_defaultESE_EEEENSA_INSB_IlSD_SE_SE_EEEEZNS1_13binary_searchIS3_S5_NSA_INS8_10device_ptrIdEEEESG_SI_NS1_21lower_bound_search_opENS9_16wrapped_functionINS8_6system6detail7generic6detail18binary_search_lessEbEEEE10hipError_tPvRmT1_T2_T3_mmT4_T5_P12ihipStream_tbEUlRKdE_EESV_SZ_S10_mS11_S14_bEUlT_E_NS1_11comp_targetILNS1_3genE2ELNS1_11target_archE906ELNS1_3gpuE6ELNS1_3repE0EEENS1_30default_config_static_selectorELNS0_4arch9wavefront6targetE0EEEvSY_,comdat
.Lfunc_end326:
	.size	_ZN7rocprim17ROCPRIM_400000_NS6detail17trampoline_kernelINS0_14default_configENS1_27lower_bound_config_selectorIdlEEZNS1_14transform_implILb0ES3_S5_N6thrust23THRUST_200600_302600_NS6detail15normal_iteratorINS8_7pointerIdNS8_11hip_rocprim5par_tENS8_11use_defaultESE_EEEENSA_INSB_IlSD_SE_SE_EEEEZNS1_13binary_searchIS3_S5_NSA_INS8_10device_ptrIdEEEESG_SI_NS1_21lower_bound_search_opENS9_16wrapped_functionINS8_6system6detail7generic6detail18binary_search_lessEbEEEE10hipError_tPvRmT1_T2_T3_mmT4_T5_P12ihipStream_tbEUlRKdE_EESV_SZ_S10_mS11_S14_bEUlT_E_NS1_11comp_targetILNS1_3genE2ELNS1_11target_archE906ELNS1_3gpuE6ELNS1_3repE0EEENS1_30default_config_static_selectorELNS0_4arch9wavefront6targetE0EEEvSY_, .Lfunc_end326-_ZN7rocprim17ROCPRIM_400000_NS6detail17trampoline_kernelINS0_14default_configENS1_27lower_bound_config_selectorIdlEEZNS1_14transform_implILb0ES3_S5_N6thrust23THRUST_200600_302600_NS6detail15normal_iteratorINS8_7pointerIdNS8_11hip_rocprim5par_tENS8_11use_defaultESE_EEEENSA_INSB_IlSD_SE_SE_EEEEZNS1_13binary_searchIS3_S5_NSA_INS8_10device_ptrIdEEEESG_SI_NS1_21lower_bound_search_opENS9_16wrapped_functionINS8_6system6detail7generic6detail18binary_search_lessEbEEEE10hipError_tPvRmT1_T2_T3_mmT4_T5_P12ihipStream_tbEUlRKdE_EESV_SZ_S10_mS11_S14_bEUlT_E_NS1_11comp_targetILNS1_3genE2ELNS1_11target_archE906ELNS1_3gpuE6ELNS1_3repE0EEENS1_30default_config_static_selectorELNS0_4arch9wavefront6targetE0EEEvSY_
                                        ; -- End function
	.set _ZN7rocprim17ROCPRIM_400000_NS6detail17trampoline_kernelINS0_14default_configENS1_27lower_bound_config_selectorIdlEEZNS1_14transform_implILb0ES3_S5_N6thrust23THRUST_200600_302600_NS6detail15normal_iteratorINS8_7pointerIdNS8_11hip_rocprim5par_tENS8_11use_defaultESE_EEEENSA_INSB_IlSD_SE_SE_EEEEZNS1_13binary_searchIS3_S5_NSA_INS8_10device_ptrIdEEEESG_SI_NS1_21lower_bound_search_opENS9_16wrapped_functionINS8_6system6detail7generic6detail18binary_search_lessEbEEEE10hipError_tPvRmT1_T2_T3_mmT4_T5_P12ihipStream_tbEUlRKdE_EESV_SZ_S10_mS11_S14_bEUlT_E_NS1_11comp_targetILNS1_3genE2ELNS1_11target_archE906ELNS1_3gpuE6ELNS1_3repE0EEENS1_30default_config_static_selectorELNS0_4arch9wavefront6targetE0EEEvSY_.num_vgpr, 0
	.set _ZN7rocprim17ROCPRIM_400000_NS6detail17trampoline_kernelINS0_14default_configENS1_27lower_bound_config_selectorIdlEEZNS1_14transform_implILb0ES3_S5_N6thrust23THRUST_200600_302600_NS6detail15normal_iteratorINS8_7pointerIdNS8_11hip_rocprim5par_tENS8_11use_defaultESE_EEEENSA_INSB_IlSD_SE_SE_EEEEZNS1_13binary_searchIS3_S5_NSA_INS8_10device_ptrIdEEEESG_SI_NS1_21lower_bound_search_opENS9_16wrapped_functionINS8_6system6detail7generic6detail18binary_search_lessEbEEEE10hipError_tPvRmT1_T2_T3_mmT4_T5_P12ihipStream_tbEUlRKdE_EESV_SZ_S10_mS11_S14_bEUlT_E_NS1_11comp_targetILNS1_3genE2ELNS1_11target_archE906ELNS1_3gpuE6ELNS1_3repE0EEENS1_30default_config_static_selectorELNS0_4arch9wavefront6targetE0EEEvSY_.num_agpr, 0
	.set _ZN7rocprim17ROCPRIM_400000_NS6detail17trampoline_kernelINS0_14default_configENS1_27lower_bound_config_selectorIdlEEZNS1_14transform_implILb0ES3_S5_N6thrust23THRUST_200600_302600_NS6detail15normal_iteratorINS8_7pointerIdNS8_11hip_rocprim5par_tENS8_11use_defaultESE_EEEENSA_INSB_IlSD_SE_SE_EEEEZNS1_13binary_searchIS3_S5_NSA_INS8_10device_ptrIdEEEESG_SI_NS1_21lower_bound_search_opENS9_16wrapped_functionINS8_6system6detail7generic6detail18binary_search_lessEbEEEE10hipError_tPvRmT1_T2_T3_mmT4_T5_P12ihipStream_tbEUlRKdE_EESV_SZ_S10_mS11_S14_bEUlT_E_NS1_11comp_targetILNS1_3genE2ELNS1_11target_archE906ELNS1_3gpuE6ELNS1_3repE0EEENS1_30default_config_static_selectorELNS0_4arch9wavefront6targetE0EEEvSY_.numbered_sgpr, 0
	.set _ZN7rocprim17ROCPRIM_400000_NS6detail17trampoline_kernelINS0_14default_configENS1_27lower_bound_config_selectorIdlEEZNS1_14transform_implILb0ES3_S5_N6thrust23THRUST_200600_302600_NS6detail15normal_iteratorINS8_7pointerIdNS8_11hip_rocprim5par_tENS8_11use_defaultESE_EEEENSA_INSB_IlSD_SE_SE_EEEEZNS1_13binary_searchIS3_S5_NSA_INS8_10device_ptrIdEEEESG_SI_NS1_21lower_bound_search_opENS9_16wrapped_functionINS8_6system6detail7generic6detail18binary_search_lessEbEEEE10hipError_tPvRmT1_T2_T3_mmT4_T5_P12ihipStream_tbEUlRKdE_EESV_SZ_S10_mS11_S14_bEUlT_E_NS1_11comp_targetILNS1_3genE2ELNS1_11target_archE906ELNS1_3gpuE6ELNS1_3repE0EEENS1_30default_config_static_selectorELNS0_4arch9wavefront6targetE0EEEvSY_.num_named_barrier, 0
	.set _ZN7rocprim17ROCPRIM_400000_NS6detail17trampoline_kernelINS0_14default_configENS1_27lower_bound_config_selectorIdlEEZNS1_14transform_implILb0ES3_S5_N6thrust23THRUST_200600_302600_NS6detail15normal_iteratorINS8_7pointerIdNS8_11hip_rocprim5par_tENS8_11use_defaultESE_EEEENSA_INSB_IlSD_SE_SE_EEEEZNS1_13binary_searchIS3_S5_NSA_INS8_10device_ptrIdEEEESG_SI_NS1_21lower_bound_search_opENS9_16wrapped_functionINS8_6system6detail7generic6detail18binary_search_lessEbEEEE10hipError_tPvRmT1_T2_T3_mmT4_T5_P12ihipStream_tbEUlRKdE_EESV_SZ_S10_mS11_S14_bEUlT_E_NS1_11comp_targetILNS1_3genE2ELNS1_11target_archE906ELNS1_3gpuE6ELNS1_3repE0EEENS1_30default_config_static_selectorELNS0_4arch9wavefront6targetE0EEEvSY_.private_seg_size, 0
	.set _ZN7rocprim17ROCPRIM_400000_NS6detail17trampoline_kernelINS0_14default_configENS1_27lower_bound_config_selectorIdlEEZNS1_14transform_implILb0ES3_S5_N6thrust23THRUST_200600_302600_NS6detail15normal_iteratorINS8_7pointerIdNS8_11hip_rocprim5par_tENS8_11use_defaultESE_EEEENSA_INSB_IlSD_SE_SE_EEEEZNS1_13binary_searchIS3_S5_NSA_INS8_10device_ptrIdEEEESG_SI_NS1_21lower_bound_search_opENS9_16wrapped_functionINS8_6system6detail7generic6detail18binary_search_lessEbEEEE10hipError_tPvRmT1_T2_T3_mmT4_T5_P12ihipStream_tbEUlRKdE_EESV_SZ_S10_mS11_S14_bEUlT_E_NS1_11comp_targetILNS1_3genE2ELNS1_11target_archE906ELNS1_3gpuE6ELNS1_3repE0EEENS1_30default_config_static_selectorELNS0_4arch9wavefront6targetE0EEEvSY_.uses_vcc, 0
	.set _ZN7rocprim17ROCPRIM_400000_NS6detail17trampoline_kernelINS0_14default_configENS1_27lower_bound_config_selectorIdlEEZNS1_14transform_implILb0ES3_S5_N6thrust23THRUST_200600_302600_NS6detail15normal_iteratorINS8_7pointerIdNS8_11hip_rocprim5par_tENS8_11use_defaultESE_EEEENSA_INSB_IlSD_SE_SE_EEEEZNS1_13binary_searchIS3_S5_NSA_INS8_10device_ptrIdEEEESG_SI_NS1_21lower_bound_search_opENS9_16wrapped_functionINS8_6system6detail7generic6detail18binary_search_lessEbEEEE10hipError_tPvRmT1_T2_T3_mmT4_T5_P12ihipStream_tbEUlRKdE_EESV_SZ_S10_mS11_S14_bEUlT_E_NS1_11comp_targetILNS1_3genE2ELNS1_11target_archE906ELNS1_3gpuE6ELNS1_3repE0EEENS1_30default_config_static_selectorELNS0_4arch9wavefront6targetE0EEEvSY_.uses_flat_scratch, 0
	.set _ZN7rocprim17ROCPRIM_400000_NS6detail17trampoline_kernelINS0_14default_configENS1_27lower_bound_config_selectorIdlEEZNS1_14transform_implILb0ES3_S5_N6thrust23THRUST_200600_302600_NS6detail15normal_iteratorINS8_7pointerIdNS8_11hip_rocprim5par_tENS8_11use_defaultESE_EEEENSA_INSB_IlSD_SE_SE_EEEEZNS1_13binary_searchIS3_S5_NSA_INS8_10device_ptrIdEEEESG_SI_NS1_21lower_bound_search_opENS9_16wrapped_functionINS8_6system6detail7generic6detail18binary_search_lessEbEEEE10hipError_tPvRmT1_T2_T3_mmT4_T5_P12ihipStream_tbEUlRKdE_EESV_SZ_S10_mS11_S14_bEUlT_E_NS1_11comp_targetILNS1_3genE2ELNS1_11target_archE906ELNS1_3gpuE6ELNS1_3repE0EEENS1_30default_config_static_selectorELNS0_4arch9wavefront6targetE0EEEvSY_.has_dyn_sized_stack, 0
	.set _ZN7rocprim17ROCPRIM_400000_NS6detail17trampoline_kernelINS0_14default_configENS1_27lower_bound_config_selectorIdlEEZNS1_14transform_implILb0ES3_S5_N6thrust23THRUST_200600_302600_NS6detail15normal_iteratorINS8_7pointerIdNS8_11hip_rocprim5par_tENS8_11use_defaultESE_EEEENSA_INSB_IlSD_SE_SE_EEEEZNS1_13binary_searchIS3_S5_NSA_INS8_10device_ptrIdEEEESG_SI_NS1_21lower_bound_search_opENS9_16wrapped_functionINS8_6system6detail7generic6detail18binary_search_lessEbEEEE10hipError_tPvRmT1_T2_T3_mmT4_T5_P12ihipStream_tbEUlRKdE_EESV_SZ_S10_mS11_S14_bEUlT_E_NS1_11comp_targetILNS1_3genE2ELNS1_11target_archE906ELNS1_3gpuE6ELNS1_3repE0EEENS1_30default_config_static_selectorELNS0_4arch9wavefront6targetE0EEEvSY_.has_recursion, 0
	.set _ZN7rocprim17ROCPRIM_400000_NS6detail17trampoline_kernelINS0_14default_configENS1_27lower_bound_config_selectorIdlEEZNS1_14transform_implILb0ES3_S5_N6thrust23THRUST_200600_302600_NS6detail15normal_iteratorINS8_7pointerIdNS8_11hip_rocprim5par_tENS8_11use_defaultESE_EEEENSA_INSB_IlSD_SE_SE_EEEEZNS1_13binary_searchIS3_S5_NSA_INS8_10device_ptrIdEEEESG_SI_NS1_21lower_bound_search_opENS9_16wrapped_functionINS8_6system6detail7generic6detail18binary_search_lessEbEEEE10hipError_tPvRmT1_T2_T3_mmT4_T5_P12ihipStream_tbEUlRKdE_EESV_SZ_S10_mS11_S14_bEUlT_E_NS1_11comp_targetILNS1_3genE2ELNS1_11target_archE906ELNS1_3gpuE6ELNS1_3repE0EEENS1_30default_config_static_selectorELNS0_4arch9wavefront6targetE0EEEvSY_.has_indirect_call, 0
	.section	.AMDGPU.csdata,"",@progbits
; Kernel info:
; codeLenInByte = 0
; TotalNumSgprs: 0
; NumVgprs: 0
; ScratchSize: 0
; MemoryBound: 0
; FloatMode: 240
; IeeeMode: 1
; LDSByteSize: 0 bytes/workgroup (compile time only)
; SGPRBlocks: 0
; VGPRBlocks: 0
; NumSGPRsForWavesPerEU: 1
; NumVGPRsForWavesPerEU: 1
; Occupancy: 16
; WaveLimiterHint : 0
; COMPUTE_PGM_RSRC2:SCRATCH_EN: 0
; COMPUTE_PGM_RSRC2:USER_SGPR: 6
; COMPUTE_PGM_RSRC2:TRAP_HANDLER: 0
; COMPUTE_PGM_RSRC2:TGID_X_EN: 1
; COMPUTE_PGM_RSRC2:TGID_Y_EN: 0
; COMPUTE_PGM_RSRC2:TGID_Z_EN: 0
; COMPUTE_PGM_RSRC2:TIDIG_COMP_CNT: 0
	.section	.text._ZN7rocprim17ROCPRIM_400000_NS6detail17trampoline_kernelINS0_14default_configENS1_27lower_bound_config_selectorIdlEEZNS1_14transform_implILb0ES3_S5_N6thrust23THRUST_200600_302600_NS6detail15normal_iteratorINS8_7pointerIdNS8_11hip_rocprim5par_tENS8_11use_defaultESE_EEEENSA_INSB_IlSD_SE_SE_EEEEZNS1_13binary_searchIS3_S5_NSA_INS8_10device_ptrIdEEEESG_SI_NS1_21lower_bound_search_opENS9_16wrapped_functionINS8_6system6detail7generic6detail18binary_search_lessEbEEEE10hipError_tPvRmT1_T2_T3_mmT4_T5_P12ihipStream_tbEUlRKdE_EESV_SZ_S10_mS11_S14_bEUlT_E_NS1_11comp_targetILNS1_3genE10ELNS1_11target_archE1201ELNS1_3gpuE5ELNS1_3repE0EEENS1_30default_config_static_selectorELNS0_4arch9wavefront6targetE0EEEvSY_,"axG",@progbits,_ZN7rocprim17ROCPRIM_400000_NS6detail17trampoline_kernelINS0_14default_configENS1_27lower_bound_config_selectorIdlEEZNS1_14transform_implILb0ES3_S5_N6thrust23THRUST_200600_302600_NS6detail15normal_iteratorINS8_7pointerIdNS8_11hip_rocprim5par_tENS8_11use_defaultESE_EEEENSA_INSB_IlSD_SE_SE_EEEEZNS1_13binary_searchIS3_S5_NSA_INS8_10device_ptrIdEEEESG_SI_NS1_21lower_bound_search_opENS9_16wrapped_functionINS8_6system6detail7generic6detail18binary_search_lessEbEEEE10hipError_tPvRmT1_T2_T3_mmT4_T5_P12ihipStream_tbEUlRKdE_EESV_SZ_S10_mS11_S14_bEUlT_E_NS1_11comp_targetILNS1_3genE10ELNS1_11target_archE1201ELNS1_3gpuE5ELNS1_3repE0EEENS1_30default_config_static_selectorELNS0_4arch9wavefront6targetE0EEEvSY_,comdat
	.protected	_ZN7rocprim17ROCPRIM_400000_NS6detail17trampoline_kernelINS0_14default_configENS1_27lower_bound_config_selectorIdlEEZNS1_14transform_implILb0ES3_S5_N6thrust23THRUST_200600_302600_NS6detail15normal_iteratorINS8_7pointerIdNS8_11hip_rocprim5par_tENS8_11use_defaultESE_EEEENSA_INSB_IlSD_SE_SE_EEEEZNS1_13binary_searchIS3_S5_NSA_INS8_10device_ptrIdEEEESG_SI_NS1_21lower_bound_search_opENS9_16wrapped_functionINS8_6system6detail7generic6detail18binary_search_lessEbEEEE10hipError_tPvRmT1_T2_T3_mmT4_T5_P12ihipStream_tbEUlRKdE_EESV_SZ_S10_mS11_S14_bEUlT_E_NS1_11comp_targetILNS1_3genE10ELNS1_11target_archE1201ELNS1_3gpuE5ELNS1_3repE0EEENS1_30default_config_static_selectorELNS0_4arch9wavefront6targetE0EEEvSY_ ; -- Begin function _ZN7rocprim17ROCPRIM_400000_NS6detail17trampoline_kernelINS0_14default_configENS1_27lower_bound_config_selectorIdlEEZNS1_14transform_implILb0ES3_S5_N6thrust23THRUST_200600_302600_NS6detail15normal_iteratorINS8_7pointerIdNS8_11hip_rocprim5par_tENS8_11use_defaultESE_EEEENSA_INSB_IlSD_SE_SE_EEEEZNS1_13binary_searchIS3_S5_NSA_INS8_10device_ptrIdEEEESG_SI_NS1_21lower_bound_search_opENS9_16wrapped_functionINS8_6system6detail7generic6detail18binary_search_lessEbEEEE10hipError_tPvRmT1_T2_T3_mmT4_T5_P12ihipStream_tbEUlRKdE_EESV_SZ_S10_mS11_S14_bEUlT_E_NS1_11comp_targetILNS1_3genE10ELNS1_11target_archE1201ELNS1_3gpuE5ELNS1_3repE0EEENS1_30default_config_static_selectorELNS0_4arch9wavefront6targetE0EEEvSY_
	.globl	_ZN7rocprim17ROCPRIM_400000_NS6detail17trampoline_kernelINS0_14default_configENS1_27lower_bound_config_selectorIdlEEZNS1_14transform_implILb0ES3_S5_N6thrust23THRUST_200600_302600_NS6detail15normal_iteratorINS8_7pointerIdNS8_11hip_rocprim5par_tENS8_11use_defaultESE_EEEENSA_INSB_IlSD_SE_SE_EEEEZNS1_13binary_searchIS3_S5_NSA_INS8_10device_ptrIdEEEESG_SI_NS1_21lower_bound_search_opENS9_16wrapped_functionINS8_6system6detail7generic6detail18binary_search_lessEbEEEE10hipError_tPvRmT1_T2_T3_mmT4_T5_P12ihipStream_tbEUlRKdE_EESV_SZ_S10_mS11_S14_bEUlT_E_NS1_11comp_targetILNS1_3genE10ELNS1_11target_archE1201ELNS1_3gpuE5ELNS1_3repE0EEENS1_30default_config_static_selectorELNS0_4arch9wavefront6targetE0EEEvSY_
	.p2align	8
	.type	_ZN7rocprim17ROCPRIM_400000_NS6detail17trampoline_kernelINS0_14default_configENS1_27lower_bound_config_selectorIdlEEZNS1_14transform_implILb0ES3_S5_N6thrust23THRUST_200600_302600_NS6detail15normal_iteratorINS8_7pointerIdNS8_11hip_rocprim5par_tENS8_11use_defaultESE_EEEENSA_INSB_IlSD_SE_SE_EEEEZNS1_13binary_searchIS3_S5_NSA_INS8_10device_ptrIdEEEESG_SI_NS1_21lower_bound_search_opENS9_16wrapped_functionINS8_6system6detail7generic6detail18binary_search_lessEbEEEE10hipError_tPvRmT1_T2_T3_mmT4_T5_P12ihipStream_tbEUlRKdE_EESV_SZ_S10_mS11_S14_bEUlT_E_NS1_11comp_targetILNS1_3genE10ELNS1_11target_archE1201ELNS1_3gpuE5ELNS1_3repE0EEENS1_30default_config_static_selectorELNS0_4arch9wavefront6targetE0EEEvSY_,@function
_ZN7rocprim17ROCPRIM_400000_NS6detail17trampoline_kernelINS0_14default_configENS1_27lower_bound_config_selectorIdlEEZNS1_14transform_implILb0ES3_S5_N6thrust23THRUST_200600_302600_NS6detail15normal_iteratorINS8_7pointerIdNS8_11hip_rocprim5par_tENS8_11use_defaultESE_EEEENSA_INSB_IlSD_SE_SE_EEEEZNS1_13binary_searchIS3_S5_NSA_INS8_10device_ptrIdEEEESG_SI_NS1_21lower_bound_search_opENS9_16wrapped_functionINS8_6system6detail7generic6detail18binary_search_lessEbEEEE10hipError_tPvRmT1_T2_T3_mmT4_T5_P12ihipStream_tbEUlRKdE_EESV_SZ_S10_mS11_S14_bEUlT_E_NS1_11comp_targetILNS1_3genE10ELNS1_11target_archE1201ELNS1_3gpuE5ELNS1_3repE0EEENS1_30default_config_static_selectorELNS0_4arch9wavefront6targetE0EEEvSY_: ; @_ZN7rocprim17ROCPRIM_400000_NS6detail17trampoline_kernelINS0_14default_configENS1_27lower_bound_config_selectorIdlEEZNS1_14transform_implILb0ES3_S5_N6thrust23THRUST_200600_302600_NS6detail15normal_iteratorINS8_7pointerIdNS8_11hip_rocprim5par_tENS8_11use_defaultESE_EEEENSA_INSB_IlSD_SE_SE_EEEEZNS1_13binary_searchIS3_S5_NSA_INS8_10device_ptrIdEEEESG_SI_NS1_21lower_bound_search_opENS9_16wrapped_functionINS8_6system6detail7generic6detail18binary_search_lessEbEEEE10hipError_tPvRmT1_T2_T3_mmT4_T5_P12ihipStream_tbEUlRKdE_EESV_SZ_S10_mS11_S14_bEUlT_E_NS1_11comp_targetILNS1_3genE10ELNS1_11target_archE1201ELNS1_3gpuE5ELNS1_3repE0EEENS1_30default_config_static_selectorELNS0_4arch9wavefront6targetE0EEEvSY_
; %bb.0:
	.section	.rodata,"a",@progbits
	.p2align	6, 0x0
	.amdhsa_kernel _ZN7rocprim17ROCPRIM_400000_NS6detail17trampoline_kernelINS0_14default_configENS1_27lower_bound_config_selectorIdlEEZNS1_14transform_implILb0ES3_S5_N6thrust23THRUST_200600_302600_NS6detail15normal_iteratorINS8_7pointerIdNS8_11hip_rocprim5par_tENS8_11use_defaultESE_EEEENSA_INSB_IlSD_SE_SE_EEEEZNS1_13binary_searchIS3_S5_NSA_INS8_10device_ptrIdEEEESG_SI_NS1_21lower_bound_search_opENS9_16wrapped_functionINS8_6system6detail7generic6detail18binary_search_lessEbEEEE10hipError_tPvRmT1_T2_T3_mmT4_T5_P12ihipStream_tbEUlRKdE_EESV_SZ_S10_mS11_S14_bEUlT_E_NS1_11comp_targetILNS1_3genE10ELNS1_11target_archE1201ELNS1_3gpuE5ELNS1_3repE0EEENS1_30default_config_static_selectorELNS0_4arch9wavefront6targetE0EEEvSY_
		.amdhsa_group_segment_fixed_size 0
		.amdhsa_private_segment_fixed_size 0
		.amdhsa_kernarg_size 56
		.amdhsa_user_sgpr_count 6
		.amdhsa_user_sgpr_private_segment_buffer 1
		.amdhsa_user_sgpr_dispatch_ptr 0
		.amdhsa_user_sgpr_queue_ptr 0
		.amdhsa_user_sgpr_kernarg_segment_ptr 1
		.amdhsa_user_sgpr_dispatch_id 0
		.amdhsa_user_sgpr_flat_scratch_init 0
		.amdhsa_user_sgpr_private_segment_size 0
		.amdhsa_wavefront_size32 1
		.amdhsa_uses_dynamic_stack 0
		.amdhsa_system_sgpr_private_segment_wavefront_offset 0
		.amdhsa_system_sgpr_workgroup_id_x 1
		.amdhsa_system_sgpr_workgroup_id_y 0
		.amdhsa_system_sgpr_workgroup_id_z 0
		.amdhsa_system_sgpr_workgroup_info 0
		.amdhsa_system_vgpr_workitem_id 0
		.amdhsa_next_free_vgpr 1
		.amdhsa_next_free_sgpr 1
		.amdhsa_reserve_vcc 0
		.amdhsa_reserve_flat_scratch 0
		.amdhsa_float_round_mode_32 0
		.amdhsa_float_round_mode_16_64 0
		.amdhsa_float_denorm_mode_32 3
		.amdhsa_float_denorm_mode_16_64 3
		.amdhsa_dx10_clamp 1
		.amdhsa_ieee_mode 1
		.amdhsa_fp16_overflow 0
		.amdhsa_workgroup_processor_mode 1
		.amdhsa_memory_ordered 1
		.amdhsa_forward_progress 1
		.amdhsa_shared_vgpr_count 0
		.amdhsa_exception_fp_ieee_invalid_op 0
		.amdhsa_exception_fp_denorm_src 0
		.amdhsa_exception_fp_ieee_div_zero 0
		.amdhsa_exception_fp_ieee_overflow 0
		.amdhsa_exception_fp_ieee_underflow 0
		.amdhsa_exception_fp_ieee_inexact 0
		.amdhsa_exception_int_div_zero 0
	.end_amdhsa_kernel
	.section	.text._ZN7rocprim17ROCPRIM_400000_NS6detail17trampoline_kernelINS0_14default_configENS1_27lower_bound_config_selectorIdlEEZNS1_14transform_implILb0ES3_S5_N6thrust23THRUST_200600_302600_NS6detail15normal_iteratorINS8_7pointerIdNS8_11hip_rocprim5par_tENS8_11use_defaultESE_EEEENSA_INSB_IlSD_SE_SE_EEEEZNS1_13binary_searchIS3_S5_NSA_INS8_10device_ptrIdEEEESG_SI_NS1_21lower_bound_search_opENS9_16wrapped_functionINS8_6system6detail7generic6detail18binary_search_lessEbEEEE10hipError_tPvRmT1_T2_T3_mmT4_T5_P12ihipStream_tbEUlRKdE_EESV_SZ_S10_mS11_S14_bEUlT_E_NS1_11comp_targetILNS1_3genE10ELNS1_11target_archE1201ELNS1_3gpuE5ELNS1_3repE0EEENS1_30default_config_static_selectorELNS0_4arch9wavefront6targetE0EEEvSY_,"axG",@progbits,_ZN7rocprim17ROCPRIM_400000_NS6detail17trampoline_kernelINS0_14default_configENS1_27lower_bound_config_selectorIdlEEZNS1_14transform_implILb0ES3_S5_N6thrust23THRUST_200600_302600_NS6detail15normal_iteratorINS8_7pointerIdNS8_11hip_rocprim5par_tENS8_11use_defaultESE_EEEENSA_INSB_IlSD_SE_SE_EEEEZNS1_13binary_searchIS3_S5_NSA_INS8_10device_ptrIdEEEESG_SI_NS1_21lower_bound_search_opENS9_16wrapped_functionINS8_6system6detail7generic6detail18binary_search_lessEbEEEE10hipError_tPvRmT1_T2_T3_mmT4_T5_P12ihipStream_tbEUlRKdE_EESV_SZ_S10_mS11_S14_bEUlT_E_NS1_11comp_targetILNS1_3genE10ELNS1_11target_archE1201ELNS1_3gpuE5ELNS1_3repE0EEENS1_30default_config_static_selectorELNS0_4arch9wavefront6targetE0EEEvSY_,comdat
.Lfunc_end327:
	.size	_ZN7rocprim17ROCPRIM_400000_NS6detail17trampoline_kernelINS0_14default_configENS1_27lower_bound_config_selectorIdlEEZNS1_14transform_implILb0ES3_S5_N6thrust23THRUST_200600_302600_NS6detail15normal_iteratorINS8_7pointerIdNS8_11hip_rocprim5par_tENS8_11use_defaultESE_EEEENSA_INSB_IlSD_SE_SE_EEEEZNS1_13binary_searchIS3_S5_NSA_INS8_10device_ptrIdEEEESG_SI_NS1_21lower_bound_search_opENS9_16wrapped_functionINS8_6system6detail7generic6detail18binary_search_lessEbEEEE10hipError_tPvRmT1_T2_T3_mmT4_T5_P12ihipStream_tbEUlRKdE_EESV_SZ_S10_mS11_S14_bEUlT_E_NS1_11comp_targetILNS1_3genE10ELNS1_11target_archE1201ELNS1_3gpuE5ELNS1_3repE0EEENS1_30default_config_static_selectorELNS0_4arch9wavefront6targetE0EEEvSY_, .Lfunc_end327-_ZN7rocprim17ROCPRIM_400000_NS6detail17trampoline_kernelINS0_14default_configENS1_27lower_bound_config_selectorIdlEEZNS1_14transform_implILb0ES3_S5_N6thrust23THRUST_200600_302600_NS6detail15normal_iteratorINS8_7pointerIdNS8_11hip_rocprim5par_tENS8_11use_defaultESE_EEEENSA_INSB_IlSD_SE_SE_EEEEZNS1_13binary_searchIS3_S5_NSA_INS8_10device_ptrIdEEEESG_SI_NS1_21lower_bound_search_opENS9_16wrapped_functionINS8_6system6detail7generic6detail18binary_search_lessEbEEEE10hipError_tPvRmT1_T2_T3_mmT4_T5_P12ihipStream_tbEUlRKdE_EESV_SZ_S10_mS11_S14_bEUlT_E_NS1_11comp_targetILNS1_3genE10ELNS1_11target_archE1201ELNS1_3gpuE5ELNS1_3repE0EEENS1_30default_config_static_selectorELNS0_4arch9wavefront6targetE0EEEvSY_
                                        ; -- End function
	.set _ZN7rocprim17ROCPRIM_400000_NS6detail17trampoline_kernelINS0_14default_configENS1_27lower_bound_config_selectorIdlEEZNS1_14transform_implILb0ES3_S5_N6thrust23THRUST_200600_302600_NS6detail15normal_iteratorINS8_7pointerIdNS8_11hip_rocprim5par_tENS8_11use_defaultESE_EEEENSA_INSB_IlSD_SE_SE_EEEEZNS1_13binary_searchIS3_S5_NSA_INS8_10device_ptrIdEEEESG_SI_NS1_21lower_bound_search_opENS9_16wrapped_functionINS8_6system6detail7generic6detail18binary_search_lessEbEEEE10hipError_tPvRmT1_T2_T3_mmT4_T5_P12ihipStream_tbEUlRKdE_EESV_SZ_S10_mS11_S14_bEUlT_E_NS1_11comp_targetILNS1_3genE10ELNS1_11target_archE1201ELNS1_3gpuE5ELNS1_3repE0EEENS1_30default_config_static_selectorELNS0_4arch9wavefront6targetE0EEEvSY_.num_vgpr, 0
	.set _ZN7rocprim17ROCPRIM_400000_NS6detail17trampoline_kernelINS0_14default_configENS1_27lower_bound_config_selectorIdlEEZNS1_14transform_implILb0ES3_S5_N6thrust23THRUST_200600_302600_NS6detail15normal_iteratorINS8_7pointerIdNS8_11hip_rocprim5par_tENS8_11use_defaultESE_EEEENSA_INSB_IlSD_SE_SE_EEEEZNS1_13binary_searchIS3_S5_NSA_INS8_10device_ptrIdEEEESG_SI_NS1_21lower_bound_search_opENS9_16wrapped_functionINS8_6system6detail7generic6detail18binary_search_lessEbEEEE10hipError_tPvRmT1_T2_T3_mmT4_T5_P12ihipStream_tbEUlRKdE_EESV_SZ_S10_mS11_S14_bEUlT_E_NS1_11comp_targetILNS1_3genE10ELNS1_11target_archE1201ELNS1_3gpuE5ELNS1_3repE0EEENS1_30default_config_static_selectorELNS0_4arch9wavefront6targetE0EEEvSY_.num_agpr, 0
	.set _ZN7rocprim17ROCPRIM_400000_NS6detail17trampoline_kernelINS0_14default_configENS1_27lower_bound_config_selectorIdlEEZNS1_14transform_implILb0ES3_S5_N6thrust23THRUST_200600_302600_NS6detail15normal_iteratorINS8_7pointerIdNS8_11hip_rocprim5par_tENS8_11use_defaultESE_EEEENSA_INSB_IlSD_SE_SE_EEEEZNS1_13binary_searchIS3_S5_NSA_INS8_10device_ptrIdEEEESG_SI_NS1_21lower_bound_search_opENS9_16wrapped_functionINS8_6system6detail7generic6detail18binary_search_lessEbEEEE10hipError_tPvRmT1_T2_T3_mmT4_T5_P12ihipStream_tbEUlRKdE_EESV_SZ_S10_mS11_S14_bEUlT_E_NS1_11comp_targetILNS1_3genE10ELNS1_11target_archE1201ELNS1_3gpuE5ELNS1_3repE0EEENS1_30default_config_static_selectorELNS0_4arch9wavefront6targetE0EEEvSY_.numbered_sgpr, 0
	.set _ZN7rocprim17ROCPRIM_400000_NS6detail17trampoline_kernelINS0_14default_configENS1_27lower_bound_config_selectorIdlEEZNS1_14transform_implILb0ES3_S5_N6thrust23THRUST_200600_302600_NS6detail15normal_iteratorINS8_7pointerIdNS8_11hip_rocprim5par_tENS8_11use_defaultESE_EEEENSA_INSB_IlSD_SE_SE_EEEEZNS1_13binary_searchIS3_S5_NSA_INS8_10device_ptrIdEEEESG_SI_NS1_21lower_bound_search_opENS9_16wrapped_functionINS8_6system6detail7generic6detail18binary_search_lessEbEEEE10hipError_tPvRmT1_T2_T3_mmT4_T5_P12ihipStream_tbEUlRKdE_EESV_SZ_S10_mS11_S14_bEUlT_E_NS1_11comp_targetILNS1_3genE10ELNS1_11target_archE1201ELNS1_3gpuE5ELNS1_3repE0EEENS1_30default_config_static_selectorELNS0_4arch9wavefront6targetE0EEEvSY_.num_named_barrier, 0
	.set _ZN7rocprim17ROCPRIM_400000_NS6detail17trampoline_kernelINS0_14default_configENS1_27lower_bound_config_selectorIdlEEZNS1_14transform_implILb0ES3_S5_N6thrust23THRUST_200600_302600_NS6detail15normal_iteratorINS8_7pointerIdNS8_11hip_rocprim5par_tENS8_11use_defaultESE_EEEENSA_INSB_IlSD_SE_SE_EEEEZNS1_13binary_searchIS3_S5_NSA_INS8_10device_ptrIdEEEESG_SI_NS1_21lower_bound_search_opENS9_16wrapped_functionINS8_6system6detail7generic6detail18binary_search_lessEbEEEE10hipError_tPvRmT1_T2_T3_mmT4_T5_P12ihipStream_tbEUlRKdE_EESV_SZ_S10_mS11_S14_bEUlT_E_NS1_11comp_targetILNS1_3genE10ELNS1_11target_archE1201ELNS1_3gpuE5ELNS1_3repE0EEENS1_30default_config_static_selectorELNS0_4arch9wavefront6targetE0EEEvSY_.private_seg_size, 0
	.set _ZN7rocprim17ROCPRIM_400000_NS6detail17trampoline_kernelINS0_14default_configENS1_27lower_bound_config_selectorIdlEEZNS1_14transform_implILb0ES3_S5_N6thrust23THRUST_200600_302600_NS6detail15normal_iteratorINS8_7pointerIdNS8_11hip_rocprim5par_tENS8_11use_defaultESE_EEEENSA_INSB_IlSD_SE_SE_EEEEZNS1_13binary_searchIS3_S5_NSA_INS8_10device_ptrIdEEEESG_SI_NS1_21lower_bound_search_opENS9_16wrapped_functionINS8_6system6detail7generic6detail18binary_search_lessEbEEEE10hipError_tPvRmT1_T2_T3_mmT4_T5_P12ihipStream_tbEUlRKdE_EESV_SZ_S10_mS11_S14_bEUlT_E_NS1_11comp_targetILNS1_3genE10ELNS1_11target_archE1201ELNS1_3gpuE5ELNS1_3repE0EEENS1_30default_config_static_selectorELNS0_4arch9wavefront6targetE0EEEvSY_.uses_vcc, 0
	.set _ZN7rocprim17ROCPRIM_400000_NS6detail17trampoline_kernelINS0_14default_configENS1_27lower_bound_config_selectorIdlEEZNS1_14transform_implILb0ES3_S5_N6thrust23THRUST_200600_302600_NS6detail15normal_iteratorINS8_7pointerIdNS8_11hip_rocprim5par_tENS8_11use_defaultESE_EEEENSA_INSB_IlSD_SE_SE_EEEEZNS1_13binary_searchIS3_S5_NSA_INS8_10device_ptrIdEEEESG_SI_NS1_21lower_bound_search_opENS9_16wrapped_functionINS8_6system6detail7generic6detail18binary_search_lessEbEEEE10hipError_tPvRmT1_T2_T3_mmT4_T5_P12ihipStream_tbEUlRKdE_EESV_SZ_S10_mS11_S14_bEUlT_E_NS1_11comp_targetILNS1_3genE10ELNS1_11target_archE1201ELNS1_3gpuE5ELNS1_3repE0EEENS1_30default_config_static_selectorELNS0_4arch9wavefront6targetE0EEEvSY_.uses_flat_scratch, 0
	.set _ZN7rocprim17ROCPRIM_400000_NS6detail17trampoline_kernelINS0_14default_configENS1_27lower_bound_config_selectorIdlEEZNS1_14transform_implILb0ES3_S5_N6thrust23THRUST_200600_302600_NS6detail15normal_iteratorINS8_7pointerIdNS8_11hip_rocprim5par_tENS8_11use_defaultESE_EEEENSA_INSB_IlSD_SE_SE_EEEEZNS1_13binary_searchIS3_S5_NSA_INS8_10device_ptrIdEEEESG_SI_NS1_21lower_bound_search_opENS9_16wrapped_functionINS8_6system6detail7generic6detail18binary_search_lessEbEEEE10hipError_tPvRmT1_T2_T3_mmT4_T5_P12ihipStream_tbEUlRKdE_EESV_SZ_S10_mS11_S14_bEUlT_E_NS1_11comp_targetILNS1_3genE10ELNS1_11target_archE1201ELNS1_3gpuE5ELNS1_3repE0EEENS1_30default_config_static_selectorELNS0_4arch9wavefront6targetE0EEEvSY_.has_dyn_sized_stack, 0
	.set _ZN7rocprim17ROCPRIM_400000_NS6detail17trampoline_kernelINS0_14default_configENS1_27lower_bound_config_selectorIdlEEZNS1_14transform_implILb0ES3_S5_N6thrust23THRUST_200600_302600_NS6detail15normal_iteratorINS8_7pointerIdNS8_11hip_rocprim5par_tENS8_11use_defaultESE_EEEENSA_INSB_IlSD_SE_SE_EEEEZNS1_13binary_searchIS3_S5_NSA_INS8_10device_ptrIdEEEESG_SI_NS1_21lower_bound_search_opENS9_16wrapped_functionINS8_6system6detail7generic6detail18binary_search_lessEbEEEE10hipError_tPvRmT1_T2_T3_mmT4_T5_P12ihipStream_tbEUlRKdE_EESV_SZ_S10_mS11_S14_bEUlT_E_NS1_11comp_targetILNS1_3genE10ELNS1_11target_archE1201ELNS1_3gpuE5ELNS1_3repE0EEENS1_30default_config_static_selectorELNS0_4arch9wavefront6targetE0EEEvSY_.has_recursion, 0
	.set _ZN7rocprim17ROCPRIM_400000_NS6detail17trampoline_kernelINS0_14default_configENS1_27lower_bound_config_selectorIdlEEZNS1_14transform_implILb0ES3_S5_N6thrust23THRUST_200600_302600_NS6detail15normal_iteratorINS8_7pointerIdNS8_11hip_rocprim5par_tENS8_11use_defaultESE_EEEENSA_INSB_IlSD_SE_SE_EEEEZNS1_13binary_searchIS3_S5_NSA_INS8_10device_ptrIdEEEESG_SI_NS1_21lower_bound_search_opENS9_16wrapped_functionINS8_6system6detail7generic6detail18binary_search_lessEbEEEE10hipError_tPvRmT1_T2_T3_mmT4_T5_P12ihipStream_tbEUlRKdE_EESV_SZ_S10_mS11_S14_bEUlT_E_NS1_11comp_targetILNS1_3genE10ELNS1_11target_archE1201ELNS1_3gpuE5ELNS1_3repE0EEENS1_30default_config_static_selectorELNS0_4arch9wavefront6targetE0EEEvSY_.has_indirect_call, 0
	.section	.AMDGPU.csdata,"",@progbits
; Kernel info:
; codeLenInByte = 0
; TotalNumSgprs: 0
; NumVgprs: 0
; ScratchSize: 0
; MemoryBound: 0
; FloatMode: 240
; IeeeMode: 1
; LDSByteSize: 0 bytes/workgroup (compile time only)
; SGPRBlocks: 0
; VGPRBlocks: 0
; NumSGPRsForWavesPerEU: 1
; NumVGPRsForWavesPerEU: 1
; Occupancy: 16
; WaveLimiterHint : 0
; COMPUTE_PGM_RSRC2:SCRATCH_EN: 0
; COMPUTE_PGM_RSRC2:USER_SGPR: 6
; COMPUTE_PGM_RSRC2:TRAP_HANDLER: 0
; COMPUTE_PGM_RSRC2:TGID_X_EN: 1
; COMPUTE_PGM_RSRC2:TGID_Y_EN: 0
; COMPUTE_PGM_RSRC2:TGID_Z_EN: 0
; COMPUTE_PGM_RSRC2:TIDIG_COMP_CNT: 0
	.section	.text._ZN7rocprim17ROCPRIM_400000_NS6detail17trampoline_kernelINS0_14default_configENS1_27lower_bound_config_selectorIdlEEZNS1_14transform_implILb0ES3_S5_N6thrust23THRUST_200600_302600_NS6detail15normal_iteratorINS8_7pointerIdNS8_11hip_rocprim5par_tENS8_11use_defaultESE_EEEENSA_INSB_IlSD_SE_SE_EEEEZNS1_13binary_searchIS3_S5_NSA_INS8_10device_ptrIdEEEESG_SI_NS1_21lower_bound_search_opENS9_16wrapped_functionINS8_6system6detail7generic6detail18binary_search_lessEbEEEE10hipError_tPvRmT1_T2_T3_mmT4_T5_P12ihipStream_tbEUlRKdE_EESV_SZ_S10_mS11_S14_bEUlT_E_NS1_11comp_targetILNS1_3genE10ELNS1_11target_archE1200ELNS1_3gpuE4ELNS1_3repE0EEENS1_30default_config_static_selectorELNS0_4arch9wavefront6targetE0EEEvSY_,"axG",@progbits,_ZN7rocprim17ROCPRIM_400000_NS6detail17trampoline_kernelINS0_14default_configENS1_27lower_bound_config_selectorIdlEEZNS1_14transform_implILb0ES3_S5_N6thrust23THRUST_200600_302600_NS6detail15normal_iteratorINS8_7pointerIdNS8_11hip_rocprim5par_tENS8_11use_defaultESE_EEEENSA_INSB_IlSD_SE_SE_EEEEZNS1_13binary_searchIS3_S5_NSA_INS8_10device_ptrIdEEEESG_SI_NS1_21lower_bound_search_opENS9_16wrapped_functionINS8_6system6detail7generic6detail18binary_search_lessEbEEEE10hipError_tPvRmT1_T2_T3_mmT4_T5_P12ihipStream_tbEUlRKdE_EESV_SZ_S10_mS11_S14_bEUlT_E_NS1_11comp_targetILNS1_3genE10ELNS1_11target_archE1200ELNS1_3gpuE4ELNS1_3repE0EEENS1_30default_config_static_selectorELNS0_4arch9wavefront6targetE0EEEvSY_,comdat
	.protected	_ZN7rocprim17ROCPRIM_400000_NS6detail17trampoline_kernelINS0_14default_configENS1_27lower_bound_config_selectorIdlEEZNS1_14transform_implILb0ES3_S5_N6thrust23THRUST_200600_302600_NS6detail15normal_iteratorINS8_7pointerIdNS8_11hip_rocprim5par_tENS8_11use_defaultESE_EEEENSA_INSB_IlSD_SE_SE_EEEEZNS1_13binary_searchIS3_S5_NSA_INS8_10device_ptrIdEEEESG_SI_NS1_21lower_bound_search_opENS9_16wrapped_functionINS8_6system6detail7generic6detail18binary_search_lessEbEEEE10hipError_tPvRmT1_T2_T3_mmT4_T5_P12ihipStream_tbEUlRKdE_EESV_SZ_S10_mS11_S14_bEUlT_E_NS1_11comp_targetILNS1_3genE10ELNS1_11target_archE1200ELNS1_3gpuE4ELNS1_3repE0EEENS1_30default_config_static_selectorELNS0_4arch9wavefront6targetE0EEEvSY_ ; -- Begin function _ZN7rocprim17ROCPRIM_400000_NS6detail17trampoline_kernelINS0_14default_configENS1_27lower_bound_config_selectorIdlEEZNS1_14transform_implILb0ES3_S5_N6thrust23THRUST_200600_302600_NS6detail15normal_iteratorINS8_7pointerIdNS8_11hip_rocprim5par_tENS8_11use_defaultESE_EEEENSA_INSB_IlSD_SE_SE_EEEEZNS1_13binary_searchIS3_S5_NSA_INS8_10device_ptrIdEEEESG_SI_NS1_21lower_bound_search_opENS9_16wrapped_functionINS8_6system6detail7generic6detail18binary_search_lessEbEEEE10hipError_tPvRmT1_T2_T3_mmT4_T5_P12ihipStream_tbEUlRKdE_EESV_SZ_S10_mS11_S14_bEUlT_E_NS1_11comp_targetILNS1_3genE10ELNS1_11target_archE1200ELNS1_3gpuE4ELNS1_3repE0EEENS1_30default_config_static_selectorELNS0_4arch9wavefront6targetE0EEEvSY_
	.globl	_ZN7rocprim17ROCPRIM_400000_NS6detail17trampoline_kernelINS0_14default_configENS1_27lower_bound_config_selectorIdlEEZNS1_14transform_implILb0ES3_S5_N6thrust23THRUST_200600_302600_NS6detail15normal_iteratorINS8_7pointerIdNS8_11hip_rocprim5par_tENS8_11use_defaultESE_EEEENSA_INSB_IlSD_SE_SE_EEEEZNS1_13binary_searchIS3_S5_NSA_INS8_10device_ptrIdEEEESG_SI_NS1_21lower_bound_search_opENS9_16wrapped_functionINS8_6system6detail7generic6detail18binary_search_lessEbEEEE10hipError_tPvRmT1_T2_T3_mmT4_T5_P12ihipStream_tbEUlRKdE_EESV_SZ_S10_mS11_S14_bEUlT_E_NS1_11comp_targetILNS1_3genE10ELNS1_11target_archE1200ELNS1_3gpuE4ELNS1_3repE0EEENS1_30default_config_static_selectorELNS0_4arch9wavefront6targetE0EEEvSY_
	.p2align	8
	.type	_ZN7rocprim17ROCPRIM_400000_NS6detail17trampoline_kernelINS0_14default_configENS1_27lower_bound_config_selectorIdlEEZNS1_14transform_implILb0ES3_S5_N6thrust23THRUST_200600_302600_NS6detail15normal_iteratorINS8_7pointerIdNS8_11hip_rocprim5par_tENS8_11use_defaultESE_EEEENSA_INSB_IlSD_SE_SE_EEEEZNS1_13binary_searchIS3_S5_NSA_INS8_10device_ptrIdEEEESG_SI_NS1_21lower_bound_search_opENS9_16wrapped_functionINS8_6system6detail7generic6detail18binary_search_lessEbEEEE10hipError_tPvRmT1_T2_T3_mmT4_T5_P12ihipStream_tbEUlRKdE_EESV_SZ_S10_mS11_S14_bEUlT_E_NS1_11comp_targetILNS1_3genE10ELNS1_11target_archE1200ELNS1_3gpuE4ELNS1_3repE0EEENS1_30default_config_static_selectorELNS0_4arch9wavefront6targetE0EEEvSY_,@function
_ZN7rocprim17ROCPRIM_400000_NS6detail17trampoline_kernelINS0_14default_configENS1_27lower_bound_config_selectorIdlEEZNS1_14transform_implILb0ES3_S5_N6thrust23THRUST_200600_302600_NS6detail15normal_iteratorINS8_7pointerIdNS8_11hip_rocprim5par_tENS8_11use_defaultESE_EEEENSA_INSB_IlSD_SE_SE_EEEEZNS1_13binary_searchIS3_S5_NSA_INS8_10device_ptrIdEEEESG_SI_NS1_21lower_bound_search_opENS9_16wrapped_functionINS8_6system6detail7generic6detail18binary_search_lessEbEEEE10hipError_tPvRmT1_T2_T3_mmT4_T5_P12ihipStream_tbEUlRKdE_EESV_SZ_S10_mS11_S14_bEUlT_E_NS1_11comp_targetILNS1_3genE10ELNS1_11target_archE1200ELNS1_3gpuE4ELNS1_3repE0EEENS1_30default_config_static_selectorELNS0_4arch9wavefront6targetE0EEEvSY_: ; @_ZN7rocprim17ROCPRIM_400000_NS6detail17trampoline_kernelINS0_14default_configENS1_27lower_bound_config_selectorIdlEEZNS1_14transform_implILb0ES3_S5_N6thrust23THRUST_200600_302600_NS6detail15normal_iteratorINS8_7pointerIdNS8_11hip_rocprim5par_tENS8_11use_defaultESE_EEEENSA_INSB_IlSD_SE_SE_EEEEZNS1_13binary_searchIS3_S5_NSA_INS8_10device_ptrIdEEEESG_SI_NS1_21lower_bound_search_opENS9_16wrapped_functionINS8_6system6detail7generic6detail18binary_search_lessEbEEEE10hipError_tPvRmT1_T2_T3_mmT4_T5_P12ihipStream_tbEUlRKdE_EESV_SZ_S10_mS11_S14_bEUlT_E_NS1_11comp_targetILNS1_3genE10ELNS1_11target_archE1200ELNS1_3gpuE4ELNS1_3repE0EEENS1_30default_config_static_selectorELNS0_4arch9wavefront6targetE0EEEvSY_
; %bb.0:
	.section	.rodata,"a",@progbits
	.p2align	6, 0x0
	.amdhsa_kernel _ZN7rocprim17ROCPRIM_400000_NS6detail17trampoline_kernelINS0_14default_configENS1_27lower_bound_config_selectorIdlEEZNS1_14transform_implILb0ES3_S5_N6thrust23THRUST_200600_302600_NS6detail15normal_iteratorINS8_7pointerIdNS8_11hip_rocprim5par_tENS8_11use_defaultESE_EEEENSA_INSB_IlSD_SE_SE_EEEEZNS1_13binary_searchIS3_S5_NSA_INS8_10device_ptrIdEEEESG_SI_NS1_21lower_bound_search_opENS9_16wrapped_functionINS8_6system6detail7generic6detail18binary_search_lessEbEEEE10hipError_tPvRmT1_T2_T3_mmT4_T5_P12ihipStream_tbEUlRKdE_EESV_SZ_S10_mS11_S14_bEUlT_E_NS1_11comp_targetILNS1_3genE10ELNS1_11target_archE1200ELNS1_3gpuE4ELNS1_3repE0EEENS1_30default_config_static_selectorELNS0_4arch9wavefront6targetE0EEEvSY_
		.amdhsa_group_segment_fixed_size 0
		.amdhsa_private_segment_fixed_size 0
		.amdhsa_kernarg_size 56
		.amdhsa_user_sgpr_count 6
		.amdhsa_user_sgpr_private_segment_buffer 1
		.amdhsa_user_sgpr_dispatch_ptr 0
		.amdhsa_user_sgpr_queue_ptr 0
		.amdhsa_user_sgpr_kernarg_segment_ptr 1
		.amdhsa_user_sgpr_dispatch_id 0
		.amdhsa_user_sgpr_flat_scratch_init 0
		.amdhsa_user_sgpr_private_segment_size 0
		.amdhsa_wavefront_size32 1
		.amdhsa_uses_dynamic_stack 0
		.amdhsa_system_sgpr_private_segment_wavefront_offset 0
		.amdhsa_system_sgpr_workgroup_id_x 1
		.amdhsa_system_sgpr_workgroup_id_y 0
		.amdhsa_system_sgpr_workgroup_id_z 0
		.amdhsa_system_sgpr_workgroup_info 0
		.amdhsa_system_vgpr_workitem_id 0
		.amdhsa_next_free_vgpr 1
		.amdhsa_next_free_sgpr 1
		.amdhsa_reserve_vcc 0
		.amdhsa_reserve_flat_scratch 0
		.amdhsa_float_round_mode_32 0
		.amdhsa_float_round_mode_16_64 0
		.amdhsa_float_denorm_mode_32 3
		.amdhsa_float_denorm_mode_16_64 3
		.amdhsa_dx10_clamp 1
		.amdhsa_ieee_mode 1
		.amdhsa_fp16_overflow 0
		.amdhsa_workgroup_processor_mode 1
		.amdhsa_memory_ordered 1
		.amdhsa_forward_progress 1
		.amdhsa_shared_vgpr_count 0
		.amdhsa_exception_fp_ieee_invalid_op 0
		.amdhsa_exception_fp_denorm_src 0
		.amdhsa_exception_fp_ieee_div_zero 0
		.amdhsa_exception_fp_ieee_overflow 0
		.amdhsa_exception_fp_ieee_underflow 0
		.amdhsa_exception_fp_ieee_inexact 0
		.amdhsa_exception_int_div_zero 0
	.end_amdhsa_kernel
	.section	.text._ZN7rocprim17ROCPRIM_400000_NS6detail17trampoline_kernelINS0_14default_configENS1_27lower_bound_config_selectorIdlEEZNS1_14transform_implILb0ES3_S5_N6thrust23THRUST_200600_302600_NS6detail15normal_iteratorINS8_7pointerIdNS8_11hip_rocprim5par_tENS8_11use_defaultESE_EEEENSA_INSB_IlSD_SE_SE_EEEEZNS1_13binary_searchIS3_S5_NSA_INS8_10device_ptrIdEEEESG_SI_NS1_21lower_bound_search_opENS9_16wrapped_functionINS8_6system6detail7generic6detail18binary_search_lessEbEEEE10hipError_tPvRmT1_T2_T3_mmT4_T5_P12ihipStream_tbEUlRKdE_EESV_SZ_S10_mS11_S14_bEUlT_E_NS1_11comp_targetILNS1_3genE10ELNS1_11target_archE1200ELNS1_3gpuE4ELNS1_3repE0EEENS1_30default_config_static_selectorELNS0_4arch9wavefront6targetE0EEEvSY_,"axG",@progbits,_ZN7rocprim17ROCPRIM_400000_NS6detail17trampoline_kernelINS0_14default_configENS1_27lower_bound_config_selectorIdlEEZNS1_14transform_implILb0ES3_S5_N6thrust23THRUST_200600_302600_NS6detail15normal_iteratorINS8_7pointerIdNS8_11hip_rocprim5par_tENS8_11use_defaultESE_EEEENSA_INSB_IlSD_SE_SE_EEEEZNS1_13binary_searchIS3_S5_NSA_INS8_10device_ptrIdEEEESG_SI_NS1_21lower_bound_search_opENS9_16wrapped_functionINS8_6system6detail7generic6detail18binary_search_lessEbEEEE10hipError_tPvRmT1_T2_T3_mmT4_T5_P12ihipStream_tbEUlRKdE_EESV_SZ_S10_mS11_S14_bEUlT_E_NS1_11comp_targetILNS1_3genE10ELNS1_11target_archE1200ELNS1_3gpuE4ELNS1_3repE0EEENS1_30default_config_static_selectorELNS0_4arch9wavefront6targetE0EEEvSY_,comdat
.Lfunc_end328:
	.size	_ZN7rocprim17ROCPRIM_400000_NS6detail17trampoline_kernelINS0_14default_configENS1_27lower_bound_config_selectorIdlEEZNS1_14transform_implILb0ES3_S5_N6thrust23THRUST_200600_302600_NS6detail15normal_iteratorINS8_7pointerIdNS8_11hip_rocprim5par_tENS8_11use_defaultESE_EEEENSA_INSB_IlSD_SE_SE_EEEEZNS1_13binary_searchIS3_S5_NSA_INS8_10device_ptrIdEEEESG_SI_NS1_21lower_bound_search_opENS9_16wrapped_functionINS8_6system6detail7generic6detail18binary_search_lessEbEEEE10hipError_tPvRmT1_T2_T3_mmT4_T5_P12ihipStream_tbEUlRKdE_EESV_SZ_S10_mS11_S14_bEUlT_E_NS1_11comp_targetILNS1_3genE10ELNS1_11target_archE1200ELNS1_3gpuE4ELNS1_3repE0EEENS1_30default_config_static_selectorELNS0_4arch9wavefront6targetE0EEEvSY_, .Lfunc_end328-_ZN7rocprim17ROCPRIM_400000_NS6detail17trampoline_kernelINS0_14default_configENS1_27lower_bound_config_selectorIdlEEZNS1_14transform_implILb0ES3_S5_N6thrust23THRUST_200600_302600_NS6detail15normal_iteratorINS8_7pointerIdNS8_11hip_rocprim5par_tENS8_11use_defaultESE_EEEENSA_INSB_IlSD_SE_SE_EEEEZNS1_13binary_searchIS3_S5_NSA_INS8_10device_ptrIdEEEESG_SI_NS1_21lower_bound_search_opENS9_16wrapped_functionINS8_6system6detail7generic6detail18binary_search_lessEbEEEE10hipError_tPvRmT1_T2_T3_mmT4_T5_P12ihipStream_tbEUlRKdE_EESV_SZ_S10_mS11_S14_bEUlT_E_NS1_11comp_targetILNS1_3genE10ELNS1_11target_archE1200ELNS1_3gpuE4ELNS1_3repE0EEENS1_30default_config_static_selectorELNS0_4arch9wavefront6targetE0EEEvSY_
                                        ; -- End function
	.set _ZN7rocprim17ROCPRIM_400000_NS6detail17trampoline_kernelINS0_14default_configENS1_27lower_bound_config_selectorIdlEEZNS1_14transform_implILb0ES3_S5_N6thrust23THRUST_200600_302600_NS6detail15normal_iteratorINS8_7pointerIdNS8_11hip_rocprim5par_tENS8_11use_defaultESE_EEEENSA_INSB_IlSD_SE_SE_EEEEZNS1_13binary_searchIS3_S5_NSA_INS8_10device_ptrIdEEEESG_SI_NS1_21lower_bound_search_opENS9_16wrapped_functionINS8_6system6detail7generic6detail18binary_search_lessEbEEEE10hipError_tPvRmT1_T2_T3_mmT4_T5_P12ihipStream_tbEUlRKdE_EESV_SZ_S10_mS11_S14_bEUlT_E_NS1_11comp_targetILNS1_3genE10ELNS1_11target_archE1200ELNS1_3gpuE4ELNS1_3repE0EEENS1_30default_config_static_selectorELNS0_4arch9wavefront6targetE0EEEvSY_.num_vgpr, 0
	.set _ZN7rocprim17ROCPRIM_400000_NS6detail17trampoline_kernelINS0_14default_configENS1_27lower_bound_config_selectorIdlEEZNS1_14transform_implILb0ES3_S5_N6thrust23THRUST_200600_302600_NS6detail15normal_iteratorINS8_7pointerIdNS8_11hip_rocprim5par_tENS8_11use_defaultESE_EEEENSA_INSB_IlSD_SE_SE_EEEEZNS1_13binary_searchIS3_S5_NSA_INS8_10device_ptrIdEEEESG_SI_NS1_21lower_bound_search_opENS9_16wrapped_functionINS8_6system6detail7generic6detail18binary_search_lessEbEEEE10hipError_tPvRmT1_T2_T3_mmT4_T5_P12ihipStream_tbEUlRKdE_EESV_SZ_S10_mS11_S14_bEUlT_E_NS1_11comp_targetILNS1_3genE10ELNS1_11target_archE1200ELNS1_3gpuE4ELNS1_3repE0EEENS1_30default_config_static_selectorELNS0_4arch9wavefront6targetE0EEEvSY_.num_agpr, 0
	.set _ZN7rocprim17ROCPRIM_400000_NS6detail17trampoline_kernelINS0_14default_configENS1_27lower_bound_config_selectorIdlEEZNS1_14transform_implILb0ES3_S5_N6thrust23THRUST_200600_302600_NS6detail15normal_iteratorINS8_7pointerIdNS8_11hip_rocprim5par_tENS8_11use_defaultESE_EEEENSA_INSB_IlSD_SE_SE_EEEEZNS1_13binary_searchIS3_S5_NSA_INS8_10device_ptrIdEEEESG_SI_NS1_21lower_bound_search_opENS9_16wrapped_functionINS8_6system6detail7generic6detail18binary_search_lessEbEEEE10hipError_tPvRmT1_T2_T3_mmT4_T5_P12ihipStream_tbEUlRKdE_EESV_SZ_S10_mS11_S14_bEUlT_E_NS1_11comp_targetILNS1_3genE10ELNS1_11target_archE1200ELNS1_3gpuE4ELNS1_3repE0EEENS1_30default_config_static_selectorELNS0_4arch9wavefront6targetE0EEEvSY_.numbered_sgpr, 0
	.set _ZN7rocprim17ROCPRIM_400000_NS6detail17trampoline_kernelINS0_14default_configENS1_27lower_bound_config_selectorIdlEEZNS1_14transform_implILb0ES3_S5_N6thrust23THRUST_200600_302600_NS6detail15normal_iteratorINS8_7pointerIdNS8_11hip_rocprim5par_tENS8_11use_defaultESE_EEEENSA_INSB_IlSD_SE_SE_EEEEZNS1_13binary_searchIS3_S5_NSA_INS8_10device_ptrIdEEEESG_SI_NS1_21lower_bound_search_opENS9_16wrapped_functionINS8_6system6detail7generic6detail18binary_search_lessEbEEEE10hipError_tPvRmT1_T2_T3_mmT4_T5_P12ihipStream_tbEUlRKdE_EESV_SZ_S10_mS11_S14_bEUlT_E_NS1_11comp_targetILNS1_3genE10ELNS1_11target_archE1200ELNS1_3gpuE4ELNS1_3repE0EEENS1_30default_config_static_selectorELNS0_4arch9wavefront6targetE0EEEvSY_.num_named_barrier, 0
	.set _ZN7rocprim17ROCPRIM_400000_NS6detail17trampoline_kernelINS0_14default_configENS1_27lower_bound_config_selectorIdlEEZNS1_14transform_implILb0ES3_S5_N6thrust23THRUST_200600_302600_NS6detail15normal_iteratorINS8_7pointerIdNS8_11hip_rocprim5par_tENS8_11use_defaultESE_EEEENSA_INSB_IlSD_SE_SE_EEEEZNS1_13binary_searchIS3_S5_NSA_INS8_10device_ptrIdEEEESG_SI_NS1_21lower_bound_search_opENS9_16wrapped_functionINS8_6system6detail7generic6detail18binary_search_lessEbEEEE10hipError_tPvRmT1_T2_T3_mmT4_T5_P12ihipStream_tbEUlRKdE_EESV_SZ_S10_mS11_S14_bEUlT_E_NS1_11comp_targetILNS1_3genE10ELNS1_11target_archE1200ELNS1_3gpuE4ELNS1_3repE0EEENS1_30default_config_static_selectorELNS0_4arch9wavefront6targetE0EEEvSY_.private_seg_size, 0
	.set _ZN7rocprim17ROCPRIM_400000_NS6detail17trampoline_kernelINS0_14default_configENS1_27lower_bound_config_selectorIdlEEZNS1_14transform_implILb0ES3_S5_N6thrust23THRUST_200600_302600_NS6detail15normal_iteratorINS8_7pointerIdNS8_11hip_rocprim5par_tENS8_11use_defaultESE_EEEENSA_INSB_IlSD_SE_SE_EEEEZNS1_13binary_searchIS3_S5_NSA_INS8_10device_ptrIdEEEESG_SI_NS1_21lower_bound_search_opENS9_16wrapped_functionINS8_6system6detail7generic6detail18binary_search_lessEbEEEE10hipError_tPvRmT1_T2_T3_mmT4_T5_P12ihipStream_tbEUlRKdE_EESV_SZ_S10_mS11_S14_bEUlT_E_NS1_11comp_targetILNS1_3genE10ELNS1_11target_archE1200ELNS1_3gpuE4ELNS1_3repE0EEENS1_30default_config_static_selectorELNS0_4arch9wavefront6targetE0EEEvSY_.uses_vcc, 0
	.set _ZN7rocprim17ROCPRIM_400000_NS6detail17trampoline_kernelINS0_14default_configENS1_27lower_bound_config_selectorIdlEEZNS1_14transform_implILb0ES3_S5_N6thrust23THRUST_200600_302600_NS6detail15normal_iteratorINS8_7pointerIdNS8_11hip_rocprim5par_tENS8_11use_defaultESE_EEEENSA_INSB_IlSD_SE_SE_EEEEZNS1_13binary_searchIS3_S5_NSA_INS8_10device_ptrIdEEEESG_SI_NS1_21lower_bound_search_opENS9_16wrapped_functionINS8_6system6detail7generic6detail18binary_search_lessEbEEEE10hipError_tPvRmT1_T2_T3_mmT4_T5_P12ihipStream_tbEUlRKdE_EESV_SZ_S10_mS11_S14_bEUlT_E_NS1_11comp_targetILNS1_3genE10ELNS1_11target_archE1200ELNS1_3gpuE4ELNS1_3repE0EEENS1_30default_config_static_selectorELNS0_4arch9wavefront6targetE0EEEvSY_.uses_flat_scratch, 0
	.set _ZN7rocprim17ROCPRIM_400000_NS6detail17trampoline_kernelINS0_14default_configENS1_27lower_bound_config_selectorIdlEEZNS1_14transform_implILb0ES3_S5_N6thrust23THRUST_200600_302600_NS6detail15normal_iteratorINS8_7pointerIdNS8_11hip_rocprim5par_tENS8_11use_defaultESE_EEEENSA_INSB_IlSD_SE_SE_EEEEZNS1_13binary_searchIS3_S5_NSA_INS8_10device_ptrIdEEEESG_SI_NS1_21lower_bound_search_opENS9_16wrapped_functionINS8_6system6detail7generic6detail18binary_search_lessEbEEEE10hipError_tPvRmT1_T2_T3_mmT4_T5_P12ihipStream_tbEUlRKdE_EESV_SZ_S10_mS11_S14_bEUlT_E_NS1_11comp_targetILNS1_3genE10ELNS1_11target_archE1200ELNS1_3gpuE4ELNS1_3repE0EEENS1_30default_config_static_selectorELNS0_4arch9wavefront6targetE0EEEvSY_.has_dyn_sized_stack, 0
	.set _ZN7rocprim17ROCPRIM_400000_NS6detail17trampoline_kernelINS0_14default_configENS1_27lower_bound_config_selectorIdlEEZNS1_14transform_implILb0ES3_S5_N6thrust23THRUST_200600_302600_NS6detail15normal_iteratorINS8_7pointerIdNS8_11hip_rocprim5par_tENS8_11use_defaultESE_EEEENSA_INSB_IlSD_SE_SE_EEEEZNS1_13binary_searchIS3_S5_NSA_INS8_10device_ptrIdEEEESG_SI_NS1_21lower_bound_search_opENS9_16wrapped_functionINS8_6system6detail7generic6detail18binary_search_lessEbEEEE10hipError_tPvRmT1_T2_T3_mmT4_T5_P12ihipStream_tbEUlRKdE_EESV_SZ_S10_mS11_S14_bEUlT_E_NS1_11comp_targetILNS1_3genE10ELNS1_11target_archE1200ELNS1_3gpuE4ELNS1_3repE0EEENS1_30default_config_static_selectorELNS0_4arch9wavefront6targetE0EEEvSY_.has_recursion, 0
	.set _ZN7rocprim17ROCPRIM_400000_NS6detail17trampoline_kernelINS0_14default_configENS1_27lower_bound_config_selectorIdlEEZNS1_14transform_implILb0ES3_S5_N6thrust23THRUST_200600_302600_NS6detail15normal_iteratorINS8_7pointerIdNS8_11hip_rocprim5par_tENS8_11use_defaultESE_EEEENSA_INSB_IlSD_SE_SE_EEEEZNS1_13binary_searchIS3_S5_NSA_INS8_10device_ptrIdEEEESG_SI_NS1_21lower_bound_search_opENS9_16wrapped_functionINS8_6system6detail7generic6detail18binary_search_lessEbEEEE10hipError_tPvRmT1_T2_T3_mmT4_T5_P12ihipStream_tbEUlRKdE_EESV_SZ_S10_mS11_S14_bEUlT_E_NS1_11comp_targetILNS1_3genE10ELNS1_11target_archE1200ELNS1_3gpuE4ELNS1_3repE0EEENS1_30default_config_static_selectorELNS0_4arch9wavefront6targetE0EEEvSY_.has_indirect_call, 0
	.section	.AMDGPU.csdata,"",@progbits
; Kernel info:
; codeLenInByte = 0
; TotalNumSgprs: 0
; NumVgprs: 0
; ScratchSize: 0
; MemoryBound: 0
; FloatMode: 240
; IeeeMode: 1
; LDSByteSize: 0 bytes/workgroup (compile time only)
; SGPRBlocks: 0
; VGPRBlocks: 0
; NumSGPRsForWavesPerEU: 1
; NumVGPRsForWavesPerEU: 1
; Occupancy: 16
; WaveLimiterHint : 0
; COMPUTE_PGM_RSRC2:SCRATCH_EN: 0
; COMPUTE_PGM_RSRC2:USER_SGPR: 6
; COMPUTE_PGM_RSRC2:TRAP_HANDLER: 0
; COMPUTE_PGM_RSRC2:TGID_X_EN: 1
; COMPUTE_PGM_RSRC2:TGID_Y_EN: 0
; COMPUTE_PGM_RSRC2:TGID_Z_EN: 0
; COMPUTE_PGM_RSRC2:TIDIG_COMP_CNT: 0
	.section	.text._ZN7rocprim17ROCPRIM_400000_NS6detail17trampoline_kernelINS0_14default_configENS1_27lower_bound_config_selectorIdlEEZNS1_14transform_implILb0ES3_S5_N6thrust23THRUST_200600_302600_NS6detail15normal_iteratorINS8_7pointerIdNS8_11hip_rocprim5par_tENS8_11use_defaultESE_EEEENSA_INSB_IlSD_SE_SE_EEEEZNS1_13binary_searchIS3_S5_NSA_INS8_10device_ptrIdEEEESG_SI_NS1_21lower_bound_search_opENS9_16wrapped_functionINS8_6system6detail7generic6detail18binary_search_lessEbEEEE10hipError_tPvRmT1_T2_T3_mmT4_T5_P12ihipStream_tbEUlRKdE_EESV_SZ_S10_mS11_S14_bEUlT_E_NS1_11comp_targetILNS1_3genE9ELNS1_11target_archE1100ELNS1_3gpuE3ELNS1_3repE0EEENS1_30default_config_static_selectorELNS0_4arch9wavefront6targetE0EEEvSY_,"axG",@progbits,_ZN7rocprim17ROCPRIM_400000_NS6detail17trampoline_kernelINS0_14default_configENS1_27lower_bound_config_selectorIdlEEZNS1_14transform_implILb0ES3_S5_N6thrust23THRUST_200600_302600_NS6detail15normal_iteratorINS8_7pointerIdNS8_11hip_rocprim5par_tENS8_11use_defaultESE_EEEENSA_INSB_IlSD_SE_SE_EEEEZNS1_13binary_searchIS3_S5_NSA_INS8_10device_ptrIdEEEESG_SI_NS1_21lower_bound_search_opENS9_16wrapped_functionINS8_6system6detail7generic6detail18binary_search_lessEbEEEE10hipError_tPvRmT1_T2_T3_mmT4_T5_P12ihipStream_tbEUlRKdE_EESV_SZ_S10_mS11_S14_bEUlT_E_NS1_11comp_targetILNS1_3genE9ELNS1_11target_archE1100ELNS1_3gpuE3ELNS1_3repE0EEENS1_30default_config_static_selectorELNS0_4arch9wavefront6targetE0EEEvSY_,comdat
	.protected	_ZN7rocprim17ROCPRIM_400000_NS6detail17trampoline_kernelINS0_14default_configENS1_27lower_bound_config_selectorIdlEEZNS1_14transform_implILb0ES3_S5_N6thrust23THRUST_200600_302600_NS6detail15normal_iteratorINS8_7pointerIdNS8_11hip_rocprim5par_tENS8_11use_defaultESE_EEEENSA_INSB_IlSD_SE_SE_EEEEZNS1_13binary_searchIS3_S5_NSA_INS8_10device_ptrIdEEEESG_SI_NS1_21lower_bound_search_opENS9_16wrapped_functionINS8_6system6detail7generic6detail18binary_search_lessEbEEEE10hipError_tPvRmT1_T2_T3_mmT4_T5_P12ihipStream_tbEUlRKdE_EESV_SZ_S10_mS11_S14_bEUlT_E_NS1_11comp_targetILNS1_3genE9ELNS1_11target_archE1100ELNS1_3gpuE3ELNS1_3repE0EEENS1_30default_config_static_selectorELNS0_4arch9wavefront6targetE0EEEvSY_ ; -- Begin function _ZN7rocprim17ROCPRIM_400000_NS6detail17trampoline_kernelINS0_14default_configENS1_27lower_bound_config_selectorIdlEEZNS1_14transform_implILb0ES3_S5_N6thrust23THRUST_200600_302600_NS6detail15normal_iteratorINS8_7pointerIdNS8_11hip_rocprim5par_tENS8_11use_defaultESE_EEEENSA_INSB_IlSD_SE_SE_EEEEZNS1_13binary_searchIS3_S5_NSA_INS8_10device_ptrIdEEEESG_SI_NS1_21lower_bound_search_opENS9_16wrapped_functionINS8_6system6detail7generic6detail18binary_search_lessEbEEEE10hipError_tPvRmT1_T2_T3_mmT4_T5_P12ihipStream_tbEUlRKdE_EESV_SZ_S10_mS11_S14_bEUlT_E_NS1_11comp_targetILNS1_3genE9ELNS1_11target_archE1100ELNS1_3gpuE3ELNS1_3repE0EEENS1_30default_config_static_selectorELNS0_4arch9wavefront6targetE0EEEvSY_
	.globl	_ZN7rocprim17ROCPRIM_400000_NS6detail17trampoline_kernelINS0_14default_configENS1_27lower_bound_config_selectorIdlEEZNS1_14transform_implILb0ES3_S5_N6thrust23THRUST_200600_302600_NS6detail15normal_iteratorINS8_7pointerIdNS8_11hip_rocprim5par_tENS8_11use_defaultESE_EEEENSA_INSB_IlSD_SE_SE_EEEEZNS1_13binary_searchIS3_S5_NSA_INS8_10device_ptrIdEEEESG_SI_NS1_21lower_bound_search_opENS9_16wrapped_functionINS8_6system6detail7generic6detail18binary_search_lessEbEEEE10hipError_tPvRmT1_T2_T3_mmT4_T5_P12ihipStream_tbEUlRKdE_EESV_SZ_S10_mS11_S14_bEUlT_E_NS1_11comp_targetILNS1_3genE9ELNS1_11target_archE1100ELNS1_3gpuE3ELNS1_3repE0EEENS1_30default_config_static_selectorELNS0_4arch9wavefront6targetE0EEEvSY_
	.p2align	8
	.type	_ZN7rocprim17ROCPRIM_400000_NS6detail17trampoline_kernelINS0_14default_configENS1_27lower_bound_config_selectorIdlEEZNS1_14transform_implILb0ES3_S5_N6thrust23THRUST_200600_302600_NS6detail15normal_iteratorINS8_7pointerIdNS8_11hip_rocprim5par_tENS8_11use_defaultESE_EEEENSA_INSB_IlSD_SE_SE_EEEEZNS1_13binary_searchIS3_S5_NSA_INS8_10device_ptrIdEEEESG_SI_NS1_21lower_bound_search_opENS9_16wrapped_functionINS8_6system6detail7generic6detail18binary_search_lessEbEEEE10hipError_tPvRmT1_T2_T3_mmT4_T5_P12ihipStream_tbEUlRKdE_EESV_SZ_S10_mS11_S14_bEUlT_E_NS1_11comp_targetILNS1_3genE9ELNS1_11target_archE1100ELNS1_3gpuE3ELNS1_3repE0EEENS1_30default_config_static_selectorELNS0_4arch9wavefront6targetE0EEEvSY_,@function
_ZN7rocprim17ROCPRIM_400000_NS6detail17trampoline_kernelINS0_14default_configENS1_27lower_bound_config_selectorIdlEEZNS1_14transform_implILb0ES3_S5_N6thrust23THRUST_200600_302600_NS6detail15normal_iteratorINS8_7pointerIdNS8_11hip_rocprim5par_tENS8_11use_defaultESE_EEEENSA_INSB_IlSD_SE_SE_EEEEZNS1_13binary_searchIS3_S5_NSA_INS8_10device_ptrIdEEEESG_SI_NS1_21lower_bound_search_opENS9_16wrapped_functionINS8_6system6detail7generic6detail18binary_search_lessEbEEEE10hipError_tPvRmT1_T2_T3_mmT4_T5_P12ihipStream_tbEUlRKdE_EESV_SZ_S10_mS11_S14_bEUlT_E_NS1_11comp_targetILNS1_3genE9ELNS1_11target_archE1100ELNS1_3gpuE3ELNS1_3repE0EEENS1_30default_config_static_selectorELNS0_4arch9wavefront6targetE0EEEvSY_: ; @_ZN7rocprim17ROCPRIM_400000_NS6detail17trampoline_kernelINS0_14default_configENS1_27lower_bound_config_selectorIdlEEZNS1_14transform_implILb0ES3_S5_N6thrust23THRUST_200600_302600_NS6detail15normal_iteratorINS8_7pointerIdNS8_11hip_rocprim5par_tENS8_11use_defaultESE_EEEENSA_INSB_IlSD_SE_SE_EEEEZNS1_13binary_searchIS3_S5_NSA_INS8_10device_ptrIdEEEESG_SI_NS1_21lower_bound_search_opENS9_16wrapped_functionINS8_6system6detail7generic6detail18binary_search_lessEbEEEE10hipError_tPvRmT1_T2_T3_mmT4_T5_P12ihipStream_tbEUlRKdE_EESV_SZ_S10_mS11_S14_bEUlT_E_NS1_11comp_targetILNS1_3genE9ELNS1_11target_archE1100ELNS1_3gpuE3ELNS1_3repE0EEENS1_30default_config_static_selectorELNS0_4arch9wavefront6targetE0EEEvSY_
; %bb.0:
	.section	.rodata,"a",@progbits
	.p2align	6, 0x0
	.amdhsa_kernel _ZN7rocprim17ROCPRIM_400000_NS6detail17trampoline_kernelINS0_14default_configENS1_27lower_bound_config_selectorIdlEEZNS1_14transform_implILb0ES3_S5_N6thrust23THRUST_200600_302600_NS6detail15normal_iteratorINS8_7pointerIdNS8_11hip_rocprim5par_tENS8_11use_defaultESE_EEEENSA_INSB_IlSD_SE_SE_EEEEZNS1_13binary_searchIS3_S5_NSA_INS8_10device_ptrIdEEEESG_SI_NS1_21lower_bound_search_opENS9_16wrapped_functionINS8_6system6detail7generic6detail18binary_search_lessEbEEEE10hipError_tPvRmT1_T2_T3_mmT4_T5_P12ihipStream_tbEUlRKdE_EESV_SZ_S10_mS11_S14_bEUlT_E_NS1_11comp_targetILNS1_3genE9ELNS1_11target_archE1100ELNS1_3gpuE3ELNS1_3repE0EEENS1_30default_config_static_selectorELNS0_4arch9wavefront6targetE0EEEvSY_
		.amdhsa_group_segment_fixed_size 0
		.amdhsa_private_segment_fixed_size 0
		.amdhsa_kernarg_size 56
		.amdhsa_user_sgpr_count 6
		.amdhsa_user_sgpr_private_segment_buffer 1
		.amdhsa_user_sgpr_dispatch_ptr 0
		.amdhsa_user_sgpr_queue_ptr 0
		.amdhsa_user_sgpr_kernarg_segment_ptr 1
		.amdhsa_user_sgpr_dispatch_id 0
		.amdhsa_user_sgpr_flat_scratch_init 0
		.amdhsa_user_sgpr_private_segment_size 0
		.amdhsa_wavefront_size32 1
		.amdhsa_uses_dynamic_stack 0
		.amdhsa_system_sgpr_private_segment_wavefront_offset 0
		.amdhsa_system_sgpr_workgroup_id_x 1
		.amdhsa_system_sgpr_workgroup_id_y 0
		.amdhsa_system_sgpr_workgroup_id_z 0
		.amdhsa_system_sgpr_workgroup_info 0
		.amdhsa_system_vgpr_workitem_id 0
		.amdhsa_next_free_vgpr 1
		.amdhsa_next_free_sgpr 1
		.amdhsa_reserve_vcc 0
		.amdhsa_reserve_flat_scratch 0
		.amdhsa_float_round_mode_32 0
		.amdhsa_float_round_mode_16_64 0
		.amdhsa_float_denorm_mode_32 3
		.amdhsa_float_denorm_mode_16_64 3
		.amdhsa_dx10_clamp 1
		.amdhsa_ieee_mode 1
		.amdhsa_fp16_overflow 0
		.amdhsa_workgroup_processor_mode 1
		.amdhsa_memory_ordered 1
		.amdhsa_forward_progress 1
		.amdhsa_shared_vgpr_count 0
		.amdhsa_exception_fp_ieee_invalid_op 0
		.amdhsa_exception_fp_denorm_src 0
		.amdhsa_exception_fp_ieee_div_zero 0
		.amdhsa_exception_fp_ieee_overflow 0
		.amdhsa_exception_fp_ieee_underflow 0
		.amdhsa_exception_fp_ieee_inexact 0
		.amdhsa_exception_int_div_zero 0
	.end_amdhsa_kernel
	.section	.text._ZN7rocprim17ROCPRIM_400000_NS6detail17trampoline_kernelINS0_14default_configENS1_27lower_bound_config_selectorIdlEEZNS1_14transform_implILb0ES3_S5_N6thrust23THRUST_200600_302600_NS6detail15normal_iteratorINS8_7pointerIdNS8_11hip_rocprim5par_tENS8_11use_defaultESE_EEEENSA_INSB_IlSD_SE_SE_EEEEZNS1_13binary_searchIS3_S5_NSA_INS8_10device_ptrIdEEEESG_SI_NS1_21lower_bound_search_opENS9_16wrapped_functionINS8_6system6detail7generic6detail18binary_search_lessEbEEEE10hipError_tPvRmT1_T2_T3_mmT4_T5_P12ihipStream_tbEUlRKdE_EESV_SZ_S10_mS11_S14_bEUlT_E_NS1_11comp_targetILNS1_3genE9ELNS1_11target_archE1100ELNS1_3gpuE3ELNS1_3repE0EEENS1_30default_config_static_selectorELNS0_4arch9wavefront6targetE0EEEvSY_,"axG",@progbits,_ZN7rocprim17ROCPRIM_400000_NS6detail17trampoline_kernelINS0_14default_configENS1_27lower_bound_config_selectorIdlEEZNS1_14transform_implILb0ES3_S5_N6thrust23THRUST_200600_302600_NS6detail15normal_iteratorINS8_7pointerIdNS8_11hip_rocprim5par_tENS8_11use_defaultESE_EEEENSA_INSB_IlSD_SE_SE_EEEEZNS1_13binary_searchIS3_S5_NSA_INS8_10device_ptrIdEEEESG_SI_NS1_21lower_bound_search_opENS9_16wrapped_functionINS8_6system6detail7generic6detail18binary_search_lessEbEEEE10hipError_tPvRmT1_T2_T3_mmT4_T5_P12ihipStream_tbEUlRKdE_EESV_SZ_S10_mS11_S14_bEUlT_E_NS1_11comp_targetILNS1_3genE9ELNS1_11target_archE1100ELNS1_3gpuE3ELNS1_3repE0EEENS1_30default_config_static_selectorELNS0_4arch9wavefront6targetE0EEEvSY_,comdat
.Lfunc_end329:
	.size	_ZN7rocprim17ROCPRIM_400000_NS6detail17trampoline_kernelINS0_14default_configENS1_27lower_bound_config_selectorIdlEEZNS1_14transform_implILb0ES3_S5_N6thrust23THRUST_200600_302600_NS6detail15normal_iteratorINS8_7pointerIdNS8_11hip_rocprim5par_tENS8_11use_defaultESE_EEEENSA_INSB_IlSD_SE_SE_EEEEZNS1_13binary_searchIS3_S5_NSA_INS8_10device_ptrIdEEEESG_SI_NS1_21lower_bound_search_opENS9_16wrapped_functionINS8_6system6detail7generic6detail18binary_search_lessEbEEEE10hipError_tPvRmT1_T2_T3_mmT4_T5_P12ihipStream_tbEUlRKdE_EESV_SZ_S10_mS11_S14_bEUlT_E_NS1_11comp_targetILNS1_3genE9ELNS1_11target_archE1100ELNS1_3gpuE3ELNS1_3repE0EEENS1_30default_config_static_selectorELNS0_4arch9wavefront6targetE0EEEvSY_, .Lfunc_end329-_ZN7rocprim17ROCPRIM_400000_NS6detail17trampoline_kernelINS0_14default_configENS1_27lower_bound_config_selectorIdlEEZNS1_14transform_implILb0ES3_S5_N6thrust23THRUST_200600_302600_NS6detail15normal_iteratorINS8_7pointerIdNS8_11hip_rocprim5par_tENS8_11use_defaultESE_EEEENSA_INSB_IlSD_SE_SE_EEEEZNS1_13binary_searchIS3_S5_NSA_INS8_10device_ptrIdEEEESG_SI_NS1_21lower_bound_search_opENS9_16wrapped_functionINS8_6system6detail7generic6detail18binary_search_lessEbEEEE10hipError_tPvRmT1_T2_T3_mmT4_T5_P12ihipStream_tbEUlRKdE_EESV_SZ_S10_mS11_S14_bEUlT_E_NS1_11comp_targetILNS1_3genE9ELNS1_11target_archE1100ELNS1_3gpuE3ELNS1_3repE0EEENS1_30default_config_static_selectorELNS0_4arch9wavefront6targetE0EEEvSY_
                                        ; -- End function
	.set _ZN7rocprim17ROCPRIM_400000_NS6detail17trampoline_kernelINS0_14default_configENS1_27lower_bound_config_selectorIdlEEZNS1_14transform_implILb0ES3_S5_N6thrust23THRUST_200600_302600_NS6detail15normal_iteratorINS8_7pointerIdNS8_11hip_rocprim5par_tENS8_11use_defaultESE_EEEENSA_INSB_IlSD_SE_SE_EEEEZNS1_13binary_searchIS3_S5_NSA_INS8_10device_ptrIdEEEESG_SI_NS1_21lower_bound_search_opENS9_16wrapped_functionINS8_6system6detail7generic6detail18binary_search_lessEbEEEE10hipError_tPvRmT1_T2_T3_mmT4_T5_P12ihipStream_tbEUlRKdE_EESV_SZ_S10_mS11_S14_bEUlT_E_NS1_11comp_targetILNS1_3genE9ELNS1_11target_archE1100ELNS1_3gpuE3ELNS1_3repE0EEENS1_30default_config_static_selectorELNS0_4arch9wavefront6targetE0EEEvSY_.num_vgpr, 0
	.set _ZN7rocprim17ROCPRIM_400000_NS6detail17trampoline_kernelINS0_14default_configENS1_27lower_bound_config_selectorIdlEEZNS1_14transform_implILb0ES3_S5_N6thrust23THRUST_200600_302600_NS6detail15normal_iteratorINS8_7pointerIdNS8_11hip_rocprim5par_tENS8_11use_defaultESE_EEEENSA_INSB_IlSD_SE_SE_EEEEZNS1_13binary_searchIS3_S5_NSA_INS8_10device_ptrIdEEEESG_SI_NS1_21lower_bound_search_opENS9_16wrapped_functionINS8_6system6detail7generic6detail18binary_search_lessEbEEEE10hipError_tPvRmT1_T2_T3_mmT4_T5_P12ihipStream_tbEUlRKdE_EESV_SZ_S10_mS11_S14_bEUlT_E_NS1_11comp_targetILNS1_3genE9ELNS1_11target_archE1100ELNS1_3gpuE3ELNS1_3repE0EEENS1_30default_config_static_selectorELNS0_4arch9wavefront6targetE0EEEvSY_.num_agpr, 0
	.set _ZN7rocprim17ROCPRIM_400000_NS6detail17trampoline_kernelINS0_14default_configENS1_27lower_bound_config_selectorIdlEEZNS1_14transform_implILb0ES3_S5_N6thrust23THRUST_200600_302600_NS6detail15normal_iteratorINS8_7pointerIdNS8_11hip_rocprim5par_tENS8_11use_defaultESE_EEEENSA_INSB_IlSD_SE_SE_EEEEZNS1_13binary_searchIS3_S5_NSA_INS8_10device_ptrIdEEEESG_SI_NS1_21lower_bound_search_opENS9_16wrapped_functionINS8_6system6detail7generic6detail18binary_search_lessEbEEEE10hipError_tPvRmT1_T2_T3_mmT4_T5_P12ihipStream_tbEUlRKdE_EESV_SZ_S10_mS11_S14_bEUlT_E_NS1_11comp_targetILNS1_3genE9ELNS1_11target_archE1100ELNS1_3gpuE3ELNS1_3repE0EEENS1_30default_config_static_selectorELNS0_4arch9wavefront6targetE0EEEvSY_.numbered_sgpr, 0
	.set _ZN7rocprim17ROCPRIM_400000_NS6detail17trampoline_kernelINS0_14default_configENS1_27lower_bound_config_selectorIdlEEZNS1_14transform_implILb0ES3_S5_N6thrust23THRUST_200600_302600_NS6detail15normal_iteratorINS8_7pointerIdNS8_11hip_rocprim5par_tENS8_11use_defaultESE_EEEENSA_INSB_IlSD_SE_SE_EEEEZNS1_13binary_searchIS3_S5_NSA_INS8_10device_ptrIdEEEESG_SI_NS1_21lower_bound_search_opENS9_16wrapped_functionINS8_6system6detail7generic6detail18binary_search_lessEbEEEE10hipError_tPvRmT1_T2_T3_mmT4_T5_P12ihipStream_tbEUlRKdE_EESV_SZ_S10_mS11_S14_bEUlT_E_NS1_11comp_targetILNS1_3genE9ELNS1_11target_archE1100ELNS1_3gpuE3ELNS1_3repE0EEENS1_30default_config_static_selectorELNS0_4arch9wavefront6targetE0EEEvSY_.num_named_barrier, 0
	.set _ZN7rocprim17ROCPRIM_400000_NS6detail17trampoline_kernelINS0_14default_configENS1_27lower_bound_config_selectorIdlEEZNS1_14transform_implILb0ES3_S5_N6thrust23THRUST_200600_302600_NS6detail15normal_iteratorINS8_7pointerIdNS8_11hip_rocprim5par_tENS8_11use_defaultESE_EEEENSA_INSB_IlSD_SE_SE_EEEEZNS1_13binary_searchIS3_S5_NSA_INS8_10device_ptrIdEEEESG_SI_NS1_21lower_bound_search_opENS9_16wrapped_functionINS8_6system6detail7generic6detail18binary_search_lessEbEEEE10hipError_tPvRmT1_T2_T3_mmT4_T5_P12ihipStream_tbEUlRKdE_EESV_SZ_S10_mS11_S14_bEUlT_E_NS1_11comp_targetILNS1_3genE9ELNS1_11target_archE1100ELNS1_3gpuE3ELNS1_3repE0EEENS1_30default_config_static_selectorELNS0_4arch9wavefront6targetE0EEEvSY_.private_seg_size, 0
	.set _ZN7rocprim17ROCPRIM_400000_NS6detail17trampoline_kernelINS0_14default_configENS1_27lower_bound_config_selectorIdlEEZNS1_14transform_implILb0ES3_S5_N6thrust23THRUST_200600_302600_NS6detail15normal_iteratorINS8_7pointerIdNS8_11hip_rocprim5par_tENS8_11use_defaultESE_EEEENSA_INSB_IlSD_SE_SE_EEEEZNS1_13binary_searchIS3_S5_NSA_INS8_10device_ptrIdEEEESG_SI_NS1_21lower_bound_search_opENS9_16wrapped_functionINS8_6system6detail7generic6detail18binary_search_lessEbEEEE10hipError_tPvRmT1_T2_T3_mmT4_T5_P12ihipStream_tbEUlRKdE_EESV_SZ_S10_mS11_S14_bEUlT_E_NS1_11comp_targetILNS1_3genE9ELNS1_11target_archE1100ELNS1_3gpuE3ELNS1_3repE0EEENS1_30default_config_static_selectorELNS0_4arch9wavefront6targetE0EEEvSY_.uses_vcc, 0
	.set _ZN7rocprim17ROCPRIM_400000_NS6detail17trampoline_kernelINS0_14default_configENS1_27lower_bound_config_selectorIdlEEZNS1_14transform_implILb0ES3_S5_N6thrust23THRUST_200600_302600_NS6detail15normal_iteratorINS8_7pointerIdNS8_11hip_rocprim5par_tENS8_11use_defaultESE_EEEENSA_INSB_IlSD_SE_SE_EEEEZNS1_13binary_searchIS3_S5_NSA_INS8_10device_ptrIdEEEESG_SI_NS1_21lower_bound_search_opENS9_16wrapped_functionINS8_6system6detail7generic6detail18binary_search_lessEbEEEE10hipError_tPvRmT1_T2_T3_mmT4_T5_P12ihipStream_tbEUlRKdE_EESV_SZ_S10_mS11_S14_bEUlT_E_NS1_11comp_targetILNS1_3genE9ELNS1_11target_archE1100ELNS1_3gpuE3ELNS1_3repE0EEENS1_30default_config_static_selectorELNS0_4arch9wavefront6targetE0EEEvSY_.uses_flat_scratch, 0
	.set _ZN7rocprim17ROCPRIM_400000_NS6detail17trampoline_kernelINS0_14default_configENS1_27lower_bound_config_selectorIdlEEZNS1_14transform_implILb0ES3_S5_N6thrust23THRUST_200600_302600_NS6detail15normal_iteratorINS8_7pointerIdNS8_11hip_rocprim5par_tENS8_11use_defaultESE_EEEENSA_INSB_IlSD_SE_SE_EEEEZNS1_13binary_searchIS3_S5_NSA_INS8_10device_ptrIdEEEESG_SI_NS1_21lower_bound_search_opENS9_16wrapped_functionINS8_6system6detail7generic6detail18binary_search_lessEbEEEE10hipError_tPvRmT1_T2_T3_mmT4_T5_P12ihipStream_tbEUlRKdE_EESV_SZ_S10_mS11_S14_bEUlT_E_NS1_11comp_targetILNS1_3genE9ELNS1_11target_archE1100ELNS1_3gpuE3ELNS1_3repE0EEENS1_30default_config_static_selectorELNS0_4arch9wavefront6targetE0EEEvSY_.has_dyn_sized_stack, 0
	.set _ZN7rocprim17ROCPRIM_400000_NS6detail17trampoline_kernelINS0_14default_configENS1_27lower_bound_config_selectorIdlEEZNS1_14transform_implILb0ES3_S5_N6thrust23THRUST_200600_302600_NS6detail15normal_iteratorINS8_7pointerIdNS8_11hip_rocprim5par_tENS8_11use_defaultESE_EEEENSA_INSB_IlSD_SE_SE_EEEEZNS1_13binary_searchIS3_S5_NSA_INS8_10device_ptrIdEEEESG_SI_NS1_21lower_bound_search_opENS9_16wrapped_functionINS8_6system6detail7generic6detail18binary_search_lessEbEEEE10hipError_tPvRmT1_T2_T3_mmT4_T5_P12ihipStream_tbEUlRKdE_EESV_SZ_S10_mS11_S14_bEUlT_E_NS1_11comp_targetILNS1_3genE9ELNS1_11target_archE1100ELNS1_3gpuE3ELNS1_3repE0EEENS1_30default_config_static_selectorELNS0_4arch9wavefront6targetE0EEEvSY_.has_recursion, 0
	.set _ZN7rocprim17ROCPRIM_400000_NS6detail17trampoline_kernelINS0_14default_configENS1_27lower_bound_config_selectorIdlEEZNS1_14transform_implILb0ES3_S5_N6thrust23THRUST_200600_302600_NS6detail15normal_iteratorINS8_7pointerIdNS8_11hip_rocprim5par_tENS8_11use_defaultESE_EEEENSA_INSB_IlSD_SE_SE_EEEEZNS1_13binary_searchIS3_S5_NSA_INS8_10device_ptrIdEEEESG_SI_NS1_21lower_bound_search_opENS9_16wrapped_functionINS8_6system6detail7generic6detail18binary_search_lessEbEEEE10hipError_tPvRmT1_T2_T3_mmT4_T5_P12ihipStream_tbEUlRKdE_EESV_SZ_S10_mS11_S14_bEUlT_E_NS1_11comp_targetILNS1_3genE9ELNS1_11target_archE1100ELNS1_3gpuE3ELNS1_3repE0EEENS1_30default_config_static_selectorELNS0_4arch9wavefront6targetE0EEEvSY_.has_indirect_call, 0
	.section	.AMDGPU.csdata,"",@progbits
; Kernel info:
; codeLenInByte = 0
; TotalNumSgprs: 0
; NumVgprs: 0
; ScratchSize: 0
; MemoryBound: 0
; FloatMode: 240
; IeeeMode: 1
; LDSByteSize: 0 bytes/workgroup (compile time only)
; SGPRBlocks: 0
; VGPRBlocks: 0
; NumSGPRsForWavesPerEU: 1
; NumVGPRsForWavesPerEU: 1
; Occupancy: 16
; WaveLimiterHint : 0
; COMPUTE_PGM_RSRC2:SCRATCH_EN: 0
; COMPUTE_PGM_RSRC2:USER_SGPR: 6
; COMPUTE_PGM_RSRC2:TRAP_HANDLER: 0
; COMPUTE_PGM_RSRC2:TGID_X_EN: 1
; COMPUTE_PGM_RSRC2:TGID_Y_EN: 0
; COMPUTE_PGM_RSRC2:TGID_Z_EN: 0
; COMPUTE_PGM_RSRC2:TIDIG_COMP_CNT: 0
	.section	.text._ZN7rocprim17ROCPRIM_400000_NS6detail17trampoline_kernelINS0_14default_configENS1_27lower_bound_config_selectorIdlEEZNS1_14transform_implILb0ES3_S5_N6thrust23THRUST_200600_302600_NS6detail15normal_iteratorINS8_7pointerIdNS8_11hip_rocprim5par_tENS8_11use_defaultESE_EEEENSA_INSB_IlSD_SE_SE_EEEEZNS1_13binary_searchIS3_S5_NSA_INS8_10device_ptrIdEEEESG_SI_NS1_21lower_bound_search_opENS9_16wrapped_functionINS8_6system6detail7generic6detail18binary_search_lessEbEEEE10hipError_tPvRmT1_T2_T3_mmT4_T5_P12ihipStream_tbEUlRKdE_EESV_SZ_S10_mS11_S14_bEUlT_E_NS1_11comp_targetILNS1_3genE8ELNS1_11target_archE1030ELNS1_3gpuE2ELNS1_3repE0EEENS1_30default_config_static_selectorELNS0_4arch9wavefront6targetE0EEEvSY_,"axG",@progbits,_ZN7rocprim17ROCPRIM_400000_NS6detail17trampoline_kernelINS0_14default_configENS1_27lower_bound_config_selectorIdlEEZNS1_14transform_implILb0ES3_S5_N6thrust23THRUST_200600_302600_NS6detail15normal_iteratorINS8_7pointerIdNS8_11hip_rocprim5par_tENS8_11use_defaultESE_EEEENSA_INSB_IlSD_SE_SE_EEEEZNS1_13binary_searchIS3_S5_NSA_INS8_10device_ptrIdEEEESG_SI_NS1_21lower_bound_search_opENS9_16wrapped_functionINS8_6system6detail7generic6detail18binary_search_lessEbEEEE10hipError_tPvRmT1_T2_T3_mmT4_T5_P12ihipStream_tbEUlRKdE_EESV_SZ_S10_mS11_S14_bEUlT_E_NS1_11comp_targetILNS1_3genE8ELNS1_11target_archE1030ELNS1_3gpuE2ELNS1_3repE0EEENS1_30default_config_static_selectorELNS0_4arch9wavefront6targetE0EEEvSY_,comdat
	.protected	_ZN7rocprim17ROCPRIM_400000_NS6detail17trampoline_kernelINS0_14default_configENS1_27lower_bound_config_selectorIdlEEZNS1_14transform_implILb0ES3_S5_N6thrust23THRUST_200600_302600_NS6detail15normal_iteratorINS8_7pointerIdNS8_11hip_rocprim5par_tENS8_11use_defaultESE_EEEENSA_INSB_IlSD_SE_SE_EEEEZNS1_13binary_searchIS3_S5_NSA_INS8_10device_ptrIdEEEESG_SI_NS1_21lower_bound_search_opENS9_16wrapped_functionINS8_6system6detail7generic6detail18binary_search_lessEbEEEE10hipError_tPvRmT1_T2_T3_mmT4_T5_P12ihipStream_tbEUlRKdE_EESV_SZ_S10_mS11_S14_bEUlT_E_NS1_11comp_targetILNS1_3genE8ELNS1_11target_archE1030ELNS1_3gpuE2ELNS1_3repE0EEENS1_30default_config_static_selectorELNS0_4arch9wavefront6targetE0EEEvSY_ ; -- Begin function _ZN7rocprim17ROCPRIM_400000_NS6detail17trampoline_kernelINS0_14default_configENS1_27lower_bound_config_selectorIdlEEZNS1_14transform_implILb0ES3_S5_N6thrust23THRUST_200600_302600_NS6detail15normal_iteratorINS8_7pointerIdNS8_11hip_rocprim5par_tENS8_11use_defaultESE_EEEENSA_INSB_IlSD_SE_SE_EEEEZNS1_13binary_searchIS3_S5_NSA_INS8_10device_ptrIdEEEESG_SI_NS1_21lower_bound_search_opENS9_16wrapped_functionINS8_6system6detail7generic6detail18binary_search_lessEbEEEE10hipError_tPvRmT1_T2_T3_mmT4_T5_P12ihipStream_tbEUlRKdE_EESV_SZ_S10_mS11_S14_bEUlT_E_NS1_11comp_targetILNS1_3genE8ELNS1_11target_archE1030ELNS1_3gpuE2ELNS1_3repE0EEENS1_30default_config_static_selectorELNS0_4arch9wavefront6targetE0EEEvSY_
	.globl	_ZN7rocprim17ROCPRIM_400000_NS6detail17trampoline_kernelINS0_14default_configENS1_27lower_bound_config_selectorIdlEEZNS1_14transform_implILb0ES3_S5_N6thrust23THRUST_200600_302600_NS6detail15normal_iteratorINS8_7pointerIdNS8_11hip_rocprim5par_tENS8_11use_defaultESE_EEEENSA_INSB_IlSD_SE_SE_EEEEZNS1_13binary_searchIS3_S5_NSA_INS8_10device_ptrIdEEEESG_SI_NS1_21lower_bound_search_opENS9_16wrapped_functionINS8_6system6detail7generic6detail18binary_search_lessEbEEEE10hipError_tPvRmT1_T2_T3_mmT4_T5_P12ihipStream_tbEUlRKdE_EESV_SZ_S10_mS11_S14_bEUlT_E_NS1_11comp_targetILNS1_3genE8ELNS1_11target_archE1030ELNS1_3gpuE2ELNS1_3repE0EEENS1_30default_config_static_selectorELNS0_4arch9wavefront6targetE0EEEvSY_
	.p2align	8
	.type	_ZN7rocprim17ROCPRIM_400000_NS6detail17trampoline_kernelINS0_14default_configENS1_27lower_bound_config_selectorIdlEEZNS1_14transform_implILb0ES3_S5_N6thrust23THRUST_200600_302600_NS6detail15normal_iteratorINS8_7pointerIdNS8_11hip_rocprim5par_tENS8_11use_defaultESE_EEEENSA_INSB_IlSD_SE_SE_EEEEZNS1_13binary_searchIS3_S5_NSA_INS8_10device_ptrIdEEEESG_SI_NS1_21lower_bound_search_opENS9_16wrapped_functionINS8_6system6detail7generic6detail18binary_search_lessEbEEEE10hipError_tPvRmT1_T2_T3_mmT4_T5_P12ihipStream_tbEUlRKdE_EESV_SZ_S10_mS11_S14_bEUlT_E_NS1_11comp_targetILNS1_3genE8ELNS1_11target_archE1030ELNS1_3gpuE2ELNS1_3repE0EEENS1_30default_config_static_selectorELNS0_4arch9wavefront6targetE0EEEvSY_,@function
_ZN7rocprim17ROCPRIM_400000_NS6detail17trampoline_kernelINS0_14default_configENS1_27lower_bound_config_selectorIdlEEZNS1_14transform_implILb0ES3_S5_N6thrust23THRUST_200600_302600_NS6detail15normal_iteratorINS8_7pointerIdNS8_11hip_rocprim5par_tENS8_11use_defaultESE_EEEENSA_INSB_IlSD_SE_SE_EEEEZNS1_13binary_searchIS3_S5_NSA_INS8_10device_ptrIdEEEESG_SI_NS1_21lower_bound_search_opENS9_16wrapped_functionINS8_6system6detail7generic6detail18binary_search_lessEbEEEE10hipError_tPvRmT1_T2_T3_mmT4_T5_P12ihipStream_tbEUlRKdE_EESV_SZ_S10_mS11_S14_bEUlT_E_NS1_11comp_targetILNS1_3genE8ELNS1_11target_archE1030ELNS1_3gpuE2ELNS1_3repE0EEENS1_30default_config_static_selectorELNS0_4arch9wavefront6targetE0EEEvSY_: ; @_ZN7rocprim17ROCPRIM_400000_NS6detail17trampoline_kernelINS0_14default_configENS1_27lower_bound_config_selectorIdlEEZNS1_14transform_implILb0ES3_S5_N6thrust23THRUST_200600_302600_NS6detail15normal_iteratorINS8_7pointerIdNS8_11hip_rocprim5par_tENS8_11use_defaultESE_EEEENSA_INSB_IlSD_SE_SE_EEEEZNS1_13binary_searchIS3_S5_NSA_INS8_10device_ptrIdEEEESG_SI_NS1_21lower_bound_search_opENS9_16wrapped_functionINS8_6system6detail7generic6detail18binary_search_lessEbEEEE10hipError_tPvRmT1_T2_T3_mmT4_T5_P12ihipStream_tbEUlRKdE_EESV_SZ_S10_mS11_S14_bEUlT_E_NS1_11comp_targetILNS1_3genE8ELNS1_11target_archE1030ELNS1_3gpuE2ELNS1_3repE0EEENS1_30default_config_static_selectorELNS0_4arch9wavefront6targetE0EEEvSY_
; %bb.0:
	s_clause 0x3
	s_load_dwordx4 s[16:19], s[4:5], 0x0
	s_load_dwordx4 s[0:3], s[4:5], 0x18
	s_load_dword s15, s[4:5], 0x38
	s_load_dwordx2 s[10:11], s[4:5], 0x28
	s_waitcnt lgkmcnt(0)
	s_lshl_b64 s[8:9], s[18:19], 3
	s_add_u32 s13, s16, s8
	s_addc_u32 s14, s17, s9
	s_add_u32 s7, s0, s8
	s_addc_u32 s12, s1, s9
	s_add_i32 s15, s15, -1
	s_lshl_b32 s8, s6, 8
	s_mov_b32 s9, 0
	s_cmp_lg_u32 s6, s15
	s_mov_b32 s0, -1
	s_cbranch_scc0 .LBB330_7
; %bb.1:
	s_cmp_eq_u64 s[10:11], 0
	s_cbranch_scc1 .LBB330_5
; %bb.2:
	v_lshlrev_b32_e32 v1, 3, v0
	s_lshl_b64 s[0:1], s[8:9], 3
	v_mov_b32_e32 v5, s10
	s_add_u32 s0, s13, s0
	s_addc_u32 s1, s14, s1
	v_add_co_u32 v1, s0, s0, v1
	v_add_co_ci_u32_e64 v2, null, s1, 0, s0
	v_mov_b32_e32 v6, s11
	s_mov_b32 s1, 0
	flat_load_dwordx2 v[3:4], v[1:2]
	v_mov_b32_e32 v1, 0
	v_mov_b32_e32 v2, 0
	s_inst_prefetch 0x1
	.p2align	6
.LBB330_3:                              ; =>This Inner Loop Header: Depth=1
	v_sub_co_u32 v7, vcc_lo, v5, v1
	v_sub_co_ci_u32_e64 v8, null, v6, v2, vcc_lo
	v_lshrrev_b64 v[9:10], 1, v[7:8]
	v_lshrrev_b64 v[7:8], 6, v[7:8]
	v_add_co_u32 v9, vcc_lo, v9, v1
	v_add_co_ci_u32_e64 v10, null, v10, v2, vcc_lo
	v_add_co_u32 v7, vcc_lo, v9, v7
	v_add_co_ci_u32_e64 v8, null, v10, v8, vcc_lo
	v_lshlrev_b64 v[9:10], 3, v[7:8]
	v_add_co_u32 v9, vcc_lo, s2, v9
	v_add_co_ci_u32_e64 v10, null, s3, v10, vcc_lo
	global_load_dwordx2 v[9:10], v[9:10], off
	s_waitcnt vmcnt(0) lgkmcnt(0)
	v_cmp_lt_f64_e32 vcc_lo, v[9:10], v[3:4]
	v_add_co_u32 v9, s0, v7, 1
	v_add_co_ci_u32_e64 v10, null, 0, v8, s0
	v_cndmask_b32_e32 v6, v8, v6, vcc_lo
	v_cndmask_b32_e32 v5, v7, v5, vcc_lo
	;; [unrolled: 1-line block ×4, first 2 shown]
	v_cmp_ge_u64_e32 vcc_lo, v[1:2], v[5:6]
	s_or_b32 s1, vcc_lo, s1
	s_andn2_b32 exec_lo, exec_lo, s1
	s_cbranch_execnz .LBB330_3
; %bb.4:
	s_inst_prefetch 0x2
	s_or_b32 exec_lo, exec_lo, s1
	s_branch .LBB330_6
.LBB330_5:
	v_mov_b32_e32 v1, 0
	v_mov_b32_e32 v2, 0
.LBB330_6:
	v_lshlrev_b32_e32 v3, 3, v0
	s_lshl_b64 s[0:1], s[8:9], 3
	s_add_u32 s0, s7, s0
	s_addc_u32 s1, s12, s1
	v_add_co_u32 v3, s0, s0, v3
	v_add_co_ci_u32_e64 v4, null, s1, 0, s0
	s_mov_b32 s0, 0
	flat_store_dwordx2 v[3:4], v[1:2]
.LBB330_7:
	s_and_b32 vcc_lo, exec_lo, s0
	s_cbranch_vccz .LBB330_16
; %bb.8:
	s_load_dword s0, s[4:5], 0x10
                                        ; implicit-def: $vgpr3_vgpr4
	s_waitcnt lgkmcnt(0)
	s_sub_i32 s1, s0, s8
	v_cmp_le_u32_e64 s0, s1, v0
	v_cmp_gt_u32_e32 vcc_lo, s1, v0
	s_and_saveexec_b32 s1, vcc_lo
	s_cbranch_execz .LBB330_10
; %bb.9:
	v_lshlrev_b32_e32 v1, 3, v0
	s_lshl_b64 s[4:5], s[8:9], 3
	s_add_u32 s4, s13, s4
	s_addc_u32 s5, s14, s5
	v_add_co_u32 v1, s4, s4, v1
	v_add_co_ci_u32_e64 v2, null, s5, 0, s4
	flat_load_dwordx2 v[3:4], v[1:2]
.LBB330_10:
	s_or_b32 exec_lo, exec_lo, s1
	s_cmp_lg_u64 s[10:11], 0
	v_mov_b32_e32 v1, 0
	v_mov_b32_e32 v2, 0
	s_cselect_b32 s1, -1, 0
	s_xor_b32 s0, s0, -1
	s_and_b32 s0, s0, s1
	s_and_saveexec_b32 s4, s0
	s_cbranch_execz .LBB330_14
; %bb.11:
	v_mov_b32_e32 v1, 0
	v_mov_b32_e32 v5, s10
	;; [unrolled: 1-line block ×4, first 2 shown]
	s_mov_b32 s5, 0
	s_inst_prefetch 0x1
	.p2align	6
.LBB330_12:                             ; =>This Inner Loop Header: Depth=1
	v_sub_co_u32 v7, s0, v5, v1
	v_sub_co_ci_u32_e64 v8, null, v6, v2, s0
	v_lshrrev_b64 v[9:10], 1, v[7:8]
	v_lshrrev_b64 v[7:8], 6, v[7:8]
	v_add_co_u32 v9, s0, v9, v1
	v_add_co_ci_u32_e64 v10, null, v10, v2, s0
	v_add_co_u32 v7, s0, v9, v7
	v_add_co_ci_u32_e64 v8, null, v10, v8, s0
	v_lshlrev_b64 v[9:10], 3, v[7:8]
	v_add_co_u32 v9, s0, s2, v9
	v_add_co_ci_u32_e64 v10, null, s3, v10, s0
	global_load_dwordx2 v[9:10], v[9:10], off
	s_waitcnt vmcnt(0) lgkmcnt(0)
	v_cmp_lt_f64_e64 s0, v[9:10], v[3:4]
	v_add_co_u32 v9, s1, v7, 1
	v_add_co_ci_u32_e64 v10, null, 0, v8, s1
	v_cndmask_b32_e64 v6, v8, v6, s0
	v_cndmask_b32_e64 v5, v7, v5, s0
	;; [unrolled: 1-line block ×4, first 2 shown]
	v_cmp_ge_u64_e64 s0, v[1:2], v[5:6]
	s_or_b32 s5, s0, s5
	s_andn2_b32 exec_lo, exec_lo, s5
	s_cbranch_execnz .LBB330_12
; %bb.13:
	s_inst_prefetch 0x2
	s_or_b32 exec_lo, exec_lo, s5
.LBB330_14:
	s_or_b32 exec_lo, exec_lo, s4
	s_and_saveexec_b32 s0, vcc_lo
	s_cbranch_execz .LBB330_16
; %bb.15:
	v_lshlrev_b32_e32 v0, 3, v0
	s_lshl_b64 s[0:1], s[8:9], 3
	s_add_u32 s0, s7, s0
	s_addc_u32 s1, s12, s1
	s_waitcnt vmcnt(0) lgkmcnt(0)
	v_add_co_u32 v3, s0, s0, v0
	v_add_co_ci_u32_e64 v4, null, s1, 0, s0
	flat_store_dwordx2 v[3:4], v[1:2]
.LBB330_16:
	s_endpgm
	.section	.rodata,"a",@progbits
	.p2align	6, 0x0
	.amdhsa_kernel _ZN7rocprim17ROCPRIM_400000_NS6detail17trampoline_kernelINS0_14default_configENS1_27lower_bound_config_selectorIdlEEZNS1_14transform_implILb0ES3_S5_N6thrust23THRUST_200600_302600_NS6detail15normal_iteratorINS8_7pointerIdNS8_11hip_rocprim5par_tENS8_11use_defaultESE_EEEENSA_INSB_IlSD_SE_SE_EEEEZNS1_13binary_searchIS3_S5_NSA_INS8_10device_ptrIdEEEESG_SI_NS1_21lower_bound_search_opENS9_16wrapped_functionINS8_6system6detail7generic6detail18binary_search_lessEbEEEE10hipError_tPvRmT1_T2_T3_mmT4_T5_P12ihipStream_tbEUlRKdE_EESV_SZ_S10_mS11_S14_bEUlT_E_NS1_11comp_targetILNS1_3genE8ELNS1_11target_archE1030ELNS1_3gpuE2ELNS1_3repE0EEENS1_30default_config_static_selectorELNS0_4arch9wavefront6targetE0EEEvSY_
		.amdhsa_group_segment_fixed_size 0
		.amdhsa_private_segment_fixed_size 0
		.amdhsa_kernarg_size 312
		.amdhsa_user_sgpr_count 6
		.amdhsa_user_sgpr_private_segment_buffer 1
		.amdhsa_user_sgpr_dispatch_ptr 0
		.amdhsa_user_sgpr_queue_ptr 0
		.amdhsa_user_sgpr_kernarg_segment_ptr 1
		.amdhsa_user_sgpr_dispatch_id 0
		.amdhsa_user_sgpr_flat_scratch_init 0
		.amdhsa_user_sgpr_private_segment_size 0
		.amdhsa_wavefront_size32 1
		.amdhsa_uses_dynamic_stack 0
		.amdhsa_system_sgpr_private_segment_wavefront_offset 0
		.amdhsa_system_sgpr_workgroup_id_x 1
		.amdhsa_system_sgpr_workgroup_id_y 0
		.amdhsa_system_sgpr_workgroup_id_z 0
		.amdhsa_system_sgpr_workgroup_info 0
		.amdhsa_system_vgpr_workitem_id 0
		.amdhsa_next_free_vgpr 11
		.amdhsa_next_free_sgpr 20
		.amdhsa_reserve_vcc 1
		.amdhsa_reserve_flat_scratch 0
		.amdhsa_float_round_mode_32 0
		.amdhsa_float_round_mode_16_64 0
		.amdhsa_float_denorm_mode_32 3
		.amdhsa_float_denorm_mode_16_64 3
		.amdhsa_dx10_clamp 1
		.amdhsa_ieee_mode 1
		.amdhsa_fp16_overflow 0
		.amdhsa_workgroup_processor_mode 1
		.amdhsa_memory_ordered 1
		.amdhsa_forward_progress 1
		.amdhsa_shared_vgpr_count 0
		.amdhsa_exception_fp_ieee_invalid_op 0
		.amdhsa_exception_fp_denorm_src 0
		.amdhsa_exception_fp_ieee_div_zero 0
		.amdhsa_exception_fp_ieee_overflow 0
		.amdhsa_exception_fp_ieee_underflow 0
		.amdhsa_exception_fp_ieee_inexact 0
		.amdhsa_exception_int_div_zero 0
	.end_amdhsa_kernel
	.section	.text._ZN7rocprim17ROCPRIM_400000_NS6detail17trampoline_kernelINS0_14default_configENS1_27lower_bound_config_selectorIdlEEZNS1_14transform_implILb0ES3_S5_N6thrust23THRUST_200600_302600_NS6detail15normal_iteratorINS8_7pointerIdNS8_11hip_rocprim5par_tENS8_11use_defaultESE_EEEENSA_INSB_IlSD_SE_SE_EEEEZNS1_13binary_searchIS3_S5_NSA_INS8_10device_ptrIdEEEESG_SI_NS1_21lower_bound_search_opENS9_16wrapped_functionINS8_6system6detail7generic6detail18binary_search_lessEbEEEE10hipError_tPvRmT1_T2_T3_mmT4_T5_P12ihipStream_tbEUlRKdE_EESV_SZ_S10_mS11_S14_bEUlT_E_NS1_11comp_targetILNS1_3genE8ELNS1_11target_archE1030ELNS1_3gpuE2ELNS1_3repE0EEENS1_30default_config_static_selectorELNS0_4arch9wavefront6targetE0EEEvSY_,"axG",@progbits,_ZN7rocprim17ROCPRIM_400000_NS6detail17trampoline_kernelINS0_14default_configENS1_27lower_bound_config_selectorIdlEEZNS1_14transform_implILb0ES3_S5_N6thrust23THRUST_200600_302600_NS6detail15normal_iteratorINS8_7pointerIdNS8_11hip_rocprim5par_tENS8_11use_defaultESE_EEEENSA_INSB_IlSD_SE_SE_EEEEZNS1_13binary_searchIS3_S5_NSA_INS8_10device_ptrIdEEEESG_SI_NS1_21lower_bound_search_opENS9_16wrapped_functionINS8_6system6detail7generic6detail18binary_search_lessEbEEEE10hipError_tPvRmT1_T2_T3_mmT4_T5_P12ihipStream_tbEUlRKdE_EESV_SZ_S10_mS11_S14_bEUlT_E_NS1_11comp_targetILNS1_3genE8ELNS1_11target_archE1030ELNS1_3gpuE2ELNS1_3repE0EEENS1_30default_config_static_selectorELNS0_4arch9wavefront6targetE0EEEvSY_,comdat
.Lfunc_end330:
	.size	_ZN7rocprim17ROCPRIM_400000_NS6detail17trampoline_kernelINS0_14default_configENS1_27lower_bound_config_selectorIdlEEZNS1_14transform_implILb0ES3_S5_N6thrust23THRUST_200600_302600_NS6detail15normal_iteratorINS8_7pointerIdNS8_11hip_rocprim5par_tENS8_11use_defaultESE_EEEENSA_INSB_IlSD_SE_SE_EEEEZNS1_13binary_searchIS3_S5_NSA_INS8_10device_ptrIdEEEESG_SI_NS1_21lower_bound_search_opENS9_16wrapped_functionINS8_6system6detail7generic6detail18binary_search_lessEbEEEE10hipError_tPvRmT1_T2_T3_mmT4_T5_P12ihipStream_tbEUlRKdE_EESV_SZ_S10_mS11_S14_bEUlT_E_NS1_11comp_targetILNS1_3genE8ELNS1_11target_archE1030ELNS1_3gpuE2ELNS1_3repE0EEENS1_30default_config_static_selectorELNS0_4arch9wavefront6targetE0EEEvSY_, .Lfunc_end330-_ZN7rocprim17ROCPRIM_400000_NS6detail17trampoline_kernelINS0_14default_configENS1_27lower_bound_config_selectorIdlEEZNS1_14transform_implILb0ES3_S5_N6thrust23THRUST_200600_302600_NS6detail15normal_iteratorINS8_7pointerIdNS8_11hip_rocprim5par_tENS8_11use_defaultESE_EEEENSA_INSB_IlSD_SE_SE_EEEEZNS1_13binary_searchIS3_S5_NSA_INS8_10device_ptrIdEEEESG_SI_NS1_21lower_bound_search_opENS9_16wrapped_functionINS8_6system6detail7generic6detail18binary_search_lessEbEEEE10hipError_tPvRmT1_T2_T3_mmT4_T5_P12ihipStream_tbEUlRKdE_EESV_SZ_S10_mS11_S14_bEUlT_E_NS1_11comp_targetILNS1_3genE8ELNS1_11target_archE1030ELNS1_3gpuE2ELNS1_3repE0EEENS1_30default_config_static_selectorELNS0_4arch9wavefront6targetE0EEEvSY_
                                        ; -- End function
	.set _ZN7rocprim17ROCPRIM_400000_NS6detail17trampoline_kernelINS0_14default_configENS1_27lower_bound_config_selectorIdlEEZNS1_14transform_implILb0ES3_S5_N6thrust23THRUST_200600_302600_NS6detail15normal_iteratorINS8_7pointerIdNS8_11hip_rocprim5par_tENS8_11use_defaultESE_EEEENSA_INSB_IlSD_SE_SE_EEEEZNS1_13binary_searchIS3_S5_NSA_INS8_10device_ptrIdEEEESG_SI_NS1_21lower_bound_search_opENS9_16wrapped_functionINS8_6system6detail7generic6detail18binary_search_lessEbEEEE10hipError_tPvRmT1_T2_T3_mmT4_T5_P12ihipStream_tbEUlRKdE_EESV_SZ_S10_mS11_S14_bEUlT_E_NS1_11comp_targetILNS1_3genE8ELNS1_11target_archE1030ELNS1_3gpuE2ELNS1_3repE0EEENS1_30default_config_static_selectorELNS0_4arch9wavefront6targetE0EEEvSY_.num_vgpr, 11
	.set _ZN7rocprim17ROCPRIM_400000_NS6detail17trampoline_kernelINS0_14default_configENS1_27lower_bound_config_selectorIdlEEZNS1_14transform_implILb0ES3_S5_N6thrust23THRUST_200600_302600_NS6detail15normal_iteratorINS8_7pointerIdNS8_11hip_rocprim5par_tENS8_11use_defaultESE_EEEENSA_INSB_IlSD_SE_SE_EEEEZNS1_13binary_searchIS3_S5_NSA_INS8_10device_ptrIdEEEESG_SI_NS1_21lower_bound_search_opENS9_16wrapped_functionINS8_6system6detail7generic6detail18binary_search_lessEbEEEE10hipError_tPvRmT1_T2_T3_mmT4_T5_P12ihipStream_tbEUlRKdE_EESV_SZ_S10_mS11_S14_bEUlT_E_NS1_11comp_targetILNS1_3genE8ELNS1_11target_archE1030ELNS1_3gpuE2ELNS1_3repE0EEENS1_30default_config_static_selectorELNS0_4arch9wavefront6targetE0EEEvSY_.num_agpr, 0
	.set _ZN7rocprim17ROCPRIM_400000_NS6detail17trampoline_kernelINS0_14default_configENS1_27lower_bound_config_selectorIdlEEZNS1_14transform_implILb0ES3_S5_N6thrust23THRUST_200600_302600_NS6detail15normal_iteratorINS8_7pointerIdNS8_11hip_rocprim5par_tENS8_11use_defaultESE_EEEENSA_INSB_IlSD_SE_SE_EEEEZNS1_13binary_searchIS3_S5_NSA_INS8_10device_ptrIdEEEESG_SI_NS1_21lower_bound_search_opENS9_16wrapped_functionINS8_6system6detail7generic6detail18binary_search_lessEbEEEE10hipError_tPvRmT1_T2_T3_mmT4_T5_P12ihipStream_tbEUlRKdE_EESV_SZ_S10_mS11_S14_bEUlT_E_NS1_11comp_targetILNS1_3genE8ELNS1_11target_archE1030ELNS1_3gpuE2ELNS1_3repE0EEENS1_30default_config_static_selectorELNS0_4arch9wavefront6targetE0EEEvSY_.numbered_sgpr, 20
	.set _ZN7rocprim17ROCPRIM_400000_NS6detail17trampoline_kernelINS0_14default_configENS1_27lower_bound_config_selectorIdlEEZNS1_14transform_implILb0ES3_S5_N6thrust23THRUST_200600_302600_NS6detail15normal_iteratorINS8_7pointerIdNS8_11hip_rocprim5par_tENS8_11use_defaultESE_EEEENSA_INSB_IlSD_SE_SE_EEEEZNS1_13binary_searchIS3_S5_NSA_INS8_10device_ptrIdEEEESG_SI_NS1_21lower_bound_search_opENS9_16wrapped_functionINS8_6system6detail7generic6detail18binary_search_lessEbEEEE10hipError_tPvRmT1_T2_T3_mmT4_T5_P12ihipStream_tbEUlRKdE_EESV_SZ_S10_mS11_S14_bEUlT_E_NS1_11comp_targetILNS1_3genE8ELNS1_11target_archE1030ELNS1_3gpuE2ELNS1_3repE0EEENS1_30default_config_static_selectorELNS0_4arch9wavefront6targetE0EEEvSY_.num_named_barrier, 0
	.set _ZN7rocprim17ROCPRIM_400000_NS6detail17trampoline_kernelINS0_14default_configENS1_27lower_bound_config_selectorIdlEEZNS1_14transform_implILb0ES3_S5_N6thrust23THRUST_200600_302600_NS6detail15normal_iteratorINS8_7pointerIdNS8_11hip_rocprim5par_tENS8_11use_defaultESE_EEEENSA_INSB_IlSD_SE_SE_EEEEZNS1_13binary_searchIS3_S5_NSA_INS8_10device_ptrIdEEEESG_SI_NS1_21lower_bound_search_opENS9_16wrapped_functionINS8_6system6detail7generic6detail18binary_search_lessEbEEEE10hipError_tPvRmT1_T2_T3_mmT4_T5_P12ihipStream_tbEUlRKdE_EESV_SZ_S10_mS11_S14_bEUlT_E_NS1_11comp_targetILNS1_3genE8ELNS1_11target_archE1030ELNS1_3gpuE2ELNS1_3repE0EEENS1_30default_config_static_selectorELNS0_4arch9wavefront6targetE0EEEvSY_.private_seg_size, 0
	.set _ZN7rocprim17ROCPRIM_400000_NS6detail17trampoline_kernelINS0_14default_configENS1_27lower_bound_config_selectorIdlEEZNS1_14transform_implILb0ES3_S5_N6thrust23THRUST_200600_302600_NS6detail15normal_iteratorINS8_7pointerIdNS8_11hip_rocprim5par_tENS8_11use_defaultESE_EEEENSA_INSB_IlSD_SE_SE_EEEEZNS1_13binary_searchIS3_S5_NSA_INS8_10device_ptrIdEEEESG_SI_NS1_21lower_bound_search_opENS9_16wrapped_functionINS8_6system6detail7generic6detail18binary_search_lessEbEEEE10hipError_tPvRmT1_T2_T3_mmT4_T5_P12ihipStream_tbEUlRKdE_EESV_SZ_S10_mS11_S14_bEUlT_E_NS1_11comp_targetILNS1_3genE8ELNS1_11target_archE1030ELNS1_3gpuE2ELNS1_3repE0EEENS1_30default_config_static_selectorELNS0_4arch9wavefront6targetE0EEEvSY_.uses_vcc, 1
	.set _ZN7rocprim17ROCPRIM_400000_NS6detail17trampoline_kernelINS0_14default_configENS1_27lower_bound_config_selectorIdlEEZNS1_14transform_implILb0ES3_S5_N6thrust23THRUST_200600_302600_NS6detail15normal_iteratorINS8_7pointerIdNS8_11hip_rocprim5par_tENS8_11use_defaultESE_EEEENSA_INSB_IlSD_SE_SE_EEEEZNS1_13binary_searchIS3_S5_NSA_INS8_10device_ptrIdEEEESG_SI_NS1_21lower_bound_search_opENS9_16wrapped_functionINS8_6system6detail7generic6detail18binary_search_lessEbEEEE10hipError_tPvRmT1_T2_T3_mmT4_T5_P12ihipStream_tbEUlRKdE_EESV_SZ_S10_mS11_S14_bEUlT_E_NS1_11comp_targetILNS1_3genE8ELNS1_11target_archE1030ELNS1_3gpuE2ELNS1_3repE0EEENS1_30default_config_static_selectorELNS0_4arch9wavefront6targetE0EEEvSY_.uses_flat_scratch, 0
	.set _ZN7rocprim17ROCPRIM_400000_NS6detail17trampoline_kernelINS0_14default_configENS1_27lower_bound_config_selectorIdlEEZNS1_14transform_implILb0ES3_S5_N6thrust23THRUST_200600_302600_NS6detail15normal_iteratorINS8_7pointerIdNS8_11hip_rocprim5par_tENS8_11use_defaultESE_EEEENSA_INSB_IlSD_SE_SE_EEEEZNS1_13binary_searchIS3_S5_NSA_INS8_10device_ptrIdEEEESG_SI_NS1_21lower_bound_search_opENS9_16wrapped_functionINS8_6system6detail7generic6detail18binary_search_lessEbEEEE10hipError_tPvRmT1_T2_T3_mmT4_T5_P12ihipStream_tbEUlRKdE_EESV_SZ_S10_mS11_S14_bEUlT_E_NS1_11comp_targetILNS1_3genE8ELNS1_11target_archE1030ELNS1_3gpuE2ELNS1_3repE0EEENS1_30default_config_static_selectorELNS0_4arch9wavefront6targetE0EEEvSY_.has_dyn_sized_stack, 0
	.set _ZN7rocprim17ROCPRIM_400000_NS6detail17trampoline_kernelINS0_14default_configENS1_27lower_bound_config_selectorIdlEEZNS1_14transform_implILb0ES3_S5_N6thrust23THRUST_200600_302600_NS6detail15normal_iteratorINS8_7pointerIdNS8_11hip_rocprim5par_tENS8_11use_defaultESE_EEEENSA_INSB_IlSD_SE_SE_EEEEZNS1_13binary_searchIS3_S5_NSA_INS8_10device_ptrIdEEEESG_SI_NS1_21lower_bound_search_opENS9_16wrapped_functionINS8_6system6detail7generic6detail18binary_search_lessEbEEEE10hipError_tPvRmT1_T2_T3_mmT4_T5_P12ihipStream_tbEUlRKdE_EESV_SZ_S10_mS11_S14_bEUlT_E_NS1_11comp_targetILNS1_3genE8ELNS1_11target_archE1030ELNS1_3gpuE2ELNS1_3repE0EEENS1_30default_config_static_selectorELNS0_4arch9wavefront6targetE0EEEvSY_.has_recursion, 0
	.set _ZN7rocprim17ROCPRIM_400000_NS6detail17trampoline_kernelINS0_14default_configENS1_27lower_bound_config_selectorIdlEEZNS1_14transform_implILb0ES3_S5_N6thrust23THRUST_200600_302600_NS6detail15normal_iteratorINS8_7pointerIdNS8_11hip_rocprim5par_tENS8_11use_defaultESE_EEEENSA_INSB_IlSD_SE_SE_EEEEZNS1_13binary_searchIS3_S5_NSA_INS8_10device_ptrIdEEEESG_SI_NS1_21lower_bound_search_opENS9_16wrapped_functionINS8_6system6detail7generic6detail18binary_search_lessEbEEEE10hipError_tPvRmT1_T2_T3_mmT4_T5_P12ihipStream_tbEUlRKdE_EESV_SZ_S10_mS11_S14_bEUlT_E_NS1_11comp_targetILNS1_3genE8ELNS1_11target_archE1030ELNS1_3gpuE2ELNS1_3repE0EEENS1_30default_config_static_selectorELNS0_4arch9wavefront6targetE0EEEvSY_.has_indirect_call, 0
	.section	.AMDGPU.csdata,"",@progbits
; Kernel info:
; codeLenInByte = 820
; TotalNumSgprs: 22
; NumVgprs: 11
; ScratchSize: 0
; MemoryBound: 0
; FloatMode: 240
; IeeeMode: 1
; LDSByteSize: 0 bytes/workgroup (compile time only)
; SGPRBlocks: 0
; VGPRBlocks: 1
; NumSGPRsForWavesPerEU: 22
; NumVGPRsForWavesPerEU: 11
; Occupancy: 16
; WaveLimiterHint : 0
; COMPUTE_PGM_RSRC2:SCRATCH_EN: 0
; COMPUTE_PGM_RSRC2:USER_SGPR: 6
; COMPUTE_PGM_RSRC2:TRAP_HANDLER: 0
; COMPUTE_PGM_RSRC2:TGID_X_EN: 1
; COMPUTE_PGM_RSRC2:TGID_Y_EN: 0
; COMPUTE_PGM_RSRC2:TGID_Z_EN: 0
; COMPUTE_PGM_RSRC2:TIDIG_COMP_CNT: 0
	.section	.text._ZN7rocprim17ROCPRIM_400000_NS6detail17trampoline_kernelINS0_14default_configENS1_27lower_bound_config_selectorIflEEZNS1_14transform_implILb0ES3_S5_N6thrust23THRUST_200600_302600_NS6detail15normal_iteratorINS8_7pointerIfNS8_11hip_rocprim16par_det_nosync_tENS8_11use_defaultESE_EEEENSA_INSB_IlSD_SE_SE_EEEEZNS1_13binary_searchIS3_S5_NSA_INS8_10device_ptrIfEEEESG_SI_NS1_21lower_bound_search_opENS9_16wrapped_functionINS8_6system6detail7generic6detail18binary_search_lessEbEEEE10hipError_tPvRmT1_T2_T3_mmT4_T5_P12ihipStream_tbEUlRKfE_EESV_SZ_S10_mS11_S14_bEUlT_E_NS1_11comp_targetILNS1_3genE0ELNS1_11target_archE4294967295ELNS1_3gpuE0ELNS1_3repE0EEENS1_30default_config_static_selectorELNS0_4arch9wavefront6targetE0EEEvSY_,"axG",@progbits,_ZN7rocprim17ROCPRIM_400000_NS6detail17trampoline_kernelINS0_14default_configENS1_27lower_bound_config_selectorIflEEZNS1_14transform_implILb0ES3_S5_N6thrust23THRUST_200600_302600_NS6detail15normal_iteratorINS8_7pointerIfNS8_11hip_rocprim16par_det_nosync_tENS8_11use_defaultESE_EEEENSA_INSB_IlSD_SE_SE_EEEEZNS1_13binary_searchIS3_S5_NSA_INS8_10device_ptrIfEEEESG_SI_NS1_21lower_bound_search_opENS9_16wrapped_functionINS8_6system6detail7generic6detail18binary_search_lessEbEEEE10hipError_tPvRmT1_T2_T3_mmT4_T5_P12ihipStream_tbEUlRKfE_EESV_SZ_S10_mS11_S14_bEUlT_E_NS1_11comp_targetILNS1_3genE0ELNS1_11target_archE4294967295ELNS1_3gpuE0ELNS1_3repE0EEENS1_30default_config_static_selectorELNS0_4arch9wavefront6targetE0EEEvSY_,comdat
	.protected	_ZN7rocprim17ROCPRIM_400000_NS6detail17trampoline_kernelINS0_14default_configENS1_27lower_bound_config_selectorIflEEZNS1_14transform_implILb0ES3_S5_N6thrust23THRUST_200600_302600_NS6detail15normal_iteratorINS8_7pointerIfNS8_11hip_rocprim16par_det_nosync_tENS8_11use_defaultESE_EEEENSA_INSB_IlSD_SE_SE_EEEEZNS1_13binary_searchIS3_S5_NSA_INS8_10device_ptrIfEEEESG_SI_NS1_21lower_bound_search_opENS9_16wrapped_functionINS8_6system6detail7generic6detail18binary_search_lessEbEEEE10hipError_tPvRmT1_T2_T3_mmT4_T5_P12ihipStream_tbEUlRKfE_EESV_SZ_S10_mS11_S14_bEUlT_E_NS1_11comp_targetILNS1_3genE0ELNS1_11target_archE4294967295ELNS1_3gpuE0ELNS1_3repE0EEENS1_30default_config_static_selectorELNS0_4arch9wavefront6targetE0EEEvSY_ ; -- Begin function _ZN7rocprim17ROCPRIM_400000_NS6detail17trampoline_kernelINS0_14default_configENS1_27lower_bound_config_selectorIflEEZNS1_14transform_implILb0ES3_S5_N6thrust23THRUST_200600_302600_NS6detail15normal_iteratorINS8_7pointerIfNS8_11hip_rocprim16par_det_nosync_tENS8_11use_defaultESE_EEEENSA_INSB_IlSD_SE_SE_EEEEZNS1_13binary_searchIS3_S5_NSA_INS8_10device_ptrIfEEEESG_SI_NS1_21lower_bound_search_opENS9_16wrapped_functionINS8_6system6detail7generic6detail18binary_search_lessEbEEEE10hipError_tPvRmT1_T2_T3_mmT4_T5_P12ihipStream_tbEUlRKfE_EESV_SZ_S10_mS11_S14_bEUlT_E_NS1_11comp_targetILNS1_3genE0ELNS1_11target_archE4294967295ELNS1_3gpuE0ELNS1_3repE0EEENS1_30default_config_static_selectorELNS0_4arch9wavefront6targetE0EEEvSY_
	.globl	_ZN7rocprim17ROCPRIM_400000_NS6detail17trampoline_kernelINS0_14default_configENS1_27lower_bound_config_selectorIflEEZNS1_14transform_implILb0ES3_S5_N6thrust23THRUST_200600_302600_NS6detail15normal_iteratorINS8_7pointerIfNS8_11hip_rocprim16par_det_nosync_tENS8_11use_defaultESE_EEEENSA_INSB_IlSD_SE_SE_EEEEZNS1_13binary_searchIS3_S5_NSA_INS8_10device_ptrIfEEEESG_SI_NS1_21lower_bound_search_opENS9_16wrapped_functionINS8_6system6detail7generic6detail18binary_search_lessEbEEEE10hipError_tPvRmT1_T2_T3_mmT4_T5_P12ihipStream_tbEUlRKfE_EESV_SZ_S10_mS11_S14_bEUlT_E_NS1_11comp_targetILNS1_3genE0ELNS1_11target_archE4294967295ELNS1_3gpuE0ELNS1_3repE0EEENS1_30default_config_static_selectorELNS0_4arch9wavefront6targetE0EEEvSY_
	.p2align	8
	.type	_ZN7rocprim17ROCPRIM_400000_NS6detail17trampoline_kernelINS0_14default_configENS1_27lower_bound_config_selectorIflEEZNS1_14transform_implILb0ES3_S5_N6thrust23THRUST_200600_302600_NS6detail15normal_iteratorINS8_7pointerIfNS8_11hip_rocprim16par_det_nosync_tENS8_11use_defaultESE_EEEENSA_INSB_IlSD_SE_SE_EEEEZNS1_13binary_searchIS3_S5_NSA_INS8_10device_ptrIfEEEESG_SI_NS1_21lower_bound_search_opENS9_16wrapped_functionINS8_6system6detail7generic6detail18binary_search_lessEbEEEE10hipError_tPvRmT1_T2_T3_mmT4_T5_P12ihipStream_tbEUlRKfE_EESV_SZ_S10_mS11_S14_bEUlT_E_NS1_11comp_targetILNS1_3genE0ELNS1_11target_archE4294967295ELNS1_3gpuE0ELNS1_3repE0EEENS1_30default_config_static_selectorELNS0_4arch9wavefront6targetE0EEEvSY_,@function
_ZN7rocprim17ROCPRIM_400000_NS6detail17trampoline_kernelINS0_14default_configENS1_27lower_bound_config_selectorIflEEZNS1_14transform_implILb0ES3_S5_N6thrust23THRUST_200600_302600_NS6detail15normal_iteratorINS8_7pointerIfNS8_11hip_rocprim16par_det_nosync_tENS8_11use_defaultESE_EEEENSA_INSB_IlSD_SE_SE_EEEEZNS1_13binary_searchIS3_S5_NSA_INS8_10device_ptrIfEEEESG_SI_NS1_21lower_bound_search_opENS9_16wrapped_functionINS8_6system6detail7generic6detail18binary_search_lessEbEEEE10hipError_tPvRmT1_T2_T3_mmT4_T5_P12ihipStream_tbEUlRKfE_EESV_SZ_S10_mS11_S14_bEUlT_E_NS1_11comp_targetILNS1_3genE0ELNS1_11target_archE4294967295ELNS1_3gpuE0ELNS1_3repE0EEENS1_30default_config_static_selectorELNS0_4arch9wavefront6targetE0EEEvSY_: ; @_ZN7rocprim17ROCPRIM_400000_NS6detail17trampoline_kernelINS0_14default_configENS1_27lower_bound_config_selectorIflEEZNS1_14transform_implILb0ES3_S5_N6thrust23THRUST_200600_302600_NS6detail15normal_iteratorINS8_7pointerIfNS8_11hip_rocprim16par_det_nosync_tENS8_11use_defaultESE_EEEENSA_INSB_IlSD_SE_SE_EEEEZNS1_13binary_searchIS3_S5_NSA_INS8_10device_ptrIfEEEESG_SI_NS1_21lower_bound_search_opENS9_16wrapped_functionINS8_6system6detail7generic6detail18binary_search_lessEbEEEE10hipError_tPvRmT1_T2_T3_mmT4_T5_P12ihipStream_tbEUlRKfE_EESV_SZ_S10_mS11_S14_bEUlT_E_NS1_11comp_targetILNS1_3genE0ELNS1_11target_archE4294967295ELNS1_3gpuE0ELNS1_3repE0EEENS1_30default_config_static_selectorELNS0_4arch9wavefront6targetE0EEEvSY_
; %bb.0:
	.section	.rodata,"a",@progbits
	.p2align	6, 0x0
	.amdhsa_kernel _ZN7rocprim17ROCPRIM_400000_NS6detail17trampoline_kernelINS0_14default_configENS1_27lower_bound_config_selectorIflEEZNS1_14transform_implILb0ES3_S5_N6thrust23THRUST_200600_302600_NS6detail15normal_iteratorINS8_7pointerIfNS8_11hip_rocprim16par_det_nosync_tENS8_11use_defaultESE_EEEENSA_INSB_IlSD_SE_SE_EEEEZNS1_13binary_searchIS3_S5_NSA_INS8_10device_ptrIfEEEESG_SI_NS1_21lower_bound_search_opENS9_16wrapped_functionINS8_6system6detail7generic6detail18binary_search_lessEbEEEE10hipError_tPvRmT1_T2_T3_mmT4_T5_P12ihipStream_tbEUlRKfE_EESV_SZ_S10_mS11_S14_bEUlT_E_NS1_11comp_targetILNS1_3genE0ELNS1_11target_archE4294967295ELNS1_3gpuE0ELNS1_3repE0EEENS1_30default_config_static_selectorELNS0_4arch9wavefront6targetE0EEEvSY_
		.amdhsa_group_segment_fixed_size 0
		.amdhsa_private_segment_fixed_size 0
		.amdhsa_kernarg_size 56
		.amdhsa_user_sgpr_count 6
		.amdhsa_user_sgpr_private_segment_buffer 1
		.amdhsa_user_sgpr_dispatch_ptr 0
		.amdhsa_user_sgpr_queue_ptr 0
		.amdhsa_user_sgpr_kernarg_segment_ptr 1
		.amdhsa_user_sgpr_dispatch_id 0
		.amdhsa_user_sgpr_flat_scratch_init 0
		.amdhsa_user_sgpr_private_segment_size 0
		.amdhsa_wavefront_size32 1
		.amdhsa_uses_dynamic_stack 0
		.amdhsa_system_sgpr_private_segment_wavefront_offset 0
		.amdhsa_system_sgpr_workgroup_id_x 1
		.amdhsa_system_sgpr_workgroup_id_y 0
		.amdhsa_system_sgpr_workgroup_id_z 0
		.amdhsa_system_sgpr_workgroup_info 0
		.amdhsa_system_vgpr_workitem_id 0
		.amdhsa_next_free_vgpr 1
		.amdhsa_next_free_sgpr 1
		.amdhsa_reserve_vcc 0
		.amdhsa_reserve_flat_scratch 0
		.amdhsa_float_round_mode_32 0
		.amdhsa_float_round_mode_16_64 0
		.amdhsa_float_denorm_mode_32 3
		.amdhsa_float_denorm_mode_16_64 3
		.amdhsa_dx10_clamp 1
		.amdhsa_ieee_mode 1
		.amdhsa_fp16_overflow 0
		.amdhsa_workgroup_processor_mode 1
		.amdhsa_memory_ordered 1
		.amdhsa_forward_progress 1
		.amdhsa_shared_vgpr_count 0
		.amdhsa_exception_fp_ieee_invalid_op 0
		.amdhsa_exception_fp_denorm_src 0
		.amdhsa_exception_fp_ieee_div_zero 0
		.amdhsa_exception_fp_ieee_overflow 0
		.amdhsa_exception_fp_ieee_underflow 0
		.amdhsa_exception_fp_ieee_inexact 0
		.amdhsa_exception_int_div_zero 0
	.end_amdhsa_kernel
	.section	.text._ZN7rocprim17ROCPRIM_400000_NS6detail17trampoline_kernelINS0_14default_configENS1_27lower_bound_config_selectorIflEEZNS1_14transform_implILb0ES3_S5_N6thrust23THRUST_200600_302600_NS6detail15normal_iteratorINS8_7pointerIfNS8_11hip_rocprim16par_det_nosync_tENS8_11use_defaultESE_EEEENSA_INSB_IlSD_SE_SE_EEEEZNS1_13binary_searchIS3_S5_NSA_INS8_10device_ptrIfEEEESG_SI_NS1_21lower_bound_search_opENS9_16wrapped_functionINS8_6system6detail7generic6detail18binary_search_lessEbEEEE10hipError_tPvRmT1_T2_T3_mmT4_T5_P12ihipStream_tbEUlRKfE_EESV_SZ_S10_mS11_S14_bEUlT_E_NS1_11comp_targetILNS1_3genE0ELNS1_11target_archE4294967295ELNS1_3gpuE0ELNS1_3repE0EEENS1_30default_config_static_selectorELNS0_4arch9wavefront6targetE0EEEvSY_,"axG",@progbits,_ZN7rocprim17ROCPRIM_400000_NS6detail17trampoline_kernelINS0_14default_configENS1_27lower_bound_config_selectorIflEEZNS1_14transform_implILb0ES3_S5_N6thrust23THRUST_200600_302600_NS6detail15normal_iteratorINS8_7pointerIfNS8_11hip_rocprim16par_det_nosync_tENS8_11use_defaultESE_EEEENSA_INSB_IlSD_SE_SE_EEEEZNS1_13binary_searchIS3_S5_NSA_INS8_10device_ptrIfEEEESG_SI_NS1_21lower_bound_search_opENS9_16wrapped_functionINS8_6system6detail7generic6detail18binary_search_lessEbEEEE10hipError_tPvRmT1_T2_T3_mmT4_T5_P12ihipStream_tbEUlRKfE_EESV_SZ_S10_mS11_S14_bEUlT_E_NS1_11comp_targetILNS1_3genE0ELNS1_11target_archE4294967295ELNS1_3gpuE0ELNS1_3repE0EEENS1_30default_config_static_selectorELNS0_4arch9wavefront6targetE0EEEvSY_,comdat
.Lfunc_end331:
	.size	_ZN7rocprim17ROCPRIM_400000_NS6detail17trampoline_kernelINS0_14default_configENS1_27lower_bound_config_selectorIflEEZNS1_14transform_implILb0ES3_S5_N6thrust23THRUST_200600_302600_NS6detail15normal_iteratorINS8_7pointerIfNS8_11hip_rocprim16par_det_nosync_tENS8_11use_defaultESE_EEEENSA_INSB_IlSD_SE_SE_EEEEZNS1_13binary_searchIS3_S5_NSA_INS8_10device_ptrIfEEEESG_SI_NS1_21lower_bound_search_opENS9_16wrapped_functionINS8_6system6detail7generic6detail18binary_search_lessEbEEEE10hipError_tPvRmT1_T2_T3_mmT4_T5_P12ihipStream_tbEUlRKfE_EESV_SZ_S10_mS11_S14_bEUlT_E_NS1_11comp_targetILNS1_3genE0ELNS1_11target_archE4294967295ELNS1_3gpuE0ELNS1_3repE0EEENS1_30default_config_static_selectorELNS0_4arch9wavefront6targetE0EEEvSY_, .Lfunc_end331-_ZN7rocprim17ROCPRIM_400000_NS6detail17trampoline_kernelINS0_14default_configENS1_27lower_bound_config_selectorIflEEZNS1_14transform_implILb0ES3_S5_N6thrust23THRUST_200600_302600_NS6detail15normal_iteratorINS8_7pointerIfNS8_11hip_rocprim16par_det_nosync_tENS8_11use_defaultESE_EEEENSA_INSB_IlSD_SE_SE_EEEEZNS1_13binary_searchIS3_S5_NSA_INS8_10device_ptrIfEEEESG_SI_NS1_21lower_bound_search_opENS9_16wrapped_functionINS8_6system6detail7generic6detail18binary_search_lessEbEEEE10hipError_tPvRmT1_T2_T3_mmT4_T5_P12ihipStream_tbEUlRKfE_EESV_SZ_S10_mS11_S14_bEUlT_E_NS1_11comp_targetILNS1_3genE0ELNS1_11target_archE4294967295ELNS1_3gpuE0ELNS1_3repE0EEENS1_30default_config_static_selectorELNS0_4arch9wavefront6targetE0EEEvSY_
                                        ; -- End function
	.set _ZN7rocprim17ROCPRIM_400000_NS6detail17trampoline_kernelINS0_14default_configENS1_27lower_bound_config_selectorIflEEZNS1_14transform_implILb0ES3_S5_N6thrust23THRUST_200600_302600_NS6detail15normal_iteratorINS8_7pointerIfNS8_11hip_rocprim16par_det_nosync_tENS8_11use_defaultESE_EEEENSA_INSB_IlSD_SE_SE_EEEEZNS1_13binary_searchIS3_S5_NSA_INS8_10device_ptrIfEEEESG_SI_NS1_21lower_bound_search_opENS9_16wrapped_functionINS8_6system6detail7generic6detail18binary_search_lessEbEEEE10hipError_tPvRmT1_T2_T3_mmT4_T5_P12ihipStream_tbEUlRKfE_EESV_SZ_S10_mS11_S14_bEUlT_E_NS1_11comp_targetILNS1_3genE0ELNS1_11target_archE4294967295ELNS1_3gpuE0ELNS1_3repE0EEENS1_30default_config_static_selectorELNS0_4arch9wavefront6targetE0EEEvSY_.num_vgpr, 0
	.set _ZN7rocprim17ROCPRIM_400000_NS6detail17trampoline_kernelINS0_14default_configENS1_27lower_bound_config_selectorIflEEZNS1_14transform_implILb0ES3_S5_N6thrust23THRUST_200600_302600_NS6detail15normal_iteratorINS8_7pointerIfNS8_11hip_rocprim16par_det_nosync_tENS8_11use_defaultESE_EEEENSA_INSB_IlSD_SE_SE_EEEEZNS1_13binary_searchIS3_S5_NSA_INS8_10device_ptrIfEEEESG_SI_NS1_21lower_bound_search_opENS9_16wrapped_functionINS8_6system6detail7generic6detail18binary_search_lessEbEEEE10hipError_tPvRmT1_T2_T3_mmT4_T5_P12ihipStream_tbEUlRKfE_EESV_SZ_S10_mS11_S14_bEUlT_E_NS1_11comp_targetILNS1_3genE0ELNS1_11target_archE4294967295ELNS1_3gpuE0ELNS1_3repE0EEENS1_30default_config_static_selectorELNS0_4arch9wavefront6targetE0EEEvSY_.num_agpr, 0
	.set _ZN7rocprim17ROCPRIM_400000_NS6detail17trampoline_kernelINS0_14default_configENS1_27lower_bound_config_selectorIflEEZNS1_14transform_implILb0ES3_S5_N6thrust23THRUST_200600_302600_NS6detail15normal_iteratorINS8_7pointerIfNS8_11hip_rocprim16par_det_nosync_tENS8_11use_defaultESE_EEEENSA_INSB_IlSD_SE_SE_EEEEZNS1_13binary_searchIS3_S5_NSA_INS8_10device_ptrIfEEEESG_SI_NS1_21lower_bound_search_opENS9_16wrapped_functionINS8_6system6detail7generic6detail18binary_search_lessEbEEEE10hipError_tPvRmT1_T2_T3_mmT4_T5_P12ihipStream_tbEUlRKfE_EESV_SZ_S10_mS11_S14_bEUlT_E_NS1_11comp_targetILNS1_3genE0ELNS1_11target_archE4294967295ELNS1_3gpuE0ELNS1_3repE0EEENS1_30default_config_static_selectorELNS0_4arch9wavefront6targetE0EEEvSY_.numbered_sgpr, 0
	.set _ZN7rocprim17ROCPRIM_400000_NS6detail17trampoline_kernelINS0_14default_configENS1_27lower_bound_config_selectorIflEEZNS1_14transform_implILb0ES3_S5_N6thrust23THRUST_200600_302600_NS6detail15normal_iteratorINS8_7pointerIfNS8_11hip_rocprim16par_det_nosync_tENS8_11use_defaultESE_EEEENSA_INSB_IlSD_SE_SE_EEEEZNS1_13binary_searchIS3_S5_NSA_INS8_10device_ptrIfEEEESG_SI_NS1_21lower_bound_search_opENS9_16wrapped_functionINS8_6system6detail7generic6detail18binary_search_lessEbEEEE10hipError_tPvRmT1_T2_T3_mmT4_T5_P12ihipStream_tbEUlRKfE_EESV_SZ_S10_mS11_S14_bEUlT_E_NS1_11comp_targetILNS1_3genE0ELNS1_11target_archE4294967295ELNS1_3gpuE0ELNS1_3repE0EEENS1_30default_config_static_selectorELNS0_4arch9wavefront6targetE0EEEvSY_.num_named_barrier, 0
	.set _ZN7rocprim17ROCPRIM_400000_NS6detail17trampoline_kernelINS0_14default_configENS1_27lower_bound_config_selectorIflEEZNS1_14transform_implILb0ES3_S5_N6thrust23THRUST_200600_302600_NS6detail15normal_iteratorINS8_7pointerIfNS8_11hip_rocprim16par_det_nosync_tENS8_11use_defaultESE_EEEENSA_INSB_IlSD_SE_SE_EEEEZNS1_13binary_searchIS3_S5_NSA_INS8_10device_ptrIfEEEESG_SI_NS1_21lower_bound_search_opENS9_16wrapped_functionINS8_6system6detail7generic6detail18binary_search_lessEbEEEE10hipError_tPvRmT1_T2_T3_mmT4_T5_P12ihipStream_tbEUlRKfE_EESV_SZ_S10_mS11_S14_bEUlT_E_NS1_11comp_targetILNS1_3genE0ELNS1_11target_archE4294967295ELNS1_3gpuE0ELNS1_3repE0EEENS1_30default_config_static_selectorELNS0_4arch9wavefront6targetE0EEEvSY_.private_seg_size, 0
	.set _ZN7rocprim17ROCPRIM_400000_NS6detail17trampoline_kernelINS0_14default_configENS1_27lower_bound_config_selectorIflEEZNS1_14transform_implILb0ES3_S5_N6thrust23THRUST_200600_302600_NS6detail15normal_iteratorINS8_7pointerIfNS8_11hip_rocprim16par_det_nosync_tENS8_11use_defaultESE_EEEENSA_INSB_IlSD_SE_SE_EEEEZNS1_13binary_searchIS3_S5_NSA_INS8_10device_ptrIfEEEESG_SI_NS1_21lower_bound_search_opENS9_16wrapped_functionINS8_6system6detail7generic6detail18binary_search_lessEbEEEE10hipError_tPvRmT1_T2_T3_mmT4_T5_P12ihipStream_tbEUlRKfE_EESV_SZ_S10_mS11_S14_bEUlT_E_NS1_11comp_targetILNS1_3genE0ELNS1_11target_archE4294967295ELNS1_3gpuE0ELNS1_3repE0EEENS1_30default_config_static_selectorELNS0_4arch9wavefront6targetE0EEEvSY_.uses_vcc, 0
	.set _ZN7rocprim17ROCPRIM_400000_NS6detail17trampoline_kernelINS0_14default_configENS1_27lower_bound_config_selectorIflEEZNS1_14transform_implILb0ES3_S5_N6thrust23THRUST_200600_302600_NS6detail15normal_iteratorINS8_7pointerIfNS8_11hip_rocprim16par_det_nosync_tENS8_11use_defaultESE_EEEENSA_INSB_IlSD_SE_SE_EEEEZNS1_13binary_searchIS3_S5_NSA_INS8_10device_ptrIfEEEESG_SI_NS1_21lower_bound_search_opENS9_16wrapped_functionINS8_6system6detail7generic6detail18binary_search_lessEbEEEE10hipError_tPvRmT1_T2_T3_mmT4_T5_P12ihipStream_tbEUlRKfE_EESV_SZ_S10_mS11_S14_bEUlT_E_NS1_11comp_targetILNS1_3genE0ELNS1_11target_archE4294967295ELNS1_3gpuE0ELNS1_3repE0EEENS1_30default_config_static_selectorELNS0_4arch9wavefront6targetE0EEEvSY_.uses_flat_scratch, 0
	.set _ZN7rocprim17ROCPRIM_400000_NS6detail17trampoline_kernelINS0_14default_configENS1_27lower_bound_config_selectorIflEEZNS1_14transform_implILb0ES3_S5_N6thrust23THRUST_200600_302600_NS6detail15normal_iteratorINS8_7pointerIfNS8_11hip_rocprim16par_det_nosync_tENS8_11use_defaultESE_EEEENSA_INSB_IlSD_SE_SE_EEEEZNS1_13binary_searchIS3_S5_NSA_INS8_10device_ptrIfEEEESG_SI_NS1_21lower_bound_search_opENS9_16wrapped_functionINS8_6system6detail7generic6detail18binary_search_lessEbEEEE10hipError_tPvRmT1_T2_T3_mmT4_T5_P12ihipStream_tbEUlRKfE_EESV_SZ_S10_mS11_S14_bEUlT_E_NS1_11comp_targetILNS1_3genE0ELNS1_11target_archE4294967295ELNS1_3gpuE0ELNS1_3repE0EEENS1_30default_config_static_selectorELNS0_4arch9wavefront6targetE0EEEvSY_.has_dyn_sized_stack, 0
	.set _ZN7rocprim17ROCPRIM_400000_NS6detail17trampoline_kernelINS0_14default_configENS1_27lower_bound_config_selectorIflEEZNS1_14transform_implILb0ES3_S5_N6thrust23THRUST_200600_302600_NS6detail15normal_iteratorINS8_7pointerIfNS8_11hip_rocprim16par_det_nosync_tENS8_11use_defaultESE_EEEENSA_INSB_IlSD_SE_SE_EEEEZNS1_13binary_searchIS3_S5_NSA_INS8_10device_ptrIfEEEESG_SI_NS1_21lower_bound_search_opENS9_16wrapped_functionINS8_6system6detail7generic6detail18binary_search_lessEbEEEE10hipError_tPvRmT1_T2_T3_mmT4_T5_P12ihipStream_tbEUlRKfE_EESV_SZ_S10_mS11_S14_bEUlT_E_NS1_11comp_targetILNS1_3genE0ELNS1_11target_archE4294967295ELNS1_3gpuE0ELNS1_3repE0EEENS1_30default_config_static_selectorELNS0_4arch9wavefront6targetE0EEEvSY_.has_recursion, 0
	.set _ZN7rocprim17ROCPRIM_400000_NS6detail17trampoline_kernelINS0_14default_configENS1_27lower_bound_config_selectorIflEEZNS1_14transform_implILb0ES3_S5_N6thrust23THRUST_200600_302600_NS6detail15normal_iteratorINS8_7pointerIfNS8_11hip_rocprim16par_det_nosync_tENS8_11use_defaultESE_EEEENSA_INSB_IlSD_SE_SE_EEEEZNS1_13binary_searchIS3_S5_NSA_INS8_10device_ptrIfEEEESG_SI_NS1_21lower_bound_search_opENS9_16wrapped_functionINS8_6system6detail7generic6detail18binary_search_lessEbEEEE10hipError_tPvRmT1_T2_T3_mmT4_T5_P12ihipStream_tbEUlRKfE_EESV_SZ_S10_mS11_S14_bEUlT_E_NS1_11comp_targetILNS1_3genE0ELNS1_11target_archE4294967295ELNS1_3gpuE0ELNS1_3repE0EEENS1_30default_config_static_selectorELNS0_4arch9wavefront6targetE0EEEvSY_.has_indirect_call, 0
	.section	.AMDGPU.csdata,"",@progbits
; Kernel info:
; codeLenInByte = 0
; TotalNumSgprs: 0
; NumVgprs: 0
; ScratchSize: 0
; MemoryBound: 0
; FloatMode: 240
; IeeeMode: 1
; LDSByteSize: 0 bytes/workgroup (compile time only)
; SGPRBlocks: 0
; VGPRBlocks: 0
; NumSGPRsForWavesPerEU: 1
; NumVGPRsForWavesPerEU: 1
; Occupancy: 16
; WaveLimiterHint : 0
; COMPUTE_PGM_RSRC2:SCRATCH_EN: 0
; COMPUTE_PGM_RSRC2:USER_SGPR: 6
; COMPUTE_PGM_RSRC2:TRAP_HANDLER: 0
; COMPUTE_PGM_RSRC2:TGID_X_EN: 1
; COMPUTE_PGM_RSRC2:TGID_Y_EN: 0
; COMPUTE_PGM_RSRC2:TGID_Z_EN: 0
; COMPUTE_PGM_RSRC2:TIDIG_COMP_CNT: 0
	.section	.text._ZN7rocprim17ROCPRIM_400000_NS6detail17trampoline_kernelINS0_14default_configENS1_27lower_bound_config_selectorIflEEZNS1_14transform_implILb0ES3_S5_N6thrust23THRUST_200600_302600_NS6detail15normal_iteratorINS8_7pointerIfNS8_11hip_rocprim16par_det_nosync_tENS8_11use_defaultESE_EEEENSA_INSB_IlSD_SE_SE_EEEEZNS1_13binary_searchIS3_S5_NSA_INS8_10device_ptrIfEEEESG_SI_NS1_21lower_bound_search_opENS9_16wrapped_functionINS8_6system6detail7generic6detail18binary_search_lessEbEEEE10hipError_tPvRmT1_T2_T3_mmT4_T5_P12ihipStream_tbEUlRKfE_EESV_SZ_S10_mS11_S14_bEUlT_E_NS1_11comp_targetILNS1_3genE5ELNS1_11target_archE942ELNS1_3gpuE9ELNS1_3repE0EEENS1_30default_config_static_selectorELNS0_4arch9wavefront6targetE0EEEvSY_,"axG",@progbits,_ZN7rocprim17ROCPRIM_400000_NS6detail17trampoline_kernelINS0_14default_configENS1_27lower_bound_config_selectorIflEEZNS1_14transform_implILb0ES3_S5_N6thrust23THRUST_200600_302600_NS6detail15normal_iteratorINS8_7pointerIfNS8_11hip_rocprim16par_det_nosync_tENS8_11use_defaultESE_EEEENSA_INSB_IlSD_SE_SE_EEEEZNS1_13binary_searchIS3_S5_NSA_INS8_10device_ptrIfEEEESG_SI_NS1_21lower_bound_search_opENS9_16wrapped_functionINS8_6system6detail7generic6detail18binary_search_lessEbEEEE10hipError_tPvRmT1_T2_T3_mmT4_T5_P12ihipStream_tbEUlRKfE_EESV_SZ_S10_mS11_S14_bEUlT_E_NS1_11comp_targetILNS1_3genE5ELNS1_11target_archE942ELNS1_3gpuE9ELNS1_3repE0EEENS1_30default_config_static_selectorELNS0_4arch9wavefront6targetE0EEEvSY_,comdat
	.protected	_ZN7rocprim17ROCPRIM_400000_NS6detail17trampoline_kernelINS0_14default_configENS1_27lower_bound_config_selectorIflEEZNS1_14transform_implILb0ES3_S5_N6thrust23THRUST_200600_302600_NS6detail15normal_iteratorINS8_7pointerIfNS8_11hip_rocprim16par_det_nosync_tENS8_11use_defaultESE_EEEENSA_INSB_IlSD_SE_SE_EEEEZNS1_13binary_searchIS3_S5_NSA_INS8_10device_ptrIfEEEESG_SI_NS1_21lower_bound_search_opENS9_16wrapped_functionINS8_6system6detail7generic6detail18binary_search_lessEbEEEE10hipError_tPvRmT1_T2_T3_mmT4_T5_P12ihipStream_tbEUlRKfE_EESV_SZ_S10_mS11_S14_bEUlT_E_NS1_11comp_targetILNS1_3genE5ELNS1_11target_archE942ELNS1_3gpuE9ELNS1_3repE0EEENS1_30default_config_static_selectorELNS0_4arch9wavefront6targetE0EEEvSY_ ; -- Begin function _ZN7rocprim17ROCPRIM_400000_NS6detail17trampoline_kernelINS0_14default_configENS1_27lower_bound_config_selectorIflEEZNS1_14transform_implILb0ES3_S5_N6thrust23THRUST_200600_302600_NS6detail15normal_iteratorINS8_7pointerIfNS8_11hip_rocprim16par_det_nosync_tENS8_11use_defaultESE_EEEENSA_INSB_IlSD_SE_SE_EEEEZNS1_13binary_searchIS3_S5_NSA_INS8_10device_ptrIfEEEESG_SI_NS1_21lower_bound_search_opENS9_16wrapped_functionINS8_6system6detail7generic6detail18binary_search_lessEbEEEE10hipError_tPvRmT1_T2_T3_mmT4_T5_P12ihipStream_tbEUlRKfE_EESV_SZ_S10_mS11_S14_bEUlT_E_NS1_11comp_targetILNS1_3genE5ELNS1_11target_archE942ELNS1_3gpuE9ELNS1_3repE0EEENS1_30default_config_static_selectorELNS0_4arch9wavefront6targetE0EEEvSY_
	.globl	_ZN7rocprim17ROCPRIM_400000_NS6detail17trampoline_kernelINS0_14default_configENS1_27lower_bound_config_selectorIflEEZNS1_14transform_implILb0ES3_S5_N6thrust23THRUST_200600_302600_NS6detail15normal_iteratorINS8_7pointerIfNS8_11hip_rocprim16par_det_nosync_tENS8_11use_defaultESE_EEEENSA_INSB_IlSD_SE_SE_EEEEZNS1_13binary_searchIS3_S5_NSA_INS8_10device_ptrIfEEEESG_SI_NS1_21lower_bound_search_opENS9_16wrapped_functionINS8_6system6detail7generic6detail18binary_search_lessEbEEEE10hipError_tPvRmT1_T2_T3_mmT4_T5_P12ihipStream_tbEUlRKfE_EESV_SZ_S10_mS11_S14_bEUlT_E_NS1_11comp_targetILNS1_3genE5ELNS1_11target_archE942ELNS1_3gpuE9ELNS1_3repE0EEENS1_30default_config_static_selectorELNS0_4arch9wavefront6targetE0EEEvSY_
	.p2align	8
	.type	_ZN7rocprim17ROCPRIM_400000_NS6detail17trampoline_kernelINS0_14default_configENS1_27lower_bound_config_selectorIflEEZNS1_14transform_implILb0ES3_S5_N6thrust23THRUST_200600_302600_NS6detail15normal_iteratorINS8_7pointerIfNS8_11hip_rocprim16par_det_nosync_tENS8_11use_defaultESE_EEEENSA_INSB_IlSD_SE_SE_EEEEZNS1_13binary_searchIS3_S5_NSA_INS8_10device_ptrIfEEEESG_SI_NS1_21lower_bound_search_opENS9_16wrapped_functionINS8_6system6detail7generic6detail18binary_search_lessEbEEEE10hipError_tPvRmT1_T2_T3_mmT4_T5_P12ihipStream_tbEUlRKfE_EESV_SZ_S10_mS11_S14_bEUlT_E_NS1_11comp_targetILNS1_3genE5ELNS1_11target_archE942ELNS1_3gpuE9ELNS1_3repE0EEENS1_30default_config_static_selectorELNS0_4arch9wavefront6targetE0EEEvSY_,@function
_ZN7rocprim17ROCPRIM_400000_NS6detail17trampoline_kernelINS0_14default_configENS1_27lower_bound_config_selectorIflEEZNS1_14transform_implILb0ES3_S5_N6thrust23THRUST_200600_302600_NS6detail15normal_iteratorINS8_7pointerIfNS8_11hip_rocprim16par_det_nosync_tENS8_11use_defaultESE_EEEENSA_INSB_IlSD_SE_SE_EEEEZNS1_13binary_searchIS3_S5_NSA_INS8_10device_ptrIfEEEESG_SI_NS1_21lower_bound_search_opENS9_16wrapped_functionINS8_6system6detail7generic6detail18binary_search_lessEbEEEE10hipError_tPvRmT1_T2_T3_mmT4_T5_P12ihipStream_tbEUlRKfE_EESV_SZ_S10_mS11_S14_bEUlT_E_NS1_11comp_targetILNS1_3genE5ELNS1_11target_archE942ELNS1_3gpuE9ELNS1_3repE0EEENS1_30default_config_static_selectorELNS0_4arch9wavefront6targetE0EEEvSY_: ; @_ZN7rocprim17ROCPRIM_400000_NS6detail17trampoline_kernelINS0_14default_configENS1_27lower_bound_config_selectorIflEEZNS1_14transform_implILb0ES3_S5_N6thrust23THRUST_200600_302600_NS6detail15normal_iteratorINS8_7pointerIfNS8_11hip_rocprim16par_det_nosync_tENS8_11use_defaultESE_EEEENSA_INSB_IlSD_SE_SE_EEEEZNS1_13binary_searchIS3_S5_NSA_INS8_10device_ptrIfEEEESG_SI_NS1_21lower_bound_search_opENS9_16wrapped_functionINS8_6system6detail7generic6detail18binary_search_lessEbEEEE10hipError_tPvRmT1_T2_T3_mmT4_T5_P12ihipStream_tbEUlRKfE_EESV_SZ_S10_mS11_S14_bEUlT_E_NS1_11comp_targetILNS1_3genE5ELNS1_11target_archE942ELNS1_3gpuE9ELNS1_3repE0EEENS1_30default_config_static_selectorELNS0_4arch9wavefront6targetE0EEEvSY_
; %bb.0:
	.section	.rodata,"a",@progbits
	.p2align	6, 0x0
	.amdhsa_kernel _ZN7rocprim17ROCPRIM_400000_NS6detail17trampoline_kernelINS0_14default_configENS1_27lower_bound_config_selectorIflEEZNS1_14transform_implILb0ES3_S5_N6thrust23THRUST_200600_302600_NS6detail15normal_iteratorINS8_7pointerIfNS8_11hip_rocprim16par_det_nosync_tENS8_11use_defaultESE_EEEENSA_INSB_IlSD_SE_SE_EEEEZNS1_13binary_searchIS3_S5_NSA_INS8_10device_ptrIfEEEESG_SI_NS1_21lower_bound_search_opENS9_16wrapped_functionINS8_6system6detail7generic6detail18binary_search_lessEbEEEE10hipError_tPvRmT1_T2_T3_mmT4_T5_P12ihipStream_tbEUlRKfE_EESV_SZ_S10_mS11_S14_bEUlT_E_NS1_11comp_targetILNS1_3genE5ELNS1_11target_archE942ELNS1_3gpuE9ELNS1_3repE0EEENS1_30default_config_static_selectorELNS0_4arch9wavefront6targetE0EEEvSY_
		.amdhsa_group_segment_fixed_size 0
		.amdhsa_private_segment_fixed_size 0
		.amdhsa_kernarg_size 56
		.amdhsa_user_sgpr_count 6
		.amdhsa_user_sgpr_private_segment_buffer 1
		.amdhsa_user_sgpr_dispatch_ptr 0
		.amdhsa_user_sgpr_queue_ptr 0
		.amdhsa_user_sgpr_kernarg_segment_ptr 1
		.amdhsa_user_sgpr_dispatch_id 0
		.amdhsa_user_sgpr_flat_scratch_init 0
		.amdhsa_user_sgpr_private_segment_size 0
		.amdhsa_wavefront_size32 1
		.amdhsa_uses_dynamic_stack 0
		.amdhsa_system_sgpr_private_segment_wavefront_offset 0
		.amdhsa_system_sgpr_workgroup_id_x 1
		.amdhsa_system_sgpr_workgroup_id_y 0
		.amdhsa_system_sgpr_workgroup_id_z 0
		.amdhsa_system_sgpr_workgroup_info 0
		.amdhsa_system_vgpr_workitem_id 0
		.amdhsa_next_free_vgpr 1
		.amdhsa_next_free_sgpr 1
		.amdhsa_reserve_vcc 0
		.amdhsa_reserve_flat_scratch 0
		.amdhsa_float_round_mode_32 0
		.amdhsa_float_round_mode_16_64 0
		.amdhsa_float_denorm_mode_32 3
		.amdhsa_float_denorm_mode_16_64 3
		.amdhsa_dx10_clamp 1
		.amdhsa_ieee_mode 1
		.amdhsa_fp16_overflow 0
		.amdhsa_workgroup_processor_mode 1
		.amdhsa_memory_ordered 1
		.amdhsa_forward_progress 1
		.amdhsa_shared_vgpr_count 0
		.amdhsa_exception_fp_ieee_invalid_op 0
		.amdhsa_exception_fp_denorm_src 0
		.amdhsa_exception_fp_ieee_div_zero 0
		.amdhsa_exception_fp_ieee_overflow 0
		.amdhsa_exception_fp_ieee_underflow 0
		.amdhsa_exception_fp_ieee_inexact 0
		.amdhsa_exception_int_div_zero 0
	.end_amdhsa_kernel
	.section	.text._ZN7rocprim17ROCPRIM_400000_NS6detail17trampoline_kernelINS0_14default_configENS1_27lower_bound_config_selectorIflEEZNS1_14transform_implILb0ES3_S5_N6thrust23THRUST_200600_302600_NS6detail15normal_iteratorINS8_7pointerIfNS8_11hip_rocprim16par_det_nosync_tENS8_11use_defaultESE_EEEENSA_INSB_IlSD_SE_SE_EEEEZNS1_13binary_searchIS3_S5_NSA_INS8_10device_ptrIfEEEESG_SI_NS1_21lower_bound_search_opENS9_16wrapped_functionINS8_6system6detail7generic6detail18binary_search_lessEbEEEE10hipError_tPvRmT1_T2_T3_mmT4_T5_P12ihipStream_tbEUlRKfE_EESV_SZ_S10_mS11_S14_bEUlT_E_NS1_11comp_targetILNS1_3genE5ELNS1_11target_archE942ELNS1_3gpuE9ELNS1_3repE0EEENS1_30default_config_static_selectorELNS0_4arch9wavefront6targetE0EEEvSY_,"axG",@progbits,_ZN7rocprim17ROCPRIM_400000_NS6detail17trampoline_kernelINS0_14default_configENS1_27lower_bound_config_selectorIflEEZNS1_14transform_implILb0ES3_S5_N6thrust23THRUST_200600_302600_NS6detail15normal_iteratorINS8_7pointerIfNS8_11hip_rocprim16par_det_nosync_tENS8_11use_defaultESE_EEEENSA_INSB_IlSD_SE_SE_EEEEZNS1_13binary_searchIS3_S5_NSA_INS8_10device_ptrIfEEEESG_SI_NS1_21lower_bound_search_opENS9_16wrapped_functionINS8_6system6detail7generic6detail18binary_search_lessEbEEEE10hipError_tPvRmT1_T2_T3_mmT4_T5_P12ihipStream_tbEUlRKfE_EESV_SZ_S10_mS11_S14_bEUlT_E_NS1_11comp_targetILNS1_3genE5ELNS1_11target_archE942ELNS1_3gpuE9ELNS1_3repE0EEENS1_30default_config_static_selectorELNS0_4arch9wavefront6targetE0EEEvSY_,comdat
.Lfunc_end332:
	.size	_ZN7rocprim17ROCPRIM_400000_NS6detail17trampoline_kernelINS0_14default_configENS1_27lower_bound_config_selectorIflEEZNS1_14transform_implILb0ES3_S5_N6thrust23THRUST_200600_302600_NS6detail15normal_iteratorINS8_7pointerIfNS8_11hip_rocprim16par_det_nosync_tENS8_11use_defaultESE_EEEENSA_INSB_IlSD_SE_SE_EEEEZNS1_13binary_searchIS3_S5_NSA_INS8_10device_ptrIfEEEESG_SI_NS1_21lower_bound_search_opENS9_16wrapped_functionINS8_6system6detail7generic6detail18binary_search_lessEbEEEE10hipError_tPvRmT1_T2_T3_mmT4_T5_P12ihipStream_tbEUlRKfE_EESV_SZ_S10_mS11_S14_bEUlT_E_NS1_11comp_targetILNS1_3genE5ELNS1_11target_archE942ELNS1_3gpuE9ELNS1_3repE0EEENS1_30default_config_static_selectorELNS0_4arch9wavefront6targetE0EEEvSY_, .Lfunc_end332-_ZN7rocprim17ROCPRIM_400000_NS6detail17trampoline_kernelINS0_14default_configENS1_27lower_bound_config_selectorIflEEZNS1_14transform_implILb0ES3_S5_N6thrust23THRUST_200600_302600_NS6detail15normal_iteratorINS8_7pointerIfNS8_11hip_rocprim16par_det_nosync_tENS8_11use_defaultESE_EEEENSA_INSB_IlSD_SE_SE_EEEEZNS1_13binary_searchIS3_S5_NSA_INS8_10device_ptrIfEEEESG_SI_NS1_21lower_bound_search_opENS9_16wrapped_functionINS8_6system6detail7generic6detail18binary_search_lessEbEEEE10hipError_tPvRmT1_T2_T3_mmT4_T5_P12ihipStream_tbEUlRKfE_EESV_SZ_S10_mS11_S14_bEUlT_E_NS1_11comp_targetILNS1_3genE5ELNS1_11target_archE942ELNS1_3gpuE9ELNS1_3repE0EEENS1_30default_config_static_selectorELNS0_4arch9wavefront6targetE0EEEvSY_
                                        ; -- End function
	.set _ZN7rocprim17ROCPRIM_400000_NS6detail17trampoline_kernelINS0_14default_configENS1_27lower_bound_config_selectorIflEEZNS1_14transform_implILb0ES3_S5_N6thrust23THRUST_200600_302600_NS6detail15normal_iteratorINS8_7pointerIfNS8_11hip_rocprim16par_det_nosync_tENS8_11use_defaultESE_EEEENSA_INSB_IlSD_SE_SE_EEEEZNS1_13binary_searchIS3_S5_NSA_INS8_10device_ptrIfEEEESG_SI_NS1_21lower_bound_search_opENS9_16wrapped_functionINS8_6system6detail7generic6detail18binary_search_lessEbEEEE10hipError_tPvRmT1_T2_T3_mmT4_T5_P12ihipStream_tbEUlRKfE_EESV_SZ_S10_mS11_S14_bEUlT_E_NS1_11comp_targetILNS1_3genE5ELNS1_11target_archE942ELNS1_3gpuE9ELNS1_3repE0EEENS1_30default_config_static_selectorELNS0_4arch9wavefront6targetE0EEEvSY_.num_vgpr, 0
	.set _ZN7rocprim17ROCPRIM_400000_NS6detail17trampoline_kernelINS0_14default_configENS1_27lower_bound_config_selectorIflEEZNS1_14transform_implILb0ES3_S5_N6thrust23THRUST_200600_302600_NS6detail15normal_iteratorINS8_7pointerIfNS8_11hip_rocprim16par_det_nosync_tENS8_11use_defaultESE_EEEENSA_INSB_IlSD_SE_SE_EEEEZNS1_13binary_searchIS3_S5_NSA_INS8_10device_ptrIfEEEESG_SI_NS1_21lower_bound_search_opENS9_16wrapped_functionINS8_6system6detail7generic6detail18binary_search_lessEbEEEE10hipError_tPvRmT1_T2_T3_mmT4_T5_P12ihipStream_tbEUlRKfE_EESV_SZ_S10_mS11_S14_bEUlT_E_NS1_11comp_targetILNS1_3genE5ELNS1_11target_archE942ELNS1_3gpuE9ELNS1_3repE0EEENS1_30default_config_static_selectorELNS0_4arch9wavefront6targetE0EEEvSY_.num_agpr, 0
	.set _ZN7rocprim17ROCPRIM_400000_NS6detail17trampoline_kernelINS0_14default_configENS1_27lower_bound_config_selectorIflEEZNS1_14transform_implILb0ES3_S5_N6thrust23THRUST_200600_302600_NS6detail15normal_iteratorINS8_7pointerIfNS8_11hip_rocprim16par_det_nosync_tENS8_11use_defaultESE_EEEENSA_INSB_IlSD_SE_SE_EEEEZNS1_13binary_searchIS3_S5_NSA_INS8_10device_ptrIfEEEESG_SI_NS1_21lower_bound_search_opENS9_16wrapped_functionINS8_6system6detail7generic6detail18binary_search_lessEbEEEE10hipError_tPvRmT1_T2_T3_mmT4_T5_P12ihipStream_tbEUlRKfE_EESV_SZ_S10_mS11_S14_bEUlT_E_NS1_11comp_targetILNS1_3genE5ELNS1_11target_archE942ELNS1_3gpuE9ELNS1_3repE0EEENS1_30default_config_static_selectorELNS0_4arch9wavefront6targetE0EEEvSY_.numbered_sgpr, 0
	.set _ZN7rocprim17ROCPRIM_400000_NS6detail17trampoline_kernelINS0_14default_configENS1_27lower_bound_config_selectorIflEEZNS1_14transform_implILb0ES3_S5_N6thrust23THRUST_200600_302600_NS6detail15normal_iteratorINS8_7pointerIfNS8_11hip_rocprim16par_det_nosync_tENS8_11use_defaultESE_EEEENSA_INSB_IlSD_SE_SE_EEEEZNS1_13binary_searchIS3_S5_NSA_INS8_10device_ptrIfEEEESG_SI_NS1_21lower_bound_search_opENS9_16wrapped_functionINS8_6system6detail7generic6detail18binary_search_lessEbEEEE10hipError_tPvRmT1_T2_T3_mmT4_T5_P12ihipStream_tbEUlRKfE_EESV_SZ_S10_mS11_S14_bEUlT_E_NS1_11comp_targetILNS1_3genE5ELNS1_11target_archE942ELNS1_3gpuE9ELNS1_3repE0EEENS1_30default_config_static_selectorELNS0_4arch9wavefront6targetE0EEEvSY_.num_named_barrier, 0
	.set _ZN7rocprim17ROCPRIM_400000_NS6detail17trampoline_kernelINS0_14default_configENS1_27lower_bound_config_selectorIflEEZNS1_14transform_implILb0ES3_S5_N6thrust23THRUST_200600_302600_NS6detail15normal_iteratorINS8_7pointerIfNS8_11hip_rocprim16par_det_nosync_tENS8_11use_defaultESE_EEEENSA_INSB_IlSD_SE_SE_EEEEZNS1_13binary_searchIS3_S5_NSA_INS8_10device_ptrIfEEEESG_SI_NS1_21lower_bound_search_opENS9_16wrapped_functionINS8_6system6detail7generic6detail18binary_search_lessEbEEEE10hipError_tPvRmT1_T2_T3_mmT4_T5_P12ihipStream_tbEUlRKfE_EESV_SZ_S10_mS11_S14_bEUlT_E_NS1_11comp_targetILNS1_3genE5ELNS1_11target_archE942ELNS1_3gpuE9ELNS1_3repE0EEENS1_30default_config_static_selectorELNS0_4arch9wavefront6targetE0EEEvSY_.private_seg_size, 0
	.set _ZN7rocprim17ROCPRIM_400000_NS6detail17trampoline_kernelINS0_14default_configENS1_27lower_bound_config_selectorIflEEZNS1_14transform_implILb0ES3_S5_N6thrust23THRUST_200600_302600_NS6detail15normal_iteratorINS8_7pointerIfNS8_11hip_rocprim16par_det_nosync_tENS8_11use_defaultESE_EEEENSA_INSB_IlSD_SE_SE_EEEEZNS1_13binary_searchIS3_S5_NSA_INS8_10device_ptrIfEEEESG_SI_NS1_21lower_bound_search_opENS9_16wrapped_functionINS8_6system6detail7generic6detail18binary_search_lessEbEEEE10hipError_tPvRmT1_T2_T3_mmT4_T5_P12ihipStream_tbEUlRKfE_EESV_SZ_S10_mS11_S14_bEUlT_E_NS1_11comp_targetILNS1_3genE5ELNS1_11target_archE942ELNS1_3gpuE9ELNS1_3repE0EEENS1_30default_config_static_selectorELNS0_4arch9wavefront6targetE0EEEvSY_.uses_vcc, 0
	.set _ZN7rocprim17ROCPRIM_400000_NS6detail17trampoline_kernelINS0_14default_configENS1_27lower_bound_config_selectorIflEEZNS1_14transform_implILb0ES3_S5_N6thrust23THRUST_200600_302600_NS6detail15normal_iteratorINS8_7pointerIfNS8_11hip_rocprim16par_det_nosync_tENS8_11use_defaultESE_EEEENSA_INSB_IlSD_SE_SE_EEEEZNS1_13binary_searchIS3_S5_NSA_INS8_10device_ptrIfEEEESG_SI_NS1_21lower_bound_search_opENS9_16wrapped_functionINS8_6system6detail7generic6detail18binary_search_lessEbEEEE10hipError_tPvRmT1_T2_T3_mmT4_T5_P12ihipStream_tbEUlRKfE_EESV_SZ_S10_mS11_S14_bEUlT_E_NS1_11comp_targetILNS1_3genE5ELNS1_11target_archE942ELNS1_3gpuE9ELNS1_3repE0EEENS1_30default_config_static_selectorELNS0_4arch9wavefront6targetE0EEEvSY_.uses_flat_scratch, 0
	.set _ZN7rocprim17ROCPRIM_400000_NS6detail17trampoline_kernelINS0_14default_configENS1_27lower_bound_config_selectorIflEEZNS1_14transform_implILb0ES3_S5_N6thrust23THRUST_200600_302600_NS6detail15normal_iteratorINS8_7pointerIfNS8_11hip_rocprim16par_det_nosync_tENS8_11use_defaultESE_EEEENSA_INSB_IlSD_SE_SE_EEEEZNS1_13binary_searchIS3_S5_NSA_INS8_10device_ptrIfEEEESG_SI_NS1_21lower_bound_search_opENS9_16wrapped_functionINS8_6system6detail7generic6detail18binary_search_lessEbEEEE10hipError_tPvRmT1_T2_T3_mmT4_T5_P12ihipStream_tbEUlRKfE_EESV_SZ_S10_mS11_S14_bEUlT_E_NS1_11comp_targetILNS1_3genE5ELNS1_11target_archE942ELNS1_3gpuE9ELNS1_3repE0EEENS1_30default_config_static_selectorELNS0_4arch9wavefront6targetE0EEEvSY_.has_dyn_sized_stack, 0
	.set _ZN7rocprim17ROCPRIM_400000_NS6detail17trampoline_kernelINS0_14default_configENS1_27lower_bound_config_selectorIflEEZNS1_14transform_implILb0ES3_S5_N6thrust23THRUST_200600_302600_NS6detail15normal_iteratorINS8_7pointerIfNS8_11hip_rocprim16par_det_nosync_tENS8_11use_defaultESE_EEEENSA_INSB_IlSD_SE_SE_EEEEZNS1_13binary_searchIS3_S5_NSA_INS8_10device_ptrIfEEEESG_SI_NS1_21lower_bound_search_opENS9_16wrapped_functionINS8_6system6detail7generic6detail18binary_search_lessEbEEEE10hipError_tPvRmT1_T2_T3_mmT4_T5_P12ihipStream_tbEUlRKfE_EESV_SZ_S10_mS11_S14_bEUlT_E_NS1_11comp_targetILNS1_3genE5ELNS1_11target_archE942ELNS1_3gpuE9ELNS1_3repE0EEENS1_30default_config_static_selectorELNS0_4arch9wavefront6targetE0EEEvSY_.has_recursion, 0
	.set _ZN7rocprim17ROCPRIM_400000_NS6detail17trampoline_kernelINS0_14default_configENS1_27lower_bound_config_selectorIflEEZNS1_14transform_implILb0ES3_S5_N6thrust23THRUST_200600_302600_NS6detail15normal_iteratorINS8_7pointerIfNS8_11hip_rocprim16par_det_nosync_tENS8_11use_defaultESE_EEEENSA_INSB_IlSD_SE_SE_EEEEZNS1_13binary_searchIS3_S5_NSA_INS8_10device_ptrIfEEEESG_SI_NS1_21lower_bound_search_opENS9_16wrapped_functionINS8_6system6detail7generic6detail18binary_search_lessEbEEEE10hipError_tPvRmT1_T2_T3_mmT4_T5_P12ihipStream_tbEUlRKfE_EESV_SZ_S10_mS11_S14_bEUlT_E_NS1_11comp_targetILNS1_3genE5ELNS1_11target_archE942ELNS1_3gpuE9ELNS1_3repE0EEENS1_30default_config_static_selectorELNS0_4arch9wavefront6targetE0EEEvSY_.has_indirect_call, 0
	.section	.AMDGPU.csdata,"",@progbits
; Kernel info:
; codeLenInByte = 0
; TotalNumSgprs: 0
; NumVgprs: 0
; ScratchSize: 0
; MemoryBound: 0
; FloatMode: 240
; IeeeMode: 1
; LDSByteSize: 0 bytes/workgroup (compile time only)
; SGPRBlocks: 0
; VGPRBlocks: 0
; NumSGPRsForWavesPerEU: 1
; NumVGPRsForWavesPerEU: 1
; Occupancy: 16
; WaveLimiterHint : 0
; COMPUTE_PGM_RSRC2:SCRATCH_EN: 0
; COMPUTE_PGM_RSRC2:USER_SGPR: 6
; COMPUTE_PGM_RSRC2:TRAP_HANDLER: 0
; COMPUTE_PGM_RSRC2:TGID_X_EN: 1
; COMPUTE_PGM_RSRC2:TGID_Y_EN: 0
; COMPUTE_PGM_RSRC2:TGID_Z_EN: 0
; COMPUTE_PGM_RSRC2:TIDIG_COMP_CNT: 0
	.section	.text._ZN7rocprim17ROCPRIM_400000_NS6detail17trampoline_kernelINS0_14default_configENS1_27lower_bound_config_selectorIflEEZNS1_14transform_implILb0ES3_S5_N6thrust23THRUST_200600_302600_NS6detail15normal_iteratorINS8_7pointerIfNS8_11hip_rocprim16par_det_nosync_tENS8_11use_defaultESE_EEEENSA_INSB_IlSD_SE_SE_EEEEZNS1_13binary_searchIS3_S5_NSA_INS8_10device_ptrIfEEEESG_SI_NS1_21lower_bound_search_opENS9_16wrapped_functionINS8_6system6detail7generic6detail18binary_search_lessEbEEEE10hipError_tPvRmT1_T2_T3_mmT4_T5_P12ihipStream_tbEUlRKfE_EESV_SZ_S10_mS11_S14_bEUlT_E_NS1_11comp_targetILNS1_3genE4ELNS1_11target_archE910ELNS1_3gpuE8ELNS1_3repE0EEENS1_30default_config_static_selectorELNS0_4arch9wavefront6targetE0EEEvSY_,"axG",@progbits,_ZN7rocprim17ROCPRIM_400000_NS6detail17trampoline_kernelINS0_14default_configENS1_27lower_bound_config_selectorIflEEZNS1_14transform_implILb0ES3_S5_N6thrust23THRUST_200600_302600_NS6detail15normal_iteratorINS8_7pointerIfNS8_11hip_rocprim16par_det_nosync_tENS8_11use_defaultESE_EEEENSA_INSB_IlSD_SE_SE_EEEEZNS1_13binary_searchIS3_S5_NSA_INS8_10device_ptrIfEEEESG_SI_NS1_21lower_bound_search_opENS9_16wrapped_functionINS8_6system6detail7generic6detail18binary_search_lessEbEEEE10hipError_tPvRmT1_T2_T3_mmT4_T5_P12ihipStream_tbEUlRKfE_EESV_SZ_S10_mS11_S14_bEUlT_E_NS1_11comp_targetILNS1_3genE4ELNS1_11target_archE910ELNS1_3gpuE8ELNS1_3repE0EEENS1_30default_config_static_selectorELNS0_4arch9wavefront6targetE0EEEvSY_,comdat
	.protected	_ZN7rocprim17ROCPRIM_400000_NS6detail17trampoline_kernelINS0_14default_configENS1_27lower_bound_config_selectorIflEEZNS1_14transform_implILb0ES3_S5_N6thrust23THRUST_200600_302600_NS6detail15normal_iteratorINS8_7pointerIfNS8_11hip_rocprim16par_det_nosync_tENS8_11use_defaultESE_EEEENSA_INSB_IlSD_SE_SE_EEEEZNS1_13binary_searchIS3_S5_NSA_INS8_10device_ptrIfEEEESG_SI_NS1_21lower_bound_search_opENS9_16wrapped_functionINS8_6system6detail7generic6detail18binary_search_lessEbEEEE10hipError_tPvRmT1_T2_T3_mmT4_T5_P12ihipStream_tbEUlRKfE_EESV_SZ_S10_mS11_S14_bEUlT_E_NS1_11comp_targetILNS1_3genE4ELNS1_11target_archE910ELNS1_3gpuE8ELNS1_3repE0EEENS1_30default_config_static_selectorELNS0_4arch9wavefront6targetE0EEEvSY_ ; -- Begin function _ZN7rocprim17ROCPRIM_400000_NS6detail17trampoline_kernelINS0_14default_configENS1_27lower_bound_config_selectorIflEEZNS1_14transform_implILb0ES3_S5_N6thrust23THRUST_200600_302600_NS6detail15normal_iteratorINS8_7pointerIfNS8_11hip_rocprim16par_det_nosync_tENS8_11use_defaultESE_EEEENSA_INSB_IlSD_SE_SE_EEEEZNS1_13binary_searchIS3_S5_NSA_INS8_10device_ptrIfEEEESG_SI_NS1_21lower_bound_search_opENS9_16wrapped_functionINS8_6system6detail7generic6detail18binary_search_lessEbEEEE10hipError_tPvRmT1_T2_T3_mmT4_T5_P12ihipStream_tbEUlRKfE_EESV_SZ_S10_mS11_S14_bEUlT_E_NS1_11comp_targetILNS1_3genE4ELNS1_11target_archE910ELNS1_3gpuE8ELNS1_3repE0EEENS1_30default_config_static_selectorELNS0_4arch9wavefront6targetE0EEEvSY_
	.globl	_ZN7rocprim17ROCPRIM_400000_NS6detail17trampoline_kernelINS0_14default_configENS1_27lower_bound_config_selectorIflEEZNS1_14transform_implILb0ES3_S5_N6thrust23THRUST_200600_302600_NS6detail15normal_iteratorINS8_7pointerIfNS8_11hip_rocprim16par_det_nosync_tENS8_11use_defaultESE_EEEENSA_INSB_IlSD_SE_SE_EEEEZNS1_13binary_searchIS3_S5_NSA_INS8_10device_ptrIfEEEESG_SI_NS1_21lower_bound_search_opENS9_16wrapped_functionINS8_6system6detail7generic6detail18binary_search_lessEbEEEE10hipError_tPvRmT1_T2_T3_mmT4_T5_P12ihipStream_tbEUlRKfE_EESV_SZ_S10_mS11_S14_bEUlT_E_NS1_11comp_targetILNS1_3genE4ELNS1_11target_archE910ELNS1_3gpuE8ELNS1_3repE0EEENS1_30default_config_static_selectorELNS0_4arch9wavefront6targetE0EEEvSY_
	.p2align	8
	.type	_ZN7rocprim17ROCPRIM_400000_NS6detail17trampoline_kernelINS0_14default_configENS1_27lower_bound_config_selectorIflEEZNS1_14transform_implILb0ES3_S5_N6thrust23THRUST_200600_302600_NS6detail15normal_iteratorINS8_7pointerIfNS8_11hip_rocprim16par_det_nosync_tENS8_11use_defaultESE_EEEENSA_INSB_IlSD_SE_SE_EEEEZNS1_13binary_searchIS3_S5_NSA_INS8_10device_ptrIfEEEESG_SI_NS1_21lower_bound_search_opENS9_16wrapped_functionINS8_6system6detail7generic6detail18binary_search_lessEbEEEE10hipError_tPvRmT1_T2_T3_mmT4_T5_P12ihipStream_tbEUlRKfE_EESV_SZ_S10_mS11_S14_bEUlT_E_NS1_11comp_targetILNS1_3genE4ELNS1_11target_archE910ELNS1_3gpuE8ELNS1_3repE0EEENS1_30default_config_static_selectorELNS0_4arch9wavefront6targetE0EEEvSY_,@function
_ZN7rocprim17ROCPRIM_400000_NS6detail17trampoline_kernelINS0_14default_configENS1_27lower_bound_config_selectorIflEEZNS1_14transform_implILb0ES3_S5_N6thrust23THRUST_200600_302600_NS6detail15normal_iteratorINS8_7pointerIfNS8_11hip_rocprim16par_det_nosync_tENS8_11use_defaultESE_EEEENSA_INSB_IlSD_SE_SE_EEEEZNS1_13binary_searchIS3_S5_NSA_INS8_10device_ptrIfEEEESG_SI_NS1_21lower_bound_search_opENS9_16wrapped_functionINS8_6system6detail7generic6detail18binary_search_lessEbEEEE10hipError_tPvRmT1_T2_T3_mmT4_T5_P12ihipStream_tbEUlRKfE_EESV_SZ_S10_mS11_S14_bEUlT_E_NS1_11comp_targetILNS1_3genE4ELNS1_11target_archE910ELNS1_3gpuE8ELNS1_3repE0EEENS1_30default_config_static_selectorELNS0_4arch9wavefront6targetE0EEEvSY_: ; @_ZN7rocprim17ROCPRIM_400000_NS6detail17trampoline_kernelINS0_14default_configENS1_27lower_bound_config_selectorIflEEZNS1_14transform_implILb0ES3_S5_N6thrust23THRUST_200600_302600_NS6detail15normal_iteratorINS8_7pointerIfNS8_11hip_rocprim16par_det_nosync_tENS8_11use_defaultESE_EEEENSA_INSB_IlSD_SE_SE_EEEEZNS1_13binary_searchIS3_S5_NSA_INS8_10device_ptrIfEEEESG_SI_NS1_21lower_bound_search_opENS9_16wrapped_functionINS8_6system6detail7generic6detail18binary_search_lessEbEEEE10hipError_tPvRmT1_T2_T3_mmT4_T5_P12ihipStream_tbEUlRKfE_EESV_SZ_S10_mS11_S14_bEUlT_E_NS1_11comp_targetILNS1_3genE4ELNS1_11target_archE910ELNS1_3gpuE8ELNS1_3repE0EEENS1_30default_config_static_selectorELNS0_4arch9wavefront6targetE0EEEvSY_
; %bb.0:
	.section	.rodata,"a",@progbits
	.p2align	6, 0x0
	.amdhsa_kernel _ZN7rocprim17ROCPRIM_400000_NS6detail17trampoline_kernelINS0_14default_configENS1_27lower_bound_config_selectorIflEEZNS1_14transform_implILb0ES3_S5_N6thrust23THRUST_200600_302600_NS6detail15normal_iteratorINS8_7pointerIfNS8_11hip_rocprim16par_det_nosync_tENS8_11use_defaultESE_EEEENSA_INSB_IlSD_SE_SE_EEEEZNS1_13binary_searchIS3_S5_NSA_INS8_10device_ptrIfEEEESG_SI_NS1_21lower_bound_search_opENS9_16wrapped_functionINS8_6system6detail7generic6detail18binary_search_lessEbEEEE10hipError_tPvRmT1_T2_T3_mmT4_T5_P12ihipStream_tbEUlRKfE_EESV_SZ_S10_mS11_S14_bEUlT_E_NS1_11comp_targetILNS1_3genE4ELNS1_11target_archE910ELNS1_3gpuE8ELNS1_3repE0EEENS1_30default_config_static_selectorELNS0_4arch9wavefront6targetE0EEEvSY_
		.amdhsa_group_segment_fixed_size 0
		.amdhsa_private_segment_fixed_size 0
		.amdhsa_kernarg_size 56
		.amdhsa_user_sgpr_count 6
		.amdhsa_user_sgpr_private_segment_buffer 1
		.amdhsa_user_sgpr_dispatch_ptr 0
		.amdhsa_user_sgpr_queue_ptr 0
		.amdhsa_user_sgpr_kernarg_segment_ptr 1
		.amdhsa_user_sgpr_dispatch_id 0
		.amdhsa_user_sgpr_flat_scratch_init 0
		.amdhsa_user_sgpr_private_segment_size 0
		.amdhsa_wavefront_size32 1
		.amdhsa_uses_dynamic_stack 0
		.amdhsa_system_sgpr_private_segment_wavefront_offset 0
		.amdhsa_system_sgpr_workgroup_id_x 1
		.amdhsa_system_sgpr_workgroup_id_y 0
		.amdhsa_system_sgpr_workgroup_id_z 0
		.amdhsa_system_sgpr_workgroup_info 0
		.amdhsa_system_vgpr_workitem_id 0
		.amdhsa_next_free_vgpr 1
		.amdhsa_next_free_sgpr 1
		.amdhsa_reserve_vcc 0
		.amdhsa_reserve_flat_scratch 0
		.amdhsa_float_round_mode_32 0
		.amdhsa_float_round_mode_16_64 0
		.amdhsa_float_denorm_mode_32 3
		.amdhsa_float_denorm_mode_16_64 3
		.amdhsa_dx10_clamp 1
		.amdhsa_ieee_mode 1
		.amdhsa_fp16_overflow 0
		.amdhsa_workgroup_processor_mode 1
		.amdhsa_memory_ordered 1
		.amdhsa_forward_progress 1
		.amdhsa_shared_vgpr_count 0
		.amdhsa_exception_fp_ieee_invalid_op 0
		.amdhsa_exception_fp_denorm_src 0
		.amdhsa_exception_fp_ieee_div_zero 0
		.amdhsa_exception_fp_ieee_overflow 0
		.amdhsa_exception_fp_ieee_underflow 0
		.amdhsa_exception_fp_ieee_inexact 0
		.amdhsa_exception_int_div_zero 0
	.end_amdhsa_kernel
	.section	.text._ZN7rocprim17ROCPRIM_400000_NS6detail17trampoline_kernelINS0_14default_configENS1_27lower_bound_config_selectorIflEEZNS1_14transform_implILb0ES3_S5_N6thrust23THRUST_200600_302600_NS6detail15normal_iteratorINS8_7pointerIfNS8_11hip_rocprim16par_det_nosync_tENS8_11use_defaultESE_EEEENSA_INSB_IlSD_SE_SE_EEEEZNS1_13binary_searchIS3_S5_NSA_INS8_10device_ptrIfEEEESG_SI_NS1_21lower_bound_search_opENS9_16wrapped_functionINS8_6system6detail7generic6detail18binary_search_lessEbEEEE10hipError_tPvRmT1_T2_T3_mmT4_T5_P12ihipStream_tbEUlRKfE_EESV_SZ_S10_mS11_S14_bEUlT_E_NS1_11comp_targetILNS1_3genE4ELNS1_11target_archE910ELNS1_3gpuE8ELNS1_3repE0EEENS1_30default_config_static_selectorELNS0_4arch9wavefront6targetE0EEEvSY_,"axG",@progbits,_ZN7rocprim17ROCPRIM_400000_NS6detail17trampoline_kernelINS0_14default_configENS1_27lower_bound_config_selectorIflEEZNS1_14transform_implILb0ES3_S5_N6thrust23THRUST_200600_302600_NS6detail15normal_iteratorINS8_7pointerIfNS8_11hip_rocprim16par_det_nosync_tENS8_11use_defaultESE_EEEENSA_INSB_IlSD_SE_SE_EEEEZNS1_13binary_searchIS3_S5_NSA_INS8_10device_ptrIfEEEESG_SI_NS1_21lower_bound_search_opENS9_16wrapped_functionINS8_6system6detail7generic6detail18binary_search_lessEbEEEE10hipError_tPvRmT1_T2_T3_mmT4_T5_P12ihipStream_tbEUlRKfE_EESV_SZ_S10_mS11_S14_bEUlT_E_NS1_11comp_targetILNS1_3genE4ELNS1_11target_archE910ELNS1_3gpuE8ELNS1_3repE0EEENS1_30default_config_static_selectorELNS0_4arch9wavefront6targetE0EEEvSY_,comdat
.Lfunc_end333:
	.size	_ZN7rocprim17ROCPRIM_400000_NS6detail17trampoline_kernelINS0_14default_configENS1_27lower_bound_config_selectorIflEEZNS1_14transform_implILb0ES3_S5_N6thrust23THRUST_200600_302600_NS6detail15normal_iteratorINS8_7pointerIfNS8_11hip_rocprim16par_det_nosync_tENS8_11use_defaultESE_EEEENSA_INSB_IlSD_SE_SE_EEEEZNS1_13binary_searchIS3_S5_NSA_INS8_10device_ptrIfEEEESG_SI_NS1_21lower_bound_search_opENS9_16wrapped_functionINS8_6system6detail7generic6detail18binary_search_lessEbEEEE10hipError_tPvRmT1_T2_T3_mmT4_T5_P12ihipStream_tbEUlRKfE_EESV_SZ_S10_mS11_S14_bEUlT_E_NS1_11comp_targetILNS1_3genE4ELNS1_11target_archE910ELNS1_3gpuE8ELNS1_3repE0EEENS1_30default_config_static_selectorELNS0_4arch9wavefront6targetE0EEEvSY_, .Lfunc_end333-_ZN7rocprim17ROCPRIM_400000_NS6detail17trampoline_kernelINS0_14default_configENS1_27lower_bound_config_selectorIflEEZNS1_14transform_implILb0ES3_S5_N6thrust23THRUST_200600_302600_NS6detail15normal_iteratorINS8_7pointerIfNS8_11hip_rocprim16par_det_nosync_tENS8_11use_defaultESE_EEEENSA_INSB_IlSD_SE_SE_EEEEZNS1_13binary_searchIS3_S5_NSA_INS8_10device_ptrIfEEEESG_SI_NS1_21lower_bound_search_opENS9_16wrapped_functionINS8_6system6detail7generic6detail18binary_search_lessEbEEEE10hipError_tPvRmT1_T2_T3_mmT4_T5_P12ihipStream_tbEUlRKfE_EESV_SZ_S10_mS11_S14_bEUlT_E_NS1_11comp_targetILNS1_3genE4ELNS1_11target_archE910ELNS1_3gpuE8ELNS1_3repE0EEENS1_30default_config_static_selectorELNS0_4arch9wavefront6targetE0EEEvSY_
                                        ; -- End function
	.set _ZN7rocprim17ROCPRIM_400000_NS6detail17trampoline_kernelINS0_14default_configENS1_27lower_bound_config_selectorIflEEZNS1_14transform_implILb0ES3_S5_N6thrust23THRUST_200600_302600_NS6detail15normal_iteratorINS8_7pointerIfNS8_11hip_rocprim16par_det_nosync_tENS8_11use_defaultESE_EEEENSA_INSB_IlSD_SE_SE_EEEEZNS1_13binary_searchIS3_S5_NSA_INS8_10device_ptrIfEEEESG_SI_NS1_21lower_bound_search_opENS9_16wrapped_functionINS8_6system6detail7generic6detail18binary_search_lessEbEEEE10hipError_tPvRmT1_T2_T3_mmT4_T5_P12ihipStream_tbEUlRKfE_EESV_SZ_S10_mS11_S14_bEUlT_E_NS1_11comp_targetILNS1_3genE4ELNS1_11target_archE910ELNS1_3gpuE8ELNS1_3repE0EEENS1_30default_config_static_selectorELNS0_4arch9wavefront6targetE0EEEvSY_.num_vgpr, 0
	.set _ZN7rocprim17ROCPRIM_400000_NS6detail17trampoline_kernelINS0_14default_configENS1_27lower_bound_config_selectorIflEEZNS1_14transform_implILb0ES3_S5_N6thrust23THRUST_200600_302600_NS6detail15normal_iteratorINS8_7pointerIfNS8_11hip_rocprim16par_det_nosync_tENS8_11use_defaultESE_EEEENSA_INSB_IlSD_SE_SE_EEEEZNS1_13binary_searchIS3_S5_NSA_INS8_10device_ptrIfEEEESG_SI_NS1_21lower_bound_search_opENS9_16wrapped_functionINS8_6system6detail7generic6detail18binary_search_lessEbEEEE10hipError_tPvRmT1_T2_T3_mmT4_T5_P12ihipStream_tbEUlRKfE_EESV_SZ_S10_mS11_S14_bEUlT_E_NS1_11comp_targetILNS1_3genE4ELNS1_11target_archE910ELNS1_3gpuE8ELNS1_3repE0EEENS1_30default_config_static_selectorELNS0_4arch9wavefront6targetE0EEEvSY_.num_agpr, 0
	.set _ZN7rocprim17ROCPRIM_400000_NS6detail17trampoline_kernelINS0_14default_configENS1_27lower_bound_config_selectorIflEEZNS1_14transform_implILb0ES3_S5_N6thrust23THRUST_200600_302600_NS6detail15normal_iteratorINS8_7pointerIfNS8_11hip_rocprim16par_det_nosync_tENS8_11use_defaultESE_EEEENSA_INSB_IlSD_SE_SE_EEEEZNS1_13binary_searchIS3_S5_NSA_INS8_10device_ptrIfEEEESG_SI_NS1_21lower_bound_search_opENS9_16wrapped_functionINS8_6system6detail7generic6detail18binary_search_lessEbEEEE10hipError_tPvRmT1_T2_T3_mmT4_T5_P12ihipStream_tbEUlRKfE_EESV_SZ_S10_mS11_S14_bEUlT_E_NS1_11comp_targetILNS1_3genE4ELNS1_11target_archE910ELNS1_3gpuE8ELNS1_3repE0EEENS1_30default_config_static_selectorELNS0_4arch9wavefront6targetE0EEEvSY_.numbered_sgpr, 0
	.set _ZN7rocprim17ROCPRIM_400000_NS6detail17trampoline_kernelINS0_14default_configENS1_27lower_bound_config_selectorIflEEZNS1_14transform_implILb0ES3_S5_N6thrust23THRUST_200600_302600_NS6detail15normal_iteratorINS8_7pointerIfNS8_11hip_rocprim16par_det_nosync_tENS8_11use_defaultESE_EEEENSA_INSB_IlSD_SE_SE_EEEEZNS1_13binary_searchIS3_S5_NSA_INS8_10device_ptrIfEEEESG_SI_NS1_21lower_bound_search_opENS9_16wrapped_functionINS8_6system6detail7generic6detail18binary_search_lessEbEEEE10hipError_tPvRmT1_T2_T3_mmT4_T5_P12ihipStream_tbEUlRKfE_EESV_SZ_S10_mS11_S14_bEUlT_E_NS1_11comp_targetILNS1_3genE4ELNS1_11target_archE910ELNS1_3gpuE8ELNS1_3repE0EEENS1_30default_config_static_selectorELNS0_4arch9wavefront6targetE0EEEvSY_.num_named_barrier, 0
	.set _ZN7rocprim17ROCPRIM_400000_NS6detail17trampoline_kernelINS0_14default_configENS1_27lower_bound_config_selectorIflEEZNS1_14transform_implILb0ES3_S5_N6thrust23THRUST_200600_302600_NS6detail15normal_iteratorINS8_7pointerIfNS8_11hip_rocprim16par_det_nosync_tENS8_11use_defaultESE_EEEENSA_INSB_IlSD_SE_SE_EEEEZNS1_13binary_searchIS3_S5_NSA_INS8_10device_ptrIfEEEESG_SI_NS1_21lower_bound_search_opENS9_16wrapped_functionINS8_6system6detail7generic6detail18binary_search_lessEbEEEE10hipError_tPvRmT1_T2_T3_mmT4_T5_P12ihipStream_tbEUlRKfE_EESV_SZ_S10_mS11_S14_bEUlT_E_NS1_11comp_targetILNS1_3genE4ELNS1_11target_archE910ELNS1_3gpuE8ELNS1_3repE0EEENS1_30default_config_static_selectorELNS0_4arch9wavefront6targetE0EEEvSY_.private_seg_size, 0
	.set _ZN7rocprim17ROCPRIM_400000_NS6detail17trampoline_kernelINS0_14default_configENS1_27lower_bound_config_selectorIflEEZNS1_14transform_implILb0ES3_S5_N6thrust23THRUST_200600_302600_NS6detail15normal_iteratorINS8_7pointerIfNS8_11hip_rocprim16par_det_nosync_tENS8_11use_defaultESE_EEEENSA_INSB_IlSD_SE_SE_EEEEZNS1_13binary_searchIS3_S5_NSA_INS8_10device_ptrIfEEEESG_SI_NS1_21lower_bound_search_opENS9_16wrapped_functionINS8_6system6detail7generic6detail18binary_search_lessEbEEEE10hipError_tPvRmT1_T2_T3_mmT4_T5_P12ihipStream_tbEUlRKfE_EESV_SZ_S10_mS11_S14_bEUlT_E_NS1_11comp_targetILNS1_3genE4ELNS1_11target_archE910ELNS1_3gpuE8ELNS1_3repE0EEENS1_30default_config_static_selectorELNS0_4arch9wavefront6targetE0EEEvSY_.uses_vcc, 0
	.set _ZN7rocprim17ROCPRIM_400000_NS6detail17trampoline_kernelINS0_14default_configENS1_27lower_bound_config_selectorIflEEZNS1_14transform_implILb0ES3_S5_N6thrust23THRUST_200600_302600_NS6detail15normal_iteratorINS8_7pointerIfNS8_11hip_rocprim16par_det_nosync_tENS8_11use_defaultESE_EEEENSA_INSB_IlSD_SE_SE_EEEEZNS1_13binary_searchIS3_S5_NSA_INS8_10device_ptrIfEEEESG_SI_NS1_21lower_bound_search_opENS9_16wrapped_functionINS8_6system6detail7generic6detail18binary_search_lessEbEEEE10hipError_tPvRmT1_T2_T3_mmT4_T5_P12ihipStream_tbEUlRKfE_EESV_SZ_S10_mS11_S14_bEUlT_E_NS1_11comp_targetILNS1_3genE4ELNS1_11target_archE910ELNS1_3gpuE8ELNS1_3repE0EEENS1_30default_config_static_selectorELNS0_4arch9wavefront6targetE0EEEvSY_.uses_flat_scratch, 0
	.set _ZN7rocprim17ROCPRIM_400000_NS6detail17trampoline_kernelINS0_14default_configENS1_27lower_bound_config_selectorIflEEZNS1_14transform_implILb0ES3_S5_N6thrust23THRUST_200600_302600_NS6detail15normal_iteratorINS8_7pointerIfNS8_11hip_rocprim16par_det_nosync_tENS8_11use_defaultESE_EEEENSA_INSB_IlSD_SE_SE_EEEEZNS1_13binary_searchIS3_S5_NSA_INS8_10device_ptrIfEEEESG_SI_NS1_21lower_bound_search_opENS9_16wrapped_functionINS8_6system6detail7generic6detail18binary_search_lessEbEEEE10hipError_tPvRmT1_T2_T3_mmT4_T5_P12ihipStream_tbEUlRKfE_EESV_SZ_S10_mS11_S14_bEUlT_E_NS1_11comp_targetILNS1_3genE4ELNS1_11target_archE910ELNS1_3gpuE8ELNS1_3repE0EEENS1_30default_config_static_selectorELNS0_4arch9wavefront6targetE0EEEvSY_.has_dyn_sized_stack, 0
	.set _ZN7rocprim17ROCPRIM_400000_NS6detail17trampoline_kernelINS0_14default_configENS1_27lower_bound_config_selectorIflEEZNS1_14transform_implILb0ES3_S5_N6thrust23THRUST_200600_302600_NS6detail15normal_iteratorINS8_7pointerIfNS8_11hip_rocprim16par_det_nosync_tENS8_11use_defaultESE_EEEENSA_INSB_IlSD_SE_SE_EEEEZNS1_13binary_searchIS3_S5_NSA_INS8_10device_ptrIfEEEESG_SI_NS1_21lower_bound_search_opENS9_16wrapped_functionINS8_6system6detail7generic6detail18binary_search_lessEbEEEE10hipError_tPvRmT1_T2_T3_mmT4_T5_P12ihipStream_tbEUlRKfE_EESV_SZ_S10_mS11_S14_bEUlT_E_NS1_11comp_targetILNS1_3genE4ELNS1_11target_archE910ELNS1_3gpuE8ELNS1_3repE0EEENS1_30default_config_static_selectorELNS0_4arch9wavefront6targetE0EEEvSY_.has_recursion, 0
	.set _ZN7rocprim17ROCPRIM_400000_NS6detail17trampoline_kernelINS0_14default_configENS1_27lower_bound_config_selectorIflEEZNS1_14transform_implILb0ES3_S5_N6thrust23THRUST_200600_302600_NS6detail15normal_iteratorINS8_7pointerIfNS8_11hip_rocprim16par_det_nosync_tENS8_11use_defaultESE_EEEENSA_INSB_IlSD_SE_SE_EEEEZNS1_13binary_searchIS3_S5_NSA_INS8_10device_ptrIfEEEESG_SI_NS1_21lower_bound_search_opENS9_16wrapped_functionINS8_6system6detail7generic6detail18binary_search_lessEbEEEE10hipError_tPvRmT1_T2_T3_mmT4_T5_P12ihipStream_tbEUlRKfE_EESV_SZ_S10_mS11_S14_bEUlT_E_NS1_11comp_targetILNS1_3genE4ELNS1_11target_archE910ELNS1_3gpuE8ELNS1_3repE0EEENS1_30default_config_static_selectorELNS0_4arch9wavefront6targetE0EEEvSY_.has_indirect_call, 0
	.section	.AMDGPU.csdata,"",@progbits
; Kernel info:
; codeLenInByte = 0
; TotalNumSgprs: 0
; NumVgprs: 0
; ScratchSize: 0
; MemoryBound: 0
; FloatMode: 240
; IeeeMode: 1
; LDSByteSize: 0 bytes/workgroup (compile time only)
; SGPRBlocks: 0
; VGPRBlocks: 0
; NumSGPRsForWavesPerEU: 1
; NumVGPRsForWavesPerEU: 1
; Occupancy: 16
; WaveLimiterHint : 0
; COMPUTE_PGM_RSRC2:SCRATCH_EN: 0
; COMPUTE_PGM_RSRC2:USER_SGPR: 6
; COMPUTE_PGM_RSRC2:TRAP_HANDLER: 0
; COMPUTE_PGM_RSRC2:TGID_X_EN: 1
; COMPUTE_PGM_RSRC2:TGID_Y_EN: 0
; COMPUTE_PGM_RSRC2:TGID_Z_EN: 0
; COMPUTE_PGM_RSRC2:TIDIG_COMP_CNT: 0
	.section	.text._ZN7rocprim17ROCPRIM_400000_NS6detail17trampoline_kernelINS0_14default_configENS1_27lower_bound_config_selectorIflEEZNS1_14transform_implILb0ES3_S5_N6thrust23THRUST_200600_302600_NS6detail15normal_iteratorINS8_7pointerIfNS8_11hip_rocprim16par_det_nosync_tENS8_11use_defaultESE_EEEENSA_INSB_IlSD_SE_SE_EEEEZNS1_13binary_searchIS3_S5_NSA_INS8_10device_ptrIfEEEESG_SI_NS1_21lower_bound_search_opENS9_16wrapped_functionINS8_6system6detail7generic6detail18binary_search_lessEbEEEE10hipError_tPvRmT1_T2_T3_mmT4_T5_P12ihipStream_tbEUlRKfE_EESV_SZ_S10_mS11_S14_bEUlT_E_NS1_11comp_targetILNS1_3genE3ELNS1_11target_archE908ELNS1_3gpuE7ELNS1_3repE0EEENS1_30default_config_static_selectorELNS0_4arch9wavefront6targetE0EEEvSY_,"axG",@progbits,_ZN7rocprim17ROCPRIM_400000_NS6detail17trampoline_kernelINS0_14default_configENS1_27lower_bound_config_selectorIflEEZNS1_14transform_implILb0ES3_S5_N6thrust23THRUST_200600_302600_NS6detail15normal_iteratorINS8_7pointerIfNS8_11hip_rocprim16par_det_nosync_tENS8_11use_defaultESE_EEEENSA_INSB_IlSD_SE_SE_EEEEZNS1_13binary_searchIS3_S5_NSA_INS8_10device_ptrIfEEEESG_SI_NS1_21lower_bound_search_opENS9_16wrapped_functionINS8_6system6detail7generic6detail18binary_search_lessEbEEEE10hipError_tPvRmT1_T2_T3_mmT4_T5_P12ihipStream_tbEUlRKfE_EESV_SZ_S10_mS11_S14_bEUlT_E_NS1_11comp_targetILNS1_3genE3ELNS1_11target_archE908ELNS1_3gpuE7ELNS1_3repE0EEENS1_30default_config_static_selectorELNS0_4arch9wavefront6targetE0EEEvSY_,comdat
	.protected	_ZN7rocprim17ROCPRIM_400000_NS6detail17trampoline_kernelINS0_14default_configENS1_27lower_bound_config_selectorIflEEZNS1_14transform_implILb0ES3_S5_N6thrust23THRUST_200600_302600_NS6detail15normal_iteratorINS8_7pointerIfNS8_11hip_rocprim16par_det_nosync_tENS8_11use_defaultESE_EEEENSA_INSB_IlSD_SE_SE_EEEEZNS1_13binary_searchIS3_S5_NSA_INS8_10device_ptrIfEEEESG_SI_NS1_21lower_bound_search_opENS9_16wrapped_functionINS8_6system6detail7generic6detail18binary_search_lessEbEEEE10hipError_tPvRmT1_T2_T3_mmT4_T5_P12ihipStream_tbEUlRKfE_EESV_SZ_S10_mS11_S14_bEUlT_E_NS1_11comp_targetILNS1_3genE3ELNS1_11target_archE908ELNS1_3gpuE7ELNS1_3repE0EEENS1_30default_config_static_selectorELNS0_4arch9wavefront6targetE0EEEvSY_ ; -- Begin function _ZN7rocprim17ROCPRIM_400000_NS6detail17trampoline_kernelINS0_14default_configENS1_27lower_bound_config_selectorIflEEZNS1_14transform_implILb0ES3_S5_N6thrust23THRUST_200600_302600_NS6detail15normal_iteratorINS8_7pointerIfNS8_11hip_rocprim16par_det_nosync_tENS8_11use_defaultESE_EEEENSA_INSB_IlSD_SE_SE_EEEEZNS1_13binary_searchIS3_S5_NSA_INS8_10device_ptrIfEEEESG_SI_NS1_21lower_bound_search_opENS9_16wrapped_functionINS8_6system6detail7generic6detail18binary_search_lessEbEEEE10hipError_tPvRmT1_T2_T3_mmT4_T5_P12ihipStream_tbEUlRKfE_EESV_SZ_S10_mS11_S14_bEUlT_E_NS1_11comp_targetILNS1_3genE3ELNS1_11target_archE908ELNS1_3gpuE7ELNS1_3repE0EEENS1_30default_config_static_selectorELNS0_4arch9wavefront6targetE0EEEvSY_
	.globl	_ZN7rocprim17ROCPRIM_400000_NS6detail17trampoline_kernelINS0_14default_configENS1_27lower_bound_config_selectorIflEEZNS1_14transform_implILb0ES3_S5_N6thrust23THRUST_200600_302600_NS6detail15normal_iteratorINS8_7pointerIfNS8_11hip_rocprim16par_det_nosync_tENS8_11use_defaultESE_EEEENSA_INSB_IlSD_SE_SE_EEEEZNS1_13binary_searchIS3_S5_NSA_INS8_10device_ptrIfEEEESG_SI_NS1_21lower_bound_search_opENS9_16wrapped_functionINS8_6system6detail7generic6detail18binary_search_lessEbEEEE10hipError_tPvRmT1_T2_T3_mmT4_T5_P12ihipStream_tbEUlRKfE_EESV_SZ_S10_mS11_S14_bEUlT_E_NS1_11comp_targetILNS1_3genE3ELNS1_11target_archE908ELNS1_3gpuE7ELNS1_3repE0EEENS1_30default_config_static_selectorELNS0_4arch9wavefront6targetE0EEEvSY_
	.p2align	8
	.type	_ZN7rocprim17ROCPRIM_400000_NS6detail17trampoline_kernelINS0_14default_configENS1_27lower_bound_config_selectorIflEEZNS1_14transform_implILb0ES3_S5_N6thrust23THRUST_200600_302600_NS6detail15normal_iteratorINS8_7pointerIfNS8_11hip_rocprim16par_det_nosync_tENS8_11use_defaultESE_EEEENSA_INSB_IlSD_SE_SE_EEEEZNS1_13binary_searchIS3_S5_NSA_INS8_10device_ptrIfEEEESG_SI_NS1_21lower_bound_search_opENS9_16wrapped_functionINS8_6system6detail7generic6detail18binary_search_lessEbEEEE10hipError_tPvRmT1_T2_T3_mmT4_T5_P12ihipStream_tbEUlRKfE_EESV_SZ_S10_mS11_S14_bEUlT_E_NS1_11comp_targetILNS1_3genE3ELNS1_11target_archE908ELNS1_3gpuE7ELNS1_3repE0EEENS1_30default_config_static_selectorELNS0_4arch9wavefront6targetE0EEEvSY_,@function
_ZN7rocprim17ROCPRIM_400000_NS6detail17trampoline_kernelINS0_14default_configENS1_27lower_bound_config_selectorIflEEZNS1_14transform_implILb0ES3_S5_N6thrust23THRUST_200600_302600_NS6detail15normal_iteratorINS8_7pointerIfNS8_11hip_rocprim16par_det_nosync_tENS8_11use_defaultESE_EEEENSA_INSB_IlSD_SE_SE_EEEEZNS1_13binary_searchIS3_S5_NSA_INS8_10device_ptrIfEEEESG_SI_NS1_21lower_bound_search_opENS9_16wrapped_functionINS8_6system6detail7generic6detail18binary_search_lessEbEEEE10hipError_tPvRmT1_T2_T3_mmT4_T5_P12ihipStream_tbEUlRKfE_EESV_SZ_S10_mS11_S14_bEUlT_E_NS1_11comp_targetILNS1_3genE3ELNS1_11target_archE908ELNS1_3gpuE7ELNS1_3repE0EEENS1_30default_config_static_selectorELNS0_4arch9wavefront6targetE0EEEvSY_: ; @_ZN7rocprim17ROCPRIM_400000_NS6detail17trampoline_kernelINS0_14default_configENS1_27lower_bound_config_selectorIflEEZNS1_14transform_implILb0ES3_S5_N6thrust23THRUST_200600_302600_NS6detail15normal_iteratorINS8_7pointerIfNS8_11hip_rocprim16par_det_nosync_tENS8_11use_defaultESE_EEEENSA_INSB_IlSD_SE_SE_EEEEZNS1_13binary_searchIS3_S5_NSA_INS8_10device_ptrIfEEEESG_SI_NS1_21lower_bound_search_opENS9_16wrapped_functionINS8_6system6detail7generic6detail18binary_search_lessEbEEEE10hipError_tPvRmT1_T2_T3_mmT4_T5_P12ihipStream_tbEUlRKfE_EESV_SZ_S10_mS11_S14_bEUlT_E_NS1_11comp_targetILNS1_3genE3ELNS1_11target_archE908ELNS1_3gpuE7ELNS1_3repE0EEENS1_30default_config_static_selectorELNS0_4arch9wavefront6targetE0EEEvSY_
; %bb.0:
	.section	.rodata,"a",@progbits
	.p2align	6, 0x0
	.amdhsa_kernel _ZN7rocprim17ROCPRIM_400000_NS6detail17trampoline_kernelINS0_14default_configENS1_27lower_bound_config_selectorIflEEZNS1_14transform_implILb0ES3_S5_N6thrust23THRUST_200600_302600_NS6detail15normal_iteratorINS8_7pointerIfNS8_11hip_rocprim16par_det_nosync_tENS8_11use_defaultESE_EEEENSA_INSB_IlSD_SE_SE_EEEEZNS1_13binary_searchIS3_S5_NSA_INS8_10device_ptrIfEEEESG_SI_NS1_21lower_bound_search_opENS9_16wrapped_functionINS8_6system6detail7generic6detail18binary_search_lessEbEEEE10hipError_tPvRmT1_T2_T3_mmT4_T5_P12ihipStream_tbEUlRKfE_EESV_SZ_S10_mS11_S14_bEUlT_E_NS1_11comp_targetILNS1_3genE3ELNS1_11target_archE908ELNS1_3gpuE7ELNS1_3repE0EEENS1_30default_config_static_selectorELNS0_4arch9wavefront6targetE0EEEvSY_
		.amdhsa_group_segment_fixed_size 0
		.amdhsa_private_segment_fixed_size 0
		.amdhsa_kernarg_size 56
		.amdhsa_user_sgpr_count 6
		.amdhsa_user_sgpr_private_segment_buffer 1
		.amdhsa_user_sgpr_dispatch_ptr 0
		.amdhsa_user_sgpr_queue_ptr 0
		.amdhsa_user_sgpr_kernarg_segment_ptr 1
		.amdhsa_user_sgpr_dispatch_id 0
		.amdhsa_user_sgpr_flat_scratch_init 0
		.amdhsa_user_sgpr_private_segment_size 0
		.amdhsa_wavefront_size32 1
		.amdhsa_uses_dynamic_stack 0
		.amdhsa_system_sgpr_private_segment_wavefront_offset 0
		.amdhsa_system_sgpr_workgroup_id_x 1
		.amdhsa_system_sgpr_workgroup_id_y 0
		.amdhsa_system_sgpr_workgroup_id_z 0
		.amdhsa_system_sgpr_workgroup_info 0
		.amdhsa_system_vgpr_workitem_id 0
		.amdhsa_next_free_vgpr 1
		.amdhsa_next_free_sgpr 1
		.amdhsa_reserve_vcc 0
		.amdhsa_reserve_flat_scratch 0
		.amdhsa_float_round_mode_32 0
		.amdhsa_float_round_mode_16_64 0
		.amdhsa_float_denorm_mode_32 3
		.amdhsa_float_denorm_mode_16_64 3
		.amdhsa_dx10_clamp 1
		.amdhsa_ieee_mode 1
		.amdhsa_fp16_overflow 0
		.amdhsa_workgroup_processor_mode 1
		.amdhsa_memory_ordered 1
		.amdhsa_forward_progress 1
		.amdhsa_shared_vgpr_count 0
		.amdhsa_exception_fp_ieee_invalid_op 0
		.amdhsa_exception_fp_denorm_src 0
		.amdhsa_exception_fp_ieee_div_zero 0
		.amdhsa_exception_fp_ieee_overflow 0
		.amdhsa_exception_fp_ieee_underflow 0
		.amdhsa_exception_fp_ieee_inexact 0
		.amdhsa_exception_int_div_zero 0
	.end_amdhsa_kernel
	.section	.text._ZN7rocprim17ROCPRIM_400000_NS6detail17trampoline_kernelINS0_14default_configENS1_27lower_bound_config_selectorIflEEZNS1_14transform_implILb0ES3_S5_N6thrust23THRUST_200600_302600_NS6detail15normal_iteratorINS8_7pointerIfNS8_11hip_rocprim16par_det_nosync_tENS8_11use_defaultESE_EEEENSA_INSB_IlSD_SE_SE_EEEEZNS1_13binary_searchIS3_S5_NSA_INS8_10device_ptrIfEEEESG_SI_NS1_21lower_bound_search_opENS9_16wrapped_functionINS8_6system6detail7generic6detail18binary_search_lessEbEEEE10hipError_tPvRmT1_T2_T3_mmT4_T5_P12ihipStream_tbEUlRKfE_EESV_SZ_S10_mS11_S14_bEUlT_E_NS1_11comp_targetILNS1_3genE3ELNS1_11target_archE908ELNS1_3gpuE7ELNS1_3repE0EEENS1_30default_config_static_selectorELNS0_4arch9wavefront6targetE0EEEvSY_,"axG",@progbits,_ZN7rocprim17ROCPRIM_400000_NS6detail17trampoline_kernelINS0_14default_configENS1_27lower_bound_config_selectorIflEEZNS1_14transform_implILb0ES3_S5_N6thrust23THRUST_200600_302600_NS6detail15normal_iteratorINS8_7pointerIfNS8_11hip_rocprim16par_det_nosync_tENS8_11use_defaultESE_EEEENSA_INSB_IlSD_SE_SE_EEEEZNS1_13binary_searchIS3_S5_NSA_INS8_10device_ptrIfEEEESG_SI_NS1_21lower_bound_search_opENS9_16wrapped_functionINS8_6system6detail7generic6detail18binary_search_lessEbEEEE10hipError_tPvRmT1_T2_T3_mmT4_T5_P12ihipStream_tbEUlRKfE_EESV_SZ_S10_mS11_S14_bEUlT_E_NS1_11comp_targetILNS1_3genE3ELNS1_11target_archE908ELNS1_3gpuE7ELNS1_3repE0EEENS1_30default_config_static_selectorELNS0_4arch9wavefront6targetE0EEEvSY_,comdat
.Lfunc_end334:
	.size	_ZN7rocprim17ROCPRIM_400000_NS6detail17trampoline_kernelINS0_14default_configENS1_27lower_bound_config_selectorIflEEZNS1_14transform_implILb0ES3_S5_N6thrust23THRUST_200600_302600_NS6detail15normal_iteratorINS8_7pointerIfNS8_11hip_rocprim16par_det_nosync_tENS8_11use_defaultESE_EEEENSA_INSB_IlSD_SE_SE_EEEEZNS1_13binary_searchIS3_S5_NSA_INS8_10device_ptrIfEEEESG_SI_NS1_21lower_bound_search_opENS9_16wrapped_functionINS8_6system6detail7generic6detail18binary_search_lessEbEEEE10hipError_tPvRmT1_T2_T3_mmT4_T5_P12ihipStream_tbEUlRKfE_EESV_SZ_S10_mS11_S14_bEUlT_E_NS1_11comp_targetILNS1_3genE3ELNS1_11target_archE908ELNS1_3gpuE7ELNS1_3repE0EEENS1_30default_config_static_selectorELNS0_4arch9wavefront6targetE0EEEvSY_, .Lfunc_end334-_ZN7rocprim17ROCPRIM_400000_NS6detail17trampoline_kernelINS0_14default_configENS1_27lower_bound_config_selectorIflEEZNS1_14transform_implILb0ES3_S5_N6thrust23THRUST_200600_302600_NS6detail15normal_iteratorINS8_7pointerIfNS8_11hip_rocprim16par_det_nosync_tENS8_11use_defaultESE_EEEENSA_INSB_IlSD_SE_SE_EEEEZNS1_13binary_searchIS3_S5_NSA_INS8_10device_ptrIfEEEESG_SI_NS1_21lower_bound_search_opENS9_16wrapped_functionINS8_6system6detail7generic6detail18binary_search_lessEbEEEE10hipError_tPvRmT1_T2_T3_mmT4_T5_P12ihipStream_tbEUlRKfE_EESV_SZ_S10_mS11_S14_bEUlT_E_NS1_11comp_targetILNS1_3genE3ELNS1_11target_archE908ELNS1_3gpuE7ELNS1_3repE0EEENS1_30default_config_static_selectorELNS0_4arch9wavefront6targetE0EEEvSY_
                                        ; -- End function
	.set _ZN7rocprim17ROCPRIM_400000_NS6detail17trampoline_kernelINS0_14default_configENS1_27lower_bound_config_selectorIflEEZNS1_14transform_implILb0ES3_S5_N6thrust23THRUST_200600_302600_NS6detail15normal_iteratorINS8_7pointerIfNS8_11hip_rocprim16par_det_nosync_tENS8_11use_defaultESE_EEEENSA_INSB_IlSD_SE_SE_EEEEZNS1_13binary_searchIS3_S5_NSA_INS8_10device_ptrIfEEEESG_SI_NS1_21lower_bound_search_opENS9_16wrapped_functionINS8_6system6detail7generic6detail18binary_search_lessEbEEEE10hipError_tPvRmT1_T2_T3_mmT4_T5_P12ihipStream_tbEUlRKfE_EESV_SZ_S10_mS11_S14_bEUlT_E_NS1_11comp_targetILNS1_3genE3ELNS1_11target_archE908ELNS1_3gpuE7ELNS1_3repE0EEENS1_30default_config_static_selectorELNS0_4arch9wavefront6targetE0EEEvSY_.num_vgpr, 0
	.set _ZN7rocprim17ROCPRIM_400000_NS6detail17trampoline_kernelINS0_14default_configENS1_27lower_bound_config_selectorIflEEZNS1_14transform_implILb0ES3_S5_N6thrust23THRUST_200600_302600_NS6detail15normal_iteratorINS8_7pointerIfNS8_11hip_rocprim16par_det_nosync_tENS8_11use_defaultESE_EEEENSA_INSB_IlSD_SE_SE_EEEEZNS1_13binary_searchIS3_S5_NSA_INS8_10device_ptrIfEEEESG_SI_NS1_21lower_bound_search_opENS9_16wrapped_functionINS8_6system6detail7generic6detail18binary_search_lessEbEEEE10hipError_tPvRmT1_T2_T3_mmT4_T5_P12ihipStream_tbEUlRKfE_EESV_SZ_S10_mS11_S14_bEUlT_E_NS1_11comp_targetILNS1_3genE3ELNS1_11target_archE908ELNS1_3gpuE7ELNS1_3repE0EEENS1_30default_config_static_selectorELNS0_4arch9wavefront6targetE0EEEvSY_.num_agpr, 0
	.set _ZN7rocprim17ROCPRIM_400000_NS6detail17trampoline_kernelINS0_14default_configENS1_27lower_bound_config_selectorIflEEZNS1_14transform_implILb0ES3_S5_N6thrust23THRUST_200600_302600_NS6detail15normal_iteratorINS8_7pointerIfNS8_11hip_rocprim16par_det_nosync_tENS8_11use_defaultESE_EEEENSA_INSB_IlSD_SE_SE_EEEEZNS1_13binary_searchIS3_S5_NSA_INS8_10device_ptrIfEEEESG_SI_NS1_21lower_bound_search_opENS9_16wrapped_functionINS8_6system6detail7generic6detail18binary_search_lessEbEEEE10hipError_tPvRmT1_T2_T3_mmT4_T5_P12ihipStream_tbEUlRKfE_EESV_SZ_S10_mS11_S14_bEUlT_E_NS1_11comp_targetILNS1_3genE3ELNS1_11target_archE908ELNS1_3gpuE7ELNS1_3repE0EEENS1_30default_config_static_selectorELNS0_4arch9wavefront6targetE0EEEvSY_.numbered_sgpr, 0
	.set _ZN7rocprim17ROCPRIM_400000_NS6detail17trampoline_kernelINS0_14default_configENS1_27lower_bound_config_selectorIflEEZNS1_14transform_implILb0ES3_S5_N6thrust23THRUST_200600_302600_NS6detail15normal_iteratorINS8_7pointerIfNS8_11hip_rocprim16par_det_nosync_tENS8_11use_defaultESE_EEEENSA_INSB_IlSD_SE_SE_EEEEZNS1_13binary_searchIS3_S5_NSA_INS8_10device_ptrIfEEEESG_SI_NS1_21lower_bound_search_opENS9_16wrapped_functionINS8_6system6detail7generic6detail18binary_search_lessEbEEEE10hipError_tPvRmT1_T2_T3_mmT4_T5_P12ihipStream_tbEUlRKfE_EESV_SZ_S10_mS11_S14_bEUlT_E_NS1_11comp_targetILNS1_3genE3ELNS1_11target_archE908ELNS1_3gpuE7ELNS1_3repE0EEENS1_30default_config_static_selectorELNS0_4arch9wavefront6targetE0EEEvSY_.num_named_barrier, 0
	.set _ZN7rocprim17ROCPRIM_400000_NS6detail17trampoline_kernelINS0_14default_configENS1_27lower_bound_config_selectorIflEEZNS1_14transform_implILb0ES3_S5_N6thrust23THRUST_200600_302600_NS6detail15normal_iteratorINS8_7pointerIfNS8_11hip_rocprim16par_det_nosync_tENS8_11use_defaultESE_EEEENSA_INSB_IlSD_SE_SE_EEEEZNS1_13binary_searchIS3_S5_NSA_INS8_10device_ptrIfEEEESG_SI_NS1_21lower_bound_search_opENS9_16wrapped_functionINS8_6system6detail7generic6detail18binary_search_lessEbEEEE10hipError_tPvRmT1_T2_T3_mmT4_T5_P12ihipStream_tbEUlRKfE_EESV_SZ_S10_mS11_S14_bEUlT_E_NS1_11comp_targetILNS1_3genE3ELNS1_11target_archE908ELNS1_3gpuE7ELNS1_3repE0EEENS1_30default_config_static_selectorELNS0_4arch9wavefront6targetE0EEEvSY_.private_seg_size, 0
	.set _ZN7rocprim17ROCPRIM_400000_NS6detail17trampoline_kernelINS0_14default_configENS1_27lower_bound_config_selectorIflEEZNS1_14transform_implILb0ES3_S5_N6thrust23THRUST_200600_302600_NS6detail15normal_iteratorINS8_7pointerIfNS8_11hip_rocprim16par_det_nosync_tENS8_11use_defaultESE_EEEENSA_INSB_IlSD_SE_SE_EEEEZNS1_13binary_searchIS3_S5_NSA_INS8_10device_ptrIfEEEESG_SI_NS1_21lower_bound_search_opENS9_16wrapped_functionINS8_6system6detail7generic6detail18binary_search_lessEbEEEE10hipError_tPvRmT1_T2_T3_mmT4_T5_P12ihipStream_tbEUlRKfE_EESV_SZ_S10_mS11_S14_bEUlT_E_NS1_11comp_targetILNS1_3genE3ELNS1_11target_archE908ELNS1_3gpuE7ELNS1_3repE0EEENS1_30default_config_static_selectorELNS0_4arch9wavefront6targetE0EEEvSY_.uses_vcc, 0
	.set _ZN7rocprim17ROCPRIM_400000_NS6detail17trampoline_kernelINS0_14default_configENS1_27lower_bound_config_selectorIflEEZNS1_14transform_implILb0ES3_S5_N6thrust23THRUST_200600_302600_NS6detail15normal_iteratorINS8_7pointerIfNS8_11hip_rocprim16par_det_nosync_tENS8_11use_defaultESE_EEEENSA_INSB_IlSD_SE_SE_EEEEZNS1_13binary_searchIS3_S5_NSA_INS8_10device_ptrIfEEEESG_SI_NS1_21lower_bound_search_opENS9_16wrapped_functionINS8_6system6detail7generic6detail18binary_search_lessEbEEEE10hipError_tPvRmT1_T2_T3_mmT4_T5_P12ihipStream_tbEUlRKfE_EESV_SZ_S10_mS11_S14_bEUlT_E_NS1_11comp_targetILNS1_3genE3ELNS1_11target_archE908ELNS1_3gpuE7ELNS1_3repE0EEENS1_30default_config_static_selectorELNS0_4arch9wavefront6targetE0EEEvSY_.uses_flat_scratch, 0
	.set _ZN7rocprim17ROCPRIM_400000_NS6detail17trampoline_kernelINS0_14default_configENS1_27lower_bound_config_selectorIflEEZNS1_14transform_implILb0ES3_S5_N6thrust23THRUST_200600_302600_NS6detail15normal_iteratorINS8_7pointerIfNS8_11hip_rocprim16par_det_nosync_tENS8_11use_defaultESE_EEEENSA_INSB_IlSD_SE_SE_EEEEZNS1_13binary_searchIS3_S5_NSA_INS8_10device_ptrIfEEEESG_SI_NS1_21lower_bound_search_opENS9_16wrapped_functionINS8_6system6detail7generic6detail18binary_search_lessEbEEEE10hipError_tPvRmT1_T2_T3_mmT4_T5_P12ihipStream_tbEUlRKfE_EESV_SZ_S10_mS11_S14_bEUlT_E_NS1_11comp_targetILNS1_3genE3ELNS1_11target_archE908ELNS1_3gpuE7ELNS1_3repE0EEENS1_30default_config_static_selectorELNS0_4arch9wavefront6targetE0EEEvSY_.has_dyn_sized_stack, 0
	.set _ZN7rocprim17ROCPRIM_400000_NS6detail17trampoline_kernelINS0_14default_configENS1_27lower_bound_config_selectorIflEEZNS1_14transform_implILb0ES3_S5_N6thrust23THRUST_200600_302600_NS6detail15normal_iteratorINS8_7pointerIfNS8_11hip_rocprim16par_det_nosync_tENS8_11use_defaultESE_EEEENSA_INSB_IlSD_SE_SE_EEEEZNS1_13binary_searchIS3_S5_NSA_INS8_10device_ptrIfEEEESG_SI_NS1_21lower_bound_search_opENS9_16wrapped_functionINS8_6system6detail7generic6detail18binary_search_lessEbEEEE10hipError_tPvRmT1_T2_T3_mmT4_T5_P12ihipStream_tbEUlRKfE_EESV_SZ_S10_mS11_S14_bEUlT_E_NS1_11comp_targetILNS1_3genE3ELNS1_11target_archE908ELNS1_3gpuE7ELNS1_3repE0EEENS1_30default_config_static_selectorELNS0_4arch9wavefront6targetE0EEEvSY_.has_recursion, 0
	.set _ZN7rocprim17ROCPRIM_400000_NS6detail17trampoline_kernelINS0_14default_configENS1_27lower_bound_config_selectorIflEEZNS1_14transform_implILb0ES3_S5_N6thrust23THRUST_200600_302600_NS6detail15normal_iteratorINS8_7pointerIfNS8_11hip_rocprim16par_det_nosync_tENS8_11use_defaultESE_EEEENSA_INSB_IlSD_SE_SE_EEEEZNS1_13binary_searchIS3_S5_NSA_INS8_10device_ptrIfEEEESG_SI_NS1_21lower_bound_search_opENS9_16wrapped_functionINS8_6system6detail7generic6detail18binary_search_lessEbEEEE10hipError_tPvRmT1_T2_T3_mmT4_T5_P12ihipStream_tbEUlRKfE_EESV_SZ_S10_mS11_S14_bEUlT_E_NS1_11comp_targetILNS1_3genE3ELNS1_11target_archE908ELNS1_3gpuE7ELNS1_3repE0EEENS1_30default_config_static_selectorELNS0_4arch9wavefront6targetE0EEEvSY_.has_indirect_call, 0
	.section	.AMDGPU.csdata,"",@progbits
; Kernel info:
; codeLenInByte = 0
; TotalNumSgprs: 0
; NumVgprs: 0
; ScratchSize: 0
; MemoryBound: 0
; FloatMode: 240
; IeeeMode: 1
; LDSByteSize: 0 bytes/workgroup (compile time only)
; SGPRBlocks: 0
; VGPRBlocks: 0
; NumSGPRsForWavesPerEU: 1
; NumVGPRsForWavesPerEU: 1
; Occupancy: 16
; WaveLimiterHint : 0
; COMPUTE_PGM_RSRC2:SCRATCH_EN: 0
; COMPUTE_PGM_RSRC2:USER_SGPR: 6
; COMPUTE_PGM_RSRC2:TRAP_HANDLER: 0
; COMPUTE_PGM_RSRC2:TGID_X_EN: 1
; COMPUTE_PGM_RSRC2:TGID_Y_EN: 0
; COMPUTE_PGM_RSRC2:TGID_Z_EN: 0
; COMPUTE_PGM_RSRC2:TIDIG_COMP_CNT: 0
	.section	.text._ZN7rocprim17ROCPRIM_400000_NS6detail17trampoline_kernelINS0_14default_configENS1_27lower_bound_config_selectorIflEEZNS1_14transform_implILb0ES3_S5_N6thrust23THRUST_200600_302600_NS6detail15normal_iteratorINS8_7pointerIfNS8_11hip_rocprim16par_det_nosync_tENS8_11use_defaultESE_EEEENSA_INSB_IlSD_SE_SE_EEEEZNS1_13binary_searchIS3_S5_NSA_INS8_10device_ptrIfEEEESG_SI_NS1_21lower_bound_search_opENS9_16wrapped_functionINS8_6system6detail7generic6detail18binary_search_lessEbEEEE10hipError_tPvRmT1_T2_T3_mmT4_T5_P12ihipStream_tbEUlRKfE_EESV_SZ_S10_mS11_S14_bEUlT_E_NS1_11comp_targetILNS1_3genE2ELNS1_11target_archE906ELNS1_3gpuE6ELNS1_3repE0EEENS1_30default_config_static_selectorELNS0_4arch9wavefront6targetE0EEEvSY_,"axG",@progbits,_ZN7rocprim17ROCPRIM_400000_NS6detail17trampoline_kernelINS0_14default_configENS1_27lower_bound_config_selectorIflEEZNS1_14transform_implILb0ES3_S5_N6thrust23THRUST_200600_302600_NS6detail15normal_iteratorINS8_7pointerIfNS8_11hip_rocprim16par_det_nosync_tENS8_11use_defaultESE_EEEENSA_INSB_IlSD_SE_SE_EEEEZNS1_13binary_searchIS3_S5_NSA_INS8_10device_ptrIfEEEESG_SI_NS1_21lower_bound_search_opENS9_16wrapped_functionINS8_6system6detail7generic6detail18binary_search_lessEbEEEE10hipError_tPvRmT1_T2_T3_mmT4_T5_P12ihipStream_tbEUlRKfE_EESV_SZ_S10_mS11_S14_bEUlT_E_NS1_11comp_targetILNS1_3genE2ELNS1_11target_archE906ELNS1_3gpuE6ELNS1_3repE0EEENS1_30default_config_static_selectorELNS0_4arch9wavefront6targetE0EEEvSY_,comdat
	.protected	_ZN7rocprim17ROCPRIM_400000_NS6detail17trampoline_kernelINS0_14default_configENS1_27lower_bound_config_selectorIflEEZNS1_14transform_implILb0ES3_S5_N6thrust23THRUST_200600_302600_NS6detail15normal_iteratorINS8_7pointerIfNS8_11hip_rocprim16par_det_nosync_tENS8_11use_defaultESE_EEEENSA_INSB_IlSD_SE_SE_EEEEZNS1_13binary_searchIS3_S5_NSA_INS8_10device_ptrIfEEEESG_SI_NS1_21lower_bound_search_opENS9_16wrapped_functionINS8_6system6detail7generic6detail18binary_search_lessEbEEEE10hipError_tPvRmT1_T2_T3_mmT4_T5_P12ihipStream_tbEUlRKfE_EESV_SZ_S10_mS11_S14_bEUlT_E_NS1_11comp_targetILNS1_3genE2ELNS1_11target_archE906ELNS1_3gpuE6ELNS1_3repE0EEENS1_30default_config_static_selectorELNS0_4arch9wavefront6targetE0EEEvSY_ ; -- Begin function _ZN7rocprim17ROCPRIM_400000_NS6detail17trampoline_kernelINS0_14default_configENS1_27lower_bound_config_selectorIflEEZNS1_14transform_implILb0ES3_S5_N6thrust23THRUST_200600_302600_NS6detail15normal_iteratorINS8_7pointerIfNS8_11hip_rocprim16par_det_nosync_tENS8_11use_defaultESE_EEEENSA_INSB_IlSD_SE_SE_EEEEZNS1_13binary_searchIS3_S5_NSA_INS8_10device_ptrIfEEEESG_SI_NS1_21lower_bound_search_opENS9_16wrapped_functionINS8_6system6detail7generic6detail18binary_search_lessEbEEEE10hipError_tPvRmT1_T2_T3_mmT4_T5_P12ihipStream_tbEUlRKfE_EESV_SZ_S10_mS11_S14_bEUlT_E_NS1_11comp_targetILNS1_3genE2ELNS1_11target_archE906ELNS1_3gpuE6ELNS1_3repE0EEENS1_30default_config_static_selectorELNS0_4arch9wavefront6targetE0EEEvSY_
	.globl	_ZN7rocprim17ROCPRIM_400000_NS6detail17trampoline_kernelINS0_14default_configENS1_27lower_bound_config_selectorIflEEZNS1_14transform_implILb0ES3_S5_N6thrust23THRUST_200600_302600_NS6detail15normal_iteratorINS8_7pointerIfNS8_11hip_rocprim16par_det_nosync_tENS8_11use_defaultESE_EEEENSA_INSB_IlSD_SE_SE_EEEEZNS1_13binary_searchIS3_S5_NSA_INS8_10device_ptrIfEEEESG_SI_NS1_21lower_bound_search_opENS9_16wrapped_functionINS8_6system6detail7generic6detail18binary_search_lessEbEEEE10hipError_tPvRmT1_T2_T3_mmT4_T5_P12ihipStream_tbEUlRKfE_EESV_SZ_S10_mS11_S14_bEUlT_E_NS1_11comp_targetILNS1_3genE2ELNS1_11target_archE906ELNS1_3gpuE6ELNS1_3repE0EEENS1_30default_config_static_selectorELNS0_4arch9wavefront6targetE0EEEvSY_
	.p2align	8
	.type	_ZN7rocprim17ROCPRIM_400000_NS6detail17trampoline_kernelINS0_14default_configENS1_27lower_bound_config_selectorIflEEZNS1_14transform_implILb0ES3_S5_N6thrust23THRUST_200600_302600_NS6detail15normal_iteratorINS8_7pointerIfNS8_11hip_rocprim16par_det_nosync_tENS8_11use_defaultESE_EEEENSA_INSB_IlSD_SE_SE_EEEEZNS1_13binary_searchIS3_S5_NSA_INS8_10device_ptrIfEEEESG_SI_NS1_21lower_bound_search_opENS9_16wrapped_functionINS8_6system6detail7generic6detail18binary_search_lessEbEEEE10hipError_tPvRmT1_T2_T3_mmT4_T5_P12ihipStream_tbEUlRKfE_EESV_SZ_S10_mS11_S14_bEUlT_E_NS1_11comp_targetILNS1_3genE2ELNS1_11target_archE906ELNS1_3gpuE6ELNS1_3repE0EEENS1_30default_config_static_selectorELNS0_4arch9wavefront6targetE0EEEvSY_,@function
_ZN7rocprim17ROCPRIM_400000_NS6detail17trampoline_kernelINS0_14default_configENS1_27lower_bound_config_selectorIflEEZNS1_14transform_implILb0ES3_S5_N6thrust23THRUST_200600_302600_NS6detail15normal_iteratorINS8_7pointerIfNS8_11hip_rocprim16par_det_nosync_tENS8_11use_defaultESE_EEEENSA_INSB_IlSD_SE_SE_EEEEZNS1_13binary_searchIS3_S5_NSA_INS8_10device_ptrIfEEEESG_SI_NS1_21lower_bound_search_opENS9_16wrapped_functionINS8_6system6detail7generic6detail18binary_search_lessEbEEEE10hipError_tPvRmT1_T2_T3_mmT4_T5_P12ihipStream_tbEUlRKfE_EESV_SZ_S10_mS11_S14_bEUlT_E_NS1_11comp_targetILNS1_3genE2ELNS1_11target_archE906ELNS1_3gpuE6ELNS1_3repE0EEENS1_30default_config_static_selectorELNS0_4arch9wavefront6targetE0EEEvSY_: ; @_ZN7rocprim17ROCPRIM_400000_NS6detail17trampoline_kernelINS0_14default_configENS1_27lower_bound_config_selectorIflEEZNS1_14transform_implILb0ES3_S5_N6thrust23THRUST_200600_302600_NS6detail15normal_iteratorINS8_7pointerIfNS8_11hip_rocprim16par_det_nosync_tENS8_11use_defaultESE_EEEENSA_INSB_IlSD_SE_SE_EEEEZNS1_13binary_searchIS3_S5_NSA_INS8_10device_ptrIfEEEESG_SI_NS1_21lower_bound_search_opENS9_16wrapped_functionINS8_6system6detail7generic6detail18binary_search_lessEbEEEE10hipError_tPvRmT1_T2_T3_mmT4_T5_P12ihipStream_tbEUlRKfE_EESV_SZ_S10_mS11_S14_bEUlT_E_NS1_11comp_targetILNS1_3genE2ELNS1_11target_archE906ELNS1_3gpuE6ELNS1_3repE0EEENS1_30default_config_static_selectorELNS0_4arch9wavefront6targetE0EEEvSY_
; %bb.0:
	.section	.rodata,"a",@progbits
	.p2align	6, 0x0
	.amdhsa_kernel _ZN7rocprim17ROCPRIM_400000_NS6detail17trampoline_kernelINS0_14default_configENS1_27lower_bound_config_selectorIflEEZNS1_14transform_implILb0ES3_S5_N6thrust23THRUST_200600_302600_NS6detail15normal_iteratorINS8_7pointerIfNS8_11hip_rocprim16par_det_nosync_tENS8_11use_defaultESE_EEEENSA_INSB_IlSD_SE_SE_EEEEZNS1_13binary_searchIS3_S5_NSA_INS8_10device_ptrIfEEEESG_SI_NS1_21lower_bound_search_opENS9_16wrapped_functionINS8_6system6detail7generic6detail18binary_search_lessEbEEEE10hipError_tPvRmT1_T2_T3_mmT4_T5_P12ihipStream_tbEUlRKfE_EESV_SZ_S10_mS11_S14_bEUlT_E_NS1_11comp_targetILNS1_3genE2ELNS1_11target_archE906ELNS1_3gpuE6ELNS1_3repE0EEENS1_30default_config_static_selectorELNS0_4arch9wavefront6targetE0EEEvSY_
		.amdhsa_group_segment_fixed_size 0
		.amdhsa_private_segment_fixed_size 0
		.amdhsa_kernarg_size 56
		.amdhsa_user_sgpr_count 6
		.amdhsa_user_sgpr_private_segment_buffer 1
		.amdhsa_user_sgpr_dispatch_ptr 0
		.amdhsa_user_sgpr_queue_ptr 0
		.amdhsa_user_sgpr_kernarg_segment_ptr 1
		.amdhsa_user_sgpr_dispatch_id 0
		.amdhsa_user_sgpr_flat_scratch_init 0
		.amdhsa_user_sgpr_private_segment_size 0
		.amdhsa_wavefront_size32 1
		.amdhsa_uses_dynamic_stack 0
		.amdhsa_system_sgpr_private_segment_wavefront_offset 0
		.amdhsa_system_sgpr_workgroup_id_x 1
		.amdhsa_system_sgpr_workgroup_id_y 0
		.amdhsa_system_sgpr_workgroup_id_z 0
		.amdhsa_system_sgpr_workgroup_info 0
		.amdhsa_system_vgpr_workitem_id 0
		.amdhsa_next_free_vgpr 1
		.amdhsa_next_free_sgpr 1
		.amdhsa_reserve_vcc 0
		.amdhsa_reserve_flat_scratch 0
		.amdhsa_float_round_mode_32 0
		.amdhsa_float_round_mode_16_64 0
		.amdhsa_float_denorm_mode_32 3
		.amdhsa_float_denorm_mode_16_64 3
		.amdhsa_dx10_clamp 1
		.amdhsa_ieee_mode 1
		.amdhsa_fp16_overflow 0
		.amdhsa_workgroup_processor_mode 1
		.amdhsa_memory_ordered 1
		.amdhsa_forward_progress 1
		.amdhsa_shared_vgpr_count 0
		.amdhsa_exception_fp_ieee_invalid_op 0
		.amdhsa_exception_fp_denorm_src 0
		.amdhsa_exception_fp_ieee_div_zero 0
		.amdhsa_exception_fp_ieee_overflow 0
		.amdhsa_exception_fp_ieee_underflow 0
		.amdhsa_exception_fp_ieee_inexact 0
		.amdhsa_exception_int_div_zero 0
	.end_amdhsa_kernel
	.section	.text._ZN7rocprim17ROCPRIM_400000_NS6detail17trampoline_kernelINS0_14default_configENS1_27lower_bound_config_selectorIflEEZNS1_14transform_implILb0ES3_S5_N6thrust23THRUST_200600_302600_NS6detail15normal_iteratorINS8_7pointerIfNS8_11hip_rocprim16par_det_nosync_tENS8_11use_defaultESE_EEEENSA_INSB_IlSD_SE_SE_EEEEZNS1_13binary_searchIS3_S5_NSA_INS8_10device_ptrIfEEEESG_SI_NS1_21lower_bound_search_opENS9_16wrapped_functionINS8_6system6detail7generic6detail18binary_search_lessEbEEEE10hipError_tPvRmT1_T2_T3_mmT4_T5_P12ihipStream_tbEUlRKfE_EESV_SZ_S10_mS11_S14_bEUlT_E_NS1_11comp_targetILNS1_3genE2ELNS1_11target_archE906ELNS1_3gpuE6ELNS1_3repE0EEENS1_30default_config_static_selectorELNS0_4arch9wavefront6targetE0EEEvSY_,"axG",@progbits,_ZN7rocprim17ROCPRIM_400000_NS6detail17trampoline_kernelINS0_14default_configENS1_27lower_bound_config_selectorIflEEZNS1_14transform_implILb0ES3_S5_N6thrust23THRUST_200600_302600_NS6detail15normal_iteratorINS8_7pointerIfNS8_11hip_rocprim16par_det_nosync_tENS8_11use_defaultESE_EEEENSA_INSB_IlSD_SE_SE_EEEEZNS1_13binary_searchIS3_S5_NSA_INS8_10device_ptrIfEEEESG_SI_NS1_21lower_bound_search_opENS9_16wrapped_functionINS8_6system6detail7generic6detail18binary_search_lessEbEEEE10hipError_tPvRmT1_T2_T3_mmT4_T5_P12ihipStream_tbEUlRKfE_EESV_SZ_S10_mS11_S14_bEUlT_E_NS1_11comp_targetILNS1_3genE2ELNS1_11target_archE906ELNS1_3gpuE6ELNS1_3repE0EEENS1_30default_config_static_selectorELNS0_4arch9wavefront6targetE0EEEvSY_,comdat
.Lfunc_end335:
	.size	_ZN7rocprim17ROCPRIM_400000_NS6detail17trampoline_kernelINS0_14default_configENS1_27lower_bound_config_selectorIflEEZNS1_14transform_implILb0ES3_S5_N6thrust23THRUST_200600_302600_NS6detail15normal_iteratorINS8_7pointerIfNS8_11hip_rocprim16par_det_nosync_tENS8_11use_defaultESE_EEEENSA_INSB_IlSD_SE_SE_EEEEZNS1_13binary_searchIS3_S5_NSA_INS8_10device_ptrIfEEEESG_SI_NS1_21lower_bound_search_opENS9_16wrapped_functionINS8_6system6detail7generic6detail18binary_search_lessEbEEEE10hipError_tPvRmT1_T2_T3_mmT4_T5_P12ihipStream_tbEUlRKfE_EESV_SZ_S10_mS11_S14_bEUlT_E_NS1_11comp_targetILNS1_3genE2ELNS1_11target_archE906ELNS1_3gpuE6ELNS1_3repE0EEENS1_30default_config_static_selectorELNS0_4arch9wavefront6targetE0EEEvSY_, .Lfunc_end335-_ZN7rocprim17ROCPRIM_400000_NS6detail17trampoline_kernelINS0_14default_configENS1_27lower_bound_config_selectorIflEEZNS1_14transform_implILb0ES3_S5_N6thrust23THRUST_200600_302600_NS6detail15normal_iteratorINS8_7pointerIfNS8_11hip_rocprim16par_det_nosync_tENS8_11use_defaultESE_EEEENSA_INSB_IlSD_SE_SE_EEEEZNS1_13binary_searchIS3_S5_NSA_INS8_10device_ptrIfEEEESG_SI_NS1_21lower_bound_search_opENS9_16wrapped_functionINS8_6system6detail7generic6detail18binary_search_lessEbEEEE10hipError_tPvRmT1_T2_T3_mmT4_T5_P12ihipStream_tbEUlRKfE_EESV_SZ_S10_mS11_S14_bEUlT_E_NS1_11comp_targetILNS1_3genE2ELNS1_11target_archE906ELNS1_3gpuE6ELNS1_3repE0EEENS1_30default_config_static_selectorELNS0_4arch9wavefront6targetE0EEEvSY_
                                        ; -- End function
	.set _ZN7rocprim17ROCPRIM_400000_NS6detail17trampoline_kernelINS0_14default_configENS1_27lower_bound_config_selectorIflEEZNS1_14transform_implILb0ES3_S5_N6thrust23THRUST_200600_302600_NS6detail15normal_iteratorINS8_7pointerIfNS8_11hip_rocprim16par_det_nosync_tENS8_11use_defaultESE_EEEENSA_INSB_IlSD_SE_SE_EEEEZNS1_13binary_searchIS3_S5_NSA_INS8_10device_ptrIfEEEESG_SI_NS1_21lower_bound_search_opENS9_16wrapped_functionINS8_6system6detail7generic6detail18binary_search_lessEbEEEE10hipError_tPvRmT1_T2_T3_mmT4_T5_P12ihipStream_tbEUlRKfE_EESV_SZ_S10_mS11_S14_bEUlT_E_NS1_11comp_targetILNS1_3genE2ELNS1_11target_archE906ELNS1_3gpuE6ELNS1_3repE0EEENS1_30default_config_static_selectorELNS0_4arch9wavefront6targetE0EEEvSY_.num_vgpr, 0
	.set _ZN7rocprim17ROCPRIM_400000_NS6detail17trampoline_kernelINS0_14default_configENS1_27lower_bound_config_selectorIflEEZNS1_14transform_implILb0ES3_S5_N6thrust23THRUST_200600_302600_NS6detail15normal_iteratorINS8_7pointerIfNS8_11hip_rocprim16par_det_nosync_tENS8_11use_defaultESE_EEEENSA_INSB_IlSD_SE_SE_EEEEZNS1_13binary_searchIS3_S5_NSA_INS8_10device_ptrIfEEEESG_SI_NS1_21lower_bound_search_opENS9_16wrapped_functionINS8_6system6detail7generic6detail18binary_search_lessEbEEEE10hipError_tPvRmT1_T2_T3_mmT4_T5_P12ihipStream_tbEUlRKfE_EESV_SZ_S10_mS11_S14_bEUlT_E_NS1_11comp_targetILNS1_3genE2ELNS1_11target_archE906ELNS1_3gpuE6ELNS1_3repE0EEENS1_30default_config_static_selectorELNS0_4arch9wavefront6targetE0EEEvSY_.num_agpr, 0
	.set _ZN7rocprim17ROCPRIM_400000_NS6detail17trampoline_kernelINS0_14default_configENS1_27lower_bound_config_selectorIflEEZNS1_14transform_implILb0ES3_S5_N6thrust23THRUST_200600_302600_NS6detail15normal_iteratorINS8_7pointerIfNS8_11hip_rocprim16par_det_nosync_tENS8_11use_defaultESE_EEEENSA_INSB_IlSD_SE_SE_EEEEZNS1_13binary_searchIS3_S5_NSA_INS8_10device_ptrIfEEEESG_SI_NS1_21lower_bound_search_opENS9_16wrapped_functionINS8_6system6detail7generic6detail18binary_search_lessEbEEEE10hipError_tPvRmT1_T2_T3_mmT4_T5_P12ihipStream_tbEUlRKfE_EESV_SZ_S10_mS11_S14_bEUlT_E_NS1_11comp_targetILNS1_3genE2ELNS1_11target_archE906ELNS1_3gpuE6ELNS1_3repE0EEENS1_30default_config_static_selectorELNS0_4arch9wavefront6targetE0EEEvSY_.numbered_sgpr, 0
	.set _ZN7rocprim17ROCPRIM_400000_NS6detail17trampoline_kernelINS0_14default_configENS1_27lower_bound_config_selectorIflEEZNS1_14transform_implILb0ES3_S5_N6thrust23THRUST_200600_302600_NS6detail15normal_iteratorINS8_7pointerIfNS8_11hip_rocprim16par_det_nosync_tENS8_11use_defaultESE_EEEENSA_INSB_IlSD_SE_SE_EEEEZNS1_13binary_searchIS3_S5_NSA_INS8_10device_ptrIfEEEESG_SI_NS1_21lower_bound_search_opENS9_16wrapped_functionINS8_6system6detail7generic6detail18binary_search_lessEbEEEE10hipError_tPvRmT1_T2_T3_mmT4_T5_P12ihipStream_tbEUlRKfE_EESV_SZ_S10_mS11_S14_bEUlT_E_NS1_11comp_targetILNS1_3genE2ELNS1_11target_archE906ELNS1_3gpuE6ELNS1_3repE0EEENS1_30default_config_static_selectorELNS0_4arch9wavefront6targetE0EEEvSY_.num_named_barrier, 0
	.set _ZN7rocprim17ROCPRIM_400000_NS6detail17trampoline_kernelINS0_14default_configENS1_27lower_bound_config_selectorIflEEZNS1_14transform_implILb0ES3_S5_N6thrust23THRUST_200600_302600_NS6detail15normal_iteratorINS8_7pointerIfNS8_11hip_rocprim16par_det_nosync_tENS8_11use_defaultESE_EEEENSA_INSB_IlSD_SE_SE_EEEEZNS1_13binary_searchIS3_S5_NSA_INS8_10device_ptrIfEEEESG_SI_NS1_21lower_bound_search_opENS9_16wrapped_functionINS8_6system6detail7generic6detail18binary_search_lessEbEEEE10hipError_tPvRmT1_T2_T3_mmT4_T5_P12ihipStream_tbEUlRKfE_EESV_SZ_S10_mS11_S14_bEUlT_E_NS1_11comp_targetILNS1_3genE2ELNS1_11target_archE906ELNS1_3gpuE6ELNS1_3repE0EEENS1_30default_config_static_selectorELNS0_4arch9wavefront6targetE0EEEvSY_.private_seg_size, 0
	.set _ZN7rocprim17ROCPRIM_400000_NS6detail17trampoline_kernelINS0_14default_configENS1_27lower_bound_config_selectorIflEEZNS1_14transform_implILb0ES3_S5_N6thrust23THRUST_200600_302600_NS6detail15normal_iteratorINS8_7pointerIfNS8_11hip_rocprim16par_det_nosync_tENS8_11use_defaultESE_EEEENSA_INSB_IlSD_SE_SE_EEEEZNS1_13binary_searchIS3_S5_NSA_INS8_10device_ptrIfEEEESG_SI_NS1_21lower_bound_search_opENS9_16wrapped_functionINS8_6system6detail7generic6detail18binary_search_lessEbEEEE10hipError_tPvRmT1_T2_T3_mmT4_T5_P12ihipStream_tbEUlRKfE_EESV_SZ_S10_mS11_S14_bEUlT_E_NS1_11comp_targetILNS1_3genE2ELNS1_11target_archE906ELNS1_3gpuE6ELNS1_3repE0EEENS1_30default_config_static_selectorELNS0_4arch9wavefront6targetE0EEEvSY_.uses_vcc, 0
	.set _ZN7rocprim17ROCPRIM_400000_NS6detail17trampoline_kernelINS0_14default_configENS1_27lower_bound_config_selectorIflEEZNS1_14transform_implILb0ES3_S5_N6thrust23THRUST_200600_302600_NS6detail15normal_iteratorINS8_7pointerIfNS8_11hip_rocprim16par_det_nosync_tENS8_11use_defaultESE_EEEENSA_INSB_IlSD_SE_SE_EEEEZNS1_13binary_searchIS3_S5_NSA_INS8_10device_ptrIfEEEESG_SI_NS1_21lower_bound_search_opENS9_16wrapped_functionINS8_6system6detail7generic6detail18binary_search_lessEbEEEE10hipError_tPvRmT1_T2_T3_mmT4_T5_P12ihipStream_tbEUlRKfE_EESV_SZ_S10_mS11_S14_bEUlT_E_NS1_11comp_targetILNS1_3genE2ELNS1_11target_archE906ELNS1_3gpuE6ELNS1_3repE0EEENS1_30default_config_static_selectorELNS0_4arch9wavefront6targetE0EEEvSY_.uses_flat_scratch, 0
	.set _ZN7rocprim17ROCPRIM_400000_NS6detail17trampoline_kernelINS0_14default_configENS1_27lower_bound_config_selectorIflEEZNS1_14transform_implILb0ES3_S5_N6thrust23THRUST_200600_302600_NS6detail15normal_iteratorINS8_7pointerIfNS8_11hip_rocprim16par_det_nosync_tENS8_11use_defaultESE_EEEENSA_INSB_IlSD_SE_SE_EEEEZNS1_13binary_searchIS3_S5_NSA_INS8_10device_ptrIfEEEESG_SI_NS1_21lower_bound_search_opENS9_16wrapped_functionINS8_6system6detail7generic6detail18binary_search_lessEbEEEE10hipError_tPvRmT1_T2_T3_mmT4_T5_P12ihipStream_tbEUlRKfE_EESV_SZ_S10_mS11_S14_bEUlT_E_NS1_11comp_targetILNS1_3genE2ELNS1_11target_archE906ELNS1_3gpuE6ELNS1_3repE0EEENS1_30default_config_static_selectorELNS0_4arch9wavefront6targetE0EEEvSY_.has_dyn_sized_stack, 0
	.set _ZN7rocprim17ROCPRIM_400000_NS6detail17trampoline_kernelINS0_14default_configENS1_27lower_bound_config_selectorIflEEZNS1_14transform_implILb0ES3_S5_N6thrust23THRUST_200600_302600_NS6detail15normal_iteratorINS8_7pointerIfNS8_11hip_rocprim16par_det_nosync_tENS8_11use_defaultESE_EEEENSA_INSB_IlSD_SE_SE_EEEEZNS1_13binary_searchIS3_S5_NSA_INS8_10device_ptrIfEEEESG_SI_NS1_21lower_bound_search_opENS9_16wrapped_functionINS8_6system6detail7generic6detail18binary_search_lessEbEEEE10hipError_tPvRmT1_T2_T3_mmT4_T5_P12ihipStream_tbEUlRKfE_EESV_SZ_S10_mS11_S14_bEUlT_E_NS1_11comp_targetILNS1_3genE2ELNS1_11target_archE906ELNS1_3gpuE6ELNS1_3repE0EEENS1_30default_config_static_selectorELNS0_4arch9wavefront6targetE0EEEvSY_.has_recursion, 0
	.set _ZN7rocprim17ROCPRIM_400000_NS6detail17trampoline_kernelINS0_14default_configENS1_27lower_bound_config_selectorIflEEZNS1_14transform_implILb0ES3_S5_N6thrust23THRUST_200600_302600_NS6detail15normal_iteratorINS8_7pointerIfNS8_11hip_rocprim16par_det_nosync_tENS8_11use_defaultESE_EEEENSA_INSB_IlSD_SE_SE_EEEEZNS1_13binary_searchIS3_S5_NSA_INS8_10device_ptrIfEEEESG_SI_NS1_21lower_bound_search_opENS9_16wrapped_functionINS8_6system6detail7generic6detail18binary_search_lessEbEEEE10hipError_tPvRmT1_T2_T3_mmT4_T5_P12ihipStream_tbEUlRKfE_EESV_SZ_S10_mS11_S14_bEUlT_E_NS1_11comp_targetILNS1_3genE2ELNS1_11target_archE906ELNS1_3gpuE6ELNS1_3repE0EEENS1_30default_config_static_selectorELNS0_4arch9wavefront6targetE0EEEvSY_.has_indirect_call, 0
	.section	.AMDGPU.csdata,"",@progbits
; Kernel info:
; codeLenInByte = 0
; TotalNumSgprs: 0
; NumVgprs: 0
; ScratchSize: 0
; MemoryBound: 0
; FloatMode: 240
; IeeeMode: 1
; LDSByteSize: 0 bytes/workgroup (compile time only)
; SGPRBlocks: 0
; VGPRBlocks: 0
; NumSGPRsForWavesPerEU: 1
; NumVGPRsForWavesPerEU: 1
; Occupancy: 16
; WaveLimiterHint : 0
; COMPUTE_PGM_RSRC2:SCRATCH_EN: 0
; COMPUTE_PGM_RSRC2:USER_SGPR: 6
; COMPUTE_PGM_RSRC2:TRAP_HANDLER: 0
; COMPUTE_PGM_RSRC2:TGID_X_EN: 1
; COMPUTE_PGM_RSRC2:TGID_Y_EN: 0
; COMPUTE_PGM_RSRC2:TGID_Z_EN: 0
; COMPUTE_PGM_RSRC2:TIDIG_COMP_CNT: 0
	.section	.text._ZN7rocprim17ROCPRIM_400000_NS6detail17trampoline_kernelINS0_14default_configENS1_27lower_bound_config_selectorIflEEZNS1_14transform_implILb0ES3_S5_N6thrust23THRUST_200600_302600_NS6detail15normal_iteratorINS8_7pointerIfNS8_11hip_rocprim16par_det_nosync_tENS8_11use_defaultESE_EEEENSA_INSB_IlSD_SE_SE_EEEEZNS1_13binary_searchIS3_S5_NSA_INS8_10device_ptrIfEEEESG_SI_NS1_21lower_bound_search_opENS9_16wrapped_functionINS8_6system6detail7generic6detail18binary_search_lessEbEEEE10hipError_tPvRmT1_T2_T3_mmT4_T5_P12ihipStream_tbEUlRKfE_EESV_SZ_S10_mS11_S14_bEUlT_E_NS1_11comp_targetILNS1_3genE10ELNS1_11target_archE1201ELNS1_3gpuE5ELNS1_3repE0EEENS1_30default_config_static_selectorELNS0_4arch9wavefront6targetE0EEEvSY_,"axG",@progbits,_ZN7rocprim17ROCPRIM_400000_NS6detail17trampoline_kernelINS0_14default_configENS1_27lower_bound_config_selectorIflEEZNS1_14transform_implILb0ES3_S5_N6thrust23THRUST_200600_302600_NS6detail15normal_iteratorINS8_7pointerIfNS8_11hip_rocprim16par_det_nosync_tENS8_11use_defaultESE_EEEENSA_INSB_IlSD_SE_SE_EEEEZNS1_13binary_searchIS3_S5_NSA_INS8_10device_ptrIfEEEESG_SI_NS1_21lower_bound_search_opENS9_16wrapped_functionINS8_6system6detail7generic6detail18binary_search_lessEbEEEE10hipError_tPvRmT1_T2_T3_mmT4_T5_P12ihipStream_tbEUlRKfE_EESV_SZ_S10_mS11_S14_bEUlT_E_NS1_11comp_targetILNS1_3genE10ELNS1_11target_archE1201ELNS1_3gpuE5ELNS1_3repE0EEENS1_30default_config_static_selectorELNS0_4arch9wavefront6targetE0EEEvSY_,comdat
	.protected	_ZN7rocprim17ROCPRIM_400000_NS6detail17trampoline_kernelINS0_14default_configENS1_27lower_bound_config_selectorIflEEZNS1_14transform_implILb0ES3_S5_N6thrust23THRUST_200600_302600_NS6detail15normal_iteratorINS8_7pointerIfNS8_11hip_rocprim16par_det_nosync_tENS8_11use_defaultESE_EEEENSA_INSB_IlSD_SE_SE_EEEEZNS1_13binary_searchIS3_S5_NSA_INS8_10device_ptrIfEEEESG_SI_NS1_21lower_bound_search_opENS9_16wrapped_functionINS8_6system6detail7generic6detail18binary_search_lessEbEEEE10hipError_tPvRmT1_T2_T3_mmT4_T5_P12ihipStream_tbEUlRKfE_EESV_SZ_S10_mS11_S14_bEUlT_E_NS1_11comp_targetILNS1_3genE10ELNS1_11target_archE1201ELNS1_3gpuE5ELNS1_3repE0EEENS1_30default_config_static_selectorELNS0_4arch9wavefront6targetE0EEEvSY_ ; -- Begin function _ZN7rocprim17ROCPRIM_400000_NS6detail17trampoline_kernelINS0_14default_configENS1_27lower_bound_config_selectorIflEEZNS1_14transform_implILb0ES3_S5_N6thrust23THRUST_200600_302600_NS6detail15normal_iteratorINS8_7pointerIfNS8_11hip_rocprim16par_det_nosync_tENS8_11use_defaultESE_EEEENSA_INSB_IlSD_SE_SE_EEEEZNS1_13binary_searchIS3_S5_NSA_INS8_10device_ptrIfEEEESG_SI_NS1_21lower_bound_search_opENS9_16wrapped_functionINS8_6system6detail7generic6detail18binary_search_lessEbEEEE10hipError_tPvRmT1_T2_T3_mmT4_T5_P12ihipStream_tbEUlRKfE_EESV_SZ_S10_mS11_S14_bEUlT_E_NS1_11comp_targetILNS1_3genE10ELNS1_11target_archE1201ELNS1_3gpuE5ELNS1_3repE0EEENS1_30default_config_static_selectorELNS0_4arch9wavefront6targetE0EEEvSY_
	.globl	_ZN7rocprim17ROCPRIM_400000_NS6detail17trampoline_kernelINS0_14default_configENS1_27lower_bound_config_selectorIflEEZNS1_14transform_implILb0ES3_S5_N6thrust23THRUST_200600_302600_NS6detail15normal_iteratorINS8_7pointerIfNS8_11hip_rocprim16par_det_nosync_tENS8_11use_defaultESE_EEEENSA_INSB_IlSD_SE_SE_EEEEZNS1_13binary_searchIS3_S5_NSA_INS8_10device_ptrIfEEEESG_SI_NS1_21lower_bound_search_opENS9_16wrapped_functionINS8_6system6detail7generic6detail18binary_search_lessEbEEEE10hipError_tPvRmT1_T2_T3_mmT4_T5_P12ihipStream_tbEUlRKfE_EESV_SZ_S10_mS11_S14_bEUlT_E_NS1_11comp_targetILNS1_3genE10ELNS1_11target_archE1201ELNS1_3gpuE5ELNS1_3repE0EEENS1_30default_config_static_selectorELNS0_4arch9wavefront6targetE0EEEvSY_
	.p2align	8
	.type	_ZN7rocprim17ROCPRIM_400000_NS6detail17trampoline_kernelINS0_14default_configENS1_27lower_bound_config_selectorIflEEZNS1_14transform_implILb0ES3_S5_N6thrust23THRUST_200600_302600_NS6detail15normal_iteratorINS8_7pointerIfNS8_11hip_rocprim16par_det_nosync_tENS8_11use_defaultESE_EEEENSA_INSB_IlSD_SE_SE_EEEEZNS1_13binary_searchIS3_S5_NSA_INS8_10device_ptrIfEEEESG_SI_NS1_21lower_bound_search_opENS9_16wrapped_functionINS8_6system6detail7generic6detail18binary_search_lessEbEEEE10hipError_tPvRmT1_T2_T3_mmT4_T5_P12ihipStream_tbEUlRKfE_EESV_SZ_S10_mS11_S14_bEUlT_E_NS1_11comp_targetILNS1_3genE10ELNS1_11target_archE1201ELNS1_3gpuE5ELNS1_3repE0EEENS1_30default_config_static_selectorELNS0_4arch9wavefront6targetE0EEEvSY_,@function
_ZN7rocprim17ROCPRIM_400000_NS6detail17trampoline_kernelINS0_14default_configENS1_27lower_bound_config_selectorIflEEZNS1_14transform_implILb0ES3_S5_N6thrust23THRUST_200600_302600_NS6detail15normal_iteratorINS8_7pointerIfNS8_11hip_rocprim16par_det_nosync_tENS8_11use_defaultESE_EEEENSA_INSB_IlSD_SE_SE_EEEEZNS1_13binary_searchIS3_S5_NSA_INS8_10device_ptrIfEEEESG_SI_NS1_21lower_bound_search_opENS9_16wrapped_functionINS8_6system6detail7generic6detail18binary_search_lessEbEEEE10hipError_tPvRmT1_T2_T3_mmT4_T5_P12ihipStream_tbEUlRKfE_EESV_SZ_S10_mS11_S14_bEUlT_E_NS1_11comp_targetILNS1_3genE10ELNS1_11target_archE1201ELNS1_3gpuE5ELNS1_3repE0EEENS1_30default_config_static_selectorELNS0_4arch9wavefront6targetE0EEEvSY_: ; @_ZN7rocprim17ROCPRIM_400000_NS6detail17trampoline_kernelINS0_14default_configENS1_27lower_bound_config_selectorIflEEZNS1_14transform_implILb0ES3_S5_N6thrust23THRUST_200600_302600_NS6detail15normal_iteratorINS8_7pointerIfNS8_11hip_rocprim16par_det_nosync_tENS8_11use_defaultESE_EEEENSA_INSB_IlSD_SE_SE_EEEEZNS1_13binary_searchIS3_S5_NSA_INS8_10device_ptrIfEEEESG_SI_NS1_21lower_bound_search_opENS9_16wrapped_functionINS8_6system6detail7generic6detail18binary_search_lessEbEEEE10hipError_tPvRmT1_T2_T3_mmT4_T5_P12ihipStream_tbEUlRKfE_EESV_SZ_S10_mS11_S14_bEUlT_E_NS1_11comp_targetILNS1_3genE10ELNS1_11target_archE1201ELNS1_3gpuE5ELNS1_3repE0EEENS1_30default_config_static_selectorELNS0_4arch9wavefront6targetE0EEEvSY_
; %bb.0:
	.section	.rodata,"a",@progbits
	.p2align	6, 0x0
	.amdhsa_kernel _ZN7rocprim17ROCPRIM_400000_NS6detail17trampoline_kernelINS0_14default_configENS1_27lower_bound_config_selectorIflEEZNS1_14transform_implILb0ES3_S5_N6thrust23THRUST_200600_302600_NS6detail15normal_iteratorINS8_7pointerIfNS8_11hip_rocprim16par_det_nosync_tENS8_11use_defaultESE_EEEENSA_INSB_IlSD_SE_SE_EEEEZNS1_13binary_searchIS3_S5_NSA_INS8_10device_ptrIfEEEESG_SI_NS1_21lower_bound_search_opENS9_16wrapped_functionINS8_6system6detail7generic6detail18binary_search_lessEbEEEE10hipError_tPvRmT1_T2_T3_mmT4_T5_P12ihipStream_tbEUlRKfE_EESV_SZ_S10_mS11_S14_bEUlT_E_NS1_11comp_targetILNS1_3genE10ELNS1_11target_archE1201ELNS1_3gpuE5ELNS1_3repE0EEENS1_30default_config_static_selectorELNS0_4arch9wavefront6targetE0EEEvSY_
		.amdhsa_group_segment_fixed_size 0
		.amdhsa_private_segment_fixed_size 0
		.amdhsa_kernarg_size 56
		.amdhsa_user_sgpr_count 6
		.amdhsa_user_sgpr_private_segment_buffer 1
		.amdhsa_user_sgpr_dispatch_ptr 0
		.amdhsa_user_sgpr_queue_ptr 0
		.amdhsa_user_sgpr_kernarg_segment_ptr 1
		.amdhsa_user_sgpr_dispatch_id 0
		.amdhsa_user_sgpr_flat_scratch_init 0
		.amdhsa_user_sgpr_private_segment_size 0
		.amdhsa_wavefront_size32 1
		.amdhsa_uses_dynamic_stack 0
		.amdhsa_system_sgpr_private_segment_wavefront_offset 0
		.amdhsa_system_sgpr_workgroup_id_x 1
		.amdhsa_system_sgpr_workgroup_id_y 0
		.amdhsa_system_sgpr_workgroup_id_z 0
		.amdhsa_system_sgpr_workgroup_info 0
		.amdhsa_system_vgpr_workitem_id 0
		.amdhsa_next_free_vgpr 1
		.amdhsa_next_free_sgpr 1
		.amdhsa_reserve_vcc 0
		.amdhsa_reserve_flat_scratch 0
		.amdhsa_float_round_mode_32 0
		.amdhsa_float_round_mode_16_64 0
		.amdhsa_float_denorm_mode_32 3
		.amdhsa_float_denorm_mode_16_64 3
		.amdhsa_dx10_clamp 1
		.amdhsa_ieee_mode 1
		.amdhsa_fp16_overflow 0
		.amdhsa_workgroup_processor_mode 1
		.amdhsa_memory_ordered 1
		.amdhsa_forward_progress 1
		.amdhsa_shared_vgpr_count 0
		.amdhsa_exception_fp_ieee_invalid_op 0
		.amdhsa_exception_fp_denorm_src 0
		.amdhsa_exception_fp_ieee_div_zero 0
		.amdhsa_exception_fp_ieee_overflow 0
		.amdhsa_exception_fp_ieee_underflow 0
		.amdhsa_exception_fp_ieee_inexact 0
		.amdhsa_exception_int_div_zero 0
	.end_amdhsa_kernel
	.section	.text._ZN7rocprim17ROCPRIM_400000_NS6detail17trampoline_kernelINS0_14default_configENS1_27lower_bound_config_selectorIflEEZNS1_14transform_implILb0ES3_S5_N6thrust23THRUST_200600_302600_NS6detail15normal_iteratorINS8_7pointerIfNS8_11hip_rocprim16par_det_nosync_tENS8_11use_defaultESE_EEEENSA_INSB_IlSD_SE_SE_EEEEZNS1_13binary_searchIS3_S5_NSA_INS8_10device_ptrIfEEEESG_SI_NS1_21lower_bound_search_opENS9_16wrapped_functionINS8_6system6detail7generic6detail18binary_search_lessEbEEEE10hipError_tPvRmT1_T2_T3_mmT4_T5_P12ihipStream_tbEUlRKfE_EESV_SZ_S10_mS11_S14_bEUlT_E_NS1_11comp_targetILNS1_3genE10ELNS1_11target_archE1201ELNS1_3gpuE5ELNS1_3repE0EEENS1_30default_config_static_selectorELNS0_4arch9wavefront6targetE0EEEvSY_,"axG",@progbits,_ZN7rocprim17ROCPRIM_400000_NS6detail17trampoline_kernelINS0_14default_configENS1_27lower_bound_config_selectorIflEEZNS1_14transform_implILb0ES3_S5_N6thrust23THRUST_200600_302600_NS6detail15normal_iteratorINS8_7pointerIfNS8_11hip_rocprim16par_det_nosync_tENS8_11use_defaultESE_EEEENSA_INSB_IlSD_SE_SE_EEEEZNS1_13binary_searchIS3_S5_NSA_INS8_10device_ptrIfEEEESG_SI_NS1_21lower_bound_search_opENS9_16wrapped_functionINS8_6system6detail7generic6detail18binary_search_lessEbEEEE10hipError_tPvRmT1_T2_T3_mmT4_T5_P12ihipStream_tbEUlRKfE_EESV_SZ_S10_mS11_S14_bEUlT_E_NS1_11comp_targetILNS1_3genE10ELNS1_11target_archE1201ELNS1_3gpuE5ELNS1_3repE0EEENS1_30default_config_static_selectorELNS0_4arch9wavefront6targetE0EEEvSY_,comdat
.Lfunc_end336:
	.size	_ZN7rocprim17ROCPRIM_400000_NS6detail17trampoline_kernelINS0_14default_configENS1_27lower_bound_config_selectorIflEEZNS1_14transform_implILb0ES3_S5_N6thrust23THRUST_200600_302600_NS6detail15normal_iteratorINS8_7pointerIfNS8_11hip_rocprim16par_det_nosync_tENS8_11use_defaultESE_EEEENSA_INSB_IlSD_SE_SE_EEEEZNS1_13binary_searchIS3_S5_NSA_INS8_10device_ptrIfEEEESG_SI_NS1_21lower_bound_search_opENS9_16wrapped_functionINS8_6system6detail7generic6detail18binary_search_lessEbEEEE10hipError_tPvRmT1_T2_T3_mmT4_T5_P12ihipStream_tbEUlRKfE_EESV_SZ_S10_mS11_S14_bEUlT_E_NS1_11comp_targetILNS1_3genE10ELNS1_11target_archE1201ELNS1_3gpuE5ELNS1_3repE0EEENS1_30default_config_static_selectorELNS0_4arch9wavefront6targetE0EEEvSY_, .Lfunc_end336-_ZN7rocprim17ROCPRIM_400000_NS6detail17trampoline_kernelINS0_14default_configENS1_27lower_bound_config_selectorIflEEZNS1_14transform_implILb0ES3_S5_N6thrust23THRUST_200600_302600_NS6detail15normal_iteratorINS8_7pointerIfNS8_11hip_rocprim16par_det_nosync_tENS8_11use_defaultESE_EEEENSA_INSB_IlSD_SE_SE_EEEEZNS1_13binary_searchIS3_S5_NSA_INS8_10device_ptrIfEEEESG_SI_NS1_21lower_bound_search_opENS9_16wrapped_functionINS8_6system6detail7generic6detail18binary_search_lessEbEEEE10hipError_tPvRmT1_T2_T3_mmT4_T5_P12ihipStream_tbEUlRKfE_EESV_SZ_S10_mS11_S14_bEUlT_E_NS1_11comp_targetILNS1_3genE10ELNS1_11target_archE1201ELNS1_3gpuE5ELNS1_3repE0EEENS1_30default_config_static_selectorELNS0_4arch9wavefront6targetE0EEEvSY_
                                        ; -- End function
	.set _ZN7rocprim17ROCPRIM_400000_NS6detail17trampoline_kernelINS0_14default_configENS1_27lower_bound_config_selectorIflEEZNS1_14transform_implILb0ES3_S5_N6thrust23THRUST_200600_302600_NS6detail15normal_iteratorINS8_7pointerIfNS8_11hip_rocprim16par_det_nosync_tENS8_11use_defaultESE_EEEENSA_INSB_IlSD_SE_SE_EEEEZNS1_13binary_searchIS3_S5_NSA_INS8_10device_ptrIfEEEESG_SI_NS1_21lower_bound_search_opENS9_16wrapped_functionINS8_6system6detail7generic6detail18binary_search_lessEbEEEE10hipError_tPvRmT1_T2_T3_mmT4_T5_P12ihipStream_tbEUlRKfE_EESV_SZ_S10_mS11_S14_bEUlT_E_NS1_11comp_targetILNS1_3genE10ELNS1_11target_archE1201ELNS1_3gpuE5ELNS1_3repE0EEENS1_30default_config_static_selectorELNS0_4arch9wavefront6targetE0EEEvSY_.num_vgpr, 0
	.set _ZN7rocprim17ROCPRIM_400000_NS6detail17trampoline_kernelINS0_14default_configENS1_27lower_bound_config_selectorIflEEZNS1_14transform_implILb0ES3_S5_N6thrust23THRUST_200600_302600_NS6detail15normal_iteratorINS8_7pointerIfNS8_11hip_rocprim16par_det_nosync_tENS8_11use_defaultESE_EEEENSA_INSB_IlSD_SE_SE_EEEEZNS1_13binary_searchIS3_S5_NSA_INS8_10device_ptrIfEEEESG_SI_NS1_21lower_bound_search_opENS9_16wrapped_functionINS8_6system6detail7generic6detail18binary_search_lessEbEEEE10hipError_tPvRmT1_T2_T3_mmT4_T5_P12ihipStream_tbEUlRKfE_EESV_SZ_S10_mS11_S14_bEUlT_E_NS1_11comp_targetILNS1_3genE10ELNS1_11target_archE1201ELNS1_3gpuE5ELNS1_3repE0EEENS1_30default_config_static_selectorELNS0_4arch9wavefront6targetE0EEEvSY_.num_agpr, 0
	.set _ZN7rocprim17ROCPRIM_400000_NS6detail17trampoline_kernelINS0_14default_configENS1_27lower_bound_config_selectorIflEEZNS1_14transform_implILb0ES3_S5_N6thrust23THRUST_200600_302600_NS6detail15normal_iteratorINS8_7pointerIfNS8_11hip_rocprim16par_det_nosync_tENS8_11use_defaultESE_EEEENSA_INSB_IlSD_SE_SE_EEEEZNS1_13binary_searchIS3_S5_NSA_INS8_10device_ptrIfEEEESG_SI_NS1_21lower_bound_search_opENS9_16wrapped_functionINS8_6system6detail7generic6detail18binary_search_lessEbEEEE10hipError_tPvRmT1_T2_T3_mmT4_T5_P12ihipStream_tbEUlRKfE_EESV_SZ_S10_mS11_S14_bEUlT_E_NS1_11comp_targetILNS1_3genE10ELNS1_11target_archE1201ELNS1_3gpuE5ELNS1_3repE0EEENS1_30default_config_static_selectorELNS0_4arch9wavefront6targetE0EEEvSY_.numbered_sgpr, 0
	.set _ZN7rocprim17ROCPRIM_400000_NS6detail17trampoline_kernelINS0_14default_configENS1_27lower_bound_config_selectorIflEEZNS1_14transform_implILb0ES3_S5_N6thrust23THRUST_200600_302600_NS6detail15normal_iteratorINS8_7pointerIfNS8_11hip_rocprim16par_det_nosync_tENS8_11use_defaultESE_EEEENSA_INSB_IlSD_SE_SE_EEEEZNS1_13binary_searchIS3_S5_NSA_INS8_10device_ptrIfEEEESG_SI_NS1_21lower_bound_search_opENS9_16wrapped_functionINS8_6system6detail7generic6detail18binary_search_lessEbEEEE10hipError_tPvRmT1_T2_T3_mmT4_T5_P12ihipStream_tbEUlRKfE_EESV_SZ_S10_mS11_S14_bEUlT_E_NS1_11comp_targetILNS1_3genE10ELNS1_11target_archE1201ELNS1_3gpuE5ELNS1_3repE0EEENS1_30default_config_static_selectorELNS0_4arch9wavefront6targetE0EEEvSY_.num_named_barrier, 0
	.set _ZN7rocprim17ROCPRIM_400000_NS6detail17trampoline_kernelINS0_14default_configENS1_27lower_bound_config_selectorIflEEZNS1_14transform_implILb0ES3_S5_N6thrust23THRUST_200600_302600_NS6detail15normal_iteratorINS8_7pointerIfNS8_11hip_rocprim16par_det_nosync_tENS8_11use_defaultESE_EEEENSA_INSB_IlSD_SE_SE_EEEEZNS1_13binary_searchIS3_S5_NSA_INS8_10device_ptrIfEEEESG_SI_NS1_21lower_bound_search_opENS9_16wrapped_functionINS8_6system6detail7generic6detail18binary_search_lessEbEEEE10hipError_tPvRmT1_T2_T3_mmT4_T5_P12ihipStream_tbEUlRKfE_EESV_SZ_S10_mS11_S14_bEUlT_E_NS1_11comp_targetILNS1_3genE10ELNS1_11target_archE1201ELNS1_3gpuE5ELNS1_3repE0EEENS1_30default_config_static_selectorELNS0_4arch9wavefront6targetE0EEEvSY_.private_seg_size, 0
	.set _ZN7rocprim17ROCPRIM_400000_NS6detail17trampoline_kernelINS0_14default_configENS1_27lower_bound_config_selectorIflEEZNS1_14transform_implILb0ES3_S5_N6thrust23THRUST_200600_302600_NS6detail15normal_iteratorINS8_7pointerIfNS8_11hip_rocprim16par_det_nosync_tENS8_11use_defaultESE_EEEENSA_INSB_IlSD_SE_SE_EEEEZNS1_13binary_searchIS3_S5_NSA_INS8_10device_ptrIfEEEESG_SI_NS1_21lower_bound_search_opENS9_16wrapped_functionINS8_6system6detail7generic6detail18binary_search_lessEbEEEE10hipError_tPvRmT1_T2_T3_mmT4_T5_P12ihipStream_tbEUlRKfE_EESV_SZ_S10_mS11_S14_bEUlT_E_NS1_11comp_targetILNS1_3genE10ELNS1_11target_archE1201ELNS1_3gpuE5ELNS1_3repE0EEENS1_30default_config_static_selectorELNS0_4arch9wavefront6targetE0EEEvSY_.uses_vcc, 0
	.set _ZN7rocprim17ROCPRIM_400000_NS6detail17trampoline_kernelINS0_14default_configENS1_27lower_bound_config_selectorIflEEZNS1_14transform_implILb0ES3_S5_N6thrust23THRUST_200600_302600_NS6detail15normal_iteratorINS8_7pointerIfNS8_11hip_rocprim16par_det_nosync_tENS8_11use_defaultESE_EEEENSA_INSB_IlSD_SE_SE_EEEEZNS1_13binary_searchIS3_S5_NSA_INS8_10device_ptrIfEEEESG_SI_NS1_21lower_bound_search_opENS9_16wrapped_functionINS8_6system6detail7generic6detail18binary_search_lessEbEEEE10hipError_tPvRmT1_T2_T3_mmT4_T5_P12ihipStream_tbEUlRKfE_EESV_SZ_S10_mS11_S14_bEUlT_E_NS1_11comp_targetILNS1_3genE10ELNS1_11target_archE1201ELNS1_3gpuE5ELNS1_3repE0EEENS1_30default_config_static_selectorELNS0_4arch9wavefront6targetE0EEEvSY_.uses_flat_scratch, 0
	.set _ZN7rocprim17ROCPRIM_400000_NS6detail17trampoline_kernelINS0_14default_configENS1_27lower_bound_config_selectorIflEEZNS1_14transform_implILb0ES3_S5_N6thrust23THRUST_200600_302600_NS6detail15normal_iteratorINS8_7pointerIfNS8_11hip_rocprim16par_det_nosync_tENS8_11use_defaultESE_EEEENSA_INSB_IlSD_SE_SE_EEEEZNS1_13binary_searchIS3_S5_NSA_INS8_10device_ptrIfEEEESG_SI_NS1_21lower_bound_search_opENS9_16wrapped_functionINS8_6system6detail7generic6detail18binary_search_lessEbEEEE10hipError_tPvRmT1_T2_T3_mmT4_T5_P12ihipStream_tbEUlRKfE_EESV_SZ_S10_mS11_S14_bEUlT_E_NS1_11comp_targetILNS1_3genE10ELNS1_11target_archE1201ELNS1_3gpuE5ELNS1_3repE0EEENS1_30default_config_static_selectorELNS0_4arch9wavefront6targetE0EEEvSY_.has_dyn_sized_stack, 0
	.set _ZN7rocprim17ROCPRIM_400000_NS6detail17trampoline_kernelINS0_14default_configENS1_27lower_bound_config_selectorIflEEZNS1_14transform_implILb0ES3_S5_N6thrust23THRUST_200600_302600_NS6detail15normal_iteratorINS8_7pointerIfNS8_11hip_rocprim16par_det_nosync_tENS8_11use_defaultESE_EEEENSA_INSB_IlSD_SE_SE_EEEEZNS1_13binary_searchIS3_S5_NSA_INS8_10device_ptrIfEEEESG_SI_NS1_21lower_bound_search_opENS9_16wrapped_functionINS8_6system6detail7generic6detail18binary_search_lessEbEEEE10hipError_tPvRmT1_T2_T3_mmT4_T5_P12ihipStream_tbEUlRKfE_EESV_SZ_S10_mS11_S14_bEUlT_E_NS1_11comp_targetILNS1_3genE10ELNS1_11target_archE1201ELNS1_3gpuE5ELNS1_3repE0EEENS1_30default_config_static_selectorELNS0_4arch9wavefront6targetE0EEEvSY_.has_recursion, 0
	.set _ZN7rocprim17ROCPRIM_400000_NS6detail17trampoline_kernelINS0_14default_configENS1_27lower_bound_config_selectorIflEEZNS1_14transform_implILb0ES3_S5_N6thrust23THRUST_200600_302600_NS6detail15normal_iteratorINS8_7pointerIfNS8_11hip_rocprim16par_det_nosync_tENS8_11use_defaultESE_EEEENSA_INSB_IlSD_SE_SE_EEEEZNS1_13binary_searchIS3_S5_NSA_INS8_10device_ptrIfEEEESG_SI_NS1_21lower_bound_search_opENS9_16wrapped_functionINS8_6system6detail7generic6detail18binary_search_lessEbEEEE10hipError_tPvRmT1_T2_T3_mmT4_T5_P12ihipStream_tbEUlRKfE_EESV_SZ_S10_mS11_S14_bEUlT_E_NS1_11comp_targetILNS1_3genE10ELNS1_11target_archE1201ELNS1_3gpuE5ELNS1_3repE0EEENS1_30default_config_static_selectorELNS0_4arch9wavefront6targetE0EEEvSY_.has_indirect_call, 0
	.section	.AMDGPU.csdata,"",@progbits
; Kernel info:
; codeLenInByte = 0
; TotalNumSgprs: 0
; NumVgprs: 0
; ScratchSize: 0
; MemoryBound: 0
; FloatMode: 240
; IeeeMode: 1
; LDSByteSize: 0 bytes/workgroup (compile time only)
; SGPRBlocks: 0
; VGPRBlocks: 0
; NumSGPRsForWavesPerEU: 1
; NumVGPRsForWavesPerEU: 1
; Occupancy: 16
; WaveLimiterHint : 0
; COMPUTE_PGM_RSRC2:SCRATCH_EN: 0
; COMPUTE_PGM_RSRC2:USER_SGPR: 6
; COMPUTE_PGM_RSRC2:TRAP_HANDLER: 0
; COMPUTE_PGM_RSRC2:TGID_X_EN: 1
; COMPUTE_PGM_RSRC2:TGID_Y_EN: 0
; COMPUTE_PGM_RSRC2:TGID_Z_EN: 0
; COMPUTE_PGM_RSRC2:TIDIG_COMP_CNT: 0
	.section	.text._ZN7rocprim17ROCPRIM_400000_NS6detail17trampoline_kernelINS0_14default_configENS1_27lower_bound_config_selectorIflEEZNS1_14transform_implILb0ES3_S5_N6thrust23THRUST_200600_302600_NS6detail15normal_iteratorINS8_7pointerIfNS8_11hip_rocprim16par_det_nosync_tENS8_11use_defaultESE_EEEENSA_INSB_IlSD_SE_SE_EEEEZNS1_13binary_searchIS3_S5_NSA_INS8_10device_ptrIfEEEESG_SI_NS1_21lower_bound_search_opENS9_16wrapped_functionINS8_6system6detail7generic6detail18binary_search_lessEbEEEE10hipError_tPvRmT1_T2_T3_mmT4_T5_P12ihipStream_tbEUlRKfE_EESV_SZ_S10_mS11_S14_bEUlT_E_NS1_11comp_targetILNS1_3genE10ELNS1_11target_archE1200ELNS1_3gpuE4ELNS1_3repE0EEENS1_30default_config_static_selectorELNS0_4arch9wavefront6targetE0EEEvSY_,"axG",@progbits,_ZN7rocprim17ROCPRIM_400000_NS6detail17trampoline_kernelINS0_14default_configENS1_27lower_bound_config_selectorIflEEZNS1_14transform_implILb0ES3_S5_N6thrust23THRUST_200600_302600_NS6detail15normal_iteratorINS8_7pointerIfNS8_11hip_rocprim16par_det_nosync_tENS8_11use_defaultESE_EEEENSA_INSB_IlSD_SE_SE_EEEEZNS1_13binary_searchIS3_S5_NSA_INS8_10device_ptrIfEEEESG_SI_NS1_21lower_bound_search_opENS9_16wrapped_functionINS8_6system6detail7generic6detail18binary_search_lessEbEEEE10hipError_tPvRmT1_T2_T3_mmT4_T5_P12ihipStream_tbEUlRKfE_EESV_SZ_S10_mS11_S14_bEUlT_E_NS1_11comp_targetILNS1_3genE10ELNS1_11target_archE1200ELNS1_3gpuE4ELNS1_3repE0EEENS1_30default_config_static_selectorELNS0_4arch9wavefront6targetE0EEEvSY_,comdat
	.protected	_ZN7rocprim17ROCPRIM_400000_NS6detail17trampoline_kernelINS0_14default_configENS1_27lower_bound_config_selectorIflEEZNS1_14transform_implILb0ES3_S5_N6thrust23THRUST_200600_302600_NS6detail15normal_iteratorINS8_7pointerIfNS8_11hip_rocprim16par_det_nosync_tENS8_11use_defaultESE_EEEENSA_INSB_IlSD_SE_SE_EEEEZNS1_13binary_searchIS3_S5_NSA_INS8_10device_ptrIfEEEESG_SI_NS1_21lower_bound_search_opENS9_16wrapped_functionINS8_6system6detail7generic6detail18binary_search_lessEbEEEE10hipError_tPvRmT1_T2_T3_mmT4_T5_P12ihipStream_tbEUlRKfE_EESV_SZ_S10_mS11_S14_bEUlT_E_NS1_11comp_targetILNS1_3genE10ELNS1_11target_archE1200ELNS1_3gpuE4ELNS1_3repE0EEENS1_30default_config_static_selectorELNS0_4arch9wavefront6targetE0EEEvSY_ ; -- Begin function _ZN7rocprim17ROCPRIM_400000_NS6detail17trampoline_kernelINS0_14default_configENS1_27lower_bound_config_selectorIflEEZNS1_14transform_implILb0ES3_S5_N6thrust23THRUST_200600_302600_NS6detail15normal_iteratorINS8_7pointerIfNS8_11hip_rocprim16par_det_nosync_tENS8_11use_defaultESE_EEEENSA_INSB_IlSD_SE_SE_EEEEZNS1_13binary_searchIS3_S5_NSA_INS8_10device_ptrIfEEEESG_SI_NS1_21lower_bound_search_opENS9_16wrapped_functionINS8_6system6detail7generic6detail18binary_search_lessEbEEEE10hipError_tPvRmT1_T2_T3_mmT4_T5_P12ihipStream_tbEUlRKfE_EESV_SZ_S10_mS11_S14_bEUlT_E_NS1_11comp_targetILNS1_3genE10ELNS1_11target_archE1200ELNS1_3gpuE4ELNS1_3repE0EEENS1_30default_config_static_selectorELNS0_4arch9wavefront6targetE0EEEvSY_
	.globl	_ZN7rocprim17ROCPRIM_400000_NS6detail17trampoline_kernelINS0_14default_configENS1_27lower_bound_config_selectorIflEEZNS1_14transform_implILb0ES3_S5_N6thrust23THRUST_200600_302600_NS6detail15normal_iteratorINS8_7pointerIfNS8_11hip_rocprim16par_det_nosync_tENS8_11use_defaultESE_EEEENSA_INSB_IlSD_SE_SE_EEEEZNS1_13binary_searchIS3_S5_NSA_INS8_10device_ptrIfEEEESG_SI_NS1_21lower_bound_search_opENS9_16wrapped_functionINS8_6system6detail7generic6detail18binary_search_lessEbEEEE10hipError_tPvRmT1_T2_T3_mmT4_T5_P12ihipStream_tbEUlRKfE_EESV_SZ_S10_mS11_S14_bEUlT_E_NS1_11comp_targetILNS1_3genE10ELNS1_11target_archE1200ELNS1_3gpuE4ELNS1_3repE0EEENS1_30default_config_static_selectorELNS0_4arch9wavefront6targetE0EEEvSY_
	.p2align	8
	.type	_ZN7rocprim17ROCPRIM_400000_NS6detail17trampoline_kernelINS0_14default_configENS1_27lower_bound_config_selectorIflEEZNS1_14transform_implILb0ES3_S5_N6thrust23THRUST_200600_302600_NS6detail15normal_iteratorINS8_7pointerIfNS8_11hip_rocprim16par_det_nosync_tENS8_11use_defaultESE_EEEENSA_INSB_IlSD_SE_SE_EEEEZNS1_13binary_searchIS3_S5_NSA_INS8_10device_ptrIfEEEESG_SI_NS1_21lower_bound_search_opENS9_16wrapped_functionINS8_6system6detail7generic6detail18binary_search_lessEbEEEE10hipError_tPvRmT1_T2_T3_mmT4_T5_P12ihipStream_tbEUlRKfE_EESV_SZ_S10_mS11_S14_bEUlT_E_NS1_11comp_targetILNS1_3genE10ELNS1_11target_archE1200ELNS1_3gpuE4ELNS1_3repE0EEENS1_30default_config_static_selectorELNS0_4arch9wavefront6targetE0EEEvSY_,@function
_ZN7rocprim17ROCPRIM_400000_NS6detail17trampoline_kernelINS0_14default_configENS1_27lower_bound_config_selectorIflEEZNS1_14transform_implILb0ES3_S5_N6thrust23THRUST_200600_302600_NS6detail15normal_iteratorINS8_7pointerIfNS8_11hip_rocprim16par_det_nosync_tENS8_11use_defaultESE_EEEENSA_INSB_IlSD_SE_SE_EEEEZNS1_13binary_searchIS3_S5_NSA_INS8_10device_ptrIfEEEESG_SI_NS1_21lower_bound_search_opENS9_16wrapped_functionINS8_6system6detail7generic6detail18binary_search_lessEbEEEE10hipError_tPvRmT1_T2_T3_mmT4_T5_P12ihipStream_tbEUlRKfE_EESV_SZ_S10_mS11_S14_bEUlT_E_NS1_11comp_targetILNS1_3genE10ELNS1_11target_archE1200ELNS1_3gpuE4ELNS1_3repE0EEENS1_30default_config_static_selectorELNS0_4arch9wavefront6targetE0EEEvSY_: ; @_ZN7rocprim17ROCPRIM_400000_NS6detail17trampoline_kernelINS0_14default_configENS1_27lower_bound_config_selectorIflEEZNS1_14transform_implILb0ES3_S5_N6thrust23THRUST_200600_302600_NS6detail15normal_iteratorINS8_7pointerIfNS8_11hip_rocprim16par_det_nosync_tENS8_11use_defaultESE_EEEENSA_INSB_IlSD_SE_SE_EEEEZNS1_13binary_searchIS3_S5_NSA_INS8_10device_ptrIfEEEESG_SI_NS1_21lower_bound_search_opENS9_16wrapped_functionINS8_6system6detail7generic6detail18binary_search_lessEbEEEE10hipError_tPvRmT1_T2_T3_mmT4_T5_P12ihipStream_tbEUlRKfE_EESV_SZ_S10_mS11_S14_bEUlT_E_NS1_11comp_targetILNS1_3genE10ELNS1_11target_archE1200ELNS1_3gpuE4ELNS1_3repE0EEENS1_30default_config_static_selectorELNS0_4arch9wavefront6targetE0EEEvSY_
; %bb.0:
	.section	.rodata,"a",@progbits
	.p2align	6, 0x0
	.amdhsa_kernel _ZN7rocprim17ROCPRIM_400000_NS6detail17trampoline_kernelINS0_14default_configENS1_27lower_bound_config_selectorIflEEZNS1_14transform_implILb0ES3_S5_N6thrust23THRUST_200600_302600_NS6detail15normal_iteratorINS8_7pointerIfNS8_11hip_rocprim16par_det_nosync_tENS8_11use_defaultESE_EEEENSA_INSB_IlSD_SE_SE_EEEEZNS1_13binary_searchIS3_S5_NSA_INS8_10device_ptrIfEEEESG_SI_NS1_21lower_bound_search_opENS9_16wrapped_functionINS8_6system6detail7generic6detail18binary_search_lessEbEEEE10hipError_tPvRmT1_T2_T3_mmT4_T5_P12ihipStream_tbEUlRKfE_EESV_SZ_S10_mS11_S14_bEUlT_E_NS1_11comp_targetILNS1_3genE10ELNS1_11target_archE1200ELNS1_3gpuE4ELNS1_3repE0EEENS1_30default_config_static_selectorELNS0_4arch9wavefront6targetE0EEEvSY_
		.amdhsa_group_segment_fixed_size 0
		.amdhsa_private_segment_fixed_size 0
		.amdhsa_kernarg_size 56
		.amdhsa_user_sgpr_count 6
		.amdhsa_user_sgpr_private_segment_buffer 1
		.amdhsa_user_sgpr_dispatch_ptr 0
		.amdhsa_user_sgpr_queue_ptr 0
		.amdhsa_user_sgpr_kernarg_segment_ptr 1
		.amdhsa_user_sgpr_dispatch_id 0
		.amdhsa_user_sgpr_flat_scratch_init 0
		.amdhsa_user_sgpr_private_segment_size 0
		.amdhsa_wavefront_size32 1
		.amdhsa_uses_dynamic_stack 0
		.amdhsa_system_sgpr_private_segment_wavefront_offset 0
		.amdhsa_system_sgpr_workgroup_id_x 1
		.amdhsa_system_sgpr_workgroup_id_y 0
		.amdhsa_system_sgpr_workgroup_id_z 0
		.amdhsa_system_sgpr_workgroup_info 0
		.amdhsa_system_vgpr_workitem_id 0
		.amdhsa_next_free_vgpr 1
		.amdhsa_next_free_sgpr 1
		.amdhsa_reserve_vcc 0
		.amdhsa_reserve_flat_scratch 0
		.amdhsa_float_round_mode_32 0
		.amdhsa_float_round_mode_16_64 0
		.amdhsa_float_denorm_mode_32 3
		.amdhsa_float_denorm_mode_16_64 3
		.amdhsa_dx10_clamp 1
		.amdhsa_ieee_mode 1
		.amdhsa_fp16_overflow 0
		.amdhsa_workgroup_processor_mode 1
		.amdhsa_memory_ordered 1
		.amdhsa_forward_progress 1
		.amdhsa_shared_vgpr_count 0
		.amdhsa_exception_fp_ieee_invalid_op 0
		.amdhsa_exception_fp_denorm_src 0
		.amdhsa_exception_fp_ieee_div_zero 0
		.amdhsa_exception_fp_ieee_overflow 0
		.amdhsa_exception_fp_ieee_underflow 0
		.amdhsa_exception_fp_ieee_inexact 0
		.amdhsa_exception_int_div_zero 0
	.end_amdhsa_kernel
	.section	.text._ZN7rocprim17ROCPRIM_400000_NS6detail17trampoline_kernelINS0_14default_configENS1_27lower_bound_config_selectorIflEEZNS1_14transform_implILb0ES3_S5_N6thrust23THRUST_200600_302600_NS6detail15normal_iteratorINS8_7pointerIfNS8_11hip_rocprim16par_det_nosync_tENS8_11use_defaultESE_EEEENSA_INSB_IlSD_SE_SE_EEEEZNS1_13binary_searchIS3_S5_NSA_INS8_10device_ptrIfEEEESG_SI_NS1_21lower_bound_search_opENS9_16wrapped_functionINS8_6system6detail7generic6detail18binary_search_lessEbEEEE10hipError_tPvRmT1_T2_T3_mmT4_T5_P12ihipStream_tbEUlRKfE_EESV_SZ_S10_mS11_S14_bEUlT_E_NS1_11comp_targetILNS1_3genE10ELNS1_11target_archE1200ELNS1_3gpuE4ELNS1_3repE0EEENS1_30default_config_static_selectorELNS0_4arch9wavefront6targetE0EEEvSY_,"axG",@progbits,_ZN7rocprim17ROCPRIM_400000_NS6detail17trampoline_kernelINS0_14default_configENS1_27lower_bound_config_selectorIflEEZNS1_14transform_implILb0ES3_S5_N6thrust23THRUST_200600_302600_NS6detail15normal_iteratorINS8_7pointerIfNS8_11hip_rocprim16par_det_nosync_tENS8_11use_defaultESE_EEEENSA_INSB_IlSD_SE_SE_EEEEZNS1_13binary_searchIS3_S5_NSA_INS8_10device_ptrIfEEEESG_SI_NS1_21lower_bound_search_opENS9_16wrapped_functionINS8_6system6detail7generic6detail18binary_search_lessEbEEEE10hipError_tPvRmT1_T2_T3_mmT4_T5_P12ihipStream_tbEUlRKfE_EESV_SZ_S10_mS11_S14_bEUlT_E_NS1_11comp_targetILNS1_3genE10ELNS1_11target_archE1200ELNS1_3gpuE4ELNS1_3repE0EEENS1_30default_config_static_selectorELNS0_4arch9wavefront6targetE0EEEvSY_,comdat
.Lfunc_end337:
	.size	_ZN7rocprim17ROCPRIM_400000_NS6detail17trampoline_kernelINS0_14default_configENS1_27lower_bound_config_selectorIflEEZNS1_14transform_implILb0ES3_S5_N6thrust23THRUST_200600_302600_NS6detail15normal_iteratorINS8_7pointerIfNS8_11hip_rocprim16par_det_nosync_tENS8_11use_defaultESE_EEEENSA_INSB_IlSD_SE_SE_EEEEZNS1_13binary_searchIS3_S5_NSA_INS8_10device_ptrIfEEEESG_SI_NS1_21lower_bound_search_opENS9_16wrapped_functionINS8_6system6detail7generic6detail18binary_search_lessEbEEEE10hipError_tPvRmT1_T2_T3_mmT4_T5_P12ihipStream_tbEUlRKfE_EESV_SZ_S10_mS11_S14_bEUlT_E_NS1_11comp_targetILNS1_3genE10ELNS1_11target_archE1200ELNS1_3gpuE4ELNS1_3repE0EEENS1_30default_config_static_selectorELNS0_4arch9wavefront6targetE0EEEvSY_, .Lfunc_end337-_ZN7rocprim17ROCPRIM_400000_NS6detail17trampoline_kernelINS0_14default_configENS1_27lower_bound_config_selectorIflEEZNS1_14transform_implILb0ES3_S5_N6thrust23THRUST_200600_302600_NS6detail15normal_iteratorINS8_7pointerIfNS8_11hip_rocprim16par_det_nosync_tENS8_11use_defaultESE_EEEENSA_INSB_IlSD_SE_SE_EEEEZNS1_13binary_searchIS3_S5_NSA_INS8_10device_ptrIfEEEESG_SI_NS1_21lower_bound_search_opENS9_16wrapped_functionINS8_6system6detail7generic6detail18binary_search_lessEbEEEE10hipError_tPvRmT1_T2_T3_mmT4_T5_P12ihipStream_tbEUlRKfE_EESV_SZ_S10_mS11_S14_bEUlT_E_NS1_11comp_targetILNS1_3genE10ELNS1_11target_archE1200ELNS1_3gpuE4ELNS1_3repE0EEENS1_30default_config_static_selectorELNS0_4arch9wavefront6targetE0EEEvSY_
                                        ; -- End function
	.set _ZN7rocprim17ROCPRIM_400000_NS6detail17trampoline_kernelINS0_14default_configENS1_27lower_bound_config_selectorIflEEZNS1_14transform_implILb0ES3_S5_N6thrust23THRUST_200600_302600_NS6detail15normal_iteratorINS8_7pointerIfNS8_11hip_rocprim16par_det_nosync_tENS8_11use_defaultESE_EEEENSA_INSB_IlSD_SE_SE_EEEEZNS1_13binary_searchIS3_S5_NSA_INS8_10device_ptrIfEEEESG_SI_NS1_21lower_bound_search_opENS9_16wrapped_functionINS8_6system6detail7generic6detail18binary_search_lessEbEEEE10hipError_tPvRmT1_T2_T3_mmT4_T5_P12ihipStream_tbEUlRKfE_EESV_SZ_S10_mS11_S14_bEUlT_E_NS1_11comp_targetILNS1_3genE10ELNS1_11target_archE1200ELNS1_3gpuE4ELNS1_3repE0EEENS1_30default_config_static_selectorELNS0_4arch9wavefront6targetE0EEEvSY_.num_vgpr, 0
	.set _ZN7rocprim17ROCPRIM_400000_NS6detail17trampoline_kernelINS0_14default_configENS1_27lower_bound_config_selectorIflEEZNS1_14transform_implILb0ES3_S5_N6thrust23THRUST_200600_302600_NS6detail15normal_iteratorINS8_7pointerIfNS8_11hip_rocprim16par_det_nosync_tENS8_11use_defaultESE_EEEENSA_INSB_IlSD_SE_SE_EEEEZNS1_13binary_searchIS3_S5_NSA_INS8_10device_ptrIfEEEESG_SI_NS1_21lower_bound_search_opENS9_16wrapped_functionINS8_6system6detail7generic6detail18binary_search_lessEbEEEE10hipError_tPvRmT1_T2_T3_mmT4_T5_P12ihipStream_tbEUlRKfE_EESV_SZ_S10_mS11_S14_bEUlT_E_NS1_11comp_targetILNS1_3genE10ELNS1_11target_archE1200ELNS1_3gpuE4ELNS1_3repE0EEENS1_30default_config_static_selectorELNS0_4arch9wavefront6targetE0EEEvSY_.num_agpr, 0
	.set _ZN7rocprim17ROCPRIM_400000_NS6detail17trampoline_kernelINS0_14default_configENS1_27lower_bound_config_selectorIflEEZNS1_14transform_implILb0ES3_S5_N6thrust23THRUST_200600_302600_NS6detail15normal_iteratorINS8_7pointerIfNS8_11hip_rocprim16par_det_nosync_tENS8_11use_defaultESE_EEEENSA_INSB_IlSD_SE_SE_EEEEZNS1_13binary_searchIS3_S5_NSA_INS8_10device_ptrIfEEEESG_SI_NS1_21lower_bound_search_opENS9_16wrapped_functionINS8_6system6detail7generic6detail18binary_search_lessEbEEEE10hipError_tPvRmT1_T2_T3_mmT4_T5_P12ihipStream_tbEUlRKfE_EESV_SZ_S10_mS11_S14_bEUlT_E_NS1_11comp_targetILNS1_3genE10ELNS1_11target_archE1200ELNS1_3gpuE4ELNS1_3repE0EEENS1_30default_config_static_selectorELNS0_4arch9wavefront6targetE0EEEvSY_.numbered_sgpr, 0
	.set _ZN7rocprim17ROCPRIM_400000_NS6detail17trampoline_kernelINS0_14default_configENS1_27lower_bound_config_selectorIflEEZNS1_14transform_implILb0ES3_S5_N6thrust23THRUST_200600_302600_NS6detail15normal_iteratorINS8_7pointerIfNS8_11hip_rocprim16par_det_nosync_tENS8_11use_defaultESE_EEEENSA_INSB_IlSD_SE_SE_EEEEZNS1_13binary_searchIS3_S5_NSA_INS8_10device_ptrIfEEEESG_SI_NS1_21lower_bound_search_opENS9_16wrapped_functionINS8_6system6detail7generic6detail18binary_search_lessEbEEEE10hipError_tPvRmT1_T2_T3_mmT4_T5_P12ihipStream_tbEUlRKfE_EESV_SZ_S10_mS11_S14_bEUlT_E_NS1_11comp_targetILNS1_3genE10ELNS1_11target_archE1200ELNS1_3gpuE4ELNS1_3repE0EEENS1_30default_config_static_selectorELNS0_4arch9wavefront6targetE0EEEvSY_.num_named_barrier, 0
	.set _ZN7rocprim17ROCPRIM_400000_NS6detail17trampoline_kernelINS0_14default_configENS1_27lower_bound_config_selectorIflEEZNS1_14transform_implILb0ES3_S5_N6thrust23THRUST_200600_302600_NS6detail15normal_iteratorINS8_7pointerIfNS8_11hip_rocprim16par_det_nosync_tENS8_11use_defaultESE_EEEENSA_INSB_IlSD_SE_SE_EEEEZNS1_13binary_searchIS3_S5_NSA_INS8_10device_ptrIfEEEESG_SI_NS1_21lower_bound_search_opENS9_16wrapped_functionINS8_6system6detail7generic6detail18binary_search_lessEbEEEE10hipError_tPvRmT1_T2_T3_mmT4_T5_P12ihipStream_tbEUlRKfE_EESV_SZ_S10_mS11_S14_bEUlT_E_NS1_11comp_targetILNS1_3genE10ELNS1_11target_archE1200ELNS1_3gpuE4ELNS1_3repE0EEENS1_30default_config_static_selectorELNS0_4arch9wavefront6targetE0EEEvSY_.private_seg_size, 0
	.set _ZN7rocprim17ROCPRIM_400000_NS6detail17trampoline_kernelINS0_14default_configENS1_27lower_bound_config_selectorIflEEZNS1_14transform_implILb0ES3_S5_N6thrust23THRUST_200600_302600_NS6detail15normal_iteratorINS8_7pointerIfNS8_11hip_rocprim16par_det_nosync_tENS8_11use_defaultESE_EEEENSA_INSB_IlSD_SE_SE_EEEEZNS1_13binary_searchIS3_S5_NSA_INS8_10device_ptrIfEEEESG_SI_NS1_21lower_bound_search_opENS9_16wrapped_functionINS8_6system6detail7generic6detail18binary_search_lessEbEEEE10hipError_tPvRmT1_T2_T3_mmT4_T5_P12ihipStream_tbEUlRKfE_EESV_SZ_S10_mS11_S14_bEUlT_E_NS1_11comp_targetILNS1_3genE10ELNS1_11target_archE1200ELNS1_3gpuE4ELNS1_3repE0EEENS1_30default_config_static_selectorELNS0_4arch9wavefront6targetE0EEEvSY_.uses_vcc, 0
	.set _ZN7rocprim17ROCPRIM_400000_NS6detail17trampoline_kernelINS0_14default_configENS1_27lower_bound_config_selectorIflEEZNS1_14transform_implILb0ES3_S5_N6thrust23THRUST_200600_302600_NS6detail15normal_iteratorINS8_7pointerIfNS8_11hip_rocprim16par_det_nosync_tENS8_11use_defaultESE_EEEENSA_INSB_IlSD_SE_SE_EEEEZNS1_13binary_searchIS3_S5_NSA_INS8_10device_ptrIfEEEESG_SI_NS1_21lower_bound_search_opENS9_16wrapped_functionINS8_6system6detail7generic6detail18binary_search_lessEbEEEE10hipError_tPvRmT1_T2_T3_mmT4_T5_P12ihipStream_tbEUlRKfE_EESV_SZ_S10_mS11_S14_bEUlT_E_NS1_11comp_targetILNS1_3genE10ELNS1_11target_archE1200ELNS1_3gpuE4ELNS1_3repE0EEENS1_30default_config_static_selectorELNS0_4arch9wavefront6targetE0EEEvSY_.uses_flat_scratch, 0
	.set _ZN7rocprim17ROCPRIM_400000_NS6detail17trampoline_kernelINS0_14default_configENS1_27lower_bound_config_selectorIflEEZNS1_14transform_implILb0ES3_S5_N6thrust23THRUST_200600_302600_NS6detail15normal_iteratorINS8_7pointerIfNS8_11hip_rocprim16par_det_nosync_tENS8_11use_defaultESE_EEEENSA_INSB_IlSD_SE_SE_EEEEZNS1_13binary_searchIS3_S5_NSA_INS8_10device_ptrIfEEEESG_SI_NS1_21lower_bound_search_opENS9_16wrapped_functionINS8_6system6detail7generic6detail18binary_search_lessEbEEEE10hipError_tPvRmT1_T2_T3_mmT4_T5_P12ihipStream_tbEUlRKfE_EESV_SZ_S10_mS11_S14_bEUlT_E_NS1_11comp_targetILNS1_3genE10ELNS1_11target_archE1200ELNS1_3gpuE4ELNS1_3repE0EEENS1_30default_config_static_selectorELNS0_4arch9wavefront6targetE0EEEvSY_.has_dyn_sized_stack, 0
	.set _ZN7rocprim17ROCPRIM_400000_NS6detail17trampoline_kernelINS0_14default_configENS1_27lower_bound_config_selectorIflEEZNS1_14transform_implILb0ES3_S5_N6thrust23THRUST_200600_302600_NS6detail15normal_iteratorINS8_7pointerIfNS8_11hip_rocprim16par_det_nosync_tENS8_11use_defaultESE_EEEENSA_INSB_IlSD_SE_SE_EEEEZNS1_13binary_searchIS3_S5_NSA_INS8_10device_ptrIfEEEESG_SI_NS1_21lower_bound_search_opENS9_16wrapped_functionINS8_6system6detail7generic6detail18binary_search_lessEbEEEE10hipError_tPvRmT1_T2_T3_mmT4_T5_P12ihipStream_tbEUlRKfE_EESV_SZ_S10_mS11_S14_bEUlT_E_NS1_11comp_targetILNS1_3genE10ELNS1_11target_archE1200ELNS1_3gpuE4ELNS1_3repE0EEENS1_30default_config_static_selectorELNS0_4arch9wavefront6targetE0EEEvSY_.has_recursion, 0
	.set _ZN7rocprim17ROCPRIM_400000_NS6detail17trampoline_kernelINS0_14default_configENS1_27lower_bound_config_selectorIflEEZNS1_14transform_implILb0ES3_S5_N6thrust23THRUST_200600_302600_NS6detail15normal_iteratorINS8_7pointerIfNS8_11hip_rocprim16par_det_nosync_tENS8_11use_defaultESE_EEEENSA_INSB_IlSD_SE_SE_EEEEZNS1_13binary_searchIS3_S5_NSA_INS8_10device_ptrIfEEEESG_SI_NS1_21lower_bound_search_opENS9_16wrapped_functionINS8_6system6detail7generic6detail18binary_search_lessEbEEEE10hipError_tPvRmT1_T2_T3_mmT4_T5_P12ihipStream_tbEUlRKfE_EESV_SZ_S10_mS11_S14_bEUlT_E_NS1_11comp_targetILNS1_3genE10ELNS1_11target_archE1200ELNS1_3gpuE4ELNS1_3repE0EEENS1_30default_config_static_selectorELNS0_4arch9wavefront6targetE0EEEvSY_.has_indirect_call, 0
	.section	.AMDGPU.csdata,"",@progbits
; Kernel info:
; codeLenInByte = 0
; TotalNumSgprs: 0
; NumVgprs: 0
; ScratchSize: 0
; MemoryBound: 0
; FloatMode: 240
; IeeeMode: 1
; LDSByteSize: 0 bytes/workgroup (compile time only)
; SGPRBlocks: 0
; VGPRBlocks: 0
; NumSGPRsForWavesPerEU: 1
; NumVGPRsForWavesPerEU: 1
; Occupancy: 16
; WaveLimiterHint : 0
; COMPUTE_PGM_RSRC2:SCRATCH_EN: 0
; COMPUTE_PGM_RSRC2:USER_SGPR: 6
; COMPUTE_PGM_RSRC2:TRAP_HANDLER: 0
; COMPUTE_PGM_RSRC2:TGID_X_EN: 1
; COMPUTE_PGM_RSRC2:TGID_Y_EN: 0
; COMPUTE_PGM_RSRC2:TGID_Z_EN: 0
; COMPUTE_PGM_RSRC2:TIDIG_COMP_CNT: 0
	.section	.text._ZN7rocprim17ROCPRIM_400000_NS6detail17trampoline_kernelINS0_14default_configENS1_27lower_bound_config_selectorIflEEZNS1_14transform_implILb0ES3_S5_N6thrust23THRUST_200600_302600_NS6detail15normal_iteratorINS8_7pointerIfNS8_11hip_rocprim16par_det_nosync_tENS8_11use_defaultESE_EEEENSA_INSB_IlSD_SE_SE_EEEEZNS1_13binary_searchIS3_S5_NSA_INS8_10device_ptrIfEEEESG_SI_NS1_21lower_bound_search_opENS9_16wrapped_functionINS8_6system6detail7generic6detail18binary_search_lessEbEEEE10hipError_tPvRmT1_T2_T3_mmT4_T5_P12ihipStream_tbEUlRKfE_EESV_SZ_S10_mS11_S14_bEUlT_E_NS1_11comp_targetILNS1_3genE9ELNS1_11target_archE1100ELNS1_3gpuE3ELNS1_3repE0EEENS1_30default_config_static_selectorELNS0_4arch9wavefront6targetE0EEEvSY_,"axG",@progbits,_ZN7rocprim17ROCPRIM_400000_NS6detail17trampoline_kernelINS0_14default_configENS1_27lower_bound_config_selectorIflEEZNS1_14transform_implILb0ES3_S5_N6thrust23THRUST_200600_302600_NS6detail15normal_iteratorINS8_7pointerIfNS8_11hip_rocprim16par_det_nosync_tENS8_11use_defaultESE_EEEENSA_INSB_IlSD_SE_SE_EEEEZNS1_13binary_searchIS3_S5_NSA_INS8_10device_ptrIfEEEESG_SI_NS1_21lower_bound_search_opENS9_16wrapped_functionINS8_6system6detail7generic6detail18binary_search_lessEbEEEE10hipError_tPvRmT1_T2_T3_mmT4_T5_P12ihipStream_tbEUlRKfE_EESV_SZ_S10_mS11_S14_bEUlT_E_NS1_11comp_targetILNS1_3genE9ELNS1_11target_archE1100ELNS1_3gpuE3ELNS1_3repE0EEENS1_30default_config_static_selectorELNS0_4arch9wavefront6targetE0EEEvSY_,comdat
	.protected	_ZN7rocprim17ROCPRIM_400000_NS6detail17trampoline_kernelINS0_14default_configENS1_27lower_bound_config_selectorIflEEZNS1_14transform_implILb0ES3_S5_N6thrust23THRUST_200600_302600_NS6detail15normal_iteratorINS8_7pointerIfNS8_11hip_rocprim16par_det_nosync_tENS8_11use_defaultESE_EEEENSA_INSB_IlSD_SE_SE_EEEEZNS1_13binary_searchIS3_S5_NSA_INS8_10device_ptrIfEEEESG_SI_NS1_21lower_bound_search_opENS9_16wrapped_functionINS8_6system6detail7generic6detail18binary_search_lessEbEEEE10hipError_tPvRmT1_T2_T3_mmT4_T5_P12ihipStream_tbEUlRKfE_EESV_SZ_S10_mS11_S14_bEUlT_E_NS1_11comp_targetILNS1_3genE9ELNS1_11target_archE1100ELNS1_3gpuE3ELNS1_3repE0EEENS1_30default_config_static_selectorELNS0_4arch9wavefront6targetE0EEEvSY_ ; -- Begin function _ZN7rocprim17ROCPRIM_400000_NS6detail17trampoline_kernelINS0_14default_configENS1_27lower_bound_config_selectorIflEEZNS1_14transform_implILb0ES3_S5_N6thrust23THRUST_200600_302600_NS6detail15normal_iteratorINS8_7pointerIfNS8_11hip_rocprim16par_det_nosync_tENS8_11use_defaultESE_EEEENSA_INSB_IlSD_SE_SE_EEEEZNS1_13binary_searchIS3_S5_NSA_INS8_10device_ptrIfEEEESG_SI_NS1_21lower_bound_search_opENS9_16wrapped_functionINS8_6system6detail7generic6detail18binary_search_lessEbEEEE10hipError_tPvRmT1_T2_T3_mmT4_T5_P12ihipStream_tbEUlRKfE_EESV_SZ_S10_mS11_S14_bEUlT_E_NS1_11comp_targetILNS1_3genE9ELNS1_11target_archE1100ELNS1_3gpuE3ELNS1_3repE0EEENS1_30default_config_static_selectorELNS0_4arch9wavefront6targetE0EEEvSY_
	.globl	_ZN7rocprim17ROCPRIM_400000_NS6detail17trampoline_kernelINS0_14default_configENS1_27lower_bound_config_selectorIflEEZNS1_14transform_implILb0ES3_S5_N6thrust23THRUST_200600_302600_NS6detail15normal_iteratorINS8_7pointerIfNS8_11hip_rocprim16par_det_nosync_tENS8_11use_defaultESE_EEEENSA_INSB_IlSD_SE_SE_EEEEZNS1_13binary_searchIS3_S5_NSA_INS8_10device_ptrIfEEEESG_SI_NS1_21lower_bound_search_opENS9_16wrapped_functionINS8_6system6detail7generic6detail18binary_search_lessEbEEEE10hipError_tPvRmT1_T2_T3_mmT4_T5_P12ihipStream_tbEUlRKfE_EESV_SZ_S10_mS11_S14_bEUlT_E_NS1_11comp_targetILNS1_3genE9ELNS1_11target_archE1100ELNS1_3gpuE3ELNS1_3repE0EEENS1_30default_config_static_selectorELNS0_4arch9wavefront6targetE0EEEvSY_
	.p2align	8
	.type	_ZN7rocprim17ROCPRIM_400000_NS6detail17trampoline_kernelINS0_14default_configENS1_27lower_bound_config_selectorIflEEZNS1_14transform_implILb0ES3_S5_N6thrust23THRUST_200600_302600_NS6detail15normal_iteratorINS8_7pointerIfNS8_11hip_rocprim16par_det_nosync_tENS8_11use_defaultESE_EEEENSA_INSB_IlSD_SE_SE_EEEEZNS1_13binary_searchIS3_S5_NSA_INS8_10device_ptrIfEEEESG_SI_NS1_21lower_bound_search_opENS9_16wrapped_functionINS8_6system6detail7generic6detail18binary_search_lessEbEEEE10hipError_tPvRmT1_T2_T3_mmT4_T5_P12ihipStream_tbEUlRKfE_EESV_SZ_S10_mS11_S14_bEUlT_E_NS1_11comp_targetILNS1_3genE9ELNS1_11target_archE1100ELNS1_3gpuE3ELNS1_3repE0EEENS1_30default_config_static_selectorELNS0_4arch9wavefront6targetE0EEEvSY_,@function
_ZN7rocprim17ROCPRIM_400000_NS6detail17trampoline_kernelINS0_14default_configENS1_27lower_bound_config_selectorIflEEZNS1_14transform_implILb0ES3_S5_N6thrust23THRUST_200600_302600_NS6detail15normal_iteratorINS8_7pointerIfNS8_11hip_rocprim16par_det_nosync_tENS8_11use_defaultESE_EEEENSA_INSB_IlSD_SE_SE_EEEEZNS1_13binary_searchIS3_S5_NSA_INS8_10device_ptrIfEEEESG_SI_NS1_21lower_bound_search_opENS9_16wrapped_functionINS8_6system6detail7generic6detail18binary_search_lessEbEEEE10hipError_tPvRmT1_T2_T3_mmT4_T5_P12ihipStream_tbEUlRKfE_EESV_SZ_S10_mS11_S14_bEUlT_E_NS1_11comp_targetILNS1_3genE9ELNS1_11target_archE1100ELNS1_3gpuE3ELNS1_3repE0EEENS1_30default_config_static_selectorELNS0_4arch9wavefront6targetE0EEEvSY_: ; @_ZN7rocprim17ROCPRIM_400000_NS6detail17trampoline_kernelINS0_14default_configENS1_27lower_bound_config_selectorIflEEZNS1_14transform_implILb0ES3_S5_N6thrust23THRUST_200600_302600_NS6detail15normal_iteratorINS8_7pointerIfNS8_11hip_rocprim16par_det_nosync_tENS8_11use_defaultESE_EEEENSA_INSB_IlSD_SE_SE_EEEEZNS1_13binary_searchIS3_S5_NSA_INS8_10device_ptrIfEEEESG_SI_NS1_21lower_bound_search_opENS9_16wrapped_functionINS8_6system6detail7generic6detail18binary_search_lessEbEEEE10hipError_tPvRmT1_T2_T3_mmT4_T5_P12ihipStream_tbEUlRKfE_EESV_SZ_S10_mS11_S14_bEUlT_E_NS1_11comp_targetILNS1_3genE9ELNS1_11target_archE1100ELNS1_3gpuE3ELNS1_3repE0EEENS1_30default_config_static_selectorELNS0_4arch9wavefront6targetE0EEEvSY_
; %bb.0:
	.section	.rodata,"a",@progbits
	.p2align	6, 0x0
	.amdhsa_kernel _ZN7rocprim17ROCPRIM_400000_NS6detail17trampoline_kernelINS0_14default_configENS1_27lower_bound_config_selectorIflEEZNS1_14transform_implILb0ES3_S5_N6thrust23THRUST_200600_302600_NS6detail15normal_iteratorINS8_7pointerIfNS8_11hip_rocprim16par_det_nosync_tENS8_11use_defaultESE_EEEENSA_INSB_IlSD_SE_SE_EEEEZNS1_13binary_searchIS3_S5_NSA_INS8_10device_ptrIfEEEESG_SI_NS1_21lower_bound_search_opENS9_16wrapped_functionINS8_6system6detail7generic6detail18binary_search_lessEbEEEE10hipError_tPvRmT1_T2_T3_mmT4_T5_P12ihipStream_tbEUlRKfE_EESV_SZ_S10_mS11_S14_bEUlT_E_NS1_11comp_targetILNS1_3genE9ELNS1_11target_archE1100ELNS1_3gpuE3ELNS1_3repE0EEENS1_30default_config_static_selectorELNS0_4arch9wavefront6targetE0EEEvSY_
		.amdhsa_group_segment_fixed_size 0
		.amdhsa_private_segment_fixed_size 0
		.amdhsa_kernarg_size 56
		.amdhsa_user_sgpr_count 6
		.amdhsa_user_sgpr_private_segment_buffer 1
		.amdhsa_user_sgpr_dispatch_ptr 0
		.amdhsa_user_sgpr_queue_ptr 0
		.amdhsa_user_sgpr_kernarg_segment_ptr 1
		.amdhsa_user_sgpr_dispatch_id 0
		.amdhsa_user_sgpr_flat_scratch_init 0
		.amdhsa_user_sgpr_private_segment_size 0
		.amdhsa_wavefront_size32 1
		.amdhsa_uses_dynamic_stack 0
		.amdhsa_system_sgpr_private_segment_wavefront_offset 0
		.amdhsa_system_sgpr_workgroup_id_x 1
		.amdhsa_system_sgpr_workgroup_id_y 0
		.amdhsa_system_sgpr_workgroup_id_z 0
		.amdhsa_system_sgpr_workgroup_info 0
		.amdhsa_system_vgpr_workitem_id 0
		.amdhsa_next_free_vgpr 1
		.amdhsa_next_free_sgpr 1
		.amdhsa_reserve_vcc 0
		.amdhsa_reserve_flat_scratch 0
		.amdhsa_float_round_mode_32 0
		.amdhsa_float_round_mode_16_64 0
		.amdhsa_float_denorm_mode_32 3
		.amdhsa_float_denorm_mode_16_64 3
		.amdhsa_dx10_clamp 1
		.amdhsa_ieee_mode 1
		.amdhsa_fp16_overflow 0
		.amdhsa_workgroup_processor_mode 1
		.amdhsa_memory_ordered 1
		.amdhsa_forward_progress 1
		.amdhsa_shared_vgpr_count 0
		.amdhsa_exception_fp_ieee_invalid_op 0
		.amdhsa_exception_fp_denorm_src 0
		.amdhsa_exception_fp_ieee_div_zero 0
		.amdhsa_exception_fp_ieee_overflow 0
		.amdhsa_exception_fp_ieee_underflow 0
		.amdhsa_exception_fp_ieee_inexact 0
		.amdhsa_exception_int_div_zero 0
	.end_amdhsa_kernel
	.section	.text._ZN7rocprim17ROCPRIM_400000_NS6detail17trampoline_kernelINS0_14default_configENS1_27lower_bound_config_selectorIflEEZNS1_14transform_implILb0ES3_S5_N6thrust23THRUST_200600_302600_NS6detail15normal_iteratorINS8_7pointerIfNS8_11hip_rocprim16par_det_nosync_tENS8_11use_defaultESE_EEEENSA_INSB_IlSD_SE_SE_EEEEZNS1_13binary_searchIS3_S5_NSA_INS8_10device_ptrIfEEEESG_SI_NS1_21lower_bound_search_opENS9_16wrapped_functionINS8_6system6detail7generic6detail18binary_search_lessEbEEEE10hipError_tPvRmT1_T2_T3_mmT4_T5_P12ihipStream_tbEUlRKfE_EESV_SZ_S10_mS11_S14_bEUlT_E_NS1_11comp_targetILNS1_3genE9ELNS1_11target_archE1100ELNS1_3gpuE3ELNS1_3repE0EEENS1_30default_config_static_selectorELNS0_4arch9wavefront6targetE0EEEvSY_,"axG",@progbits,_ZN7rocprim17ROCPRIM_400000_NS6detail17trampoline_kernelINS0_14default_configENS1_27lower_bound_config_selectorIflEEZNS1_14transform_implILb0ES3_S5_N6thrust23THRUST_200600_302600_NS6detail15normal_iteratorINS8_7pointerIfNS8_11hip_rocprim16par_det_nosync_tENS8_11use_defaultESE_EEEENSA_INSB_IlSD_SE_SE_EEEEZNS1_13binary_searchIS3_S5_NSA_INS8_10device_ptrIfEEEESG_SI_NS1_21lower_bound_search_opENS9_16wrapped_functionINS8_6system6detail7generic6detail18binary_search_lessEbEEEE10hipError_tPvRmT1_T2_T3_mmT4_T5_P12ihipStream_tbEUlRKfE_EESV_SZ_S10_mS11_S14_bEUlT_E_NS1_11comp_targetILNS1_3genE9ELNS1_11target_archE1100ELNS1_3gpuE3ELNS1_3repE0EEENS1_30default_config_static_selectorELNS0_4arch9wavefront6targetE0EEEvSY_,comdat
.Lfunc_end338:
	.size	_ZN7rocprim17ROCPRIM_400000_NS6detail17trampoline_kernelINS0_14default_configENS1_27lower_bound_config_selectorIflEEZNS1_14transform_implILb0ES3_S5_N6thrust23THRUST_200600_302600_NS6detail15normal_iteratorINS8_7pointerIfNS8_11hip_rocprim16par_det_nosync_tENS8_11use_defaultESE_EEEENSA_INSB_IlSD_SE_SE_EEEEZNS1_13binary_searchIS3_S5_NSA_INS8_10device_ptrIfEEEESG_SI_NS1_21lower_bound_search_opENS9_16wrapped_functionINS8_6system6detail7generic6detail18binary_search_lessEbEEEE10hipError_tPvRmT1_T2_T3_mmT4_T5_P12ihipStream_tbEUlRKfE_EESV_SZ_S10_mS11_S14_bEUlT_E_NS1_11comp_targetILNS1_3genE9ELNS1_11target_archE1100ELNS1_3gpuE3ELNS1_3repE0EEENS1_30default_config_static_selectorELNS0_4arch9wavefront6targetE0EEEvSY_, .Lfunc_end338-_ZN7rocprim17ROCPRIM_400000_NS6detail17trampoline_kernelINS0_14default_configENS1_27lower_bound_config_selectorIflEEZNS1_14transform_implILb0ES3_S5_N6thrust23THRUST_200600_302600_NS6detail15normal_iteratorINS8_7pointerIfNS8_11hip_rocprim16par_det_nosync_tENS8_11use_defaultESE_EEEENSA_INSB_IlSD_SE_SE_EEEEZNS1_13binary_searchIS3_S5_NSA_INS8_10device_ptrIfEEEESG_SI_NS1_21lower_bound_search_opENS9_16wrapped_functionINS8_6system6detail7generic6detail18binary_search_lessEbEEEE10hipError_tPvRmT1_T2_T3_mmT4_T5_P12ihipStream_tbEUlRKfE_EESV_SZ_S10_mS11_S14_bEUlT_E_NS1_11comp_targetILNS1_3genE9ELNS1_11target_archE1100ELNS1_3gpuE3ELNS1_3repE0EEENS1_30default_config_static_selectorELNS0_4arch9wavefront6targetE0EEEvSY_
                                        ; -- End function
	.set _ZN7rocprim17ROCPRIM_400000_NS6detail17trampoline_kernelINS0_14default_configENS1_27lower_bound_config_selectorIflEEZNS1_14transform_implILb0ES3_S5_N6thrust23THRUST_200600_302600_NS6detail15normal_iteratorINS8_7pointerIfNS8_11hip_rocprim16par_det_nosync_tENS8_11use_defaultESE_EEEENSA_INSB_IlSD_SE_SE_EEEEZNS1_13binary_searchIS3_S5_NSA_INS8_10device_ptrIfEEEESG_SI_NS1_21lower_bound_search_opENS9_16wrapped_functionINS8_6system6detail7generic6detail18binary_search_lessEbEEEE10hipError_tPvRmT1_T2_T3_mmT4_T5_P12ihipStream_tbEUlRKfE_EESV_SZ_S10_mS11_S14_bEUlT_E_NS1_11comp_targetILNS1_3genE9ELNS1_11target_archE1100ELNS1_3gpuE3ELNS1_3repE0EEENS1_30default_config_static_selectorELNS0_4arch9wavefront6targetE0EEEvSY_.num_vgpr, 0
	.set _ZN7rocprim17ROCPRIM_400000_NS6detail17trampoline_kernelINS0_14default_configENS1_27lower_bound_config_selectorIflEEZNS1_14transform_implILb0ES3_S5_N6thrust23THRUST_200600_302600_NS6detail15normal_iteratorINS8_7pointerIfNS8_11hip_rocprim16par_det_nosync_tENS8_11use_defaultESE_EEEENSA_INSB_IlSD_SE_SE_EEEEZNS1_13binary_searchIS3_S5_NSA_INS8_10device_ptrIfEEEESG_SI_NS1_21lower_bound_search_opENS9_16wrapped_functionINS8_6system6detail7generic6detail18binary_search_lessEbEEEE10hipError_tPvRmT1_T2_T3_mmT4_T5_P12ihipStream_tbEUlRKfE_EESV_SZ_S10_mS11_S14_bEUlT_E_NS1_11comp_targetILNS1_3genE9ELNS1_11target_archE1100ELNS1_3gpuE3ELNS1_3repE0EEENS1_30default_config_static_selectorELNS0_4arch9wavefront6targetE0EEEvSY_.num_agpr, 0
	.set _ZN7rocprim17ROCPRIM_400000_NS6detail17trampoline_kernelINS0_14default_configENS1_27lower_bound_config_selectorIflEEZNS1_14transform_implILb0ES3_S5_N6thrust23THRUST_200600_302600_NS6detail15normal_iteratorINS8_7pointerIfNS8_11hip_rocprim16par_det_nosync_tENS8_11use_defaultESE_EEEENSA_INSB_IlSD_SE_SE_EEEEZNS1_13binary_searchIS3_S5_NSA_INS8_10device_ptrIfEEEESG_SI_NS1_21lower_bound_search_opENS9_16wrapped_functionINS8_6system6detail7generic6detail18binary_search_lessEbEEEE10hipError_tPvRmT1_T2_T3_mmT4_T5_P12ihipStream_tbEUlRKfE_EESV_SZ_S10_mS11_S14_bEUlT_E_NS1_11comp_targetILNS1_3genE9ELNS1_11target_archE1100ELNS1_3gpuE3ELNS1_3repE0EEENS1_30default_config_static_selectorELNS0_4arch9wavefront6targetE0EEEvSY_.numbered_sgpr, 0
	.set _ZN7rocprim17ROCPRIM_400000_NS6detail17trampoline_kernelINS0_14default_configENS1_27lower_bound_config_selectorIflEEZNS1_14transform_implILb0ES3_S5_N6thrust23THRUST_200600_302600_NS6detail15normal_iteratorINS8_7pointerIfNS8_11hip_rocprim16par_det_nosync_tENS8_11use_defaultESE_EEEENSA_INSB_IlSD_SE_SE_EEEEZNS1_13binary_searchIS3_S5_NSA_INS8_10device_ptrIfEEEESG_SI_NS1_21lower_bound_search_opENS9_16wrapped_functionINS8_6system6detail7generic6detail18binary_search_lessEbEEEE10hipError_tPvRmT1_T2_T3_mmT4_T5_P12ihipStream_tbEUlRKfE_EESV_SZ_S10_mS11_S14_bEUlT_E_NS1_11comp_targetILNS1_3genE9ELNS1_11target_archE1100ELNS1_3gpuE3ELNS1_3repE0EEENS1_30default_config_static_selectorELNS0_4arch9wavefront6targetE0EEEvSY_.num_named_barrier, 0
	.set _ZN7rocprim17ROCPRIM_400000_NS6detail17trampoline_kernelINS0_14default_configENS1_27lower_bound_config_selectorIflEEZNS1_14transform_implILb0ES3_S5_N6thrust23THRUST_200600_302600_NS6detail15normal_iteratorINS8_7pointerIfNS8_11hip_rocprim16par_det_nosync_tENS8_11use_defaultESE_EEEENSA_INSB_IlSD_SE_SE_EEEEZNS1_13binary_searchIS3_S5_NSA_INS8_10device_ptrIfEEEESG_SI_NS1_21lower_bound_search_opENS9_16wrapped_functionINS8_6system6detail7generic6detail18binary_search_lessEbEEEE10hipError_tPvRmT1_T2_T3_mmT4_T5_P12ihipStream_tbEUlRKfE_EESV_SZ_S10_mS11_S14_bEUlT_E_NS1_11comp_targetILNS1_3genE9ELNS1_11target_archE1100ELNS1_3gpuE3ELNS1_3repE0EEENS1_30default_config_static_selectorELNS0_4arch9wavefront6targetE0EEEvSY_.private_seg_size, 0
	.set _ZN7rocprim17ROCPRIM_400000_NS6detail17trampoline_kernelINS0_14default_configENS1_27lower_bound_config_selectorIflEEZNS1_14transform_implILb0ES3_S5_N6thrust23THRUST_200600_302600_NS6detail15normal_iteratorINS8_7pointerIfNS8_11hip_rocprim16par_det_nosync_tENS8_11use_defaultESE_EEEENSA_INSB_IlSD_SE_SE_EEEEZNS1_13binary_searchIS3_S5_NSA_INS8_10device_ptrIfEEEESG_SI_NS1_21lower_bound_search_opENS9_16wrapped_functionINS8_6system6detail7generic6detail18binary_search_lessEbEEEE10hipError_tPvRmT1_T2_T3_mmT4_T5_P12ihipStream_tbEUlRKfE_EESV_SZ_S10_mS11_S14_bEUlT_E_NS1_11comp_targetILNS1_3genE9ELNS1_11target_archE1100ELNS1_3gpuE3ELNS1_3repE0EEENS1_30default_config_static_selectorELNS0_4arch9wavefront6targetE0EEEvSY_.uses_vcc, 0
	.set _ZN7rocprim17ROCPRIM_400000_NS6detail17trampoline_kernelINS0_14default_configENS1_27lower_bound_config_selectorIflEEZNS1_14transform_implILb0ES3_S5_N6thrust23THRUST_200600_302600_NS6detail15normal_iteratorINS8_7pointerIfNS8_11hip_rocprim16par_det_nosync_tENS8_11use_defaultESE_EEEENSA_INSB_IlSD_SE_SE_EEEEZNS1_13binary_searchIS3_S5_NSA_INS8_10device_ptrIfEEEESG_SI_NS1_21lower_bound_search_opENS9_16wrapped_functionINS8_6system6detail7generic6detail18binary_search_lessEbEEEE10hipError_tPvRmT1_T2_T3_mmT4_T5_P12ihipStream_tbEUlRKfE_EESV_SZ_S10_mS11_S14_bEUlT_E_NS1_11comp_targetILNS1_3genE9ELNS1_11target_archE1100ELNS1_3gpuE3ELNS1_3repE0EEENS1_30default_config_static_selectorELNS0_4arch9wavefront6targetE0EEEvSY_.uses_flat_scratch, 0
	.set _ZN7rocprim17ROCPRIM_400000_NS6detail17trampoline_kernelINS0_14default_configENS1_27lower_bound_config_selectorIflEEZNS1_14transform_implILb0ES3_S5_N6thrust23THRUST_200600_302600_NS6detail15normal_iteratorINS8_7pointerIfNS8_11hip_rocprim16par_det_nosync_tENS8_11use_defaultESE_EEEENSA_INSB_IlSD_SE_SE_EEEEZNS1_13binary_searchIS3_S5_NSA_INS8_10device_ptrIfEEEESG_SI_NS1_21lower_bound_search_opENS9_16wrapped_functionINS8_6system6detail7generic6detail18binary_search_lessEbEEEE10hipError_tPvRmT1_T2_T3_mmT4_T5_P12ihipStream_tbEUlRKfE_EESV_SZ_S10_mS11_S14_bEUlT_E_NS1_11comp_targetILNS1_3genE9ELNS1_11target_archE1100ELNS1_3gpuE3ELNS1_3repE0EEENS1_30default_config_static_selectorELNS0_4arch9wavefront6targetE0EEEvSY_.has_dyn_sized_stack, 0
	.set _ZN7rocprim17ROCPRIM_400000_NS6detail17trampoline_kernelINS0_14default_configENS1_27lower_bound_config_selectorIflEEZNS1_14transform_implILb0ES3_S5_N6thrust23THRUST_200600_302600_NS6detail15normal_iteratorINS8_7pointerIfNS8_11hip_rocprim16par_det_nosync_tENS8_11use_defaultESE_EEEENSA_INSB_IlSD_SE_SE_EEEEZNS1_13binary_searchIS3_S5_NSA_INS8_10device_ptrIfEEEESG_SI_NS1_21lower_bound_search_opENS9_16wrapped_functionINS8_6system6detail7generic6detail18binary_search_lessEbEEEE10hipError_tPvRmT1_T2_T3_mmT4_T5_P12ihipStream_tbEUlRKfE_EESV_SZ_S10_mS11_S14_bEUlT_E_NS1_11comp_targetILNS1_3genE9ELNS1_11target_archE1100ELNS1_3gpuE3ELNS1_3repE0EEENS1_30default_config_static_selectorELNS0_4arch9wavefront6targetE0EEEvSY_.has_recursion, 0
	.set _ZN7rocprim17ROCPRIM_400000_NS6detail17trampoline_kernelINS0_14default_configENS1_27lower_bound_config_selectorIflEEZNS1_14transform_implILb0ES3_S5_N6thrust23THRUST_200600_302600_NS6detail15normal_iteratorINS8_7pointerIfNS8_11hip_rocprim16par_det_nosync_tENS8_11use_defaultESE_EEEENSA_INSB_IlSD_SE_SE_EEEEZNS1_13binary_searchIS3_S5_NSA_INS8_10device_ptrIfEEEESG_SI_NS1_21lower_bound_search_opENS9_16wrapped_functionINS8_6system6detail7generic6detail18binary_search_lessEbEEEE10hipError_tPvRmT1_T2_T3_mmT4_T5_P12ihipStream_tbEUlRKfE_EESV_SZ_S10_mS11_S14_bEUlT_E_NS1_11comp_targetILNS1_3genE9ELNS1_11target_archE1100ELNS1_3gpuE3ELNS1_3repE0EEENS1_30default_config_static_selectorELNS0_4arch9wavefront6targetE0EEEvSY_.has_indirect_call, 0
	.section	.AMDGPU.csdata,"",@progbits
; Kernel info:
; codeLenInByte = 0
; TotalNumSgprs: 0
; NumVgprs: 0
; ScratchSize: 0
; MemoryBound: 0
; FloatMode: 240
; IeeeMode: 1
; LDSByteSize: 0 bytes/workgroup (compile time only)
; SGPRBlocks: 0
; VGPRBlocks: 0
; NumSGPRsForWavesPerEU: 1
; NumVGPRsForWavesPerEU: 1
; Occupancy: 16
; WaveLimiterHint : 0
; COMPUTE_PGM_RSRC2:SCRATCH_EN: 0
; COMPUTE_PGM_RSRC2:USER_SGPR: 6
; COMPUTE_PGM_RSRC2:TRAP_HANDLER: 0
; COMPUTE_PGM_RSRC2:TGID_X_EN: 1
; COMPUTE_PGM_RSRC2:TGID_Y_EN: 0
; COMPUTE_PGM_RSRC2:TGID_Z_EN: 0
; COMPUTE_PGM_RSRC2:TIDIG_COMP_CNT: 0
	.section	.text._ZN7rocprim17ROCPRIM_400000_NS6detail17trampoline_kernelINS0_14default_configENS1_27lower_bound_config_selectorIflEEZNS1_14transform_implILb0ES3_S5_N6thrust23THRUST_200600_302600_NS6detail15normal_iteratorINS8_7pointerIfNS8_11hip_rocprim16par_det_nosync_tENS8_11use_defaultESE_EEEENSA_INSB_IlSD_SE_SE_EEEEZNS1_13binary_searchIS3_S5_NSA_INS8_10device_ptrIfEEEESG_SI_NS1_21lower_bound_search_opENS9_16wrapped_functionINS8_6system6detail7generic6detail18binary_search_lessEbEEEE10hipError_tPvRmT1_T2_T3_mmT4_T5_P12ihipStream_tbEUlRKfE_EESV_SZ_S10_mS11_S14_bEUlT_E_NS1_11comp_targetILNS1_3genE8ELNS1_11target_archE1030ELNS1_3gpuE2ELNS1_3repE0EEENS1_30default_config_static_selectorELNS0_4arch9wavefront6targetE0EEEvSY_,"axG",@progbits,_ZN7rocprim17ROCPRIM_400000_NS6detail17trampoline_kernelINS0_14default_configENS1_27lower_bound_config_selectorIflEEZNS1_14transform_implILb0ES3_S5_N6thrust23THRUST_200600_302600_NS6detail15normal_iteratorINS8_7pointerIfNS8_11hip_rocprim16par_det_nosync_tENS8_11use_defaultESE_EEEENSA_INSB_IlSD_SE_SE_EEEEZNS1_13binary_searchIS3_S5_NSA_INS8_10device_ptrIfEEEESG_SI_NS1_21lower_bound_search_opENS9_16wrapped_functionINS8_6system6detail7generic6detail18binary_search_lessEbEEEE10hipError_tPvRmT1_T2_T3_mmT4_T5_P12ihipStream_tbEUlRKfE_EESV_SZ_S10_mS11_S14_bEUlT_E_NS1_11comp_targetILNS1_3genE8ELNS1_11target_archE1030ELNS1_3gpuE2ELNS1_3repE0EEENS1_30default_config_static_selectorELNS0_4arch9wavefront6targetE0EEEvSY_,comdat
	.protected	_ZN7rocprim17ROCPRIM_400000_NS6detail17trampoline_kernelINS0_14default_configENS1_27lower_bound_config_selectorIflEEZNS1_14transform_implILb0ES3_S5_N6thrust23THRUST_200600_302600_NS6detail15normal_iteratorINS8_7pointerIfNS8_11hip_rocprim16par_det_nosync_tENS8_11use_defaultESE_EEEENSA_INSB_IlSD_SE_SE_EEEEZNS1_13binary_searchIS3_S5_NSA_INS8_10device_ptrIfEEEESG_SI_NS1_21lower_bound_search_opENS9_16wrapped_functionINS8_6system6detail7generic6detail18binary_search_lessEbEEEE10hipError_tPvRmT1_T2_T3_mmT4_T5_P12ihipStream_tbEUlRKfE_EESV_SZ_S10_mS11_S14_bEUlT_E_NS1_11comp_targetILNS1_3genE8ELNS1_11target_archE1030ELNS1_3gpuE2ELNS1_3repE0EEENS1_30default_config_static_selectorELNS0_4arch9wavefront6targetE0EEEvSY_ ; -- Begin function _ZN7rocprim17ROCPRIM_400000_NS6detail17trampoline_kernelINS0_14default_configENS1_27lower_bound_config_selectorIflEEZNS1_14transform_implILb0ES3_S5_N6thrust23THRUST_200600_302600_NS6detail15normal_iteratorINS8_7pointerIfNS8_11hip_rocprim16par_det_nosync_tENS8_11use_defaultESE_EEEENSA_INSB_IlSD_SE_SE_EEEEZNS1_13binary_searchIS3_S5_NSA_INS8_10device_ptrIfEEEESG_SI_NS1_21lower_bound_search_opENS9_16wrapped_functionINS8_6system6detail7generic6detail18binary_search_lessEbEEEE10hipError_tPvRmT1_T2_T3_mmT4_T5_P12ihipStream_tbEUlRKfE_EESV_SZ_S10_mS11_S14_bEUlT_E_NS1_11comp_targetILNS1_3genE8ELNS1_11target_archE1030ELNS1_3gpuE2ELNS1_3repE0EEENS1_30default_config_static_selectorELNS0_4arch9wavefront6targetE0EEEvSY_
	.globl	_ZN7rocprim17ROCPRIM_400000_NS6detail17trampoline_kernelINS0_14default_configENS1_27lower_bound_config_selectorIflEEZNS1_14transform_implILb0ES3_S5_N6thrust23THRUST_200600_302600_NS6detail15normal_iteratorINS8_7pointerIfNS8_11hip_rocprim16par_det_nosync_tENS8_11use_defaultESE_EEEENSA_INSB_IlSD_SE_SE_EEEEZNS1_13binary_searchIS3_S5_NSA_INS8_10device_ptrIfEEEESG_SI_NS1_21lower_bound_search_opENS9_16wrapped_functionINS8_6system6detail7generic6detail18binary_search_lessEbEEEE10hipError_tPvRmT1_T2_T3_mmT4_T5_P12ihipStream_tbEUlRKfE_EESV_SZ_S10_mS11_S14_bEUlT_E_NS1_11comp_targetILNS1_3genE8ELNS1_11target_archE1030ELNS1_3gpuE2ELNS1_3repE0EEENS1_30default_config_static_selectorELNS0_4arch9wavefront6targetE0EEEvSY_
	.p2align	8
	.type	_ZN7rocprim17ROCPRIM_400000_NS6detail17trampoline_kernelINS0_14default_configENS1_27lower_bound_config_selectorIflEEZNS1_14transform_implILb0ES3_S5_N6thrust23THRUST_200600_302600_NS6detail15normal_iteratorINS8_7pointerIfNS8_11hip_rocprim16par_det_nosync_tENS8_11use_defaultESE_EEEENSA_INSB_IlSD_SE_SE_EEEEZNS1_13binary_searchIS3_S5_NSA_INS8_10device_ptrIfEEEESG_SI_NS1_21lower_bound_search_opENS9_16wrapped_functionINS8_6system6detail7generic6detail18binary_search_lessEbEEEE10hipError_tPvRmT1_T2_T3_mmT4_T5_P12ihipStream_tbEUlRKfE_EESV_SZ_S10_mS11_S14_bEUlT_E_NS1_11comp_targetILNS1_3genE8ELNS1_11target_archE1030ELNS1_3gpuE2ELNS1_3repE0EEENS1_30default_config_static_selectorELNS0_4arch9wavefront6targetE0EEEvSY_,@function
_ZN7rocprim17ROCPRIM_400000_NS6detail17trampoline_kernelINS0_14default_configENS1_27lower_bound_config_selectorIflEEZNS1_14transform_implILb0ES3_S5_N6thrust23THRUST_200600_302600_NS6detail15normal_iteratorINS8_7pointerIfNS8_11hip_rocprim16par_det_nosync_tENS8_11use_defaultESE_EEEENSA_INSB_IlSD_SE_SE_EEEEZNS1_13binary_searchIS3_S5_NSA_INS8_10device_ptrIfEEEESG_SI_NS1_21lower_bound_search_opENS9_16wrapped_functionINS8_6system6detail7generic6detail18binary_search_lessEbEEEE10hipError_tPvRmT1_T2_T3_mmT4_T5_P12ihipStream_tbEUlRKfE_EESV_SZ_S10_mS11_S14_bEUlT_E_NS1_11comp_targetILNS1_3genE8ELNS1_11target_archE1030ELNS1_3gpuE2ELNS1_3repE0EEENS1_30default_config_static_selectorELNS0_4arch9wavefront6targetE0EEEvSY_: ; @_ZN7rocprim17ROCPRIM_400000_NS6detail17trampoline_kernelINS0_14default_configENS1_27lower_bound_config_selectorIflEEZNS1_14transform_implILb0ES3_S5_N6thrust23THRUST_200600_302600_NS6detail15normal_iteratorINS8_7pointerIfNS8_11hip_rocprim16par_det_nosync_tENS8_11use_defaultESE_EEEENSA_INSB_IlSD_SE_SE_EEEEZNS1_13binary_searchIS3_S5_NSA_INS8_10device_ptrIfEEEESG_SI_NS1_21lower_bound_search_opENS9_16wrapped_functionINS8_6system6detail7generic6detail18binary_search_lessEbEEEE10hipError_tPvRmT1_T2_T3_mmT4_T5_P12ihipStream_tbEUlRKfE_EESV_SZ_S10_mS11_S14_bEUlT_E_NS1_11comp_targetILNS1_3genE8ELNS1_11target_archE1030ELNS1_3gpuE2ELNS1_3repE0EEENS1_30default_config_static_selectorELNS0_4arch9wavefront6targetE0EEEvSY_
; %bb.0:
	s_clause 0x3
	s_load_dwordx4 s[12:15], s[4:5], 0x0
	s_load_dwordx4 s[0:3], s[4:5], 0x18
	s_load_dword s16, s[4:5], 0x38
	s_load_dwordx2 s[10:11], s[4:5], 0x28
	s_waitcnt lgkmcnt(0)
	s_lshl_b64 s[8:9], s[14:15], 2
	s_add_u32 s12, s12, s8
	s_addc_u32 s13, s13, s9
	s_lshl_b64 s[8:9], s[14:15], 3
	s_add_u32 s7, s0, s8
	s_addc_u32 s1, s1, s9
	s_add_i32 s16, s16, -1
	s_lshl_b32 s8, s6, 8
	s_mov_b32 s9, 0
	s_cmp_lg_u32 s6, s16
	s_mov_b32 s0, -1
	s_cbranch_scc0 .LBB339_7
; %bb.1:
	s_cmp_eq_u64 s[10:11], 0
	s_cbranch_scc1 .LBB339_5
; %bb.2:
	v_lshlrev_b32_e32 v1, 2, v0
	s_lshl_b64 s[14:15], s[8:9], 2
	v_mov_b32_e32 v3, s10
	s_add_u32 s0, s12, s14
	s_addc_u32 s6, s13, s15
	v_add_co_u32 v1, s0, s0, v1
	v_add_co_ci_u32_e64 v2, null, s6, 0, s0
	v_mov_b32_e32 v4, s11
	s_mov_b32 s0, 0
	flat_load_dword v5, v[1:2]
	v_mov_b32_e32 v1, 0
	v_mov_b32_e32 v2, 0
	s_inst_prefetch 0x1
	.p2align	6
.LBB339_3:                              ; =>This Inner Loop Header: Depth=1
	v_sub_co_u32 v6, vcc_lo, v3, v1
	v_sub_co_ci_u32_e64 v7, null, v4, v2, vcc_lo
	v_lshrrev_b64 v[8:9], 1, v[6:7]
	v_lshrrev_b64 v[6:7], 6, v[6:7]
	v_add_co_u32 v8, vcc_lo, v8, v1
	v_add_co_ci_u32_e64 v9, null, v9, v2, vcc_lo
	v_add_co_u32 v6, vcc_lo, v8, v6
	v_add_co_ci_u32_e64 v7, null, v9, v7, vcc_lo
	v_lshlrev_b64 v[8:9], 2, v[6:7]
	v_add_co_u32 v8, vcc_lo, s2, v8
	v_add_co_ci_u32_e64 v9, null, s3, v9, vcc_lo
	global_load_dword v8, v[8:9], off
	v_add_co_u32 v9, vcc_lo, v6, 1
	v_add_co_ci_u32_e64 v10, null, 0, v7, vcc_lo
	s_waitcnt vmcnt(0) lgkmcnt(0)
	v_cmp_lt_f32_e32 vcc_lo, v8, v5
	v_cndmask_b32_e32 v4, v7, v4, vcc_lo
	v_cndmask_b32_e32 v3, v6, v3, vcc_lo
	;; [unrolled: 1-line block ×4, first 2 shown]
	v_cmp_ge_u64_e32 vcc_lo, v[1:2], v[3:4]
	s_or_b32 s0, vcc_lo, s0
	s_andn2_b32 exec_lo, exec_lo, s0
	s_cbranch_execnz .LBB339_3
; %bb.4:
	s_inst_prefetch 0x2
	s_or_b32 exec_lo, exec_lo, s0
	s_branch .LBB339_6
.LBB339_5:
	v_mov_b32_e32 v1, 0
	v_mov_b32_e32 v2, 0
.LBB339_6:
	v_lshlrev_b32_e32 v3, 3, v0
	s_lshl_b64 s[14:15], s[8:9], 3
	s_add_u32 s0, s7, s14
	s_addc_u32 s6, s1, s15
	v_add_co_u32 v3, s0, s0, v3
	v_add_co_ci_u32_e64 v4, null, s6, 0, s0
	s_mov_b32 s0, 0
	flat_store_dwordx2 v[3:4], v[1:2]
.LBB339_7:
	s_and_b32 vcc_lo, exec_lo, s0
	s_cbranch_vccz .LBB339_16
; %bb.8:
	s_load_dword s0, s[4:5], 0x10
                                        ; implicit-def: $vgpr5
	s_waitcnt lgkmcnt(0)
	s_sub_i32 s4, s0, s8
	v_cmp_le_u32_e64 s0, s4, v0
	v_cmp_gt_u32_e32 vcc_lo, s4, v0
	s_and_saveexec_b32 s4, vcc_lo
	s_cbranch_execz .LBB339_10
; %bb.9:
	v_lshlrev_b32_e32 v1, 2, v0
	s_lshl_b64 s[14:15], s[8:9], 2
	s_add_u32 s5, s12, s14
	s_addc_u32 s6, s13, s15
	v_add_co_u32 v1, s5, s5, v1
	v_add_co_ci_u32_e64 v2, null, s6, 0, s5
	flat_load_dword v5, v[1:2]
.LBB339_10:
	s_or_b32 exec_lo, exec_lo, s4
	s_cmp_lg_u64 s[10:11], 0
	v_mov_b32_e32 v1, 0
	v_mov_b32_e32 v2, 0
	s_cselect_b32 s4, -1, 0
	s_xor_b32 s0, s0, -1
	s_and_b32 s0, s0, s4
	s_and_saveexec_b32 s4, s0
	s_cbranch_execz .LBB339_14
; %bb.11:
	v_mov_b32_e32 v1, 0
	v_mov_b32_e32 v3, s10
	;; [unrolled: 1-line block ×4, first 2 shown]
	s_mov_b32 s5, 0
	s_inst_prefetch 0x1
	.p2align	6
.LBB339_12:                             ; =>This Inner Loop Header: Depth=1
	v_sub_co_u32 v6, s0, v3, v1
	v_sub_co_ci_u32_e64 v7, null, v4, v2, s0
	v_lshrrev_b64 v[8:9], 1, v[6:7]
	v_lshrrev_b64 v[6:7], 6, v[6:7]
	v_add_co_u32 v8, s0, v8, v1
	v_add_co_ci_u32_e64 v9, null, v9, v2, s0
	v_add_co_u32 v6, s0, v8, v6
	v_add_co_ci_u32_e64 v7, null, v9, v7, s0
	v_lshlrev_b64 v[8:9], 2, v[6:7]
	v_add_co_u32 v8, s0, s2, v8
	v_add_co_ci_u32_e64 v9, null, s3, v9, s0
	global_load_dword v8, v[8:9], off
	v_add_co_u32 v9, s0, v6, 1
	v_add_co_ci_u32_e64 v10, null, 0, v7, s0
	s_waitcnt vmcnt(0) lgkmcnt(0)
	v_cmp_lt_f32_e64 s0, v8, v5
	v_cndmask_b32_e64 v4, v7, v4, s0
	v_cndmask_b32_e64 v3, v6, v3, s0
	v_cndmask_b32_e64 v2, v2, v10, s0
	v_cndmask_b32_e64 v1, v1, v9, s0
	v_cmp_ge_u64_e64 s0, v[1:2], v[3:4]
	s_or_b32 s5, s0, s5
	s_andn2_b32 exec_lo, exec_lo, s5
	s_cbranch_execnz .LBB339_12
; %bb.13:
	s_inst_prefetch 0x2
	s_or_b32 exec_lo, exec_lo, s5
.LBB339_14:
	s_or_b32 exec_lo, exec_lo, s4
	s_and_saveexec_b32 s0, vcc_lo
	s_cbranch_execz .LBB339_16
; %bb.15:
	v_lshlrev_b32_e32 v0, 3, v0
	s_lshl_b64 s[2:3], s[8:9], 3
	s_add_u32 s0, s7, s2
	s_addc_u32 s1, s1, s3
	v_add_co_u32 v3, s0, s0, v0
	v_add_co_ci_u32_e64 v4, null, s1, 0, s0
	flat_store_dwordx2 v[3:4], v[1:2]
.LBB339_16:
	s_endpgm
	.section	.rodata,"a",@progbits
	.p2align	6, 0x0
	.amdhsa_kernel _ZN7rocprim17ROCPRIM_400000_NS6detail17trampoline_kernelINS0_14default_configENS1_27lower_bound_config_selectorIflEEZNS1_14transform_implILb0ES3_S5_N6thrust23THRUST_200600_302600_NS6detail15normal_iteratorINS8_7pointerIfNS8_11hip_rocprim16par_det_nosync_tENS8_11use_defaultESE_EEEENSA_INSB_IlSD_SE_SE_EEEEZNS1_13binary_searchIS3_S5_NSA_INS8_10device_ptrIfEEEESG_SI_NS1_21lower_bound_search_opENS9_16wrapped_functionINS8_6system6detail7generic6detail18binary_search_lessEbEEEE10hipError_tPvRmT1_T2_T3_mmT4_T5_P12ihipStream_tbEUlRKfE_EESV_SZ_S10_mS11_S14_bEUlT_E_NS1_11comp_targetILNS1_3genE8ELNS1_11target_archE1030ELNS1_3gpuE2ELNS1_3repE0EEENS1_30default_config_static_selectorELNS0_4arch9wavefront6targetE0EEEvSY_
		.amdhsa_group_segment_fixed_size 0
		.amdhsa_private_segment_fixed_size 0
		.amdhsa_kernarg_size 312
		.amdhsa_user_sgpr_count 6
		.amdhsa_user_sgpr_private_segment_buffer 1
		.amdhsa_user_sgpr_dispatch_ptr 0
		.amdhsa_user_sgpr_queue_ptr 0
		.amdhsa_user_sgpr_kernarg_segment_ptr 1
		.amdhsa_user_sgpr_dispatch_id 0
		.amdhsa_user_sgpr_flat_scratch_init 0
		.amdhsa_user_sgpr_private_segment_size 0
		.amdhsa_wavefront_size32 1
		.amdhsa_uses_dynamic_stack 0
		.amdhsa_system_sgpr_private_segment_wavefront_offset 0
		.amdhsa_system_sgpr_workgroup_id_x 1
		.amdhsa_system_sgpr_workgroup_id_y 0
		.amdhsa_system_sgpr_workgroup_id_z 0
		.amdhsa_system_sgpr_workgroup_info 0
		.amdhsa_system_vgpr_workitem_id 0
		.amdhsa_next_free_vgpr 11
		.amdhsa_next_free_sgpr 17
		.amdhsa_reserve_vcc 1
		.amdhsa_reserve_flat_scratch 0
		.amdhsa_float_round_mode_32 0
		.amdhsa_float_round_mode_16_64 0
		.amdhsa_float_denorm_mode_32 3
		.amdhsa_float_denorm_mode_16_64 3
		.amdhsa_dx10_clamp 1
		.amdhsa_ieee_mode 1
		.amdhsa_fp16_overflow 0
		.amdhsa_workgroup_processor_mode 1
		.amdhsa_memory_ordered 1
		.amdhsa_forward_progress 1
		.amdhsa_shared_vgpr_count 0
		.amdhsa_exception_fp_ieee_invalid_op 0
		.amdhsa_exception_fp_denorm_src 0
		.amdhsa_exception_fp_ieee_div_zero 0
		.amdhsa_exception_fp_ieee_overflow 0
		.amdhsa_exception_fp_ieee_underflow 0
		.amdhsa_exception_fp_ieee_inexact 0
		.amdhsa_exception_int_div_zero 0
	.end_amdhsa_kernel
	.section	.text._ZN7rocprim17ROCPRIM_400000_NS6detail17trampoline_kernelINS0_14default_configENS1_27lower_bound_config_selectorIflEEZNS1_14transform_implILb0ES3_S5_N6thrust23THRUST_200600_302600_NS6detail15normal_iteratorINS8_7pointerIfNS8_11hip_rocprim16par_det_nosync_tENS8_11use_defaultESE_EEEENSA_INSB_IlSD_SE_SE_EEEEZNS1_13binary_searchIS3_S5_NSA_INS8_10device_ptrIfEEEESG_SI_NS1_21lower_bound_search_opENS9_16wrapped_functionINS8_6system6detail7generic6detail18binary_search_lessEbEEEE10hipError_tPvRmT1_T2_T3_mmT4_T5_P12ihipStream_tbEUlRKfE_EESV_SZ_S10_mS11_S14_bEUlT_E_NS1_11comp_targetILNS1_3genE8ELNS1_11target_archE1030ELNS1_3gpuE2ELNS1_3repE0EEENS1_30default_config_static_selectorELNS0_4arch9wavefront6targetE0EEEvSY_,"axG",@progbits,_ZN7rocprim17ROCPRIM_400000_NS6detail17trampoline_kernelINS0_14default_configENS1_27lower_bound_config_selectorIflEEZNS1_14transform_implILb0ES3_S5_N6thrust23THRUST_200600_302600_NS6detail15normal_iteratorINS8_7pointerIfNS8_11hip_rocprim16par_det_nosync_tENS8_11use_defaultESE_EEEENSA_INSB_IlSD_SE_SE_EEEEZNS1_13binary_searchIS3_S5_NSA_INS8_10device_ptrIfEEEESG_SI_NS1_21lower_bound_search_opENS9_16wrapped_functionINS8_6system6detail7generic6detail18binary_search_lessEbEEEE10hipError_tPvRmT1_T2_T3_mmT4_T5_P12ihipStream_tbEUlRKfE_EESV_SZ_S10_mS11_S14_bEUlT_E_NS1_11comp_targetILNS1_3genE8ELNS1_11target_archE1030ELNS1_3gpuE2ELNS1_3repE0EEENS1_30default_config_static_selectorELNS0_4arch9wavefront6targetE0EEEvSY_,comdat
.Lfunc_end339:
	.size	_ZN7rocprim17ROCPRIM_400000_NS6detail17trampoline_kernelINS0_14default_configENS1_27lower_bound_config_selectorIflEEZNS1_14transform_implILb0ES3_S5_N6thrust23THRUST_200600_302600_NS6detail15normal_iteratorINS8_7pointerIfNS8_11hip_rocprim16par_det_nosync_tENS8_11use_defaultESE_EEEENSA_INSB_IlSD_SE_SE_EEEEZNS1_13binary_searchIS3_S5_NSA_INS8_10device_ptrIfEEEESG_SI_NS1_21lower_bound_search_opENS9_16wrapped_functionINS8_6system6detail7generic6detail18binary_search_lessEbEEEE10hipError_tPvRmT1_T2_T3_mmT4_T5_P12ihipStream_tbEUlRKfE_EESV_SZ_S10_mS11_S14_bEUlT_E_NS1_11comp_targetILNS1_3genE8ELNS1_11target_archE1030ELNS1_3gpuE2ELNS1_3repE0EEENS1_30default_config_static_selectorELNS0_4arch9wavefront6targetE0EEEvSY_, .Lfunc_end339-_ZN7rocprim17ROCPRIM_400000_NS6detail17trampoline_kernelINS0_14default_configENS1_27lower_bound_config_selectorIflEEZNS1_14transform_implILb0ES3_S5_N6thrust23THRUST_200600_302600_NS6detail15normal_iteratorINS8_7pointerIfNS8_11hip_rocprim16par_det_nosync_tENS8_11use_defaultESE_EEEENSA_INSB_IlSD_SE_SE_EEEEZNS1_13binary_searchIS3_S5_NSA_INS8_10device_ptrIfEEEESG_SI_NS1_21lower_bound_search_opENS9_16wrapped_functionINS8_6system6detail7generic6detail18binary_search_lessEbEEEE10hipError_tPvRmT1_T2_T3_mmT4_T5_P12ihipStream_tbEUlRKfE_EESV_SZ_S10_mS11_S14_bEUlT_E_NS1_11comp_targetILNS1_3genE8ELNS1_11target_archE1030ELNS1_3gpuE2ELNS1_3repE0EEENS1_30default_config_static_selectorELNS0_4arch9wavefront6targetE0EEEvSY_
                                        ; -- End function
	.set _ZN7rocprim17ROCPRIM_400000_NS6detail17trampoline_kernelINS0_14default_configENS1_27lower_bound_config_selectorIflEEZNS1_14transform_implILb0ES3_S5_N6thrust23THRUST_200600_302600_NS6detail15normal_iteratorINS8_7pointerIfNS8_11hip_rocprim16par_det_nosync_tENS8_11use_defaultESE_EEEENSA_INSB_IlSD_SE_SE_EEEEZNS1_13binary_searchIS3_S5_NSA_INS8_10device_ptrIfEEEESG_SI_NS1_21lower_bound_search_opENS9_16wrapped_functionINS8_6system6detail7generic6detail18binary_search_lessEbEEEE10hipError_tPvRmT1_T2_T3_mmT4_T5_P12ihipStream_tbEUlRKfE_EESV_SZ_S10_mS11_S14_bEUlT_E_NS1_11comp_targetILNS1_3genE8ELNS1_11target_archE1030ELNS1_3gpuE2ELNS1_3repE0EEENS1_30default_config_static_selectorELNS0_4arch9wavefront6targetE0EEEvSY_.num_vgpr, 11
	.set _ZN7rocprim17ROCPRIM_400000_NS6detail17trampoline_kernelINS0_14default_configENS1_27lower_bound_config_selectorIflEEZNS1_14transform_implILb0ES3_S5_N6thrust23THRUST_200600_302600_NS6detail15normal_iteratorINS8_7pointerIfNS8_11hip_rocprim16par_det_nosync_tENS8_11use_defaultESE_EEEENSA_INSB_IlSD_SE_SE_EEEEZNS1_13binary_searchIS3_S5_NSA_INS8_10device_ptrIfEEEESG_SI_NS1_21lower_bound_search_opENS9_16wrapped_functionINS8_6system6detail7generic6detail18binary_search_lessEbEEEE10hipError_tPvRmT1_T2_T3_mmT4_T5_P12ihipStream_tbEUlRKfE_EESV_SZ_S10_mS11_S14_bEUlT_E_NS1_11comp_targetILNS1_3genE8ELNS1_11target_archE1030ELNS1_3gpuE2ELNS1_3repE0EEENS1_30default_config_static_selectorELNS0_4arch9wavefront6targetE0EEEvSY_.num_agpr, 0
	.set _ZN7rocprim17ROCPRIM_400000_NS6detail17trampoline_kernelINS0_14default_configENS1_27lower_bound_config_selectorIflEEZNS1_14transform_implILb0ES3_S5_N6thrust23THRUST_200600_302600_NS6detail15normal_iteratorINS8_7pointerIfNS8_11hip_rocprim16par_det_nosync_tENS8_11use_defaultESE_EEEENSA_INSB_IlSD_SE_SE_EEEEZNS1_13binary_searchIS3_S5_NSA_INS8_10device_ptrIfEEEESG_SI_NS1_21lower_bound_search_opENS9_16wrapped_functionINS8_6system6detail7generic6detail18binary_search_lessEbEEEE10hipError_tPvRmT1_T2_T3_mmT4_T5_P12ihipStream_tbEUlRKfE_EESV_SZ_S10_mS11_S14_bEUlT_E_NS1_11comp_targetILNS1_3genE8ELNS1_11target_archE1030ELNS1_3gpuE2ELNS1_3repE0EEENS1_30default_config_static_selectorELNS0_4arch9wavefront6targetE0EEEvSY_.numbered_sgpr, 17
	.set _ZN7rocprim17ROCPRIM_400000_NS6detail17trampoline_kernelINS0_14default_configENS1_27lower_bound_config_selectorIflEEZNS1_14transform_implILb0ES3_S5_N6thrust23THRUST_200600_302600_NS6detail15normal_iteratorINS8_7pointerIfNS8_11hip_rocprim16par_det_nosync_tENS8_11use_defaultESE_EEEENSA_INSB_IlSD_SE_SE_EEEEZNS1_13binary_searchIS3_S5_NSA_INS8_10device_ptrIfEEEESG_SI_NS1_21lower_bound_search_opENS9_16wrapped_functionINS8_6system6detail7generic6detail18binary_search_lessEbEEEE10hipError_tPvRmT1_T2_T3_mmT4_T5_P12ihipStream_tbEUlRKfE_EESV_SZ_S10_mS11_S14_bEUlT_E_NS1_11comp_targetILNS1_3genE8ELNS1_11target_archE1030ELNS1_3gpuE2ELNS1_3repE0EEENS1_30default_config_static_selectorELNS0_4arch9wavefront6targetE0EEEvSY_.num_named_barrier, 0
	.set _ZN7rocprim17ROCPRIM_400000_NS6detail17trampoline_kernelINS0_14default_configENS1_27lower_bound_config_selectorIflEEZNS1_14transform_implILb0ES3_S5_N6thrust23THRUST_200600_302600_NS6detail15normal_iteratorINS8_7pointerIfNS8_11hip_rocprim16par_det_nosync_tENS8_11use_defaultESE_EEEENSA_INSB_IlSD_SE_SE_EEEEZNS1_13binary_searchIS3_S5_NSA_INS8_10device_ptrIfEEEESG_SI_NS1_21lower_bound_search_opENS9_16wrapped_functionINS8_6system6detail7generic6detail18binary_search_lessEbEEEE10hipError_tPvRmT1_T2_T3_mmT4_T5_P12ihipStream_tbEUlRKfE_EESV_SZ_S10_mS11_S14_bEUlT_E_NS1_11comp_targetILNS1_3genE8ELNS1_11target_archE1030ELNS1_3gpuE2ELNS1_3repE0EEENS1_30default_config_static_selectorELNS0_4arch9wavefront6targetE0EEEvSY_.private_seg_size, 0
	.set _ZN7rocprim17ROCPRIM_400000_NS6detail17trampoline_kernelINS0_14default_configENS1_27lower_bound_config_selectorIflEEZNS1_14transform_implILb0ES3_S5_N6thrust23THRUST_200600_302600_NS6detail15normal_iteratorINS8_7pointerIfNS8_11hip_rocprim16par_det_nosync_tENS8_11use_defaultESE_EEEENSA_INSB_IlSD_SE_SE_EEEEZNS1_13binary_searchIS3_S5_NSA_INS8_10device_ptrIfEEEESG_SI_NS1_21lower_bound_search_opENS9_16wrapped_functionINS8_6system6detail7generic6detail18binary_search_lessEbEEEE10hipError_tPvRmT1_T2_T3_mmT4_T5_P12ihipStream_tbEUlRKfE_EESV_SZ_S10_mS11_S14_bEUlT_E_NS1_11comp_targetILNS1_3genE8ELNS1_11target_archE1030ELNS1_3gpuE2ELNS1_3repE0EEENS1_30default_config_static_selectorELNS0_4arch9wavefront6targetE0EEEvSY_.uses_vcc, 1
	.set _ZN7rocprim17ROCPRIM_400000_NS6detail17trampoline_kernelINS0_14default_configENS1_27lower_bound_config_selectorIflEEZNS1_14transform_implILb0ES3_S5_N6thrust23THRUST_200600_302600_NS6detail15normal_iteratorINS8_7pointerIfNS8_11hip_rocprim16par_det_nosync_tENS8_11use_defaultESE_EEEENSA_INSB_IlSD_SE_SE_EEEEZNS1_13binary_searchIS3_S5_NSA_INS8_10device_ptrIfEEEESG_SI_NS1_21lower_bound_search_opENS9_16wrapped_functionINS8_6system6detail7generic6detail18binary_search_lessEbEEEE10hipError_tPvRmT1_T2_T3_mmT4_T5_P12ihipStream_tbEUlRKfE_EESV_SZ_S10_mS11_S14_bEUlT_E_NS1_11comp_targetILNS1_3genE8ELNS1_11target_archE1030ELNS1_3gpuE2ELNS1_3repE0EEENS1_30default_config_static_selectorELNS0_4arch9wavefront6targetE0EEEvSY_.uses_flat_scratch, 0
	.set _ZN7rocprim17ROCPRIM_400000_NS6detail17trampoline_kernelINS0_14default_configENS1_27lower_bound_config_selectorIflEEZNS1_14transform_implILb0ES3_S5_N6thrust23THRUST_200600_302600_NS6detail15normal_iteratorINS8_7pointerIfNS8_11hip_rocprim16par_det_nosync_tENS8_11use_defaultESE_EEEENSA_INSB_IlSD_SE_SE_EEEEZNS1_13binary_searchIS3_S5_NSA_INS8_10device_ptrIfEEEESG_SI_NS1_21lower_bound_search_opENS9_16wrapped_functionINS8_6system6detail7generic6detail18binary_search_lessEbEEEE10hipError_tPvRmT1_T2_T3_mmT4_T5_P12ihipStream_tbEUlRKfE_EESV_SZ_S10_mS11_S14_bEUlT_E_NS1_11comp_targetILNS1_3genE8ELNS1_11target_archE1030ELNS1_3gpuE2ELNS1_3repE0EEENS1_30default_config_static_selectorELNS0_4arch9wavefront6targetE0EEEvSY_.has_dyn_sized_stack, 0
	.set _ZN7rocprim17ROCPRIM_400000_NS6detail17trampoline_kernelINS0_14default_configENS1_27lower_bound_config_selectorIflEEZNS1_14transform_implILb0ES3_S5_N6thrust23THRUST_200600_302600_NS6detail15normal_iteratorINS8_7pointerIfNS8_11hip_rocprim16par_det_nosync_tENS8_11use_defaultESE_EEEENSA_INSB_IlSD_SE_SE_EEEEZNS1_13binary_searchIS3_S5_NSA_INS8_10device_ptrIfEEEESG_SI_NS1_21lower_bound_search_opENS9_16wrapped_functionINS8_6system6detail7generic6detail18binary_search_lessEbEEEE10hipError_tPvRmT1_T2_T3_mmT4_T5_P12ihipStream_tbEUlRKfE_EESV_SZ_S10_mS11_S14_bEUlT_E_NS1_11comp_targetILNS1_3genE8ELNS1_11target_archE1030ELNS1_3gpuE2ELNS1_3repE0EEENS1_30default_config_static_selectorELNS0_4arch9wavefront6targetE0EEEvSY_.has_recursion, 0
	.set _ZN7rocprim17ROCPRIM_400000_NS6detail17trampoline_kernelINS0_14default_configENS1_27lower_bound_config_selectorIflEEZNS1_14transform_implILb0ES3_S5_N6thrust23THRUST_200600_302600_NS6detail15normal_iteratorINS8_7pointerIfNS8_11hip_rocprim16par_det_nosync_tENS8_11use_defaultESE_EEEENSA_INSB_IlSD_SE_SE_EEEEZNS1_13binary_searchIS3_S5_NSA_INS8_10device_ptrIfEEEESG_SI_NS1_21lower_bound_search_opENS9_16wrapped_functionINS8_6system6detail7generic6detail18binary_search_lessEbEEEE10hipError_tPvRmT1_T2_T3_mmT4_T5_P12ihipStream_tbEUlRKfE_EESV_SZ_S10_mS11_S14_bEUlT_E_NS1_11comp_targetILNS1_3genE8ELNS1_11target_archE1030ELNS1_3gpuE2ELNS1_3repE0EEENS1_30default_config_static_selectorELNS0_4arch9wavefront6targetE0EEEvSY_.has_indirect_call, 0
	.section	.AMDGPU.csdata,"",@progbits
; Kernel info:
; codeLenInByte = 816
; TotalNumSgprs: 19
; NumVgprs: 11
; ScratchSize: 0
; MemoryBound: 0
; FloatMode: 240
; IeeeMode: 1
; LDSByteSize: 0 bytes/workgroup (compile time only)
; SGPRBlocks: 0
; VGPRBlocks: 1
; NumSGPRsForWavesPerEU: 19
; NumVGPRsForWavesPerEU: 11
; Occupancy: 16
; WaveLimiterHint : 0
; COMPUTE_PGM_RSRC2:SCRATCH_EN: 0
; COMPUTE_PGM_RSRC2:USER_SGPR: 6
; COMPUTE_PGM_RSRC2:TRAP_HANDLER: 0
; COMPUTE_PGM_RSRC2:TGID_X_EN: 1
; COMPUTE_PGM_RSRC2:TGID_Y_EN: 0
; COMPUTE_PGM_RSRC2:TGID_Z_EN: 0
; COMPUTE_PGM_RSRC2:TIDIG_COMP_CNT: 0
	.section	.text._ZN7rocprim17ROCPRIM_400000_NS6detail17trampoline_kernelINS0_14default_configENS1_27lower_bound_config_selectorIflEEZNS1_14transform_implILb0ES3_S5_N6thrust23THRUST_200600_302600_NS6detail15normal_iteratorINS8_7pointerIfNS8_11hip_rocprim9par_det_tENS8_11use_defaultESE_EEEENSA_INSB_IlSD_SE_SE_EEEEZNS1_13binary_searchIS3_S5_NSA_INS8_10device_ptrIfEEEESG_SI_NS1_21lower_bound_search_opENS9_16wrapped_functionINS8_6system6detail7generic6detail18binary_search_lessEbEEEE10hipError_tPvRmT1_T2_T3_mmT4_T5_P12ihipStream_tbEUlRKfE_EESV_SZ_S10_mS11_S14_bEUlT_E_NS1_11comp_targetILNS1_3genE0ELNS1_11target_archE4294967295ELNS1_3gpuE0ELNS1_3repE0EEENS1_30default_config_static_selectorELNS0_4arch9wavefront6targetE0EEEvSY_,"axG",@progbits,_ZN7rocprim17ROCPRIM_400000_NS6detail17trampoline_kernelINS0_14default_configENS1_27lower_bound_config_selectorIflEEZNS1_14transform_implILb0ES3_S5_N6thrust23THRUST_200600_302600_NS6detail15normal_iteratorINS8_7pointerIfNS8_11hip_rocprim9par_det_tENS8_11use_defaultESE_EEEENSA_INSB_IlSD_SE_SE_EEEEZNS1_13binary_searchIS3_S5_NSA_INS8_10device_ptrIfEEEESG_SI_NS1_21lower_bound_search_opENS9_16wrapped_functionINS8_6system6detail7generic6detail18binary_search_lessEbEEEE10hipError_tPvRmT1_T2_T3_mmT4_T5_P12ihipStream_tbEUlRKfE_EESV_SZ_S10_mS11_S14_bEUlT_E_NS1_11comp_targetILNS1_3genE0ELNS1_11target_archE4294967295ELNS1_3gpuE0ELNS1_3repE0EEENS1_30default_config_static_selectorELNS0_4arch9wavefront6targetE0EEEvSY_,comdat
	.protected	_ZN7rocprim17ROCPRIM_400000_NS6detail17trampoline_kernelINS0_14default_configENS1_27lower_bound_config_selectorIflEEZNS1_14transform_implILb0ES3_S5_N6thrust23THRUST_200600_302600_NS6detail15normal_iteratorINS8_7pointerIfNS8_11hip_rocprim9par_det_tENS8_11use_defaultESE_EEEENSA_INSB_IlSD_SE_SE_EEEEZNS1_13binary_searchIS3_S5_NSA_INS8_10device_ptrIfEEEESG_SI_NS1_21lower_bound_search_opENS9_16wrapped_functionINS8_6system6detail7generic6detail18binary_search_lessEbEEEE10hipError_tPvRmT1_T2_T3_mmT4_T5_P12ihipStream_tbEUlRKfE_EESV_SZ_S10_mS11_S14_bEUlT_E_NS1_11comp_targetILNS1_3genE0ELNS1_11target_archE4294967295ELNS1_3gpuE0ELNS1_3repE0EEENS1_30default_config_static_selectorELNS0_4arch9wavefront6targetE0EEEvSY_ ; -- Begin function _ZN7rocprim17ROCPRIM_400000_NS6detail17trampoline_kernelINS0_14default_configENS1_27lower_bound_config_selectorIflEEZNS1_14transform_implILb0ES3_S5_N6thrust23THRUST_200600_302600_NS6detail15normal_iteratorINS8_7pointerIfNS8_11hip_rocprim9par_det_tENS8_11use_defaultESE_EEEENSA_INSB_IlSD_SE_SE_EEEEZNS1_13binary_searchIS3_S5_NSA_INS8_10device_ptrIfEEEESG_SI_NS1_21lower_bound_search_opENS9_16wrapped_functionINS8_6system6detail7generic6detail18binary_search_lessEbEEEE10hipError_tPvRmT1_T2_T3_mmT4_T5_P12ihipStream_tbEUlRKfE_EESV_SZ_S10_mS11_S14_bEUlT_E_NS1_11comp_targetILNS1_3genE0ELNS1_11target_archE4294967295ELNS1_3gpuE0ELNS1_3repE0EEENS1_30default_config_static_selectorELNS0_4arch9wavefront6targetE0EEEvSY_
	.globl	_ZN7rocprim17ROCPRIM_400000_NS6detail17trampoline_kernelINS0_14default_configENS1_27lower_bound_config_selectorIflEEZNS1_14transform_implILb0ES3_S5_N6thrust23THRUST_200600_302600_NS6detail15normal_iteratorINS8_7pointerIfNS8_11hip_rocprim9par_det_tENS8_11use_defaultESE_EEEENSA_INSB_IlSD_SE_SE_EEEEZNS1_13binary_searchIS3_S5_NSA_INS8_10device_ptrIfEEEESG_SI_NS1_21lower_bound_search_opENS9_16wrapped_functionINS8_6system6detail7generic6detail18binary_search_lessEbEEEE10hipError_tPvRmT1_T2_T3_mmT4_T5_P12ihipStream_tbEUlRKfE_EESV_SZ_S10_mS11_S14_bEUlT_E_NS1_11comp_targetILNS1_3genE0ELNS1_11target_archE4294967295ELNS1_3gpuE0ELNS1_3repE0EEENS1_30default_config_static_selectorELNS0_4arch9wavefront6targetE0EEEvSY_
	.p2align	8
	.type	_ZN7rocprim17ROCPRIM_400000_NS6detail17trampoline_kernelINS0_14default_configENS1_27lower_bound_config_selectorIflEEZNS1_14transform_implILb0ES3_S5_N6thrust23THRUST_200600_302600_NS6detail15normal_iteratorINS8_7pointerIfNS8_11hip_rocprim9par_det_tENS8_11use_defaultESE_EEEENSA_INSB_IlSD_SE_SE_EEEEZNS1_13binary_searchIS3_S5_NSA_INS8_10device_ptrIfEEEESG_SI_NS1_21lower_bound_search_opENS9_16wrapped_functionINS8_6system6detail7generic6detail18binary_search_lessEbEEEE10hipError_tPvRmT1_T2_T3_mmT4_T5_P12ihipStream_tbEUlRKfE_EESV_SZ_S10_mS11_S14_bEUlT_E_NS1_11comp_targetILNS1_3genE0ELNS1_11target_archE4294967295ELNS1_3gpuE0ELNS1_3repE0EEENS1_30default_config_static_selectorELNS0_4arch9wavefront6targetE0EEEvSY_,@function
_ZN7rocprim17ROCPRIM_400000_NS6detail17trampoline_kernelINS0_14default_configENS1_27lower_bound_config_selectorIflEEZNS1_14transform_implILb0ES3_S5_N6thrust23THRUST_200600_302600_NS6detail15normal_iteratorINS8_7pointerIfNS8_11hip_rocprim9par_det_tENS8_11use_defaultESE_EEEENSA_INSB_IlSD_SE_SE_EEEEZNS1_13binary_searchIS3_S5_NSA_INS8_10device_ptrIfEEEESG_SI_NS1_21lower_bound_search_opENS9_16wrapped_functionINS8_6system6detail7generic6detail18binary_search_lessEbEEEE10hipError_tPvRmT1_T2_T3_mmT4_T5_P12ihipStream_tbEUlRKfE_EESV_SZ_S10_mS11_S14_bEUlT_E_NS1_11comp_targetILNS1_3genE0ELNS1_11target_archE4294967295ELNS1_3gpuE0ELNS1_3repE0EEENS1_30default_config_static_selectorELNS0_4arch9wavefront6targetE0EEEvSY_: ; @_ZN7rocprim17ROCPRIM_400000_NS6detail17trampoline_kernelINS0_14default_configENS1_27lower_bound_config_selectorIflEEZNS1_14transform_implILb0ES3_S5_N6thrust23THRUST_200600_302600_NS6detail15normal_iteratorINS8_7pointerIfNS8_11hip_rocprim9par_det_tENS8_11use_defaultESE_EEEENSA_INSB_IlSD_SE_SE_EEEEZNS1_13binary_searchIS3_S5_NSA_INS8_10device_ptrIfEEEESG_SI_NS1_21lower_bound_search_opENS9_16wrapped_functionINS8_6system6detail7generic6detail18binary_search_lessEbEEEE10hipError_tPvRmT1_T2_T3_mmT4_T5_P12ihipStream_tbEUlRKfE_EESV_SZ_S10_mS11_S14_bEUlT_E_NS1_11comp_targetILNS1_3genE0ELNS1_11target_archE4294967295ELNS1_3gpuE0ELNS1_3repE0EEENS1_30default_config_static_selectorELNS0_4arch9wavefront6targetE0EEEvSY_
; %bb.0:
	.section	.rodata,"a",@progbits
	.p2align	6, 0x0
	.amdhsa_kernel _ZN7rocprim17ROCPRIM_400000_NS6detail17trampoline_kernelINS0_14default_configENS1_27lower_bound_config_selectorIflEEZNS1_14transform_implILb0ES3_S5_N6thrust23THRUST_200600_302600_NS6detail15normal_iteratorINS8_7pointerIfNS8_11hip_rocprim9par_det_tENS8_11use_defaultESE_EEEENSA_INSB_IlSD_SE_SE_EEEEZNS1_13binary_searchIS3_S5_NSA_INS8_10device_ptrIfEEEESG_SI_NS1_21lower_bound_search_opENS9_16wrapped_functionINS8_6system6detail7generic6detail18binary_search_lessEbEEEE10hipError_tPvRmT1_T2_T3_mmT4_T5_P12ihipStream_tbEUlRKfE_EESV_SZ_S10_mS11_S14_bEUlT_E_NS1_11comp_targetILNS1_3genE0ELNS1_11target_archE4294967295ELNS1_3gpuE0ELNS1_3repE0EEENS1_30default_config_static_selectorELNS0_4arch9wavefront6targetE0EEEvSY_
		.amdhsa_group_segment_fixed_size 0
		.amdhsa_private_segment_fixed_size 0
		.amdhsa_kernarg_size 56
		.amdhsa_user_sgpr_count 6
		.amdhsa_user_sgpr_private_segment_buffer 1
		.amdhsa_user_sgpr_dispatch_ptr 0
		.amdhsa_user_sgpr_queue_ptr 0
		.amdhsa_user_sgpr_kernarg_segment_ptr 1
		.amdhsa_user_sgpr_dispatch_id 0
		.amdhsa_user_sgpr_flat_scratch_init 0
		.amdhsa_user_sgpr_private_segment_size 0
		.amdhsa_wavefront_size32 1
		.amdhsa_uses_dynamic_stack 0
		.amdhsa_system_sgpr_private_segment_wavefront_offset 0
		.amdhsa_system_sgpr_workgroup_id_x 1
		.amdhsa_system_sgpr_workgroup_id_y 0
		.amdhsa_system_sgpr_workgroup_id_z 0
		.amdhsa_system_sgpr_workgroup_info 0
		.amdhsa_system_vgpr_workitem_id 0
		.amdhsa_next_free_vgpr 1
		.amdhsa_next_free_sgpr 1
		.amdhsa_reserve_vcc 0
		.amdhsa_reserve_flat_scratch 0
		.amdhsa_float_round_mode_32 0
		.amdhsa_float_round_mode_16_64 0
		.amdhsa_float_denorm_mode_32 3
		.amdhsa_float_denorm_mode_16_64 3
		.amdhsa_dx10_clamp 1
		.amdhsa_ieee_mode 1
		.amdhsa_fp16_overflow 0
		.amdhsa_workgroup_processor_mode 1
		.amdhsa_memory_ordered 1
		.amdhsa_forward_progress 1
		.amdhsa_shared_vgpr_count 0
		.amdhsa_exception_fp_ieee_invalid_op 0
		.amdhsa_exception_fp_denorm_src 0
		.amdhsa_exception_fp_ieee_div_zero 0
		.amdhsa_exception_fp_ieee_overflow 0
		.amdhsa_exception_fp_ieee_underflow 0
		.amdhsa_exception_fp_ieee_inexact 0
		.amdhsa_exception_int_div_zero 0
	.end_amdhsa_kernel
	.section	.text._ZN7rocprim17ROCPRIM_400000_NS6detail17trampoline_kernelINS0_14default_configENS1_27lower_bound_config_selectorIflEEZNS1_14transform_implILb0ES3_S5_N6thrust23THRUST_200600_302600_NS6detail15normal_iteratorINS8_7pointerIfNS8_11hip_rocprim9par_det_tENS8_11use_defaultESE_EEEENSA_INSB_IlSD_SE_SE_EEEEZNS1_13binary_searchIS3_S5_NSA_INS8_10device_ptrIfEEEESG_SI_NS1_21lower_bound_search_opENS9_16wrapped_functionINS8_6system6detail7generic6detail18binary_search_lessEbEEEE10hipError_tPvRmT1_T2_T3_mmT4_T5_P12ihipStream_tbEUlRKfE_EESV_SZ_S10_mS11_S14_bEUlT_E_NS1_11comp_targetILNS1_3genE0ELNS1_11target_archE4294967295ELNS1_3gpuE0ELNS1_3repE0EEENS1_30default_config_static_selectorELNS0_4arch9wavefront6targetE0EEEvSY_,"axG",@progbits,_ZN7rocprim17ROCPRIM_400000_NS6detail17trampoline_kernelINS0_14default_configENS1_27lower_bound_config_selectorIflEEZNS1_14transform_implILb0ES3_S5_N6thrust23THRUST_200600_302600_NS6detail15normal_iteratorINS8_7pointerIfNS8_11hip_rocprim9par_det_tENS8_11use_defaultESE_EEEENSA_INSB_IlSD_SE_SE_EEEEZNS1_13binary_searchIS3_S5_NSA_INS8_10device_ptrIfEEEESG_SI_NS1_21lower_bound_search_opENS9_16wrapped_functionINS8_6system6detail7generic6detail18binary_search_lessEbEEEE10hipError_tPvRmT1_T2_T3_mmT4_T5_P12ihipStream_tbEUlRKfE_EESV_SZ_S10_mS11_S14_bEUlT_E_NS1_11comp_targetILNS1_3genE0ELNS1_11target_archE4294967295ELNS1_3gpuE0ELNS1_3repE0EEENS1_30default_config_static_selectorELNS0_4arch9wavefront6targetE0EEEvSY_,comdat
.Lfunc_end340:
	.size	_ZN7rocprim17ROCPRIM_400000_NS6detail17trampoline_kernelINS0_14default_configENS1_27lower_bound_config_selectorIflEEZNS1_14transform_implILb0ES3_S5_N6thrust23THRUST_200600_302600_NS6detail15normal_iteratorINS8_7pointerIfNS8_11hip_rocprim9par_det_tENS8_11use_defaultESE_EEEENSA_INSB_IlSD_SE_SE_EEEEZNS1_13binary_searchIS3_S5_NSA_INS8_10device_ptrIfEEEESG_SI_NS1_21lower_bound_search_opENS9_16wrapped_functionINS8_6system6detail7generic6detail18binary_search_lessEbEEEE10hipError_tPvRmT1_T2_T3_mmT4_T5_P12ihipStream_tbEUlRKfE_EESV_SZ_S10_mS11_S14_bEUlT_E_NS1_11comp_targetILNS1_3genE0ELNS1_11target_archE4294967295ELNS1_3gpuE0ELNS1_3repE0EEENS1_30default_config_static_selectorELNS0_4arch9wavefront6targetE0EEEvSY_, .Lfunc_end340-_ZN7rocprim17ROCPRIM_400000_NS6detail17trampoline_kernelINS0_14default_configENS1_27lower_bound_config_selectorIflEEZNS1_14transform_implILb0ES3_S5_N6thrust23THRUST_200600_302600_NS6detail15normal_iteratorINS8_7pointerIfNS8_11hip_rocprim9par_det_tENS8_11use_defaultESE_EEEENSA_INSB_IlSD_SE_SE_EEEEZNS1_13binary_searchIS3_S5_NSA_INS8_10device_ptrIfEEEESG_SI_NS1_21lower_bound_search_opENS9_16wrapped_functionINS8_6system6detail7generic6detail18binary_search_lessEbEEEE10hipError_tPvRmT1_T2_T3_mmT4_T5_P12ihipStream_tbEUlRKfE_EESV_SZ_S10_mS11_S14_bEUlT_E_NS1_11comp_targetILNS1_3genE0ELNS1_11target_archE4294967295ELNS1_3gpuE0ELNS1_3repE0EEENS1_30default_config_static_selectorELNS0_4arch9wavefront6targetE0EEEvSY_
                                        ; -- End function
	.set _ZN7rocprim17ROCPRIM_400000_NS6detail17trampoline_kernelINS0_14default_configENS1_27lower_bound_config_selectorIflEEZNS1_14transform_implILb0ES3_S5_N6thrust23THRUST_200600_302600_NS6detail15normal_iteratorINS8_7pointerIfNS8_11hip_rocprim9par_det_tENS8_11use_defaultESE_EEEENSA_INSB_IlSD_SE_SE_EEEEZNS1_13binary_searchIS3_S5_NSA_INS8_10device_ptrIfEEEESG_SI_NS1_21lower_bound_search_opENS9_16wrapped_functionINS8_6system6detail7generic6detail18binary_search_lessEbEEEE10hipError_tPvRmT1_T2_T3_mmT4_T5_P12ihipStream_tbEUlRKfE_EESV_SZ_S10_mS11_S14_bEUlT_E_NS1_11comp_targetILNS1_3genE0ELNS1_11target_archE4294967295ELNS1_3gpuE0ELNS1_3repE0EEENS1_30default_config_static_selectorELNS0_4arch9wavefront6targetE0EEEvSY_.num_vgpr, 0
	.set _ZN7rocprim17ROCPRIM_400000_NS6detail17trampoline_kernelINS0_14default_configENS1_27lower_bound_config_selectorIflEEZNS1_14transform_implILb0ES3_S5_N6thrust23THRUST_200600_302600_NS6detail15normal_iteratorINS8_7pointerIfNS8_11hip_rocprim9par_det_tENS8_11use_defaultESE_EEEENSA_INSB_IlSD_SE_SE_EEEEZNS1_13binary_searchIS3_S5_NSA_INS8_10device_ptrIfEEEESG_SI_NS1_21lower_bound_search_opENS9_16wrapped_functionINS8_6system6detail7generic6detail18binary_search_lessEbEEEE10hipError_tPvRmT1_T2_T3_mmT4_T5_P12ihipStream_tbEUlRKfE_EESV_SZ_S10_mS11_S14_bEUlT_E_NS1_11comp_targetILNS1_3genE0ELNS1_11target_archE4294967295ELNS1_3gpuE0ELNS1_3repE0EEENS1_30default_config_static_selectorELNS0_4arch9wavefront6targetE0EEEvSY_.num_agpr, 0
	.set _ZN7rocprim17ROCPRIM_400000_NS6detail17trampoline_kernelINS0_14default_configENS1_27lower_bound_config_selectorIflEEZNS1_14transform_implILb0ES3_S5_N6thrust23THRUST_200600_302600_NS6detail15normal_iteratorINS8_7pointerIfNS8_11hip_rocprim9par_det_tENS8_11use_defaultESE_EEEENSA_INSB_IlSD_SE_SE_EEEEZNS1_13binary_searchIS3_S5_NSA_INS8_10device_ptrIfEEEESG_SI_NS1_21lower_bound_search_opENS9_16wrapped_functionINS8_6system6detail7generic6detail18binary_search_lessEbEEEE10hipError_tPvRmT1_T2_T3_mmT4_T5_P12ihipStream_tbEUlRKfE_EESV_SZ_S10_mS11_S14_bEUlT_E_NS1_11comp_targetILNS1_3genE0ELNS1_11target_archE4294967295ELNS1_3gpuE0ELNS1_3repE0EEENS1_30default_config_static_selectorELNS0_4arch9wavefront6targetE0EEEvSY_.numbered_sgpr, 0
	.set _ZN7rocprim17ROCPRIM_400000_NS6detail17trampoline_kernelINS0_14default_configENS1_27lower_bound_config_selectorIflEEZNS1_14transform_implILb0ES3_S5_N6thrust23THRUST_200600_302600_NS6detail15normal_iteratorINS8_7pointerIfNS8_11hip_rocprim9par_det_tENS8_11use_defaultESE_EEEENSA_INSB_IlSD_SE_SE_EEEEZNS1_13binary_searchIS3_S5_NSA_INS8_10device_ptrIfEEEESG_SI_NS1_21lower_bound_search_opENS9_16wrapped_functionINS8_6system6detail7generic6detail18binary_search_lessEbEEEE10hipError_tPvRmT1_T2_T3_mmT4_T5_P12ihipStream_tbEUlRKfE_EESV_SZ_S10_mS11_S14_bEUlT_E_NS1_11comp_targetILNS1_3genE0ELNS1_11target_archE4294967295ELNS1_3gpuE0ELNS1_3repE0EEENS1_30default_config_static_selectorELNS0_4arch9wavefront6targetE0EEEvSY_.num_named_barrier, 0
	.set _ZN7rocprim17ROCPRIM_400000_NS6detail17trampoline_kernelINS0_14default_configENS1_27lower_bound_config_selectorIflEEZNS1_14transform_implILb0ES3_S5_N6thrust23THRUST_200600_302600_NS6detail15normal_iteratorINS8_7pointerIfNS8_11hip_rocprim9par_det_tENS8_11use_defaultESE_EEEENSA_INSB_IlSD_SE_SE_EEEEZNS1_13binary_searchIS3_S5_NSA_INS8_10device_ptrIfEEEESG_SI_NS1_21lower_bound_search_opENS9_16wrapped_functionINS8_6system6detail7generic6detail18binary_search_lessEbEEEE10hipError_tPvRmT1_T2_T3_mmT4_T5_P12ihipStream_tbEUlRKfE_EESV_SZ_S10_mS11_S14_bEUlT_E_NS1_11comp_targetILNS1_3genE0ELNS1_11target_archE4294967295ELNS1_3gpuE0ELNS1_3repE0EEENS1_30default_config_static_selectorELNS0_4arch9wavefront6targetE0EEEvSY_.private_seg_size, 0
	.set _ZN7rocprim17ROCPRIM_400000_NS6detail17trampoline_kernelINS0_14default_configENS1_27lower_bound_config_selectorIflEEZNS1_14transform_implILb0ES3_S5_N6thrust23THRUST_200600_302600_NS6detail15normal_iteratorINS8_7pointerIfNS8_11hip_rocprim9par_det_tENS8_11use_defaultESE_EEEENSA_INSB_IlSD_SE_SE_EEEEZNS1_13binary_searchIS3_S5_NSA_INS8_10device_ptrIfEEEESG_SI_NS1_21lower_bound_search_opENS9_16wrapped_functionINS8_6system6detail7generic6detail18binary_search_lessEbEEEE10hipError_tPvRmT1_T2_T3_mmT4_T5_P12ihipStream_tbEUlRKfE_EESV_SZ_S10_mS11_S14_bEUlT_E_NS1_11comp_targetILNS1_3genE0ELNS1_11target_archE4294967295ELNS1_3gpuE0ELNS1_3repE0EEENS1_30default_config_static_selectorELNS0_4arch9wavefront6targetE0EEEvSY_.uses_vcc, 0
	.set _ZN7rocprim17ROCPRIM_400000_NS6detail17trampoline_kernelINS0_14default_configENS1_27lower_bound_config_selectorIflEEZNS1_14transform_implILb0ES3_S5_N6thrust23THRUST_200600_302600_NS6detail15normal_iteratorINS8_7pointerIfNS8_11hip_rocprim9par_det_tENS8_11use_defaultESE_EEEENSA_INSB_IlSD_SE_SE_EEEEZNS1_13binary_searchIS3_S5_NSA_INS8_10device_ptrIfEEEESG_SI_NS1_21lower_bound_search_opENS9_16wrapped_functionINS8_6system6detail7generic6detail18binary_search_lessEbEEEE10hipError_tPvRmT1_T2_T3_mmT4_T5_P12ihipStream_tbEUlRKfE_EESV_SZ_S10_mS11_S14_bEUlT_E_NS1_11comp_targetILNS1_3genE0ELNS1_11target_archE4294967295ELNS1_3gpuE0ELNS1_3repE0EEENS1_30default_config_static_selectorELNS0_4arch9wavefront6targetE0EEEvSY_.uses_flat_scratch, 0
	.set _ZN7rocprim17ROCPRIM_400000_NS6detail17trampoline_kernelINS0_14default_configENS1_27lower_bound_config_selectorIflEEZNS1_14transform_implILb0ES3_S5_N6thrust23THRUST_200600_302600_NS6detail15normal_iteratorINS8_7pointerIfNS8_11hip_rocprim9par_det_tENS8_11use_defaultESE_EEEENSA_INSB_IlSD_SE_SE_EEEEZNS1_13binary_searchIS3_S5_NSA_INS8_10device_ptrIfEEEESG_SI_NS1_21lower_bound_search_opENS9_16wrapped_functionINS8_6system6detail7generic6detail18binary_search_lessEbEEEE10hipError_tPvRmT1_T2_T3_mmT4_T5_P12ihipStream_tbEUlRKfE_EESV_SZ_S10_mS11_S14_bEUlT_E_NS1_11comp_targetILNS1_3genE0ELNS1_11target_archE4294967295ELNS1_3gpuE0ELNS1_3repE0EEENS1_30default_config_static_selectorELNS0_4arch9wavefront6targetE0EEEvSY_.has_dyn_sized_stack, 0
	.set _ZN7rocprim17ROCPRIM_400000_NS6detail17trampoline_kernelINS0_14default_configENS1_27lower_bound_config_selectorIflEEZNS1_14transform_implILb0ES3_S5_N6thrust23THRUST_200600_302600_NS6detail15normal_iteratorINS8_7pointerIfNS8_11hip_rocprim9par_det_tENS8_11use_defaultESE_EEEENSA_INSB_IlSD_SE_SE_EEEEZNS1_13binary_searchIS3_S5_NSA_INS8_10device_ptrIfEEEESG_SI_NS1_21lower_bound_search_opENS9_16wrapped_functionINS8_6system6detail7generic6detail18binary_search_lessEbEEEE10hipError_tPvRmT1_T2_T3_mmT4_T5_P12ihipStream_tbEUlRKfE_EESV_SZ_S10_mS11_S14_bEUlT_E_NS1_11comp_targetILNS1_3genE0ELNS1_11target_archE4294967295ELNS1_3gpuE0ELNS1_3repE0EEENS1_30default_config_static_selectorELNS0_4arch9wavefront6targetE0EEEvSY_.has_recursion, 0
	.set _ZN7rocprim17ROCPRIM_400000_NS6detail17trampoline_kernelINS0_14default_configENS1_27lower_bound_config_selectorIflEEZNS1_14transform_implILb0ES3_S5_N6thrust23THRUST_200600_302600_NS6detail15normal_iteratorINS8_7pointerIfNS8_11hip_rocprim9par_det_tENS8_11use_defaultESE_EEEENSA_INSB_IlSD_SE_SE_EEEEZNS1_13binary_searchIS3_S5_NSA_INS8_10device_ptrIfEEEESG_SI_NS1_21lower_bound_search_opENS9_16wrapped_functionINS8_6system6detail7generic6detail18binary_search_lessEbEEEE10hipError_tPvRmT1_T2_T3_mmT4_T5_P12ihipStream_tbEUlRKfE_EESV_SZ_S10_mS11_S14_bEUlT_E_NS1_11comp_targetILNS1_3genE0ELNS1_11target_archE4294967295ELNS1_3gpuE0ELNS1_3repE0EEENS1_30default_config_static_selectorELNS0_4arch9wavefront6targetE0EEEvSY_.has_indirect_call, 0
	.section	.AMDGPU.csdata,"",@progbits
; Kernel info:
; codeLenInByte = 0
; TotalNumSgprs: 0
; NumVgprs: 0
; ScratchSize: 0
; MemoryBound: 0
; FloatMode: 240
; IeeeMode: 1
; LDSByteSize: 0 bytes/workgroup (compile time only)
; SGPRBlocks: 0
; VGPRBlocks: 0
; NumSGPRsForWavesPerEU: 1
; NumVGPRsForWavesPerEU: 1
; Occupancy: 16
; WaveLimiterHint : 0
; COMPUTE_PGM_RSRC2:SCRATCH_EN: 0
; COMPUTE_PGM_RSRC2:USER_SGPR: 6
; COMPUTE_PGM_RSRC2:TRAP_HANDLER: 0
; COMPUTE_PGM_RSRC2:TGID_X_EN: 1
; COMPUTE_PGM_RSRC2:TGID_Y_EN: 0
; COMPUTE_PGM_RSRC2:TGID_Z_EN: 0
; COMPUTE_PGM_RSRC2:TIDIG_COMP_CNT: 0
	.section	.text._ZN7rocprim17ROCPRIM_400000_NS6detail17trampoline_kernelINS0_14default_configENS1_27lower_bound_config_selectorIflEEZNS1_14transform_implILb0ES3_S5_N6thrust23THRUST_200600_302600_NS6detail15normal_iteratorINS8_7pointerIfNS8_11hip_rocprim9par_det_tENS8_11use_defaultESE_EEEENSA_INSB_IlSD_SE_SE_EEEEZNS1_13binary_searchIS3_S5_NSA_INS8_10device_ptrIfEEEESG_SI_NS1_21lower_bound_search_opENS9_16wrapped_functionINS8_6system6detail7generic6detail18binary_search_lessEbEEEE10hipError_tPvRmT1_T2_T3_mmT4_T5_P12ihipStream_tbEUlRKfE_EESV_SZ_S10_mS11_S14_bEUlT_E_NS1_11comp_targetILNS1_3genE5ELNS1_11target_archE942ELNS1_3gpuE9ELNS1_3repE0EEENS1_30default_config_static_selectorELNS0_4arch9wavefront6targetE0EEEvSY_,"axG",@progbits,_ZN7rocprim17ROCPRIM_400000_NS6detail17trampoline_kernelINS0_14default_configENS1_27lower_bound_config_selectorIflEEZNS1_14transform_implILb0ES3_S5_N6thrust23THRUST_200600_302600_NS6detail15normal_iteratorINS8_7pointerIfNS8_11hip_rocprim9par_det_tENS8_11use_defaultESE_EEEENSA_INSB_IlSD_SE_SE_EEEEZNS1_13binary_searchIS3_S5_NSA_INS8_10device_ptrIfEEEESG_SI_NS1_21lower_bound_search_opENS9_16wrapped_functionINS8_6system6detail7generic6detail18binary_search_lessEbEEEE10hipError_tPvRmT1_T2_T3_mmT4_T5_P12ihipStream_tbEUlRKfE_EESV_SZ_S10_mS11_S14_bEUlT_E_NS1_11comp_targetILNS1_3genE5ELNS1_11target_archE942ELNS1_3gpuE9ELNS1_3repE0EEENS1_30default_config_static_selectorELNS0_4arch9wavefront6targetE0EEEvSY_,comdat
	.protected	_ZN7rocprim17ROCPRIM_400000_NS6detail17trampoline_kernelINS0_14default_configENS1_27lower_bound_config_selectorIflEEZNS1_14transform_implILb0ES3_S5_N6thrust23THRUST_200600_302600_NS6detail15normal_iteratorINS8_7pointerIfNS8_11hip_rocprim9par_det_tENS8_11use_defaultESE_EEEENSA_INSB_IlSD_SE_SE_EEEEZNS1_13binary_searchIS3_S5_NSA_INS8_10device_ptrIfEEEESG_SI_NS1_21lower_bound_search_opENS9_16wrapped_functionINS8_6system6detail7generic6detail18binary_search_lessEbEEEE10hipError_tPvRmT1_T2_T3_mmT4_T5_P12ihipStream_tbEUlRKfE_EESV_SZ_S10_mS11_S14_bEUlT_E_NS1_11comp_targetILNS1_3genE5ELNS1_11target_archE942ELNS1_3gpuE9ELNS1_3repE0EEENS1_30default_config_static_selectorELNS0_4arch9wavefront6targetE0EEEvSY_ ; -- Begin function _ZN7rocprim17ROCPRIM_400000_NS6detail17trampoline_kernelINS0_14default_configENS1_27lower_bound_config_selectorIflEEZNS1_14transform_implILb0ES3_S5_N6thrust23THRUST_200600_302600_NS6detail15normal_iteratorINS8_7pointerIfNS8_11hip_rocprim9par_det_tENS8_11use_defaultESE_EEEENSA_INSB_IlSD_SE_SE_EEEEZNS1_13binary_searchIS3_S5_NSA_INS8_10device_ptrIfEEEESG_SI_NS1_21lower_bound_search_opENS9_16wrapped_functionINS8_6system6detail7generic6detail18binary_search_lessEbEEEE10hipError_tPvRmT1_T2_T3_mmT4_T5_P12ihipStream_tbEUlRKfE_EESV_SZ_S10_mS11_S14_bEUlT_E_NS1_11comp_targetILNS1_3genE5ELNS1_11target_archE942ELNS1_3gpuE9ELNS1_3repE0EEENS1_30default_config_static_selectorELNS0_4arch9wavefront6targetE0EEEvSY_
	.globl	_ZN7rocprim17ROCPRIM_400000_NS6detail17trampoline_kernelINS0_14default_configENS1_27lower_bound_config_selectorIflEEZNS1_14transform_implILb0ES3_S5_N6thrust23THRUST_200600_302600_NS6detail15normal_iteratorINS8_7pointerIfNS8_11hip_rocprim9par_det_tENS8_11use_defaultESE_EEEENSA_INSB_IlSD_SE_SE_EEEEZNS1_13binary_searchIS3_S5_NSA_INS8_10device_ptrIfEEEESG_SI_NS1_21lower_bound_search_opENS9_16wrapped_functionINS8_6system6detail7generic6detail18binary_search_lessEbEEEE10hipError_tPvRmT1_T2_T3_mmT4_T5_P12ihipStream_tbEUlRKfE_EESV_SZ_S10_mS11_S14_bEUlT_E_NS1_11comp_targetILNS1_3genE5ELNS1_11target_archE942ELNS1_3gpuE9ELNS1_3repE0EEENS1_30default_config_static_selectorELNS0_4arch9wavefront6targetE0EEEvSY_
	.p2align	8
	.type	_ZN7rocprim17ROCPRIM_400000_NS6detail17trampoline_kernelINS0_14default_configENS1_27lower_bound_config_selectorIflEEZNS1_14transform_implILb0ES3_S5_N6thrust23THRUST_200600_302600_NS6detail15normal_iteratorINS8_7pointerIfNS8_11hip_rocprim9par_det_tENS8_11use_defaultESE_EEEENSA_INSB_IlSD_SE_SE_EEEEZNS1_13binary_searchIS3_S5_NSA_INS8_10device_ptrIfEEEESG_SI_NS1_21lower_bound_search_opENS9_16wrapped_functionINS8_6system6detail7generic6detail18binary_search_lessEbEEEE10hipError_tPvRmT1_T2_T3_mmT4_T5_P12ihipStream_tbEUlRKfE_EESV_SZ_S10_mS11_S14_bEUlT_E_NS1_11comp_targetILNS1_3genE5ELNS1_11target_archE942ELNS1_3gpuE9ELNS1_3repE0EEENS1_30default_config_static_selectorELNS0_4arch9wavefront6targetE0EEEvSY_,@function
_ZN7rocprim17ROCPRIM_400000_NS6detail17trampoline_kernelINS0_14default_configENS1_27lower_bound_config_selectorIflEEZNS1_14transform_implILb0ES3_S5_N6thrust23THRUST_200600_302600_NS6detail15normal_iteratorINS8_7pointerIfNS8_11hip_rocprim9par_det_tENS8_11use_defaultESE_EEEENSA_INSB_IlSD_SE_SE_EEEEZNS1_13binary_searchIS3_S5_NSA_INS8_10device_ptrIfEEEESG_SI_NS1_21lower_bound_search_opENS9_16wrapped_functionINS8_6system6detail7generic6detail18binary_search_lessEbEEEE10hipError_tPvRmT1_T2_T3_mmT4_T5_P12ihipStream_tbEUlRKfE_EESV_SZ_S10_mS11_S14_bEUlT_E_NS1_11comp_targetILNS1_3genE5ELNS1_11target_archE942ELNS1_3gpuE9ELNS1_3repE0EEENS1_30default_config_static_selectorELNS0_4arch9wavefront6targetE0EEEvSY_: ; @_ZN7rocprim17ROCPRIM_400000_NS6detail17trampoline_kernelINS0_14default_configENS1_27lower_bound_config_selectorIflEEZNS1_14transform_implILb0ES3_S5_N6thrust23THRUST_200600_302600_NS6detail15normal_iteratorINS8_7pointerIfNS8_11hip_rocprim9par_det_tENS8_11use_defaultESE_EEEENSA_INSB_IlSD_SE_SE_EEEEZNS1_13binary_searchIS3_S5_NSA_INS8_10device_ptrIfEEEESG_SI_NS1_21lower_bound_search_opENS9_16wrapped_functionINS8_6system6detail7generic6detail18binary_search_lessEbEEEE10hipError_tPvRmT1_T2_T3_mmT4_T5_P12ihipStream_tbEUlRKfE_EESV_SZ_S10_mS11_S14_bEUlT_E_NS1_11comp_targetILNS1_3genE5ELNS1_11target_archE942ELNS1_3gpuE9ELNS1_3repE0EEENS1_30default_config_static_selectorELNS0_4arch9wavefront6targetE0EEEvSY_
; %bb.0:
	.section	.rodata,"a",@progbits
	.p2align	6, 0x0
	.amdhsa_kernel _ZN7rocprim17ROCPRIM_400000_NS6detail17trampoline_kernelINS0_14default_configENS1_27lower_bound_config_selectorIflEEZNS1_14transform_implILb0ES3_S5_N6thrust23THRUST_200600_302600_NS6detail15normal_iteratorINS8_7pointerIfNS8_11hip_rocprim9par_det_tENS8_11use_defaultESE_EEEENSA_INSB_IlSD_SE_SE_EEEEZNS1_13binary_searchIS3_S5_NSA_INS8_10device_ptrIfEEEESG_SI_NS1_21lower_bound_search_opENS9_16wrapped_functionINS8_6system6detail7generic6detail18binary_search_lessEbEEEE10hipError_tPvRmT1_T2_T3_mmT4_T5_P12ihipStream_tbEUlRKfE_EESV_SZ_S10_mS11_S14_bEUlT_E_NS1_11comp_targetILNS1_3genE5ELNS1_11target_archE942ELNS1_3gpuE9ELNS1_3repE0EEENS1_30default_config_static_selectorELNS0_4arch9wavefront6targetE0EEEvSY_
		.amdhsa_group_segment_fixed_size 0
		.amdhsa_private_segment_fixed_size 0
		.amdhsa_kernarg_size 56
		.amdhsa_user_sgpr_count 6
		.amdhsa_user_sgpr_private_segment_buffer 1
		.amdhsa_user_sgpr_dispatch_ptr 0
		.amdhsa_user_sgpr_queue_ptr 0
		.amdhsa_user_sgpr_kernarg_segment_ptr 1
		.amdhsa_user_sgpr_dispatch_id 0
		.amdhsa_user_sgpr_flat_scratch_init 0
		.amdhsa_user_sgpr_private_segment_size 0
		.amdhsa_wavefront_size32 1
		.amdhsa_uses_dynamic_stack 0
		.amdhsa_system_sgpr_private_segment_wavefront_offset 0
		.amdhsa_system_sgpr_workgroup_id_x 1
		.amdhsa_system_sgpr_workgroup_id_y 0
		.amdhsa_system_sgpr_workgroup_id_z 0
		.amdhsa_system_sgpr_workgroup_info 0
		.amdhsa_system_vgpr_workitem_id 0
		.amdhsa_next_free_vgpr 1
		.amdhsa_next_free_sgpr 1
		.amdhsa_reserve_vcc 0
		.amdhsa_reserve_flat_scratch 0
		.amdhsa_float_round_mode_32 0
		.amdhsa_float_round_mode_16_64 0
		.amdhsa_float_denorm_mode_32 3
		.amdhsa_float_denorm_mode_16_64 3
		.amdhsa_dx10_clamp 1
		.amdhsa_ieee_mode 1
		.amdhsa_fp16_overflow 0
		.amdhsa_workgroup_processor_mode 1
		.amdhsa_memory_ordered 1
		.amdhsa_forward_progress 1
		.amdhsa_shared_vgpr_count 0
		.amdhsa_exception_fp_ieee_invalid_op 0
		.amdhsa_exception_fp_denorm_src 0
		.amdhsa_exception_fp_ieee_div_zero 0
		.amdhsa_exception_fp_ieee_overflow 0
		.amdhsa_exception_fp_ieee_underflow 0
		.amdhsa_exception_fp_ieee_inexact 0
		.amdhsa_exception_int_div_zero 0
	.end_amdhsa_kernel
	.section	.text._ZN7rocprim17ROCPRIM_400000_NS6detail17trampoline_kernelINS0_14default_configENS1_27lower_bound_config_selectorIflEEZNS1_14transform_implILb0ES3_S5_N6thrust23THRUST_200600_302600_NS6detail15normal_iteratorINS8_7pointerIfNS8_11hip_rocprim9par_det_tENS8_11use_defaultESE_EEEENSA_INSB_IlSD_SE_SE_EEEEZNS1_13binary_searchIS3_S5_NSA_INS8_10device_ptrIfEEEESG_SI_NS1_21lower_bound_search_opENS9_16wrapped_functionINS8_6system6detail7generic6detail18binary_search_lessEbEEEE10hipError_tPvRmT1_T2_T3_mmT4_T5_P12ihipStream_tbEUlRKfE_EESV_SZ_S10_mS11_S14_bEUlT_E_NS1_11comp_targetILNS1_3genE5ELNS1_11target_archE942ELNS1_3gpuE9ELNS1_3repE0EEENS1_30default_config_static_selectorELNS0_4arch9wavefront6targetE0EEEvSY_,"axG",@progbits,_ZN7rocprim17ROCPRIM_400000_NS6detail17trampoline_kernelINS0_14default_configENS1_27lower_bound_config_selectorIflEEZNS1_14transform_implILb0ES3_S5_N6thrust23THRUST_200600_302600_NS6detail15normal_iteratorINS8_7pointerIfNS8_11hip_rocprim9par_det_tENS8_11use_defaultESE_EEEENSA_INSB_IlSD_SE_SE_EEEEZNS1_13binary_searchIS3_S5_NSA_INS8_10device_ptrIfEEEESG_SI_NS1_21lower_bound_search_opENS9_16wrapped_functionINS8_6system6detail7generic6detail18binary_search_lessEbEEEE10hipError_tPvRmT1_T2_T3_mmT4_T5_P12ihipStream_tbEUlRKfE_EESV_SZ_S10_mS11_S14_bEUlT_E_NS1_11comp_targetILNS1_3genE5ELNS1_11target_archE942ELNS1_3gpuE9ELNS1_3repE0EEENS1_30default_config_static_selectorELNS0_4arch9wavefront6targetE0EEEvSY_,comdat
.Lfunc_end341:
	.size	_ZN7rocprim17ROCPRIM_400000_NS6detail17trampoline_kernelINS0_14default_configENS1_27lower_bound_config_selectorIflEEZNS1_14transform_implILb0ES3_S5_N6thrust23THRUST_200600_302600_NS6detail15normal_iteratorINS8_7pointerIfNS8_11hip_rocprim9par_det_tENS8_11use_defaultESE_EEEENSA_INSB_IlSD_SE_SE_EEEEZNS1_13binary_searchIS3_S5_NSA_INS8_10device_ptrIfEEEESG_SI_NS1_21lower_bound_search_opENS9_16wrapped_functionINS8_6system6detail7generic6detail18binary_search_lessEbEEEE10hipError_tPvRmT1_T2_T3_mmT4_T5_P12ihipStream_tbEUlRKfE_EESV_SZ_S10_mS11_S14_bEUlT_E_NS1_11comp_targetILNS1_3genE5ELNS1_11target_archE942ELNS1_3gpuE9ELNS1_3repE0EEENS1_30default_config_static_selectorELNS0_4arch9wavefront6targetE0EEEvSY_, .Lfunc_end341-_ZN7rocprim17ROCPRIM_400000_NS6detail17trampoline_kernelINS0_14default_configENS1_27lower_bound_config_selectorIflEEZNS1_14transform_implILb0ES3_S5_N6thrust23THRUST_200600_302600_NS6detail15normal_iteratorINS8_7pointerIfNS8_11hip_rocprim9par_det_tENS8_11use_defaultESE_EEEENSA_INSB_IlSD_SE_SE_EEEEZNS1_13binary_searchIS3_S5_NSA_INS8_10device_ptrIfEEEESG_SI_NS1_21lower_bound_search_opENS9_16wrapped_functionINS8_6system6detail7generic6detail18binary_search_lessEbEEEE10hipError_tPvRmT1_T2_T3_mmT4_T5_P12ihipStream_tbEUlRKfE_EESV_SZ_S10_mS11_S14_bEUlT_E_NS1_11comp_targetILNS1_3genE5ELNS1_11target_archE942ELNS1_3gpuE9ELNS1_3repE0EEENS1_30default_config_static_selectorELNS0_4arch9wavefront6targetE0EEEvSY_
                                        ; -- End function
	.set _ZN7rocprim17ROCPRIM_400000_NS6detail17trampoline_kernelINS0_14default_configENS1_27lower_bound_config_selectorIflEEZNS1_14transform_implILb0ES3_S5_N6thrust23THRUST_200600_302600_NS6detail15normal_iteratorINS8_7pointerIfNS8_11hip_rocprim9par_det_tENS8_11use_defaultESE_EEEENSA_INSB_IlSD_SE_SE_EEEEZNS1_13binary_searchIS3_S5_NSA_INS8_10device_ptrIfEEEESG_SI_NS1_21lower_bound_search_opENS9_16wrapped_functionINS8_6system6detail7generic6detail18binary_search_lessEbEEEE10hipError_tPvRmT1_T2_T3_mmT4_T5_P12ihipStream_tbEUlRKfE_EESV_SZ_S10_mS11_S14_bEUlT_E_NS1_11comp_targetILNS1_3genE5ELNS1_11target_archE942ELNS1_3gpuE9ELNS1_3repE0EEENS1_30default_config_static_selectorELNS0_4arch9wavefront6targetE0EEEvSY_.num_vgpr, 0
	.set _ZN7rocprim17ROCPRIM_400000_NS6detail17trampoline_kernelINS0_14default_configENS1_27lower_bound_config_selectorIflEEZNS1_14transform_implILb0ES3_S5_N6thrust23THRUST_200600_302600_NS6detail15normal_iteratorINS8_7pointerIfNS8_11hip_rocprim9par_det_tENS8_11use_defaultESE_EEEENSA_INSB_IlSD_SE_SE_EEEEZNS1_13binary_searchIS3_S5_NSA_INS8_10device_ptrIfEEEESG_SI_NS1_21lower_bound_search_opENS9_16wrapped_functionINS8_6system6detail7generic6detail18binary_search_lessEbEEEE10hipError_tPvRmT1_T2_T3_mmT4_T5_P12ihipStream_tbEUlRKfE_EESV_SZ_S10_mS11_S14_bEUlT_E_NS1_11comp_targetILNS1_3genE5ELNS1_11target_archE942ELNS1_3gpuE9ELNS1_3repE0EEENS1_30default_config_static_selectorELNS0_4arch9wavefront6targetE0EEEvSY_.num_agpr, 0
	.set _ZN7rocprim17ROCPRIM_400000_NS6detail17trampoline_kernelINS0_14default_configENS1_27lower_bound_config_selectorIflEEZNS1_14transform_implILb0ES3_S5_N6thrust23THRUST_200600_302600_NS6detail15normal_iteratorINS8_7pointerIfNS8_11hip_rocprim9par_det_tENS8_11use_defaultESE_EEEENSA_INSB_IlSD_SE_SE_EEEEZNS1_13binary_searchIS3_S5_NSA_INS8_10device_ptrIfEEEESG_SI_NS1_21lower_bound_search_opENS9_16wrapped_functionINS8_6system6detail7generic6detail18binary_search_lessEbEEEE10hipError_tPvRmT1_T2_T3_mmT4_T5_P12ihipStream_tbEUlRKfE_EESV_SZ_S10_mS11_S14_bEUlT_E_NS1_11comp_targetILNS1_3genE5ELNS1_11target_archE942ELNS1_3gpuE9ELNS1_3repE0EEENS1_30default_config_static_selectorELNS0_4arch9wavefront6targetE0EEEvSY_.numbered_sgpr, 0
	.set _ZN7rocprim17ROCPRIM_400000_NS6detail17trampoline_kernelINS0_14default_configENS1_27lower_bound_config_selectorIflEEZNS1_14transform_implILb0ES3_S5_N6thrust23THRUST_200600_302600_NS6detail15normal_iteratorINS8_7pointerIfNS8_11hip_rocprim9par_det_tENS8_11use_defaultESE_EEEENSA_INSB_IlSD_SE_SE_EEEEZNS1_13binary_searchIS3_S5_NSA_INS8_10device_ptrIfEEEESG_SI_NS1_21lower_bound_search_opENS9_16wrapped_functionINS8_6system6detail7generic6detail18binary_search_lessEbEEEE10hipError_tPvRmT1_T2_T3_mmT4_T5_P12ihipStream_tbEUlRKfE_EESV_SZ_S10_mS11_S14_bEUlT_E_NS1_11comp_targetILNS1_3genE5ELNS1_11target_archE942ELNS1_3gpuE9ELNS1_3repE0EEENS1_30default_config_static_selectorELNS0_4arch9wavefront6targetE0EEEvSY_.num_named_barrier, 0
	.set _ZN7rocprim17ROCPRIM_400000_NS6detail17trampoline_kernelINS0_14default_configENS1_27lower_bound_config_selectorIflEEZNS1_14transform_implILb0ES3_S5_N6thrust23THRUST_200600_302600_NS6detail15normal_iteratorINS8_7pointerIfNS8_11hip_rocprim9par_det_tENS8_11use_defaultESE_EEEENSA_INSB_IlSD_SE_SE_EEEEZNS1_13binary_searchIS3_S5_NSA_INS8_10device_ptrIfEEEESG_SI_NS1_21lower_bound_search_opENS9_16wrapped_functionINS8_6system6detail7generic6detail18binary_search_lessEbEEEE10hipError_tPvRmT1_T2_T3_mmT4_T5_P12ihipStream_tbEUlRKfE_EESV_SZ_S10_mS11_S14_bEUlT_E_NS1_11comp_targetILNS1_3genE5ELNS1_11target_archE942ELNS1_3gpuE9ELNS1_3repE0EEENS1_30default_config_static_selectorELNS0_4arch9wavefront6targetE0EEEvSY_.private_seg_size, 0
	.set _ZN7rocprim17ROCPRIM_400000_NS6detail17trampoline_kernelINS0_14default_configENS1_27lower_bound_config_selectorIflEEZNS1_14transform_implILb0ES3_S5_N6thrust23THRUST_200600_302600_NS6detail15normal_iteratorINS8_7pointerIfNS8_11hip_rocprim9par_det_tENS8_11use_defaultESE_EEEENSA_INSB_IlSD_SE_SE_EEEEZNS1_13binary_searchIS3_S5_NSA_INS8_10device_ptrIfEEEESG_SI_NS1_21lower_bound_search_opENS9_16wrapped_functionINS8_6system6detail7generic6detail18binary_search_lessEbEEEE10hipError_tPvRmT1_T2_T3_mmT4_T5_P12ihipStream_tbEUlRKfE_EESV_SZ_S10_mS11_S14_bEUlT_E_NS1_11comp_targetILNS1_3genE5ELNS1_11target_archE942ELNS1_3gpuE9ELNS1_3repE0EEENS1_30default_config_static_selectorELNS0_4arch9wavefront6targetE0EEEvSY_.uses_vcc, 0
	.set _ZN7rocprim17ROCPRIM_400000_NS6detail17trampoline_kernelINS0_14default_configENS1_27lower_bound_config_selectorIflEEZNS1_14transform_implILb0ES3_S5_N6thrust23THRUST_200600_302600_NS6detail15normal_iteratorINS8_7pointerIfNS8_11hip_rocprim9par_det_tENS8_11use_defaultESE_EEEENSA_INSB_IlSD_SE_SE_EEEEZNS1_13binary_searchIS3_S5_NSA_INS8_10device_ptrIfEEEESG_SI_NS1_21lower_bound_search_opENS9_16wrapped_functionINS8_6system6detail7generic6detail18binary_search_lessEbEEEE10hipError_tPvRmT1_T2_T3_mmT4_T5_P12ihipStream_tbEUlRKfE_EESV_SZ_S10_mS11_S14_bEUlT_E_NS1_11comp_targetILNS1_3genE5ELNS1_11target_archE942ELNS1_3gpuE9ELNS1_3repE0EEENS1_30default_config_static_selectorELNS0_4arch9wavefront6targetE0EEEvSY_.uses_flat_scratch, 0
	.set _ZN7rocprim17ROCPRIM_400000_NS6detail17trampoline_kernelINS0_14default_configENS1_27lower_bound_config_selectorIflEEZNS1_14transform_implILb0ES3_S5_N6thrust23THRUST_200600_302600_NS6detail15normal_iteratorINS8_7pointerIfNS8_11hip_rocprim9par_det_tENS8_11use_defaultESE_EEEENSA_INSB_IlSD_SE_SE_EEEEZNS1_13binary_searchIS3_S5_NSA_INS8_10device_ptrIfEEEESG_SI_NS1_21lower_bound_search_opENS9_16wrapped_functionINS8_6system6detail7generic6detail18binary_search_lessEbEEEE10hipError_tPvRmT1_T2_T3_mmT4_T5_P12ihipStream_tbEUlRKfE_EESV_SZ_S10_mS11_S14_bEUlT_E_NS1_11comp_targetILNS1_3genE5ELNS1_11target_archE942ELNS1_3gpuE9ELNS1_3repE0EEENS1_30default_config_static_selectorELNS0_4arch9wavefront6targetE0EEEvSY_.has_dyn_sized_stack, 0
	.set _ZN7rocprim17ROCPRIM_400000_NS6detail17trampoline_kernelINS0_14default_configENS1_27lower_bound_config_selectorIflEEZNS1_14transform_implILb0ES3_S5_N6thrust23THRUST_200600_302600_NS6detail15normal_iteratorINS8_7pointerIfNS8_11hip_rocprim9par_det_tENS8_11use_defaultESE_EEEENSA_INSB_IlSD_SE_SE_EEEEZNS1_13binary_searchIS3_S5_NSA_INS8_10device_ptrIfEEEESG_SI_NS1_21lower_bound_search_opENS9_16wrapped_functionINS8_6system6detail7generic6detail18binary_search_lessEbEEEE10hipError_tPvRmT1_T2_T3_mmT4_T5_P12ihipStream_tbEUlRKfE_EESV_SZ_S10_mS11_S14_bEUlT_E_NS1_11comp_targetILNS1_3genE5ELNS1_11target_archE942ELNS1_3gpuE9ELNS1_3repE0EEENS1_30default_config_static_selectorELNS0_4arch9wavefront6targetE0EEEvSY_.has_recursion, 0
	.set _ZN7rocprim17ROCPRIM_400000_NS6detail17trampoline_kernelINS0_14default_configENS1_27lower_bound_config_selectorIflEEZNS1_14transform_implILb0ES3_S5_N6thrust23THRUST_200600_302600_NS6detail15normal_iteratorINS8_7pointerIfNS8_11hip_rocprim9par_det_tENS8_11use_defaultESE_EEEENSA_INSB_IlSD_SE_SE_EEEEZNS1_13binary_searchIS3_S5_NSA_INS8_10device_ptrIfEEEESG_SI_NS1_21lower_bound_search_opENS9_16wrapped_functionINS8_6system6detail7generic6detail18binary_search_lessEbEEEE10hipError_tPvRmT1_T2_T3_mmT4_T5_P12ihipStream_tbEUlRKfE_EESV_SZ_S10_mS11_S14_bEUlT_E_NS1_11comp_targetILNS1_3genE5ELNS1_11target_archE942ELNS1_3gpuE9ELNS1_3repE0EEENS1_30default_config_static_selectorELNS0_4arch9wavefront6targetE0EEEvSY_.has_indirect_call, 0
	.section	.AMDGPU.csdata,"",@progbits
; Kernel info:
; codeLenInByte = 0
; TotalNumSgprs: 0
; NumVgprs: 0
; ScratchSize: 0
; MemoryBound: 0
; FloatMode: 240
; IeeeMode: 1
; LDSByteSize: 0 bytes/workgroup (compile time only)
; SGPRBlocks: 0
; VGPRBlocks: 0
; NumSGPRsForWavesPerEU: 1
; NumVGPRsForWavesPerEU: 1
; Occupancy: 16
; WaveLimiterHint : 0
; COMPUTE_PGM_RSRC2:SCRATCH_EN: 0
; COMPUTE_PGM_RSRC2:USER_SGPR: 6
; COMPUTE_PGM_RSRC2:TRAP_HANDLER: 0
; COMPUTE_PGM_RSRC2:TGID_X_EN: 1
; COMPUTE_PGM_RSRC2:TGID_Y_EN: 0
; COMPUTE_PGM_RSRC2:TGID_Z_EN: 0
; COMPUTE_PGM_RSRC2:TIDIG_COMP_CNT: 0
	.section	.text._ZN7rocprim17ROCPRIM_400000_NS6detail17trampoline_kernelINS0_14default_configENS1_27lower_bound_config_selectorIflEEZNS1_14transform_implILb0ES3_S5_N6thrust23THRUST_200600_302600_NS6detail15normal_iteratorINS8_7pointerIfNS8_11hip_rocprim9par_det_tENS8_11use_defaultESE_EEEENSA_INSB_IlSD_SE_SE_EEEEZNS1_13binary_searchIS3_S5_NSA_INS8_10device_ptrIfEEEESG_SI_NS1_21lower_bound_search_opENS9_16wrapped_functionINS8_6system6detail7generic6detail18binary_search_lessEbEEEE10hipError_tPvRmT1_T2_T3_mmT4_T5_P12ihipStream_tbEUlRKfE_EESV_SZ_S10_mS11_S14_bEUlT_E_NS1_11comp_targetILNS1_3genE4ELNS1_11target_archE910ELNS1_3gpuE8ELNS1_3repE0EEENS1_30default_config_static_selectorELNS0_4arch9wavefront6targetE0EEEvSY_,"axG",@progbits,_ZN7rocprim17ROCPRIM_400000_NS6detail17trampoline_kernelINS0_14default_configENS1_27lower_bound_config_selectorIflEEZNS1_14transform_implILb0ES3_S5_N6thrust23THRUST_200600_302600_NS6detail15normal_iteratorINS8_7pointerIfNS8_11hip_rocprim9par_det_tENS8_11use_defaultESE_EEEENSA_INSB_IlSD_SE_SE_EEEEZNS1_13binary_searchIS3_S5_NSA_INS8_10device_ptrIfEEEESG_SI_NS1_21lower_bound_search_opENS9_16wrapped_functionINS8_6system6detail7generic6detail18binary_search_lessEbEEEE10hipError_tPvRmT1_T2_T3_mmT4_T5_P12ihipStream_tbEUlRKfE_EESV_SZ_S10_mS11_S14_bEUlT_E_NS1_11comp_targetILNS1_3genE4ELNS1_11target_archE910ELNS1_3gpuE8ELNS1_3repE0EEENS1_30default_config_static_selectorELNS0_4arch9wavefront6targetE0EEEvSY_,comdat
	.protected	_ZN7rocprim17ROCPRIM_400000_NS6detail17trampoline_kernelINS0_14default_configENS1_27lower_bound_config_selectorIflEEZNS1_14transform_implILb0ES3_S5_N6thrust23THRUST_200600_302600_NS6detail15normal_iteratorINS8_7pointerIfNS8_11hip_rocprim9par_det_tENS8_11use_defaultESE_EEEENSA_INSB_IlSD_SE_SE_EEEEZNS1_13binary_searchIS3_S5_NSA_INS8_10device_ptrIfEEEESG_SI_NS1_21lower_bound_search_opENS9_16wrapped_functionINS8_6system6detail7generic6detail18binary_search_lessEbEEEE10hipError_tPvRmT1_T2_T3_mmT4_T5_P12ihipStream_tbEUlRKfE_EESV_SZ_S10_mS11_S14_bEUlT_E_NS1_11comp_targetILNS1_3genE4ELNS1_11target_archE910ELNS1_3gpuE8ELNS1_3repE0EEENS1_30default_config_static_selectorELNS0_4arch9wavefront6targetE0EEEvSY_ ; -- Begin function _ZN7rocprim17ROCPRIM_400000_NS6detail17trampoline_kernelINS0_14default_configENS1_27lower_bound_config_selectorIflEEZNS1_14transform_implILb0ES3_S5_N6thrust23THRUST_200600_302600_NS6detail15normal_iteratorINS8_7pointerIfNS8_11hip_rocprim9par_det_tENS8_11use_defaultESE_EEEENSA_INSB_IlSD_SE_SE_EEEEZNS1_13binary_searchIS3_S5_NSA_INS8_10device_ptrIfEEEESG_SI_NS1_21lower_bound_search_opENS9_16wrapped_functionINS8_6system6detail7generic6detail18binary_search_lessEbEEEE10hipError_tPvRmT1_T2_T3_mmT4_T5_P12ihipStream_tbEUlRKfE_EESV_SZ_S10_mS11_S14_bEUlT_E_NS1_11comp_targetILNS1_3genE4ELNS1_11target_archE910ELNS1_3gpuE8ELNS1_3repE0EEENS1_30default_config_static_selectorELNS0_4arch9wavefront6targetE0EEEvSY_
	.globl	_ZN7rocprim17ROCPRIM_400000_NS6detail17trampoline_kernelINS0_14default_configENS1_27lower_bound_config_selectorIflEEZNS1_14transform_implILb0ES3_S5_N6thrust23THRUST_200600_302600_NS6detail15normal_iteratorINS8_7pointerIfNS8_11hip_rocprim9par_det_tENS8_11use_defaultESE_EEEENSA_INSB_IlSD_SE_SE_EEEEZNS1_13binary_searchIS3_S5_NSA_INS8_10device_ptrIfEEEESG_SI_NS1_21lower_bound_search_opENS9_16wrapped_functionINS8_6system6detail7generic6detail18binary_search_lessEbEEEE10hipError_tPvRmT1_T2_T3_mmT4_T5_P12ihipStream_tbEUlRKfE_EESV_SZ_S10_mS11_S14_bEUlT_E_NS1_11comp_targetILNS1_3genE4ELNS1_11target_archE910ELNS1_3gpuE8ELNS1_3repE0EEENS1_30default_config_static_selectorELNS0_4arch9wavefront6targetE0EEEvSY_
	.p2align	8
	.type	_ZN7rocprim17ROCPRIM_400000_NS6detail17trampoline_kernelINS0_14default_configENS1_27lower_bound_config_selectorIflEEZNS1_14transform_implILb0ES3_S5_N6thrust23THRUST_200600_302600_NS6detail15normal_iteratorINS8_7pointerIfNS8_11hip_rocprim9par_det_tENS8_11use_defaultESE_EEEENSA_INSB_IlSD_SE_SE_EEEEZNS1_13binary_searchIS3_S5_NSA_INS8_10device_ptrIfEEEESG_SI_NS1_21lower_bound_search_opENS9_16wrapped_functionINS8_6system6detail7generic6detail18binary_search_lessEbEEEE10hipError_tPvRmT1_T2_T3_mmT4_T5_P12ihipStream_tbEUlRKfE_EESV_SZ_S10_mS11_S14_bEUlT_E_NS1_11comp_targetILNS1_3genE4ELNS1_11target_archE910ELNS1_3gpuE8ELNS1_3repE0EEENS1_30default_config_static_selectorELNS0_4arch9wavefront6targetE0EEEvSY_,@function
_ZN7rocprim17ROCPRIM_400000_NS6detail17trampoline_kernelINS0_14default_configENS1_27lower_bound_config_selectorIflEEZNS1_14transform_implILb0ES3_S5_N6thrust23THRUST_200600_302600_NS6detail15normal_iteratorINS8_7pointerIfNS8_11hip_rocprim9par_det_tENS8_11use_defaultESE_EEEENSA_INSB_IlSD_SE_SE_EEEEZNS1_13binary_searchIS3_S5_NSA_INS8_10device_ptrIfEEEESG_SI_NS1_21lower_bound_search_opENS9_16wrapped_functionINS8_6system6detail7generic6detail18binary_search_lessEbEEEE10hipError_tPvRmT1_T2_T3_mmT4_T5_P12ihipStream_tbEUlRKfE_EESV_SZ_S10_mS11_S14_bEUlT_E_NS1_11comp_targetILNS1_3genE4ELNS1_11target_archE910ELNS1_3gpuE8ELNS1_3repE0EEENS1_30default_config_static_selectorELNS0_4arch9wavefront6targetE0EEEvSY_: ; @_ZN7rocprim17ROCPRIM_400000_NS6detail17trampoline_kernelINS0_14default_configENS1_27lower_bound_config_selectorIflEEZNS1_14transform_implILb0ES3_S5_N6thrust23THRUST_200600_302600_NS6detail15normal_iteratorINS8_7pointerIfNS8_11hip_rocprim9par_det_tENS8_11use_defaultESE_EEEENSA_INSB_IlSD_SE_SE_EEEEZNS1_13binary_searchIS3_S5_NSA_INS8_10device_ptrIfEEEESG_SI_NS1_21lower_bound_search_opENS9_16wrapped_functionINS8_6system6detail7generic6detail18binary_search_lessEbEEEE10hipError_tPvRmT1_T2_T3_mmT4_T5_P12ihipStream_tbEUlRKfE_EESV_SZ_S10_mS11_S14_bEUlT_E_NS1_11comp_targetILNS1_3genE4ELNS1_11target_archE910ELNS1_3gpuE8ELNS1_3repE0EEENS1_30default_config_static_selectorELNS0_4arch9wavefront6targetE0EEEvSY_
; %bb.0:
	.section	.rodata,"a",@progbits
	.p2align	6, 0x0
	.amdhsa_kernel _ZN7rocprim17ROCPRIM_400000_NS6detail17trampoline_kernelINS0_14default_configENS1_27lower_bound_config_selectorIflEEZNS1_14transform_implILb0ES3_S5_N6thrust23THRUST_200600_302600_NS6detail15normal_iteratorINS8_7pointerIfNS8_11hip_rocprim9par_det_tENS8_11use_defaultESE_EEEENSA_INSB_IlSD_SE_SE_EEEEZNS1_13binary_searchIS3_S5_NSA_INS8_10device_ptrIfEEEESG_SI_NS1_21lower_bound_search_opENS9_16wrapped_functionINS8_6system6detail7generic6detail18binary_search_lessEbEEEE10hipError_tPvRmT1_T2_T3_mmT4_T5_P12ihipStream_tbEUlRKfE_EESV_SZ_S10_mS11_S14_bEUlT_E_NS1_11comp_targetILNS1_3genE4ELNS1_11target_archE910ELNS1_3gpuE8ELNS1_3repE0EEENS1_30default_config_static_selectorELNS0_4arch9wavefront6targetE0EEEvSY_
		.amdhsa_group_segment_fixed_size 0
		.amdhsa_private_segment_fixed_size 0
		.amdhsa_kernarg_size 56
		.amdhsa_user_sgpr_count 6
		.amdhsa_user_sgpr_private_segment_buffer 1
		.amdhsa_user_sgpr_dispatch_ptr 0
		.amdhsa_user_sgpr_queue_ptr 0
		.amdhsa_user_sgpr_kernarg_segment_ptr 1
		.amdhsa_user_sgpr_dispatch_id 0
		.amdhsa_user_sgpr_flat_scratch_init 0
		.amdhsa_user_sgpr_private_segment_size 0
		.amdhsa_wavefront_size32 1
		.amdhsa_uses_dynamic_stack 0
		.amdhsa_system_sgpr_private_segment_wavefront_offset 0
		.amdhsa_system_sgpr_workgroup_id_x 1
		.amdhsa_system_sgpr_workgroup_id_y 0
		.amdhsa_system_sgpr_workgroup_id_z 0
		.amdhsa_system_sgpr_workgroup_info 0
		.amdhsa_system_vgpr_workitem_id 0
		.amdhsa_next_free_vgpr 1
		.amdhsa_next_free_sgpr 1
		.amdhsa_reserve_vcc 0
		.amdhsa_reserve_flat_scratch 0
		.amdhsa_float_round_mode_32 0
		.amdhsa_float_round_mode_16_64 0
		.amdhsa_float_denorm_mode_32 3
		.amdhsa_float_denorm_mode_16_64 3
		.amdhsa_dx10_clamp 1
		.amdhsa_ieee_mode 1
		.amdhsa_fp16_overflow 0
		.amdhsa_workgroup_processor_mode 1
		.amdhsa_memory_ordered 1
		.amdhsa_forward_progress 1
		.amdhsa_shared_vgpr_count 0
		.amdhsa_exception_fp_ieee_invalid_op 0
		.amdhsa_exception_fp_denorm_src 0
		.amdhsa_exception_fp_ieee_div_zero 0
		.amdhsa_exception_fp_ieee_overflow 0
		.amdhsa_exception_fp_ieee_underflow 0
		.amdhsa_exception_fp_ieee_inexact 0
		.amdhsa_exception_int_div_zero 0
	.end_amdhsa_kernel
	.section	.text._ZN7rocprim17ROCPRIM_400000_NS6detail17trampoline_kernelINS0_14default_configENS1_27lower_bound_config_selectorIflEEZNS1_14transform_implILb0ES3_S5_N6thrust23THRUST_200600_302600_NS6detail15normal_iteratorINS8_7pointerIfNS8_11hip_rocprim9par_det_tENS8_11use_defaultESE_EEEENSA_INSB_IlSD_SE_SE_EEEEZNS1_13binary_searchIS3_S5_NSA_INS8_10device_ptrIfEEEESG_SI_NS1_21lower_bound_search_opENS9_16wrapped_functionINS8_6system6detail7generic6detail18binary_search_lessEbEEEE10hipError_tPvRmT1_T2_T3_mmT4_T5_P12ihipStream_tbEUlRKfE_EESV_SZ_S10_mS11_S14_bEUlT_E_NS1_11comp_targetILNS1_3genE4ELNS1_11target_archE910ELNS1_3gpuE8ELNS1_3repE0EEENS1_30default_config_static_selectorELNS0_4arch9wavefront6targetE0EEEvSY_,"axG",@progbits,_ZN7rocprim17ROCPRIM_400000_NS6detail17trampoline_kernelINS0_14default_configENS1_27lower_bound_config_selectorIflEEZNS1_14transform_implILb0ES3_S5_N6thrust23THRUST_200600_302600_NS6detail15normal_iteratorINS8_7pointerIfNS8_11hip_rocprim9par_det_tENS8_11use_defaultESE_EEEENSA_INSB_IlSD_SE_SE_EEEEZNS1_13binary_searchIS3_S5_NSA_INS8_10device_ptrIfEEEESG_SI_NS1_21lower_bound_search_opENS9_16wrapped_functionINS8_6system6detail7generic6detail18binary_search_lessEbEEEE10hipError_tPvRmT1_T2_T3_mmT4_T5_P12ihipStream_tbEUlRKfE_EESV_SZ_S10_mS11_S14_bEUlT_E_NS1_11comp_targetILNS1_3genE4ELNS1_11target_archE910ELNS1_3gpuE8ELNS1_3repE0EEENS1_30default_config_static_selectorELNS0_4arch9wavefront6targetE0EEEvSY_,comdat
.Lfunc_end342:
	.size	_ZN7rocprim17ROCPRIM_400000_NS6detail17trampoline_kernelINS0_14default_configENS1_27lower_bound_config_selectorIflEEZNS1_14transform_implILb0ES3_S5_N6thrust23THRUST_200600_302600_NS6detail15normal_iteratorINS8_7pointerIfNS8_11hip_rocprim9par_det_tENS8_11use_defaultESE_EEEENSA_INSB_IlSD_SE_SE_EEEEZNS1_13binary_searchIS3_S5_NSA_INS8_10device_ptrIfEEEESG_SI_NS1_21lower_bound_search_opENS9_16wrapped_functionINS8_6system6detail7generic6detail18binary_search_lessEbEEEE10hipError_tPvRmT1_T2_T3_mmT4_T5_P12ihipStream_tbEUlRKfE_EESV_SZ_S10_mS11_S14_bEUlT_E_NS1_11comp_targetILNS1_3genE4ELNS1_11target_archE910ELNS1_3gpuE8ELNS1_3repE0EEENS1_30default_config_static_selectorELNS0_4arch9wavefront6targetE0EEEvSY_, .Lfunc_end342-_ZN7rocprim17ROCPRIM_400000_NS6detail17trampoline_kernelINS0_14default_configENS1_27lower_bound_config_selectorIflEEZNS1_14transform_implILb0ES3_S5_N6thrust23THRUST_200600_302600_NS6detail15normal_iteratorINS8_7pointerIfNS8_11hip_rocprim9par_det_tENS8_11use_defaultESE_EEEENSA_INSB_IlSD_SE_SE_EEEEZNS1_13binary_searchIS3_S5_NSA_INS8_10device_ptrIfEEEESG_SI_NS1_21lower_bound_search_opENS9_16wrapped_functionINS8_6system6detail7generic6detail18binary_search_lessEbEEEE10hipError_tPvRmT1_T2_T3_mmT4_T5_P12ihipStream_tbEUlRKfE_EESV_SZ_S10_mS11_S14_bEUlT_E_NS1_11comp_targetILNS1_3genE4ELNS1_11target_archE910ELNS1_3gpuE8ELNS1_3repE0EEENS1_30default_config_static_selectorELNS0_4arch9wavefront6targetE0EEEvSY_
                                        ; -- End function
	.set _ZN7rocprim17ROCPRIM_400000_NS6detail17trampoline_kernelINS0_14default_configENS1_27lower_bound_config_selectorIflEEZNS1_14transform_implILb0ES3_S5_N6thrust23THRUST_200600_302600_NS6detail15normal_iteratorINS8_7pointerIfNS8_11hip_rocprim9par_det_tENS8_11use_defaultESE_EEEENSA_INSB_IlSD_SE_SE_EEEEZNS1_13binary_searchIS3_S5_NSA_INS8_10device_ptrIfEEEESG_SI_NS1_21lower_bound_search_opENS9_16wrapped_functionINS8_6system6detail7generic6detail18binary_search_lessEbEEEE10hipError_tPvRmT1_T2_T3_mmT4_T5_P12ihipStream_tbEUlRKfE_EESV_SZ_S10_mS11_S14_bEUlT_E_NS1_11comp_targetILNS1_3genE4ELNS1_11target_archE910ELNS1_3gpuE8ELNS1_3repE0EEENS1_30default_config_static_selectorELNS0_4arch9wavefront6targetE0EEEvSY_.num_vgpr, 0
	.set _ZN7rocprim17ROCPRIM_400000_NS6detail17trampoline_kernelINS0_14default_configENS1_27lower_bound_config_selectorIflEEZNS1_14transform_implILb0ES3_S5_N6thrust23THRUST_200600_302600_NS6detail15normal_iteratorINS8_7pointerIfNS8_11hip_rocprim9par_det_tENS8_11use_defaultESE_EEEENSA_INSB_IlSD_SE_SE_EEEEZNS1_13binary_searchIS3_S5_NSA_INS8_10device_ptrIfEEEESG_SI_NS1_21lower_bound_search_opENS9_16wrapped_functionINS8_6system6detail7generic6detail18binary_search_lessEbEEEE10hipError_tPvRmT1_T2_T3_mmT4_T5_P12ihipStream_tbEUlRKfE_EESV_SZ_S10_mS11_S14_bEUlT_E_NS1_11comp_targetILNS1_3genE4ELNS1_11target_archE910ELNS1_3gpuE8ELNS1_3repE0EEENS1_30default_config_static_selectorELNS0_4arch9wavefront6targetE0EEEvSY_.num_agpr, 0
	.set _ZN7rocprim17ROCPRIM_400000_NS6detail17trampoline_kernelINS0_14default_configENS1_27lower_bound_config_selectorIflEEZNS1_14transform_implILb0ES3_S5_N6thrust23THRUST_200600_302600_NS6detail15normal_iteratorINS8_7pointerIfNS8_11hip_rocprim9par_det_tENS8_11use_defaultESE_EEEENSA_INSB_IlSD_SE_SE_EEEEZNS1_13binary_searchIS3_S5_NSA_INS8_10device_ptrIfEEEESG_SI_NS1_21lower_bound_search_opENS9_16wrapped_functionINS8_6system6detail7generic6detail18binary_search_lessEbEEEE10hipError_tPvRmT1_T2_T3_mmT4_T5_P12ihipStream_tbEUlRKfE_EESV_SZ_S10_mS11_S14_bEUlT_E_NS1_11comp_targetILNS1_3genE4ELNS1_11target_archE910ELNS1_3gpuE8ELNS1_3repE0EEENS1_30default_config_static_selectorELNS0_4arch9wavefront6targetE0EEEvSY_.numbered_sgpr, 0
	.set _ZN7rocprim17ROCPRIM_400000_NS6detail17trampoline_kernelINS0_14default_configENS1_27lower_bound_config_selectorIflEEZNS1_14transform_implILb0ES3_S5_N6thrust23THRUST_200600_302600_NS6detail15normal_iteratorINS8_7pointerIfNS8_11hip_rocprim9par_det_tENS8_11use_defaultESE_EEEENSA_INSB_IlSD_SE_SE_EEEEZNS1_13binary_searchIS3_S5_NSA_INS8_10device_ptrIfEEEESG_SI_NS1_21lower_bound_search_opENS9_16wrapped_functionINS8_6system6detail7generic6detail18binary_search_lessEbEEEE10hipError_tPvRmT1_T2_T3_mmT4_T5_P12ihipStream_tbEUlRKfE_EESV_SZ_S10_mS11_S14_bEUlT_E_NS1_11comp_targetILNS1_3genE4ELNS1_11target_archE910ELNS1_3gpuE8ELNS1_3repE0EEENS1_30default_config_static_selectorELNS0_4arch9wavefront6targetE0EEEvSY_.num_named_barrier, 0
	.set _ZN7rocprim17ROCPRIM_400000_NS6detail17trampoline_kernelINS0_14default_configENS1_27lower_bound_config_selectorIflEEZNS1_14transform_implILb0ES3_S5_N6thrust23THRUST_200600_302600_NS6detail15normal_iteratorINS8_7pointerIfNS8_11hip_rocprim9par_det_tENS8_11use_defaultESE_EEEENSA_INSB_IlSD_SE_SE_EEEEZNS1_13binary_searchIS3_S5_NSA_INS8_10device_ptrIfEEEESG_SI_NS1_21lower_bound_search_opENS9_16wrapped_functionINS8_6system6detail7generic6detail18binary_search_lessEbEEEE10hipError_tPvRmT1_T2_T3_mmT4_T5_P12ihipStream_tbEUlRKfE_EESV_SZ_S10_mS11_S14_bEUlT_E_NS1_11comp_targetILNS1_3genE4ELNS1_11target_archE910ELNS1_3gpuE8ELNS1_3repE0EEENS1_30default_config_static_selectorELNS0_4arch9wavefront6targetE0EEEvSY_.private_seg_size, 0
	.set _ZN7rocprim17ROCPRIM_400000_NS6detail17trampoline_kernelINS0_14default_configENS1_27lower_bound_config_selectorIflEEZNS1_14transform_implILb0ES3_S5_N6thrust23THRUST_200600_302600_NS6detail15normal_iteratorINS8_7pointerIfNS8_11hip_rocprim9par_det_tENS8_11use_defaultESE_EEEENSA_INSB_IlSD_SE_SE_EEEEZNS1_13binary_searchIS3_S5_NSA_INS8_10device_ptrIfEEEESG_SI_NS1_21lower_bound_search_opENS9_16wrapped_functionINS8_6system6detail7generic6detail18binary_search_lessEbEEEE10hipError_tPvRmT1_T2_T3_mmT4_T5_P12ihipStream_tbEUlRKfE_EESV_SZ_S10_mS11_S14_bEUlT_E_NS1_11comp_targetILNS1_3genE4ELNS1_11target_archE910ELNS1_3gpuE8ELNS1_3repE0EEENS1_30default_config_static_selectorELNS0_4arch9wavefront6targetE0EEEvSY_.uses_vcc, 0
	.set _ZN7rocprim17ROCPRIM_400000_NS6detail17trampoline_kernelINS0_14default_configENS1_27lower_bound_config_selectorIflEEZNS1_14transform_implILb0ES3_S5_N6thrust23THRUST_200600_302600_NS6detail15normal_iteratorINS8_7pointerIfNS8_11hip_rocprim9par_det_tENS8_11use_defaultESE_EEEENSA_INSB_IlSD_SE_SE_EEEEZNS1_13binary_searchIS3_S5_NSA_INS8_10device_ptrIfEEEESG_SI_NS1_21lower_bound_search_opENS9_16wrapped_functionINS8_6system6detail7generic6detail18binary_search_lessEbEEEE10hipError_tPvRmT1_T2_T3_mmT4_T5_P12ihipStream_tbEUlRKfE_EESV_SZ_S10_mS11_S14_bEUlT_E_NS1_11comp_targetILNS1_3genE4ELNS1_11target_archE910ELNS1_3gpuE8ELNS1_3repE0EEENS1_30default_config_static_selectorELNS0_4arch9wavefront6targetE0EEEvSY_.uses_flat_scratch, 0
	.set _ZN7rocprim17ROCPRIM_400000_NS6detail17trampoline_kernelINS0_14default_configENS1_27lower_bound_config_selectorIflEEZNS1_14transform_implILb0ES3_S5_N6thrust23THRUST_200600_302600_NS6detail15normal_iteratorINS8_7pointerIfNS8_11hip_rocprim9par_det_tENS8_11use_defaultESE_EEEENSA_INSB_IlSD_SE_SE_EEEEZNS1_13binary_searchIS3_S5_NSA_INS8_10device_ptrIfEEEESG_SI_NS1_21lower_bound_search_opENS9_16wrapped_functionINS8_6system6detail7generic6detail18binary_search_lessEbEEEE10hipError_tPvRmT1_T2_T3_mmT4_T5_P12ihipStream_tbEUlRKfE_EESV_SZ_S10_mS11_S14_bEUlT_E_NS1_11comp_targetILNS1_3genE4ELNS1_11target_archE910ELNS1_3gpuE8ELNS1_3repE0EEENS1_30default_config_static_selectorELNS0_4arch9wavefront6targetE0EEEvSY_.has_dyn_sized_stack, 0
	.set _ZN7rocprim17ROCPRIM_400000_NS6detail17trampoline_kernelINS0_14default_configENS1_27lower_bound_config_selectorIflEEZNS1_14transform_implILb0ES3_S5_N6thrust23THRUST_200600_302600_NS6detail15normal_iteratorINS8_7pointerIfNS8_11hip_rocprim9par_det_tENS8_11use_defaultESE_EEEENSA_INSB_IlSD_SE_SE_EEEEZNS1_13binary_searchIS3_S5_NSA_INS8_10device_ptrIfEEEESG_SI_NS1_21lower_bound_search_opENS9_16wrapped_functionINS8_6system6detail7generic6detail18binary_search_lessEbEEEE10hipError_tPvRmT1_T2_T3_mmT4_T5_P12ihipStream_tbEUlRKfE_EESV_SZ_S10_mS11_S14_bEUlT_E_NS1_11comp_targetILNS1_3genE4ELNS1_11target_archE910ELNS1_3gpuE8ELNS1_3repE0EEENS1_30default_config_static_selectorELNS0_4arch9wavefront6targetE0EEEvSY_.has_recursion, 0
	.set _ZN7rocprim17ROCPRIM_400000_NS6detail17trampoline_kernelINS0_14default_configENS1_27lower_bound_config_selectorIflEEZNS1_14transform_implILb0ES3_S5_N6thrust23THRUST_200600_302600_NS6detail15normal_iteratorINS8_7pointerIfNS8_11hip_rocprim9par_det_tENS8_11use_defaultESE_EEEENSA_INSB_IlSD_SE_SE_EEEEZNS1_13binary_searchIS3_S5_NSA_INS8_10device_ptrIfEEEESG_SI_NS1_21lower_bound_search_opENS9_16wrapped_functionINS8_6system6detail7generic6detail18binary_search_lessEbEEEE10hipError_tPvRmT1_T2_T3_mmT4_T5_P12ihipStream_tbEUlRKfE_EESV_SZ_S10_mS11_S14_bEUlT_E_NS1_11comp_targetILNS1_3genE4ELNS1_11target_archE910ELNS1_3gpuE8ELNS1_3repE0EEENS1_30default_config_static_selectorELNS0_4arch9wavefront6targetE0EEEvSY_.has_indirect_call, 0
	.section	.AMDGPU.csdata,"",@progbits
; Kernel info:
; codeLenInByte = 0
; TotalNumSgprs: 0
; NumVgprs: 0
; ScratchSize: 0
; MemoryBound: 0
; FloatMode: 240
; IeeeMode: 1
; LDSByteSize: 0 bytes/workgroup (compile time only)
; SGPRBlocks: 0
; VGPRBlocks: 0
; NumSGPRsForWavesPerEU: 1
; NumVGPRsForWavesPerEU: 1
; Occupancy: 16
; WaveLimiterHint : 0
; COMPUTE_PGM_RSRC2:SCRATCH_EN: 0
; COMPUTE_PGM_RSRC2:USER_SGPR: 6
; COMPUTE_PGM_RSRC2:TRAP_HANDLER: 0
; COMPUTE_PGM_RSRC2:TGID_X_EN: 1
; COMPUTE_PGM_RSRC2:TGID_Y_EN: 0
; COMPUTE_PGM_RSRC2:TGID_Z_EN: 0
; COMPUTE_PGM_RSRC2:TIDIG_COMP_CNT: 0
	.section	.text._ZN7rocprim17ROCPRIM_400000_NS6detail17trampoline_kernelINS0_14default_configENS1_27lower_bound_config_selectorIflEEZNS1_14transform_implILb0ES3_S5_N6thrust23THRUST_200600_302600_NS6detail15normal_iteratorINS8_7pointerIfNS8_11hip_rocprim9par_det_tENS8_11use_defaultESE_EEEENSA_INSB_IlSD_SE_SE_EEEEZNS1_13binary_searchIS3_S5_NSA_INS8_10device_ptrIfEEEESG_SI_NS1_21lower_bound_search_opENS9_16wrapped_functionINS8_6system6detail7generic6detail18binary_search_lessEbEEEE10hipError_tPvRmT1_T2_T3_mmT4_T5_P12ihipStream_tbEUlRKfE_EESV_SZ_S10_mS11_S14_bEUlT_E_NS1_11comp_targetILNS1_3genE3ELNS1_11target_archE908ELNS1_3gpuE7ELNS1_3repE0EEENS1_30default_config_static_selectorELNS0_4arch9wavefront6targetE0EEEvSY_,"axG",@progbits,_ZN7rocprim17ROCPRIM_400000_NS6detail17trampoline_kernelINS0_14default_configENS1_27lower_bound_config_selectorIflEEZNS1_14transform_implILb0ES3_S5_N6thrust23THRUST_200600_302600_NS6detail15normal_iteratorINS8_7pointerIfNS8_11hip_rocprim9par_det_tENS8_11use_defaultESE_EEEENSA_INSB_IlSD_SE_SE_EEEEZNS1_13binary_searchIS3_S5_NSA_INS8_10device_ptrIfEEEESG_SI_NS1_21lower_bound_search_opENS9_16wrapped_functionINS8_6system6detail7generic6detail18binary_search_lessEbEEEE10hipError_tPvRmT1_T2_T3_mmT4_T5_P12ihipStream_tbEUlRKfE_EESV_SZ_S10_mS11_S14_bEUlT_E_NS1_11comp_targetILNS1_3genE3ELNS1_11target_archE908ELNS1_3gpuE7ELNS1_3repE0EEENS1_30default_config_static_selectorELNS0_4arch9wavefront6targetE0EEEvSY_,comdat
	.protected	_ZN7rocprim17ROCPRIM_400000_NS6detail17trampoline_kernelINS0_14default_configENS1_27lower_bound_config_selectorIflEEZNS1_14transform_implILb0ES3_S5_N6thrust23THRUST_200600_302600_NS6detail15normal_iteratorINS8_7pointerIfNS8_11hip_rocprim9par_det_tENS8_11use_defaultESE_EEEENSA_INSB_IlSD_SE_SE_EEEEZNS1_13binary_searchIS3_S5_NSA_INS8_10device_ptrIfEEEESG_SI_NS1_21lower_bound_search_opENS9_16wrapped_functionINS8_6system6detail7generic6detail18binary_search_lessEbEEEE10hipError_tPvRmT1_T2_T3_mmT4_T5_P12ihipStream_tbEUlRKfE_EESV_SZ_S10_mS11_S14_bEUlT_E_NS1_11comp_targetILNS1_3genE3ELNS1_11target_archE908ELNS1_3gpuE7ELNS1_3repE0EEENS1_30default_config_static_selectorELNS0_4arch9wavefront6targetE0EEEvSY_ ; -- Begin function _ZN7rocprim17ROCPRIM_400000_NS6detail17trampoline_kernelINS0_14default_configENS1_27lower_bound_config_selectorIflEEZNS1_14transform_implILb0ES3_S5_N6thrust23THRUST_200600_302600_NS6detail15normal_iteratorINS8_7pointerIfNS8_11hip_rocprim9par_det_tENS8_11use_defaultESE_EEEENSA_INSB_IlSD_SE_SE_EEEEZNS1_13binary_searchIS3_S5_NSA_INS8_10device_ptrIfEEEESG_SI_NS1_21lower_bound_search_opENS9_16wrapped_functionINS8_6system6detail7generic6detail18binary_search_lessEbEEEE10hipError_tPvRmT1_T2_T3_mmT4_T5_P12ihipStream_tbEUlRKfE_EESV_SZ_S10_mS11_S14_bEUlT_E_NS1_11comp_targetILNS1_3genE3ELNS1_11target_archE908ELNS1_3gpuE7ELNS1_3repE0EEENS1_30default_config_static_selectorELNS0_4arch9wavefront6targetE0EEEvSY_
	.globl	_ZN7rocprim17ROCPRIM_400000_NS6detail17trampoline_kernelINS0_14default_configENS1_27lower_bound_config_selectorIflEEZNS1_14transform_implILb0ES3_S5_N6thrust23THRUST_200600_302600_NS6detail15normal_iteratorINS8_7pointerIfNS8_11hip_rocprim9par_det_tENS8_11use_defaultESE_EEEENSA_INSB_IlSD_SE_SE_EEEEZNS1_13binary_searchIS3_S5_NSA_INS8_10device_ptrIfEEEESG_SI_NS1_21lower_bound_search_opENS9_16wrapped_functionINS8_6system6detail7generic6detail18binary_search_lessEbEEEE10hipError_tPvRmT1_T2_T3_mmT4_T5_P12ihipStream_tbEUlRKfE_EESV_SZ_S10_mS11_S14_bEUlT_E_NS1_11comp_targetILNS1_3genE3ELNS1_11target_archE908ELNS1_3gpuE7ELNS1_3repE0EEENS1_30default_config_static_selectorELNS0_4arch9wavefront6targetE0EEEvSY_
	.p2align	8
	.type	_ZN7rocprim17ROCPRIM_400000_NS6detail17trampoline_kernelINS0_14default_configENS1_27lower_bound_config_selectorIflEEZNS1_14transform_implILb0ES3_S5_N6thrust23THRUST_200600_302600_NS6detail15normal_iteratorINS8_7pointerIfNS8_11hip_rocprim9par_det_tENS8_11use_defaultESE_EEEENSA_INSB_IlSD_SE_SE_EEEEZNS1_13binary_searchIS3_S5_NSA_INS8_10device_ptrIfEEEESG_SI_NS1_21lower_bound_search_opENS9_16wrapped_functionINS8_6system6detail7generic6detail18binary_search_lessEbEEEE10hipError_tPvRmT1_T2_T3_mmT4_T5_P12ihipStream_tbEUlRKfE_EESV_SZ_S10_mS11_S14_bEUlT_E_NS1_11comp_targetILNS1_3genE3ELNS1_11target_archE908ELNS1_3gpuE7ELNS1_3repE0EEENS1_30default_config_static_selectorELNS0_4arch9wavefront6targetE0EEEvSY_,@function
_ZN7rocprim17ROCPRIM_400000_NS6detail17trampoline_kernelINS0_14default_configENS1_27lower_bound_config_selectorIflEEZNS1_14transform_implILb0ES3_S5_N6thrust23THRUST_200600_302600_NS6detail15normal_iteratorINS8_7pointerIfNS8_11hip_rocprim9par_det_tENS8_11use_defaultESE_EEEENSA_INSB_IlSD_SE_SE_EEEEZNS1_13binary_searchIS3_S5_NSA_INS8_10device_ptrIfEEEESG_SI_NS1_21lower_bound_search_opENS9_16wrapped_functionINS8_6system6detail7generic6detail18binary_search_lessEbEEEE10hipError_tPvRmT1_T2_T3_mmT4_T5_P12ihipStream_tbEUlRKfE_EESV_SZ_S10_mS11_S14_bEUlT_E_NS1_11comp_targetILNS1_3genE3ELNS1_11target_archE908ELNS1_3gpuE7ELNS1_3repE0EEENS1_30default_config_static_selectorELNS0_4arch9wavefront6targetE0EEEvSY_: ; @_ZN7rocprim17ROCPRIM_400000_NS6detail17trampoline_kernelINS0_14default_configENS1_27lower_bound_config_selectorIflEEZNS1_14transform_implILb0ES3_S5_N6thrust23THRUST_200600_302600_NS6detail15normal_iteratorINS8_7pointerIfNS8_11hip_rocprim9par_det_tENS8_11use_defaultESE_EEEENSA_INSB_IlSD_SE_SE_EEEEZNS1_13binary_searchIS3_S5_NSA_INS8_10device_ptrIfEEEESG_SI_NS1_21lower_bound_search_opENS9_16wrapped_functionINS8_6system6detail7generic6detail18binary_search_lessEbEEEE10hipError_tPvRmT1_T2_T3_mmT4_T5_P12ihipStream_tbEUlRKfE_EESV_SZ_S10_mS11_S14_bEUlT_E_NS1_11comp_targetILNS1_3genE3ELNS1_11target_archE908ELNS1_3gpuE7ELNS1_3repE0EEENS1_30default_config_static_selectorELNS0_4arch9wavefront6targetE0EEEvSY_
; %bb.0:
	.section	.rodata,"a",@progbits
	.p2align	6, 0x0
	.amdhsa_kernel _ZN7rocprim17ROCPRIM_400000_NS6detail17trampoline_kernelINS0_14default_configENS1_27lower_bound_config_selectorIflEEZNS1_14transform_implILb0ES3_S5_N6thrust23THRUST_200600_302600_NS6detail15normal_iteratorINS8_7pointerIfNS8_11hip_rocprim9par_det_tENS8_11use_defaultESE_EEEENSA_INSB_IlSD_SE_SE_EEEEZNS1_13binary_searchIS3_S5_NSA_INS8_10device_ptrIfEEEESG_SI_NS1_21lower_bound_search_opENS9_16wrapped_functionINS8_6system6detail7generic6detail18binary_search_lessEbEEEE10hipError_tPvRmT1_T2_T3_mmT4_T5_P12ihipStream_tbEUlRKfE_EESV_SZ_S10_mS11_S14_bEUlT_E_NS1_11comp_targetILNS1_3genE3ELNS1_11target_archE908ELNS1_3gpuE7ELNS1_3repE0EEENS1_30default_config_static_selectorELNS0_4arch9wavefront6targetE0EEEvSY_
		.amdhsa_group_segment_fixed_size 0
		.amdhsa_private_segment_fixed_size 0
		.amdhsa_kernarg_size 56
		.amdhsa_user_sgpr_count 6
		.amdhsa_user_sgpr_private_segment_buffer 1
		.amdhsa_user_sgpr_dispatch_ptr 0
		.amdhsa_user_sgpr_queue_ptr 0
		.amdhsa_user_sgpr_kernarg_segment_ptr 1
		.amdhsa_user_sgpr_dispatch_id 0
		.amdhsa_user_sgpr_flat_scratch_init 0
		.amdhsa_user_sgpr_private_segment_size 0
		.amdhsa_wavefront_size32 1
		.amdhsa_uses_dynamic_stack 0
		.amdhsa_system_sgpr_private_segment_wavefront_offset 0
		.amdhsa_system_sgpr_workgroup_id_x 1
		.amdhsa_system_sgpr_workgroup_id_y 0
		.amdhsa_system_sgpr_workgroup_id_z 0
		.amdhsa_system_sgpr_workgroup_info 0
		.amdhsa_system_vgpr_workitem_id 0
		.amdhsa_next_free_vgpr 1
		.amdhsa_next_free_sgpr 1
		.amdhsa_reserve_vcc 0
		.amdhsa_reserve_flat_scratch 0
		.amdhsa_float_round_mode_32 0
		.amdhsa_float_round_mode_16_64 0
		.amdhsa_float_denorm_mode_32 3
		.amdhsa_float_denorm_mode_16_64 3
		.amdhsa_dx10_clamp 1
		.amdhsa_ieee_mode 1
		.amdhsa_fp16_overflow 0
		.amdhsa_workgroup_processor_mode 1
		.amdhsa_memory_ordered 1
		.amdhsa_forward_progress 1
		.amdhsa_shared_vgpr_count 0
		.amdhsa_exception_fp_ieee_invalid_op 0
		.amdhsa_exception_fp_denorm_src 0
		.amdhsa_exception_fp_ieee_div_zero 0
		.amdhsa_exception_fp_ieee_overflow 0
		.amdhsa_exception_fp_ieee_underflow 0
		.amdhsa_exception_fp_ieee_inexact 0
		.amdhsa_exception_int_div_zero 0
	.end_amdhsa_kernel
	.section	.text._ZN7rocprim17ROCPRIM_400000_NS6detail17trampoline_kernelINS0_14default_configENS1_27lower_bound_config_selectorIflEEZNS1_14transform_implILb0ES3_S5_N6thrust23THRUST_200600_302600_NS6detail15normal_iteratorINS8_7pointerIfNS8_11hip_rocprim9par_det_tENS8_11use_defaultESE_EEEENSA_INSB_IlSD_SE_SE_EEEEZNS1_13binary_searchIS3_S5_NSA_INS8_10device_ptrIfEEEESG_SI_NS1_21lower_bound_search_opENS9_16wrapped_functionINS8_6system6detail7generic6detail18binary_search_lessEbEEEE10hipError_tPvRmT1_T2_T3_mmT4_T5_P12ihipStream_tbEUlRKfE_EESV_SZ_S10_mS11_S14_bEUlT_E_NS1_11comp_targetILNS1_3genE3ELNS1_11target_archE908ELNS1_3gpuE7ELNS1_3repE0EEENS1_30default_config_static_selectorELNS0_4arch9wavefront6targetE0EEEvSY_,"axG",@progbits,_ZN7rocprim17ROCPRIM_400000_NS6detail17trampoline_kernelINS0_14default_configENS1_27lower_bound_config_selectorIflEEZNS1_14transform_implILb0ES3_S5_N6thrust23THRUST_200600_302600_NS6detail15normal_iteratorINS8_7pointerIfNS8_11hip_rocprim9par_det_tENS8_11use_defaultESE_EEEENSA_INSB_IlSD_SE_SE_EEEEZNS1_13binary_searchIS3_S5_NSA_INS8_10device_ptrIfEEEESG_SI_NS1_21lower_bound_search_opENS9_16wrapped_functionINS8_6system6detail7generic6detail18binary_search_lessEbEEEE10hipError_tPvRmT1_T2_T3_mmT4_T5_P12ihipStream_tbEUlRKfE_EESV_SZ_S10_mS11_S14_bEUlT_E_NS1_11comp_targetILNS1_3genE3ELNS1_11target_archE908ELNS1_3gpuE7ELNS1_3repE0EEENS1_30default_config_static_selectorELNS0_4arch9wavefront6targetE0EEEvSY_,comdat
.Lfunc_end343:
	.size	_ZN7rocprim17ROCPRIM_400000_NS6detail17trampoline_kernelINS0_14default_configENS1_27lower_bound_config_selectorIflEEZNS1_14transform_implILb0ES3_S5_N6thrust23THRUST_200600_302600_NS6detail15normal_iteratorINS8_7pointerIfNS8_11hip_rocprim9par_det_tENS8_11use_defaultESE_EEEENSA_INSB_IlSD_SE_SE_EEEEZNS1_13binary_searchIS3_S5_NSA_INS8_10device_ptrIfEEEESG_SI_NS1_21lower_bound_search_opENS9_16wrapped_functionINS8_6system6detail7generic6detail18binary_search_lessEbEEEE10hipError_tPvRmT1_T2_T3_mmT4_T5_P12ihipStream_tbEUlRKfE_EESV_SZ_S10_mS11_S14_bEUlT_E_NS1_11comp_targetILNS1_3genE3ELNS1_11target_archE908ELNS1_3gpuE7ELNS1_3repE0EEENS1_30default_config_static_selectorELNS0_4arch9wavefront6targetE0EEEvSY_, .Lfunc_end343-_ZN7rocprim17ROCPRIM_400000_NS6detail17trampoline_kernelINS0_14default_configENS1_27lower_bound_config_selectorIflEEZNS1_14transform_implILb0ES3_S5_N6thrust23THRUST_200600_302600_NS6detail15normal_iteratorINS8_7pointerIfNS8_11hip_rocprim9par_det_tENS8_11use_defaultESE_EEEENSA_INSB_IlSD_SE_SE_EEEEZNS1_13binary_searchIS3_S5_NSA_INS8_10device_ptrIfEEEESG_SI_NS1_21lower_bound_search_opENS9_16wrapped_functionINS8_6system6detail7generic6detail18binary_search_lessEbEEEE10hipError_tPvRmT1_T2_T3_mmT4_T5_P12ihipStream_tbEUlRKfE_EESV_SZ_S10_mS11_S14_bEUlT_E_NS1_11comp_targetILNS1_3genE3ELNS1_11target_archE908ELNS1_3gpuE7ELNS1_3repE0EEENS1_30default_config_static_selectorELNS0_4arch9wavefront6targetE0EEEvSY_
                                        ; -- End function
	.set _ZN7rocprim17ROCPRIM_400000_NS6detail17trampoline_kernelINS0_14default_configENS1_27lower_bound_config_selectorIflEEZNS1_14transform_implILb0ES3_S5_N6thrust23THRUST_200600_302600_NS6detail15normal_iteratorINS8_7pointerIfNS8_11hip_rocprim9par_det_tENS8_11use_defaultESE_EEEENSA_INSB_IlSD_SE_SE_EEEEZNS1_13binary_searchIS3_S5_NSA_INS8_10device_ptrIfEEEESG_SI_NS1_21lower_bound_search_opENS9_16wrapped_functionINS8_6system6detail7generic6detail18binary_search_lessEbEEEE10hipError_tPvRmT1_T2_T3_mmT4_T5_P12ihipStream_tbEUlRKfE_EESV_SZ_S10_mS11_S14_bEUlT_E_NS1_11comp_targetILNS1_3genE3ELNS1_11target_archE908ELNS1_3gpuE7ELNS1_3repE0EEENS1_30default_config_static_selectorELNS0_4arch9wavefront6targetE0EEEvSY_.num_vgpr, 0
	.set _ZN7rocprim17ROCPRIM_400000_NS6detail17trampoline_kernelINS0_14default_configENS1_27lower_bound_config_selectorIflEEZNS1_14transform_implILb0ES3_S5_N6thrust23THRUST_200600_302600_NS6detail15normal_iteratorINS8_7pointerIfNS8_11hip_rocprim9par_det_tENS8_11use_defaultESE_EEEENSA_INSB_IlSD_SE_SE_EEEEZNS1_13binary_searchIS3_S5_NSA_INS8_10device_ptrIfEEEESG_SI_NS1_21lower_bound_search_opENS9_16wrapped_functionINS8_6system6detail7generic6detail18binary_search_lessEbEEEE10hipError_tPvRmT1_T2_T3_mmT4_T5_P12ihipStream_tbEUlRKfE_EESV_SZ_S10_mS11_S14_bEUlT_E_NS1_11comp_targetILNS1_3genE3ELNS1_11target_archE908ELNS1_3gpuE7ELNS1_3repE0EEENS1_30default_config_static_selectorELNS0_4arch9wavefront6targetE0EEEvSY_.num_agpr, 0
	.set _ZN7rocprim17ROCPRIM_400000_NS6detail17trampoline_kernelINS0_14default_configENS1_27lower_bound_config_selectorIflEEZNS1_14transform_implILb0ES3_S5_N6thrust23THRUST_200600_302600_NS6detail15normal_iteratorINS8_7pointerIfNS8_11hip_rocprim9par_det_tENS8_11use_defaultESE_EEEENSA_INSB_IlSD_SE_SE_EEEEZNS1_13binary_searchIS3_S5_NSA_INS8_10device_ptrIfEEEESG_SI_NS1_21lower_bound_search_opENS9_16wrapped_functionINS8_6system6detail7generic6detail18binary_search_lessEbEEEE10hipError_tPvRmT1_T2_T3_mmT4_T5_P12ihipStream_tbEUlRKfE_EESV_SZ_S10_mS11_S14_bEUlT_E_NS1_11comp_targetILNS1_3genE3ELNS1_11target_archE908ELNS1_3gpuE7ELNS1_3repE0EEENS1_30default_config_static_selectorELNS0_4arch9wavefront6targetE0EEEvSY_.numbered_sgpr, 0
	.set _ZN7rocprim17ROCPRIM_400000_NS6detail17trampoline_kernelINS0_14default_configENS1_27lower_bound_config_selectorIflEEZNS1_14transform_implILb0ES3_S5_N6thrust23THRUST_200600_302600_NS6detail15normal_iteratorINS8_7pointerIfNS8_11hip_rocprim9par_det_tENS8_11use_defaultESE_EEEENSA_INSB_IlSD_SE_SE_EEEEZNS1_13binary_searchIS3_S5_NSA_INS8_10device_ptrIfEEEESG_SI_NS1_21lower_bound_search_opENS9_16wrapped_functionINS8_6system6detail7generic6detail18binary_search_lessEbEEEE10hipError_tPvRmT1_T2_T3_mmT4_T5_P12ihipStream_tbEUlRKfE_EESV_SZ_S10_mS11_S14_bEUlT_E_NS1_11comp_targetILNS1_3genE3ELNS1_11target_archE908ELNS1_3gpuE7ELNS1_3repE0EEENS1_30default_config_static_selectorELNS0_4arch9wavefront6targetE0EEEvSY_.num_named_barrier, 0
	.set _ZN7rocprim17ROCPRIM_400000_NS6detail17trampoline_kernelINS0_14default_configENS1_27lower_bound_config_selectorIflEEZNS1_14transform_implILb0ES3_S5_N6thrust23THRUST_200600_302600_NS6detail15normal_iteratorINS8_7pointerIfNS8_11hip_rocprim9par_det_tENS8_11use_defaultESE_EEEENSA_INSB_IlSD_SE_SE_EEEEZNS1_13binary_searchIS3_S5_NSA_INS8_10device_ptrIfEEEESG_SI_NS1_21lower_bound_search_opENS9_16wrapped_functionINS8_6system6detail7generic6detail18binary_search_lessEbEEEE10hipError_tPvRmT1_T2_T3_mmT4_T5_P12ihipStream_tbEUlRKfE_EESV_SZ_S10_mS11_S14_bEUlT_E_NS1_11comp_targetILNS1_3genE3ELNS1_11target_archE908ELNS1_3gpuE7ELNS1_3repE0EEENS1_30default_config_static_selectorELNS0_4arch9wavefront6targetE0EEEvSY_.private_seg_size, 0
	.set _ZN7rocprim17ROCPRIM_400000_NS6detail17trampoline_kernelINS0_14default_configENS1_27lower_bound_config_selectorIflEEZNS1_14transform_implILb0ES3_S5_N6thrust23THRUST_200600_302600_NS6detail15normal_iteratorINS8_7pointerIfNS8_11hip_rocprim9par_det_tENS8_11use_defaultESE_EEEENSA_INSB_IlSD_SE_SE_EEEEZNS1_13binary_searchIS3_S5_NSA_INS8_10device_ptrIfEEEESG_SI_NS1_21lower_bound_search_opENS9_16wrapped_functionINS8_6system6detail7generic6detail18binary_search_lessEbEEEE10hipError_tPvRmT1_T2_T3_mmT4_T5_P12ihipStream_tbEUlRKfE_EESV_SZ_S10_mS11_S14_bEUlT_E_NS1_11comp_targetILNS1_3genE3ELNS1_11target_archE908ELNS1_3gpuE7ELNS1_3repE0EEENS1_30default_config_static_selectorELNS0_4arch9wavefront6targetE0EEEvSY_.uses_vcc, 0
	.set _ZN7rocprim17ROCPRIM_400000_NS6detail17trampoline_kernelINS0_14default_configENS1_27lower_bound_config_selectorIflEEZNS1_14transform_implILb0ES3_S5_N6thrust23THRUST_200600_302600_NS6detail15normal_iteratorINS8_7pointerIfNS8_11hip_rocprim9par_det_tENS8_11use_defaultESE_EEEENSA_INSB_IlSD_SE_SE_EEEEZNS1_13binary_searchIS3_S5_NSA_INS8_10device_ptrIfEEEESG_SI_NS1_21lower_bound_search_opENS9_16wrapped_functionINS8_6system6detail7generic6detail18binary_search_lessEbEEEE10hipError_tPvRmT1_T2_T3_mmT4_T5_P12ihipStream_tbEUlRKfE_EESV_SZ_S10_mS11_S14_bEUlT_E_NS1_11comp_targetILNS1_3genE3ELNS1_11target_archE908ELNS1_3gpuE7ELNS1_3repE0EEENS1_30default_config_static_selectorELNS0_4arch9wavefront6targetE0EEEvSY_.uses_flat_scratch, 0
	.set _ZN7rocprim17ROCPRIM_400000_NS6detail17trampoline_kernelINS0_14default_configENS1_27lower_bound_config_selectorIflEEZNS1_14transform_implILb0ES3_S5_N6thrust23THRUST_200600_302600_NS6detail15normal_iteratorINS8_7pointerIfNS8_11hip_rocprim9par_det_tENS8_11use_defaultESE_EEEENSA_INSB_IlSD_SE_SE_EEEEZNS1_13binary_searchIS3_S5_NSA_INS8_10device_ptrIfEEEESG_SI_NS1_21lower_bound_search_opENS9_16wrapped_functionINS8_6system6detail7generic6detail18binary_search_lessEbEEEE10hipError_tPvRmT1_T2_T3_mmT4_T5_P12ihipStream_tbEUlRKfE_EESV_SZ_S10_mS11_S14_bEUlT_E_NS1_11comp_targetILNS1_3genE3ELNS1_11target_archE908ELNS1_3gpuE7ELNS1_3repE0EEENS1_30default_config_static_selectorELNS0_4arch9wavefront6targetE0EEEvSY_.has_dyn_sized_stack, 0
	.set _ZN7rocprim17ROCPRIM_400000_NS6detail17trampoline_kernelINS0_14default_configENS1_27lower_bound_config_selectorIflEEZNS1_14transform_implILb0ES3_S5_N6thrust23THRUST_200600_302600_NS6detail15normal_iteratorINS8_7pointerIfNS8_11hip_rocprim9par_det_tENS8_11use_defaultESE_EEEENSA_INSB_IlSD_SE_SE_EEEEZNS1_13binary_searchIS3_S5_NSA_INS8_10device_ptrIfEEEESG_SI_NS1_21lower_bound_search_opENS9_16wrapped_functionINS8_6system6detail7generic6detail18binary_search_lessEbEEEE10hipError_tPvRmT1_T2_T3_mmT4_T5_P12ihipStream_tbEUlRKfE_EESV_SZ_S10_mS11_S14_bEUlT_E_NS1_11comp_targetILNS1_3genE3ELNS1_11target_archE908ELNS1_3gpuE7ELNS1_3repE0EEENS1_30default_config_static_selectorELNS0_4arch9wavefront6targetE0EEEvSY_.has_recursion, 0
	.set _ZN7rocprim17ROCPRIM_400000_NS6detail17trampoline_kernelINS0_14default_configENS1_27lower_bound_config_selectorIflEEZNS1_14transform_implILb0ES3_S5_N6thrust23THRUST_200600_302600_NS6detail15normal_iteratorINS8_7pointerIfNS8_11hip_rocprim9par_det_tENS8_11use_defaultESE_EEEENSA_INSB_IlSD_SE_SE_EEEEZNS1_13binary_searchIS3_S5_NSA_INS8_10device_ptrIfEEEESG_SI_NS1_21lower_bound_search_opENS9_16wrapped_functionINS8_6system6detail7generic6detail18binary_search_lessEbEEEE10hipError_tPvRmT1_T2_T3_mmT4_T5_P12ihipStream_tbEUlRKfE_EESV_SZ_S10_mS11_S14_bEUlT_E_NS1_11comp_targetILNS1_3genE3ELNS1_11target_archE908ELNS1_3gpuE7ELNS1_3repE0EEENS1_30default_config_static_selectorELNS0_4arch9wavefront6targetE0EEEvSY_.has_indirect_call, 0
	.section	.AMDGPU.csdata,"",@progbits
; Kernel info:
; codeLenInByte = 0
; TotalNumSgprs: 0
; NumVgprs: 0
; ScratchSize: 0
; MemoryBound: 0
; FloatMode: 240
; IeeeMode: 1
; LDSByteSize: 0 bytes/workgroup (compile time only)
; SGPRBlocks: 0
; VGPRBlocks: 0
; NumSGPRsForWavesPerEU: 1
; NumVGPRsForWavesPerEU: 1
; Occupancy: 16
; WaveLimiterHint : 0
; COMPUTE_PGM_RSRC2:SCRATCH_EN: 0
; COMPUTE_PGM_RSRC2:USER_SGPR: 6
; COMPUTE_PGM_RSRC2:TRAP_HANDLER: 0
; COMPUTE_PGM_RSRC2:TGID_X_EN: 1
; COMPUTE_PGM_RSRC2:TGID_Y_EN: 0
; COMPUTE_PGM_RSRC2:TGID_Z_EN: 0
; COMPUTE_PGM_RSRC2:TIDIG_COMP_CNT: 0
	.section	.text._ZN7rocprim17ROCPRIM_400000_NS6detail17trampoline_kernelINS0_14default_configENS1_27lower_bound_config_selectorIflEEZNS1_14transform_implILb0ES3_S5_N6thrust23THRUST_200600_302600_NS6detail15normal_iteratorINS8_7pointerIfNS8_11hip_rocprim9par_det_tENS8_11use_defaultESE_EEEENSA_INSB_IlSD_SE_SE_EEEEZNS1_13binary_searchIS3_S5_NSA_INS8_10device_ptrIfEEEESG_SI_NS1_21lower_bound_search_opENS9_16wrapped_functionINS8_6system6detail7generic6detail18binary_search_lessEbEEEE10hipError_tPvRmT1_T2_T3_mmT4_T5_P12ihipStream_tbEUlRKfE_EESV_SZ_S10_mS11_S14_bEUlT_E_NS1_11comp_targetILNS1_3genE2ELNS1_11target_archE906ELNS1_3gpuE6ELNS1_3repE0EEENS1_30default_config_static_selectorELNS0_4arch9wavefront6targetE0EEEvSY_,"axG",@progbits,_ZN7rocprim17ROCPRIM_400000_NS6detail17trampoline_kernelINS0_14default_configENS1_27lower_bound_config_selectorIflEEZNS1_14transform_implILb0ES3_S5_N6thrust23THRUST_200600_302600_NS6detail15normal_iteratorINS8_7pointerIfNS8_11hip_rocprim9par_det_tENS8_11use_defaultESE_EEEENSA_INSB_IlSD_SE_SE_EEEEZNS1_13binary_searchIS3_S5_NSA_INS8_10device_ptrIfEEEESG_SI_NS1_21lower_bound_search_opENS9_16wrapped_functionINS8_6system6detail7generic6detail18binary_search_lessEbEEEE10hipError_tPvRmT1_T2_T3_mmT4_T5_P12ihipStream_tbEUlRKfE_EESV_SZ_S10_mS11_S14_bEUlT_E_NS1_11comp_targetILNS1_3genE2ELNS1_11target_archE906ELNS1_3gpuE6ELNS1_3repE0EEENS1_30default_config_static_selectorELNS0_4arch9wavefront6targetE0EEEvSY_,comdat
	.protected	_ZN7rocprim17ROCPRIM_400000_NS6detail17trampoline_kernelINS0_14default_configENS1_27lower_bound_config_selectorIflEEZNS1_14transform_implILb0ES3_S5_N6thrust23THRUST_200600_302600_NS6detail15normal_iteratorINS8_7pointerIfNS8_11hip_rocprim9par_det_tENS8_11use_defaultESE_EEEENSA_INSB_IlSD_SE_SE_EEEEZNS1_13binary_searchIS3_S5_NSA_INS8_10device_ptrIfEEEESG_SI_NS1_21lower_bound_search_opENS9_16wrapped_functionINS8_6system6detail7generic6detail18binary_search_lessEbEEEE10hipError_tPvRmT1_T2_T3_mmT4_T5_P12ihipStream_tbEUlRKfE_EESV_SZ_S10_mS11_S14_bEUlT_E_NS1_11comp_targetILNS1_3genE2ELNS1_11target_archE906ELNS1_3gpuE6ELNS1_3repE0EEENS1_30default_config_static_selectorELNS0_4arch9wavefront6targetE0EEEvSY_ ; -- Begin function _ZN7rocprim17ROCPRIM_400000_NS6detail17trampoline_kernelINS0_14default_configENS1_27lower_bound_config_selectorIflEEZNS1_14transform_implILb0ES3_S5_N6thrust23THRUST_200600_302600_NS6detail15normal_iteratorINS8_7pointerIfNS8_11hip_rocprim9par_det_tENS8_11use_defaultESE_EEEENSA_INSB_IlSD_SE_SE_EEEEZNS1_13binary_searchIS3_S5_NSA_INS8_10device_ptrIfEEEESG_SI_NS1_21lower_bound_search_opENS9_16wrapped_functionINS8_6system6detail7generic6detail18binary_search_lessEbEEEE10hipError_tPvRmT1_T2_T3_mmT4_T5_P12ihipStream_tbEUlRKfE_EESV_SZ_S10_mS11_S14_bEUlT_E_NS1_11comp_targetILNS1_3genE2ELNS1_11target_archE906ELNS1_3gpuE6ELNS1_3repE0EEENS1_30default_config_static_selectorELNS0_4arch9wavefront6targetE0EEEvSY_
	.globl	_ZN7rocprim17ROCPRIM_400000_NS6detail17trampoline_kernelINS0_14default_configENS1_27lower_bound_config_selectorIflEEZNS1_14transform_implILb0ES3_S5_N6thrust23THRUST_200600_302600_NS6detail15normal_iteratorINS8_7pointerIfNS8_11hip_rocprim9par_det_tENS8_11use_defaultESE_EEEENSA_INSB_IlSD_SE_SE_EEEEZNS1_13binary_searchIS3_S5_NSA_INS8_10device_ptrIfEEEESG_SI_NS1_21lower_bound_search_opENS9_16wrapped_functionINS8_6system6detail7generic6detail18binary_search_lessEbEEEE10hipError_tPvRmT1_T2_T3_mmT4_T5_P12ihipStream_tbEUlRKfE_EESV_SZ_S10_mS11_S14_bEUlT_E_NS1_11comp_targetILNS1_3genE2ELNS1_11target_archE906ELNS1_3gpuE6ELNS1_3repE0EEENS1_30default_config_static_selectorELNS0_4arch9wavefront6targetE0EEEvSY_
	.p2align	8
	.type	_ZN7rocprim17ROCPRIM_400000_NS6detail17trampoline_kernelINS0_14default_configENS1_27lower_bound_config_selectorIflEEZNS1_14transform_implILb0ES3_S5_N6thrust23THRUST_200600_302600_NS6detail15normal_iteratorINS8_7pointerIfNS8_11hip_rocprim9par_det_tENS8_11use_defaultESE_EEEENSA_INSB_IlSD_SE_SE_EEEEZNS1_13binary_searchIS3_S5_NSA_INS8_10device_ptrIfEEEESG_SI_NS1_21lower_bound_search_opENS9_16wrapped_functionINS8_6system6detail7generic6detail18binary_search_lessEbEEEE10hipError_tPvRmT1_T2_T3_mmT4_T5_P12ihipStream_tbEUlRKfE_EESV_SZ_S10_mS11_S14_bEUlT_E_NS1_11comp_targetILNS1_3genE2ELNS1_11target_archE906ELNS1_3gpuE6ELNS1_3repE0EEENS1_30default_config_static_selectorELNS0_4arch9wavefront6targetE0EEEvSY_,@function
_ZN7rocprim17ROCPRIM_400000_NS6detail17trampoline_kernelINS0_14default_configENS1_27lower_bound_config_selectorIflEEZNS1_14transform_implILb0ES3_S5_N6thrust23THRUST_200600_302600_NS6detail15normal_iteratorINS8_7pointerIfNS8_11hip_rocprim9par_det_tENS8_11use_defaultESE_EEEENSA_INSB_IlSD_SE_SE_EEEEZNS1_13binary_searchIS3_S5_NSA_INS8_10device_ptrIfEEEESG_SI_NS1_21lower_bound_search_opENS9_16wrapped_functionINS8_6system6detail7generic6detail18binary_search_lessEbEEEE10hipError_tPvRmT1_T2_T3_mmT4_T5_P12ihipStream_tbEUlRKfE_EESV_SZ_S10_mS11_S14_bEUlT_E_NS1_11comp_targetILNS1_3genE2ELNS1_11target_archE906ELNS1_3gpuE6ELNS1_3repE0EEENS1_30default_config_static_selectorELNS0_4arch9wavefront6targetE0EEEvSY_: ; @_ZN7rocprim17ROCPRIM_400000_NS6detail17trampoline_kernelINS0_14default_configENS1_27lower_bound_config_selectorIflEEZNS1_14transform_implILb0ES3_S5_N6thrust23THRUST_200600_302600_NS6detail15normal_iteratorINS8_7pointerIfNS8_11hip_rocprim9par_det_tENS8_11use_defaultESE_EEEENSA_INSB_IlSD_SE_SE_EEEEZNS1_13binary_searchIS3_S5_NSA_INS8_10device_ptrIfEEEESG_SI_NS1_21lower_bound_search_opENS9_16wrapped_functionINS8_6system6detail7generic6detail18binary_search_lessEbEEEE10hipError_tPvRmT1_T2_T3_mmT4_T5_P12ihipStream_tbEUlRKfE_EESV_SZ_S10_mS11_S14_bEUlT_E_NS1_11comp_targetILNS1_3genE2ELNS1_11target_archE906ELNS1_3gpuE6ELNS1_3repE0EEENS1_30default_config_static_selectorELNS0_4arch9wavefront6targetE0EEEvSY_
; %bb.0:
	.section	.rodata,"a",@progbits
	.p2align	6, 0x0
	.amdhsa_kernel _ZN7rocprim17ROCPRIM_400000_NS6detail17trampoline_kernelINS0_14default_configENS1_27lower_bound_config_selectorIflEEZNS1_14transform_implILb0ES3_S5_N6thrust23THRUST_200600_302600_NS6detail15normal_iteratorINS8_7pointerIfNS8_11hip_rocprim9par_det_tENS8_11use_defaultESE_EEEENSA_INSB_IlSD_SE_SE_EEEEZNS1_13binary_searchIS3_S5_NSA_INS8_10device_ptrIfEEEESG_SI_NS1_21lower_bound_search_opENS9_16wrapped_functionINS8_6system6detail7generic6detail18binary_search_lessEbEEEE10hipError_tPvRmT1_T2_T3_mmT4_T5_P12ihipStream_tbEUlRKfE_EESV_SZ_S10_mS11_S14_bEUlT_E_NS1_11comp_targetILNS1_3genE2ELNS1_11target_archE906ELNS1_3gpuE6ELNS1_3repE0EEENS1_30default_config_static_selectorELNS0_4arch9wavefront6targetE0EEEvSY_
		.amdhsa_group_segment_fixed_size 0
		.amdhsa_private_segment_fixed_size 0
		.amdhsa_kernarg_size 56
		.amdhsa_user_sgpr_count 6
		.amdhsa_user_sgpr_private_segment_buffer 1
		.amdhsa_user_sgpr_dispatch_ptr 0
		.amdhsa_user_sgpr_queue_ptr 0
		.amdhsa_user_sgpr_kernarg_segment_ptr 1
		.amdhsa_user_sgpr_dispatch_id 0
		.amdhsa_user_sgpr_flat_scratch_init 0
		.amdhsa_user_sgpr_private_segment_size 0
		.amdhsa_wavefront_size32 1
		.amdhsa_uses_dynamic_stack 0
		.amdhsa_system_sgpr_private_segment_wavefront_offset 0
		.amdhsa_system_sgpr_workgroup_id_x 1
		.amdhsa_system_sgpr_workgroup_id_y 0
		.amdhsa_system_sgpr_workgroup_id_z 0
		.amdhsa_system_sgpr_workgroup_info 0
		.amdhsa_system_vgpr_workitem_id 0
		.amdhsa_next_free_vgpr 1
		.amdhsa_next_free_sgpr 1
		.amdhsa_reserve_vcc 0
		.amdhsa_reserve_flat_scratch 0
		.amdhsa_float_round_mode_32 0
		.amdhsa_float_round_mode_16_64 0
		.amdhsa_float_denorm_mode_32 3
		.amdhsa_float_denorm_mode_16_64 3
		.amdhsa_dx10_clamp 1
		.amdhsa_ieee_mode 1
		.amdhsa_fp16_overflow 0
		.amdhsa_workgroup_processor_mode 1
		.amdhsa_memory_ordered 1
		.amdhsa_forward_progress 1
		.amdhsa_shared_vgpr_count 0
		.amdhsa_exception_fp_ieee_invalid_op 0
		.amdhsa_exception_fp_denorm_src 0
		.amdhsa_exception_fp_ieee_div_zero 0
		.amdhsa_exception_fp_ieee_overflow 0
		.amdhsa_exception_fp_ieee_underflow 0
		.amdhsa_exception_fp_ieee_inexact 0
		.amdhsa_exception_int_div_zero 0
	.end_amdhsa_kernel
	.section	.text._ZN7rocprim17ROCPRIM_400000_NS6detail17trampoline_kernelINS0_14default_configENS1_27lower_bound_config_selectorIflEEZNS1_14transform_implILb0ES3_S5_N6thrust23THRUST_200600_302600_NS6detail15normal_iteratorINS8_7pointerIfNS8_11hip_rocprim9par_det_tENS8_11use_defaultESE_EEEENSA_INSB_IlSD_SE_SE_EEEEZNS1_13binary_searchIS3_S5_NSA_INS8_10device_ptrIfEEEESG_SI_NS1_21lower_bound_search_opENS9_16wrapped_functionINS8_6system6detail7generic6detail18binary_search_lessEbEEEE10hipError_tPvRmT1_T2_T3_mmT4_T5_P12ihipStream_tbEUlRKfE_EESV_SZ_S10_mS11_S14_bEUlT_E_NS1_11comp_targetILNS1_3genE2ELNS1_11target_archE906ELNS1_3gpuE6ELNS1_3repE0EEENS1_30default_config_static_selectorELNS0_4arch9wavefront6targetE0EEEvSY_,"axG",@progbits,_ZN7rocprim17ROCPRIM_400000_NS6detail17trampoline_kernelINS0_14default_configENS1_27lower_bound_config_selectorIflEEZNS1_14transform_implILb0ES3_S5_N6thrust23THRUST_200600_302600_NS6detail15normal_iteratorINS8_7pointerIfNS8_11hip_rocprim9par_det_tENS8_11use_defaultESE_EEEENSA_INSB_IlSD_SE_SE_EEEEZNS1_13binary_searchIS3_S5_NSA_INS8_10device_ptrIfEEEESG_SI_NS1_21lower_bound_search_opENS9_16wrapped_functionINS8_6system6detail7generic6detail18binary_search_lessEbEEEE10hipError_tPvRmT1_T2_T3_mmT4_T5_P12ihipStream_tbEUlRKfE_EESV_SZ_S10_mS11_S14_bEUlT_E_NS1_11comp_targetILNS1_3genE2ELNS1_11target_archE906ELNS1_3gpuE6ELNS1_3repE0EEENS1_30default_config_static_selectorELNS0_4arch9wavefront6targetE0EEEvSY_,comdat
.Lfunc_end344:
	.size	_ZN7rocprim17ROCPRIM_400000_NS6detail17trampoline_kernelINS0_14default_configENS1_27lower_bound_config_selectorIflEEZNS1_14transform_implILb0ES3_S5_N6thrust23THRUST_200600_302600_NS6detail15normal_iteratorINS8_7pointerIfNS8_11hip_rocprim9par_det_tENS8_11use_defaultESE_EEEENSA_INSB_IlSD_SE_SE_EEEEZNS1_13binary_searchIS3_S5_NSA_INS8_10device_ptrIfEEEESG_SI_NS1_21lower_bound_search_opENS9_16wrapped_functionINS8_6system6detail7generic6detail18binary_search_lessEbEEEE10hipError_tPvRmT1_T2_T3_mmT4_T5_P12ihipStream_tbEUlRKfE_EESV_SZ_S10_mS11_S14_bEUlT_E_NS1_11comp_targetILNS1_3genE2ELNS1_11target_archE906ELNS1_3gpuE6ELNS1_3repE0EEENS1_30default_config_static_selectorELNS0_4arch9wavefront6targetE0EEEvSY_, .Lfunc_end344-_ZN7rocprim17ROCPRIM_400000_NS6detail17trampoline_kernelINS0_14default_configENS1_27lower_bound_config_selectorIflEEZNS1_14transform_implILb0ES3_S5_N6thrust23THRUST_200600_302600_NS6detail15normal_iteratorINS8_7pointerIfNS8_11hip_rocprim9par_det_tENS8_11use_defaultESE_EEEENSA_INSB_IlSD_SE_SE_EEEEZNS1_13binary_searchIS3_S5_NSA_INS8_10device_ptrIfEEEESG_SI_NS1_21lower_bound_search_opENS9_16wrapped_functionINS8_6system6detail7generic6detail18binary_search_lessEbEEEE10hipError_tPvRmT1_T2_T3_mmT4_T5_P12ihipStream_tbEUlRKfE_EESV_SZ_S10_mS11_S14_bEUlT_E_NS1_11comp_targetILNS1_3genE2ELNS1_11target_archE906ELNS1_3gpuE6ELNS1_3repE0EEENS1_30default_config_static_selectorELNS0_4arch9wavefront6targetE0EEEvSY_
                                        ; -- End function
	.set _ZN7rocprim17ROCPRIM_400000_NS6detail17trampoline_kernelINS0_14default_configENS1_27lower_bound_config_selectorIflEEZNS1_14transform_implILb0ES3_S5_N6thrust23THRUST_200600_302600_NS6detail15normal_iteratorINS8_7pointerIfNS8_11hip_rocprim9par_det_tENS8_11use_defaultESE_EEEENSA_INSB_IlSD_SE_SE_EEEEZNS1_13binary_searchIS3_S5_NSA_INS8_10device_ptrIfEEEESG_SI_NS1_21lower_bound_search_opENS9_16wrapped_functionINS8_6system6detail7generic6detail18binary_search_lessEbEEEE10hipError_tPvRmT1_T2_T3_mmT4_T5_P12ihipStream_tbEUlRKfE_EESV_SZ_S10_mS11_S14_bEUlT_E_NS1_11comp_targetILNS1_3genE2ELNS1_11target_archE906ELNS1_3gpuE6ELNS1_3repE0EEENS1_30default_config_static_selectorELNS0_4arch9wavefront6targetE0EEEvSY_.num_vgpr, 0
	.set _ZN7rocprim17ROCPRIM_400000_NS6detail17trampoline_kernelINS0_14default_configENS1_27lower_bound_config_selectorIflEEZNS1_14transform_implILb0ES3_S5_N6thrust23THRUST_200600_302600_NS6detail15normal_iteratorINS8_7pointerIfNS8_11hip_rocprim9par_det_tENS8_11use_defaultESE_EEEENSA_INSB_IlSD_SE_SE_EEEEZNS1_13binary_searchIS3_S5_NSA_INS8_10device_ptrIfEEEESG_SI_NS1_21lower_bound_search_opENS9_16wrapped_functionINS8_6system6detail7generic6detail18binary_search_lessEbEEEE10hipError_tPvRmT1_T2_T3_mmT4_T5_P12ihipStream_tbEUlRKfE_EESV_SZ_S10_mS11_S14_bEUlT_E_NS1_11comp_targetILNS1_3genE2ELNS1_11target_archE906ELNS1_3gpuE6ELNS1_3repE0EEENS1_30default_config_static_selectorELNS0_4arch9wavefront6targetE0EEEvSY_.num_agpr, 0
	.set _ZN7rocprim17ROCPRIM_400000_NS6detail17trampoline_kernelINS0_14default_configENS1_27lower_bound_config_selectorIflEEZNS1_14transform_implILb0ES3_S5_N6thrust23THRUST_200600_302600_NS6detail15normal_iteratorINS8_7pointerIfNS8_11hip_rocprim9par_det_tENS8_11use_defaultESE_EEEENSA_INSB_IlSD_SE_SE_EEEEZNS1_13binary_searchIS3_S5_NSA_INS8_10device_ptrIfEEEESG_SI_NS1_21lower_bound_search_opENS9_16wrapped_functionINS8_6system6detail7generic6detail18binary_search_lessEbEEEE10hipError_tPvRmT1_T2_T3_mmT4_T5_P12ihipStream_tbEUlRKfE_EESV_SZ_S10_mS11_S14_bEUlT_E_NS1_11comp_targetILNS1_3genE2ELNS1_11target_archE906ELNS1_3gpuE6ELNS1_3repE0EEENS1_30default_config_static_selectorELNS0_4arch9wavefront6targetE0EEEvSY_.numbered_sgpr, 0
	.set _ZN7rocprim17ROCPRIM_400000_NS6detail17trampoline_kernelINS0_14default_configENS1_27lower_bound_config_selectorIflEEZNS1_14transform_implILb0ES3_S5_N6thrust23THRUST_200600_302600_NS6detail15normal_iteratorINS8_7pointerIfNS8_11hip_rocprim9par_det_tENS8_11use_defaultESE_EEEENSA_INSB_IlSD_SE_SE_EEEEZNS1_13binary_searchIS3_S5_NSA_INS8_10device_ptrIfEEEESG_SI_NS1_21lower_bound_search_opENS9_16wrapped_functionINS8_6system6detail7generic6detail18binary_search_lessEbEEEE10hipError_tPvRmT1_T2_T3_mmT4_T5_P12ihipStream_tbEUlRKfE_EESV_SZ_S10_mS11_S14_bEUlT_E_NS1_11comp_targetILNS1_3genE2ELNS1_11target_archE906ELNS1_3gpuE6ELNS1_3repE0EEENS1_30default_config_static_selectorELNS0_4arch9wavefront6targetE0EEEvSY_.num_named_barrier, 0
	.set _ZN7rocprim17ROCPRIM_400000_NS6detail17trampoline_kernelINS0_14default_configENS1_27lower_bound_config_selectorIflEEZNS1_14transform_implILb0ES3_S5_N6thrust23THRUST_200600_302600_NS6detail15normal_iteratorINS8_7pointerIfNS8_11hip_rocprim9par_det_tENS8_11use_defaultESE_EEEENSA_INSB_IlSD_SE_SE_EEEEZNS1_13binary_searchIS3_S5_NSA_INS8_10device_ptrIfEEEESG_SI_NS1_21lower_bound_search_opENS9_16wrapped_functionINS8_6system6detail7generic6detail18binary_search_lessEbEEEE10hipError_tPvRmT1_T2_T3_mmT4_T5_P12ihipStream_tbEUlRKfE_EESV_SZ_S10_mS11_S14_bEUlT_E_NS1_11comp_targetILNS1_3genE2ELNS1_11target_archE906ELNS1_3gpuE6ELNS1_3repE0EEENS1_30default_config_static_selectorELNS0_4arch9wavefront6targetE0EEEvSY_.private_seg_size, 0
	.set _ZN7rocprim17ROCPRIM_400000_NS6detail17trampoline_kernelINS0_14default_configENS1_27lower_bound_config_selectorIflEEZNS1_14transform_implILb0ES3_S5_N6thrust23THRUST_200600_302600_NS6detail15normal_iteratorINS8_7pointerIfNS8_11hip_rocprim9par_det_tENS8_11use_defaultESE_EEEENSA_INSB_IlSD_SE_SE_EEEEZNS1_13binary_searchIS3_S5_NSA_INS8_10device_ptrIfEEEESG_SI_NS1_21lower_bound_search_opENS9_16wrapped_functionINS8_6system6detail7generic6detail18binary_search_lessEbEEEE10hipError_tPvRmT1_T2_T3_mmT4_T5_P12ihipStream_tbEUlRKfE_EESV_SZ_S10_mS11_S14_bEUlT_E_NS1_11comp_targetILNS1_3genE2ELNS1_11target_archE906ELNS1_3gpuE6ELNS1_3repE0EEENS1_30default_config_static_selectorELNS0_4arch9wavefront6targetE0EEEvSY_.uses_vcc, 0
	.set _ZN7rocprim17ROCPRIM_400000_NS6detail17trampoline_kernelINS0_14default_configENS1_27lower_bound_config_selectorIflEEZNS1_14transform_implILb0ES3_S5_N6thrust23THRUST_200600_302600_NS6detail15normal_iteratorINS8_7pointerIfNS8_11hip_rocprim9par_det_tENS8_11use_defaultESE_EEEENSA_INSB_IlSD_SE_SE_EEEEZNS1_13binary_searchIS3_S5_NSA_INS8_10device_ptrIfEEEESG_SI_NS1_21lower_bound_search_opENS9_16wrapped_functionINS8_6system6detail7generic6detail18binary_search_lessEbEEEE10hipError_tPvRmT1_T2_T3_mmT4_T5_P12ihipStream_tbEUlRKfE_EESV_SZ_S10_mS11_S14_bEUlT_E_NS1_11comp_targetILNS1_3genE2ELNS1_11target_archE906ELNS1_3gpuE6ELNS1_3repE0EEENS1_30default_config_static_selectorELNS0_4arch9wavefront6targetE0EEEvSY_.uses_flat_scratch, 0
	.set _ZN7rocprim17ROCPRIM_400000_NS6detail17trampoline_kernelINS0_14default_configENS1_27lower_bound_config_selectorIflEEZNS1_14transform_implILb0ES3_S5_N6thrust23THRUST_200600_302600_NS6detail15normal_iteratorINS8_7pointerIfNS8_11hip_rocprim9par_det_tENS8_11use_defaultESE_EEEENSA_INSB_IlSD_SE_SE_EEEEZNS1_13binary_searchIS3_S5_NSA_INS8_10device_ptrIfEEEESG_SI_NS1_21lower_bound_search_opENS9_16wrapped_functionINS8_6system6detail7generic6detail18binary_search_lessEbEEEE10hipError_tPvRmT1_T2_T3_mmT4_T5_P12ihipStream_tbEUlRKfE_EESV_SZ_S10_mS11_S14_bEUlT_E_NS1_11comp_targetILNS1_3genE2ELNS1_11target_archE906ELNS1_3gpuE6ELNS1_3repE0EEENS1_30default_config_static_selectorELNS0_4arch9wavefront6targetE0EEEvSY_.has_dyn_sized_stack, 0
	.set _ZN7rocprim17ROCPRIM_400000_NS6detail17trampoline_kernelINS0_14default_configENS1_27lower_bound_config_selectorIflEEZNS1_14transform_implILb0ES3_S5_N6thrust23THRUST_200600_302600_NS6detail15normal_iteratorINS8_7pointerIfNS8_11hip_rocprim9par_det_tENS8_11use_defaultESE_EEEENSA_INSB_IlSD_SE_SE_EEEEZNS1_13binary_searchIS3_S5_NSA_INS8_10device_ptrIfEEEESG_SI_NS1_21lower_bound_search_opENS9_16wrapped_functionINS8_6system6detail7generic6detail18binary_search_lessEbEEEE10hipError_tPvRmT1_T2_T3_mmT4_T5_P12ihipStream_tbEUlRKfE_EESV_SZ_S10_mS11_S14_bEUlT_E_NS1_11comp_targetILNS1_3genE2ELNS1_11target_archE906ELNS1_3gpuE6ELNS1_3repE0EEENS1_30default_config_static_selectorELNS0_4arch9wavefront6targetE0EEEvSY_.has_recursion, 0
	.set _ZN7rocprim17ROCPRIM_400000_NS6detail17trampoline_kernelINS0_14default_configENS1_27lower_bound_config_selectorIflEEZNS1_14transform_implILb0ES3_S5_N6thrust23THRUST_200600_302600_NS6detail15normal_iteratorINS8_7pointerIfNS8_11hip_rocprim9par_det_tENS8_11use_defaultESE_EEEENSA_INSB_IlSD_SE_SE_EEEEZNS1_13binary_searchIS3_S5_NSA_INS8_10device_ptrIfEEEESG_SI_NS1_21lower_bound_search_opENS9_16wrapped_functionINS8_6system6detail7generic6detail18binary_search_lessEbEEEE10hipError_tPvRmT1_T2_T3_mmT4_T5_P12ihipStream_tbEUlRKfE_EESV_SZ_S10_mS11_S14_bEUlT_E_NS1_11comp_targetILNS1_3genE2ELNS1_11target_archE906ELNS1_3gpuE6ELNS1_3repE0EEENS1_30default_config_static_selectorELNS0_4arch9wavefront6targetE0EEEvSY_.has_indirect_call, 0
	.section	.AMDGPU.csdata,"",@progbits
; Kernel info:
; codeLenInByte = 0
; TotalNumSgprs: 0
; NumVgprs: 0
; ScratchSize: 0
; MemoryBound: 0
; FloatMode: 240
; IeeeMode: 1
; LDSByteSize: 0 bytes/workgroup (compile time only)
; SGPRBlocks: 0
; VGPRBlocks: 0
; NumSGPRsForWavesPerEU: 1
; NumVGPRsForWavesPerEU: 1
; Occupancy: 16
; WaveLimiterHint : 0
; COMPUTE_PGM_RSRC2:SCRATCH_EN: 0
; COMPUTE_PGM_RSRC2:USER_SGPR: 6
; COMPUTE_PGM_RSRC2:TRAP_HANDLER: 0
; COMPUTE_PGM_RSRC2:TGID_X_EN: 1
; COMPUTE_PGM_RSRC2:TGID_Y_EN: 0
; COMPUTE_PGM_RSRC2:TGID_Z_EN: 0
; COMPUTE_PGM_RSRC2:TIDIG_COMP_CNT: 0
	.section	.text._ZN7rocprim17ROCPRIM_400000_NS6detail17trampoline_kernelINS0_14default_configENS1_27lower_bound_config_selectorIflEEZNS1_14transform_implILb0ES3_S5_N6thrust23THRUST_200600_302600_NS6detail15normal_iteratorINS8_7pointerIfNS8_11hip_rocprim9par_det_tENS8_11use_defaultESE_EEEENSA_INSB_IlSD_SE_SE_EEEEZNS1_13binary_searchIS3_S5_NSA_INS8_10device_ptrIfEEEESG_SI_NS1_21lower_bound_search_opENS9_16wrapped_functionINS8_6system6detail7generic6detail18binary_search_lessEbEEEE10hipError_tPvRmT1_T2_T3_mmT4_T5_P12ihipStream_tbEUlRKfE_EESV_SZ_S10_mS11_S14_bEUlT_E_NS1_11comp_targetILNS1_3genE10ELNS1_11target_archE1201ELNS1_3gpuE5ELNS1_3repE0EEENS1_30default_config_static_selectorELNS0_4arch9wavefront6targetE0EEEvSY_,"axG",@progbits,_ZN7rocprim17ROCPRIM_400000_NS6detail17trampoline_kernelINS0_14default_configENS1_27lower_bound_config_selectorIflEEZNS1_14transform_implILb0ES3_S5_N6thrust23THRUST_200600_302600_NS6detail15normal_iteratorINS8_7pointerIfNS8_11hip_rocprim9par_det_tENS8_11use_defaultESE_EEEENSA_INSB_IlSD_SE_SE_EEEEZNS1_13binary_searchIS3_S5_NSA_INS8_10device_ptrIfEEEESG_SI_NS1_21lower_bound_search_opENS9_16wrapped_functionINS8_6system6detail7generic6detail18binary_search_lessEbEEEE10hipError_tPvRmT1_T2_T3_mmT4_T5_P12ihipStream_tbEUlRKfE_EESV_SZ_S10_mS11_S14_bEUlT_E_NS1_11comp_targetILNS1_3genE10ELNS1_11target_archE1201ELNS1_3gpuE5ELNS1_3repE0EEENS1_30default_config_static_selectorELNS0_4arch9wavefront6targetE0EEEvSY_,comdat
	.protected	_ZN7rocprim17ROCPRIM_400000_NS6detail17trampoline_kernelINS0_14default_configENS1_27lower_bound_config_selectorIflEEZNS1_14transform_implILb0ES3_S5_N6thrust23THRUST_200600_302600_NS6detail15normal_iteratorINS8_7pointerIfNS8_11hip_rocprim9par_det_tENS8_11use_defaultESE_EEEENSA_INSB_IlSD_SE_SE_EEEEZNS1_13binary_searchIS3_S5_NSA_INS8_10device_ptrIfEEEESG_SI_NS1_21lower_bound_search_opENS9_16wrapped_functionINS8_6system6detail7generic6detail18binary_search_lessEbEEEE10hipError_tPvRmT1_T2_T3_mmT4_T5_P12ihipStream_tbEUlRKfE_EESV_SZ_S10_mS11_S14_bEUlT_E_NS1_11comp_targetILNS1_3genE10ELNS1_11target_archE1201ELNS1_3gpuE5ELNS1_3repE0EEENS1_30default_config_static_selectorELNS0_4arch9wavefront6targetE0EEEvSY_ ; -- Begin function _ZN7rocprim17ROCPRIM_400000_NS6detail17trampoline_kernelINS0_14default_configENS1_27lower_bound_config_selectorIflEEZNS1_14transform_implILb0ES3_S5_N6thrust23THRUST_200600_302600_NS6detail15normal_iteratorINS8_7pointerIfNS8_11hip_rocprim9par_det_tENS8_11use_defaultESE_EEEENSA_INSB_IlSD_SE_SE_EEEEZNS1_13binary_searchIS3_S5_NSA_INS8_10device_ptrIfEEEESG_SI_NS1_21lower_bound_search_opENS9_16wrapped_functionINS8_6system6detail7generic6detail18binary_search_lessEbEEEE10hipError_tPvRmT1_T2_T3_mmT4_T5_P12ihipStream_tbEUlRKfE_EESV_SZ_S10_mS11_S14_bEUlT_E_NS1_11comp_targetILNS1_3genE10ELNS1_11target_archE1201ELNS1_3gpuE5ELNS1_3repE0EEENS1_30default_config_static_selectorELNS0_4arch9wavefront6targetE0EEEvSY_
	.globl	_ZN7rocprim17ROCPRIM_400000_NS6detail17trampoline_kernelINS0_14default_configENS1_27lower_bound_config_selectorIflEEZNS1_14transform_implILb0ES3_S5_N6thrust23THRUST_200600_302600_NS6detail15normal_iteratorINS8_7pointerIfNS8_11hip_rocprim9par_det_tENS8_11use_defaultESE_EEEENSA_INSB_IlSD_SE_SE_EEEEZNS1_13binary_searchIS3_S5_NSA_INS8_10device_ptrIfEEEESG_SI_NS1_21lower_bound_search_opENS9_16wrapped_functionINS8_6system6detail7generic6detail18binary_search_lessEbEEEE10hipError_tPvRmT1_T2_T3_mmT4_T5_P12ihipStream_tbEUlRKfE_EESV_SZ_S10_mS11_S14_bEUlT_E_NS1_11comp_targetILNS1_3genE10ELNS1_11target_archE1201ELNS1_3gpuE5ELNS1_3repE0EEENS1_30default_config_static_selectorELNS0_4arch9wavefront6targetE0EEEvSY_
	.p2align	8
	.type	_ZN7rocprim17ROCPRIM_400000_NS6detail17trampoline_kernelINS0_14default_configENS1_27lower_bound_config_selectorIflEEZNS1_14transform_implILb0ES3_S5_N6thrust23THRUST_200600_302600_NS6detail15normal_iteratorINS8_7pointerIfNS8_11hip_rocprim9par_det_tENS8_11use_defaultESE_EEEENSA_INSB_IlSD_SE_SE_EEEEZNS1_13binary_searchIS3_S5_NSA_INS8_10device_ptrIfEEEESG_SI_NS1_21lower_bound_search_opENS9_16wrapped_functionINS8_6system6detail7generic6detail18binary_search_lessEbEEEE10hipError_tPvRmT1_T2_T3_mmT4_T5_P12ihipStream_tbEUlRKfE_EESV_SZ_S10_mS11_S14_bEUlT_E_NS1_11comp_targetILNS1_3genE10ELNS1_11target_archE1201ELNS1_3gpuE5ELNS1_3repE0EEENS1_30default_config_static_selectorELNS0_4arch9wavefront6targetE0EEEvSY_,@function
_ZN7rocprim17ROCPRIM_400000_NS6detail17trampoline_kernelINS0_14default_configENS1_27lower_bound_config_selectorIflEEZNS1_14transform_implILb0ES3_S5_N6thrust23THRUST_200600_302600_NS6detail15normal_iteratorINS8_7pointerIfNS8_11hip_rocprim9par_det_tENS8_11use_defaultESE_EEEENSA_INSB_IlSD_SE_SE_EEEEZNS1_13binary_searchIS3_S5_NSA_INS8_10device_ptrIfEEEESG_SI_NS1_21lower_bound_search_opENS9_16wrapped_functionINS8_6system6detail7generic6detail18binary_search_lessEbEEEE10hipError_tPvRmT1_T2_T3_mmT4_T5_P12ihipStream_tbEUlRKfE_EESV_SZ_S10_mS11_S14_bEUlT_E_NS1_11comp_targetILNS1_3genE10ELNS1_11target_archE1201ELNS1_3gpuE5ELNS1_3repE0EEENS1_30default_config_static_selectorELNS0_4arch9wavefront6targetE0EEEvSY_: ; @_ZN7rocprim17ROCPRIM_400000_NS6detail17trampoline_kernelINS0_14default_configENS1_27lower_bound_config_selectorIflEEZNS1_14transform_implILb0ES3_S5_N6thrust23THRUST_200600_302600_NS6detail15normal_iteratorINS8_7pointerIfNS8_11hip_rocprim9par_det_tENS8_11use_defaultESE_EEEENSA_INSB_IlSD_SE_SE_EEEEZNS1_13binary_searchIS3_S5_NSA_INS8_10device_ptrIfEEEESG_SI_NS1_21lower_bound_search_opENS9_16wrapped_functionINS8_6system6detail7generic6detail18binary_search_lessEbEEEE10hipError_tPvRmT1_T2_T3_mmT4_T5_P12ihipStream_tbEUlRKfE_EESV_SZ_S10_mS11_S14_bEUlT_E_NS1_11comp_targetILNS1_3genE10ELNS1_11target_archE1201ELNS1_3gpuE5ELNS1_3repE0EEENS1_30default_config_static_selectorELNS0_4arch9wavefront6targetE0EEEvSY_
; %bb.0:
	.section	.rodata,"a",@progbits
	.p2align	6, 0x0
	.amdhsa_kernel _ZN7rocprim17ROCPRIM_400000_NS6detail17trampoline_kernelINS0_14default_configENS1_27lower_bound_config_selectorIflEEZNS1_14transform_implILb0ES3_S5_N6thrust23THRUST_200600_302600_NS6detail15normal_iteratorINS8_7pointerIfNS8_11hip_rocprim9par_det_tENS8_11use_defaultESE_EEEENSA_INSB_IlSD_SE_SE_EEEEZNS1_13binary_searchIS3_S5_NSA_INS8_10device_ptrIfEEEESG_SI_NS1_21lower_bound_search_opENS9_16wrapped_functionINS8_6system6detail7generic6detail18binary_search_lessEbEEEE10hipError_tPvRmT1_T2_T3_mmT4_T5_P12ihipStream_tbEUlRKfE_EESV_SZ_S10_mS11_S14_bEUlT_E_NS1_11comp_targetILNS1_3genE10ELNS1_11target_archE1201ELNS1_3gpuE5ELNS1_3repE0EEENS1_30default_config_static_selectorELNS0_4arch9wavefront6targetE0EEEvSY_
		.amdhsa_group_segment_fixed_size 0
		.amdhsa_private_segment_fixed_size 0
		.amdhsa_kernarg_size 56
		.amdhsa_user_sgpr_count 6
		.amdhsa_user_sgpr_private_segment_buffer 1
		.amdhsa_user_sgpr_dispatch_ptr 0
		.amdhsa_user_sgpr_queue_ptr 0
		.amdhsa_user_sgpr_kernarg_segment_ptr 1
		.amdhsa_user_sgpr_dispatch_id 0
		.amdhsa_user_sgpr_flat_scratch_init 0
		.amdhsa_user_sgpr_private_segment_size 0
		.amdhsa_wavefront_size32 1
		.amdhsa_uses_dynamic_stack 0
		.amdhsa_system_sgpr_private_segment_wavefront_offset 0
		.amdhsa_system_sgpr_workgroup_id_x 1
		.amdhsa_system_sgpr_workgroup_id_y 0
		.amdhsa_system_sgpr_workgroup_id_z 0
		.amdhsa_system_sgpr_workgroup_info 0
		.amdhsa_system_vgpr_workitem_id 0
		.amdhsa_next_free_vgpr 1
		.amdhsa_next_free_sgpr 1
		.amdhsa_reserve_vcc 0
		.amdhsa_reserve_flat_scratch 0
		.amdhsa_float_round_mode_32 0
		.amdhsa_float_round_mode_16_64 0
		.amdhsa_float_denorm_mode_32 3
		.amdhsa_float_denorm_mode_16_64 3
		.amdhsa_dx10_clamp 1
		.amdhsa_ieee_mode 1
		.amdhsa_fp16_overflow 0
		.amdhsa_workgroup_processor_mode 1
		.amdhsa_memory_ordered 1
		.amdhsa_forward_progress 1
		.amdhsa_shared_vgpr_count 0
		.amdhsa_exception_fp_ieee_invalid_op 0
		.amdhsa_exception_fp_denorm_src 0
		.amdhsa_exception_fp_ieee_div_zero 0
		.amdhsa_exception_fp_ieee_overflow 0
		.amdhsa_exception_fp_ieee_underflow 0
		.amdhsa_exception_fp_ieee_inexact 0
		.amdhsa_exception_int_div_zero 0
	.end_amdhsa_kernel
	.section	.text._ZN7rocprim17ROCPRIM_400000_NS6detail17trampoline_kernelINS0_14default_configENS1_27lower_bound_config_selectorIflEEZNS1_14transform_implILb0ES3_S5_N6thrust23THRUST_200600_302600_NS6detail15normal_iteratorINS8_7pointerIfNS8_11hip_rocprim9par_det_tENS8_11use_defaultESE_EEEENSA_INSB_IlSD_SE_SE_EEEEZNS1_13binary_searchIS3_S5_NSA_INS8_10device_ptrIfEEEESG_SI_NS1_21lower_bound_search_opENS9_16wrapped_functionINS8_6system6detail7generic6detail18binary_search_lessEbEEEE10hipError_tPvRmT1_T2_T3_mmT4_T5_P12ihipStream_tbEUlRKfE_EESV_SZ_S10_mS11_S14_bEUlT_E_NS1_11comp_targetILNS1_3genE10ELNS1_11target_archE1201ELNS1_3gpuE5ELNS1_3repE0EEENS1_30default_config_static_selectorELNS0_4arch9wavefront6targetE0EEEvSY_,"axG",@progbits,_ZN7rocprim17ROCPRIM_400000_NS6detail17trampoline_kernelINS0_14default_configENS1_27lower_bound_config_selectorIflEEZNS1_14transform_implILb0ES3_S5_N6thrust23THRUST_200600_302600_NS6detail15normal_iteratorINS8_7pointerIfNS8_11hip_rocprim9par_det_tENS8_11use_defaultESE_EEEENSA_INSB_IlSD_SE_SE_EEEEZNS1_13binary_searchIS3_S5_NSA_INS8_10device_ptrIfEEEESG_SI_NS1_21lower_bound_search_opENS9_16wrapped_functionINS8_6system6detail7generic6detail18binary_search_lessEbEEEE10hipError_tPvRmT1_T2_T3_mmT4_T5_P12ihipStream_tbEUlRKfE_EESV_SZ_S10_mS11_S14_bEUlT_E_NS1_11comp_targetILNS1_3genE10ELNS1_11target_archE1201ELNS1_3gpuE5ELNS1_3repE0EEENS1_30default_config_static_selectorELNS0_4arch9wavefront6targetE0EEEvSY_,comdat
.Lfunc_end345:
	.size	_ZN7rocprim17ROCPRIM_400000_NS6detail17trampoline_kernelINS0_14default_configENS1_27lower_bound_config_selectorIflEEZNS1_14transform_implILb0ES3_S5_N6thrust23THRUST_200600_302600_NS6detail15normal_iteratorINS8_7pointerIfNS8_11hip_rocprim9par_det_tENS8_11use_defaultESE_EEEENSA_INSB_IlSD_SE_SE_EEEEZNS1_13binary_searchIS3_S5_NSA_INS8_10device_ptrIfEEEESG_SI_NS1_21lower_bound_search_opENS9_16wrapped_functionINS8_6system6detail7generic6detail18binary_search_lessEbEEEE10hipError_tPvRmT1_T2_T3_mmT4_T5_P12ihipStream_tbEUlRKfE_EESV_SZ_S10_mS11_S14_bEUlT_E_NS1_11comp_targetILNS1_3genE10ELNS1_11target_archE1201ELNS1_3gpuE5ELNS1_3repE0EEENS1_30default_config_static_selectorELNS0_4arch9wavefront6targetE0EEEvSY_, .Lfunc_end345-_ZN7rocprim17ROCPRIM_400000_NS6detail17trampoline_kernelINS0_14default_configENS1_27lower_bound_config_selectorIflEEZNS1_14transform_implILb0ES3_S5_N6thrust23THRUST_200600_302600_NS6detail15normal_iteratorINS8_7pointerIfNS8_11hip_rocprim9par_det_tENS8_11use_defaultESE_EEEENSA_INSB_IlSD_SE_SE_EEEEZNS1_13binary_searchIS3_S5_NSA_INS8_10device_ptrIfEEEESG_SI_NS1_21lower_bound_search_opENS9_16wrapped_functionINS8_6system6detail7generic6detail18binary_search_lessEbEEEE10hipError_tPvRmT1_T2_T3_mmT4_T5_P12ihipStream_tbEUlRKfE_EESV_SZ_S10_mS11_S14_bEUlT_E_NS1_11comp_targetILNS1_3genE10ELNS1_11target_archE1201ELNS1_3gpuE5ELNS1_3repE0EEENS1_30default_config_static_selectorELNS0_4arch9wavefront6targetE0EEEvSY_
                                        ; -- End function
	.set _ZN7rocprim17ROCPRIM_400000_NS6detail17trampoline_kernelINS0_14default_configENS1_27lower_bound_config_selectorIflEEZNS1_14transform_implILb0ES3_S5_N6thrust23THRUST_200600_302600_NS6detail15normal_iteratorINS8_7pointerIfNS8_11hip_rocprim9par_det_tENS8_11use_defaultESE_EEEENSA_INSB_IlSD_SE_SE_EEEEZNS1_13binary_searchIS3_S5_NSA_INS8_10device_ptrIfEEEESG_SI_NS1_21lower_bound_search_opENS9_16wrapped_functionINS8_6system6detail7generic6detail18binary_search_lessEbEEEE10hipError_tPvRmT1_T2_T3_mmT4_T5_P12ihipStream_tbEUlRKfE_EESV_SZ_S10_mS11_S14_bEUlT_E_NS1_11comp_targetILNS1_3genE10ELNS1_11target_archE1201ELNS1_3gpuE5ELNS1_3repE0EEENS1_30default_config_static_selectorELNS0_4arch9wavefront6targetE0EEEvSY_.num_vgpr, 0
	.set _ZN7rocprim17ROCPRIM_400000_NS6detail17trampoline_kernelINS0_14default_configENS1_27lower_bound_config_selectorIflEEZNS1_14transform_implILb0ES3_S5_N6thrust23THRUST_200600_302600_NS6detail15normal_iteratorINS8_7pointerIfNS8_11hip_rocprim9par_det_tENS8_11use_defaultESE_EEEENSA_INSB_IlSD_SE_SE_EEEEZNS1_13binary_searchIS3_S5_NSA_INS8_10device_ptrIfEEEESG_SI_NS1_21lower_bound_search_opENS9_16wrapped_functionINS8_6system6detail7generic6detail18binary_search_lessEbEEEE10hipError_tPvRmT1_T2_T3_mmT4_T5_P12ihipStream_tbEUlRKfE_EESV_SZ_S10_mS11_S14_bEUlT_E_NS1_11comp_targetILNS1_3genE10ELNS1_11target_archE1201ELNS1_3gpuE5ELNS1_3repE0EEENS1_30default_config_static_selectorELNS0_4arch9wavefront6targetE0EEEvSY_.num_agpr, 0
	.set _ZN7rocprim17ROCPRIM_400000_NS6detail17trampoline_kernelINS0_14default_configENS1_27lower_bound_config_selectorIflEEZNS1_14transform_implILb0ES3_S5_N6thrust23THRUST_200600_302600_NS6detail15normal_iteratorINS8_7pointerIfNS8_11hip_rocprim9par_det_tENS8_11use_defaultESE_EEEENSA_INSB_IlSD_SE_SE_EEEEZNS1_13binary_searchIS3_S5_NSA_INS8_10device_ptrIfEEEESG_SI_NS1_21lower_bound_search_opENS9_16wrapped_functionINS8_6system6detail7generic6detail18binary_search_lessEbEEEE10hipError_tPvRmT1_T2_T3_mmT4_T5_P12ihipStream_tbEUlRKfE_EESV_SZ_S10_mS11_S14_bEUlT_E_NS1_11comp_targetILNS1_3genE10ELNS1_11target_archE1201ELNS1_3gpuE5ELNS1_3repE0EEENS1_30default_config_static_selectorELNS0_4arch9wavefront6targetE0EEEvSY_.numbered_sgpr, 0
	.set _ZN7rocprim17ROCPRIM_400000_NS6detail17trampoline_kernelINS0_14default_configENS1_27lower_bound_config_selectorIflEEZNS1_14transform_implILb0ES3_S5_N6thrust23THRUST_200600_302600_NS6detail15normal_iteratorINS8_7pointerIfNS8_11hip_rocprim9par_det_tENS8_11use_defaultESE_EEEENSA_INSB_IlSD_SE_SE_EEEEZNS1_13binary_searchIS3_S5_NSA_INS8_10device_ptrIfEEEESG_SI_NS1_21lower_bound_search_opENS9_16wrapped_functionINS8_6system6detail7generic6detail18binary_search_lessEbEEEE10hipError_tPvRmT1_T2_T3_mmT4_T5_P12ihipStream_tbEUlRKfE_EESV_SZ_S10_mS11_S14_bEUlT_E_NS1_11comp_targetILNS1_3genE10ELNS1_11target_archE1201ELNS1_3gpuE5ELNS1_3repE0EEENS1_30default_config_static_selectorELNS0_4arch9wavefront6targetE0EEEvSY_.num_named_barrier, 0
	.set _ZN7rocprim17ROCPRIM_400000_NS6detail17trampoline_kernelINS0_14default_configENS1_27lower_bound_config_selectorIflEEZNS1_14transform_implILb0ES3_S5_N6thrust23THRUST_200600_302600_NS6detail15normal_iteratorINS8_7pointerIfNS8_11hip_rocprim9par_det_tENS8_11use_defaultESE_EEEENSA_INSB_IlSD_SE_SE_EEEEZNS1_13binary_searchIS3_S5_NSA_INS8_10device_ptrIfEEEESG_SI_NS1_21lower_bound_search_opENS9_16wrapped_functionINS8_6system6detail7generic6detail18binary_search_lessEbEEEE10hipError_tPvRmT1_T2_T3_mmT4_T5_P12ihipStream_tbEUlRKfE_EESV_SZ_S10_mS11_S14_bEUlT_E_NS1_11comp_targetILNS1_3genE10ELNS1_11target_archE1201ELNS1_3gpuE5ELNS1_3repE0EEENS1_30default_config_static_selectorELNS0_4arch9wavefront6targetE0EEEvSY_.private_seg_size, 0
	.set _ZN7rocprim17ROCPRIM_400000_NS6detail17trampoline_kernelINS0_14default_configENS1_27lower_bound_config_selectorIflEEZNS1_14transform_implILb0ES3_S5_N6thrust23THRUST_200600_302600_NS6detail15normal_iteratorINS8_7pointerIfNS8_11hip_rocprim9par_det_tENS8_11use_defaultESE_EEEENSA_INSB_IlSD_SE_SE_EEEEZNS1_13binary_searchIS3_S5_NSA_INS8_10device_ptrIfEEEESG_SI_NS1_21lower_bound_search_opENS9_16wrapped_functionINS8_6system6detail7generic6detail18binary_search_lessEbEEEE10hipError_tPvRmT1_T2_T3_mmT4_T5_P12ihipStream_tbEUlRKfE_EESV_SZ_S10_mS11_S14_bEUlT_E_NS1_11comp_targetILNS1_3genE10ELNS1_11target_archE1201ELNS1_3gpuE5ELNS1_3repE0EEENS1_30default_config_static_selectorELNS0_4arch9wavefront6targetE0EEEvSY_.uses_vcc, 0
	.set _ZN7rocprim17ROCPRIM_400000_NS6detail17trampoline_kernelINS0_14default_configENS1_27lower_bound_config_selectorIflEEZNS1_14transform_implILb0ES3_S5_N6thrust23THRUST_200600_302600_NS6detail15normal_iteratorINS8_7pointerIfNS8_11hip_rocprim9par_det_tENS8_11use_defaultESE_EEEENSA_INSB_IlSD_SE_SE_EEEEZNS1_13binary_searchIS3_S5_NSA_INS8_10device_ptrIfEEEESG_SI_NS1_21lower_bound_search_opENS9_16wrapped_functionINS8_6system6detail7generic6detail18binary_search_lessEbEEEE10hipError_tPvRmT1_T2_T3_mmT4_T5_P12ihipStream_tbEUlRKfE_EESV_SZ_S10_mS11_S14_bEUlT_E_NS1_11comp_targetILNS1_3genE10ELNS1_11target_archE1201ELNS1_3gpuE5ELNS1_3repE0EEENS1_30default_config_static_selectorELNS0_4arch9wavefront6targetE0EEEvSY_.uses_flat_scratch, 0
	.set _ZN7rocprim17ROCPRIM_400000_NS6detail17trampoline_kernelINS0_14default_configENS1_27lower_bound_config_selectorIflEEZNS1_14transform_implILb0ES3_S5_N6thrust23THRUST_200600_302600_NS6detail15normal_iteratorINS8_7pointerIfNS8_11hip_rocprim9par_det_tENS8_11use_defaultESE_EEEENSA_INSB_IlSD_SE_SE_EEEEZNS1_13binary_searchIS3_S5_NSA_INS8_10device_ptrIfEEEESG_SI_NS1_21lower_bound_search_opENS9_16wrapped_functionINS8_6system6detail7generic6detail18binary_search_lessEbEEEE10hipError_tPvRmT1_T2_T3_mmT4_T5_P12ihipStream_tbEUlRKfE_EESV_SZ_S10_mS11_S14_bEUlT_E_NS1_11comp_targetILNS1_3genE10ELNS1_11target_archE1201ELNS1_3gpuE5ELNS1_3repE0EEENS1_30default_config_static_selectorELNS0_4arch9wavefront6targetE0EEEvSY_.has_dyn_sized_stack, 0
	.set _ZN7rocprim17ROCPRIM_400000_NS6detail17trampoline_kernelINS0_14default_configENS1_27lower_bound_config_selectorIflEEZNS1_14transform_implILb0ES3_S5_N6thrust23THRUST_200600_302600_NS6detail15normal_iteratorINS8_7pointerIfNS8_11hip_rocprim9par_det_tENS8_11use_defaultESE_EEEENSA_INSB_IlSD_SE_SE_EEEEZNS1_13binary_searchIS3_S5_NSA_INS8_10device_ptrIfEEEESG_SI_NS1_21lower_bound_search_opENS9_16wrapped_functionINS8_6system6detail7generic6detail18binary_search_lessEbEEEE10hipError_tPvRmT1_T2_T3_mmT4_T5_P12ihipStream_tbEUlRKfE_EESV_SZ_S10_mS11_S14_bEUlT_E_NS1_11comp_targetILNS1_3genE10ELNS1_11target_archE1201ELNS1_3gpuE5ELNS1_3repE0EEENS1_30default_config_static_selectorELNS0_4arch9wavefront6targetE0EEEvSY_.has_recursion, 0
	.set _ZN7rocprim17ROCPRIM_400000_NS6detail17trampoline_kernelINS0_14default_configENS1_27lower_bound_config_selectorIflEEZNS1_14transform_implILb0ES3_S5_N6thrust23THRUST_200600_302600_NS6detail15normal_iteratorINS8_7pointerIfNS8_11hip_rocprim9par_det_tENS8_11use_defaultESE_EEEENSA_INSB_IlSD_SE_SE_EEEEZNS1_13binary_searchIS3_S5_NSA_INS8_10device_ptrIfEEEESG_SI_NS1_21lower_bound_search_opENS9_16wrapped_functionINS8_6system6detail7generic6detail18binary_search_lessEbEEEE10hipError_tPvRmT1_T2_T3_mmT4_T5_P12ihipStream_tbEUlRKfE_EESV_SZ_S10_mS11_S14_bEUlT_E_NS1_11comp_targetILNS1_3genE10ELNS1_11target_archE1201ELNS1_3gpuE5ELNS1_3repE0EEENS1_30default_config_static_selectorELNS0_4arch9wavefront6targetE0EEEvSY_.has_indirect_call, 0
	.section	.AMDGPU.csdata,"",@progbits
; Kernel info:
; codeLenInByte = 0
; TotalNumSgprs: 0
; NumVgprs: 0
; ScratchSize: 0
; MemoryBound: 0
; FloatMode: 240
; IeeeMode: 1
; LDSByteSize: 0 bytes/workgroup (compile time only)
; SGPRBlocks: 0
; VGPRBlocks: 0
; NumSGPRsForWavesPerEU: 1
; NumVGPRsForWavesPerEU: 1
; Occupancy: 16
; WaveLimiterHint : 0
; COMPUTE_PGM_RSRC2:SCRATCH_EN: 0
; COMPUTE_PGM_RSRC2:USER_SGPR: 6
; COMPUTE_PGM_RSRC2:TRAP_HANDLER: 0
; COMPUTE_PGM_RSRC2:TGID_X_EN: 1
; COMPUTE_PGM_RSRC2:TGID_Y_EN: 0
; COMPUTE_PGM_RSRC2:TGID_Z_EN: 0
; COMPUTE_PGM_RSRC2:TIDIG_COMP_CNT: 0
	.section	.text._ZN7rocprim17ROCPRIM_400000_NS6detail17trampoline_kernelINS0_14default_configENS1_27lower_bound_config_selectorIflEEZNS1_14transform_implILb0ES3_S5_N6thrust23THRUST_200600_302600_NS6detail15normal_iteratorINS8_7pointerIfNS8_11hip_rocprim9par_det_tENS8_11use_defaultESE_EEEENSA_INSB_IlSD_SE_SE_EEEEZNS1_13binary_searchIS3_S5_NSA_INS8_10device_ptrIfEEEESG_SI_NS1_21lower_bound_search_opENS9_16wrapped_functionINS8_6system6detail7generic6detail18binary_search_lessEbEEEE10hipError_tPvRmT1_T2_T3_mmT4_T5_P12ihipStream_tbEUlRKfE_EESV_SZ_S10_mS11_S14_bEUlT_E_NS1_11comp_targetILNS1_3genE10ELNS1_11target_archE1200ELNS1_3gpuE4ELNS1_3repE0EEENS1_30default_config_static_selectorELNS0_4arch9wavefront6targetE0EEEvSY_,"axG",@progbits,_ZN7rocprim17ROCPRIM_400000_NS6detail17trampoline_kernelINS0_14default_configENS1_27lower_bound_config_selectorIflEEZNS1_14transform_implILb0ES3_S5_N6thrust23THRUST_200600_302600_NS6detail15normal_iteratorINS8_7pointerIfNS8_11hip_rocprim9par_det_tENS8_11use_defaultESE_EEEENSA_INSB_IlSD_SE_SE_EEEEZNS1_13binary_searchIS3_S5_NSA_INS8_10device_ptrIfEEEESG_SI_NS1_21lower_bound_search_opENS9_16wrapped_functionINS8_6system6detail7generic6detail18binary_search_lessEbEEEE10hipError_tPvRmT1_T2_T3_mmT4_T5_P12ihipStream_tbEUlRKfE_EESV_SZ_S10_mS11_S14_bEUlT_E_NS1_11comp_targetILNS1_3genE10ELNS1_11target_archE1200ELNS1_3gpuE4ELNS1_3repE0EEENS1_30default_config_static_selectorELNS0_4arch9wavefront6targetE0EEEvSY_,comdat
	.protected	_ZN7rocprim17ROCPRIM_400000_NS6detail17trampoline_kernelINS0_14default_configENS1_27lower_bound_config_selectorIflEEZNS1_14transform_implILb0ES3_S5_N6thrust23THRUST_200600_302600_NS6detail15normal_iteratorINS8_7pointerIfNS8_11hip_rocprim9par_det_tENS8_11use_defaultESE_EEEENSA_INSB_IlSD_SE_SE_EEEEZNS1_13binary_searchIS3_S5_NSA_INS8_10device_ptrIfEEEESG_SI_NS1_21lower_bound_search_opENS9_16wrapped_functionINS8_6system6detail7generic6detail18binary_search_lessEbEEEE10hipError_tPvRmT1_T2_T3_mmT4_T5_P12ihipStream_tbEUlRKfE_EESV_SZ_S10_mS11_S14_bEUlT_E_NS1_11comp_targetILNS1_3genE10ELNS1_11target_archE1200ELNS1_3gpuE4ELNS1_3repE0EEENS1_30default_config_static_selectorELNS0_4arch9wavefront6targetE0EEEvSY_ ; -- Begin function _ZN7rocprim17ROCPRIM_400000_NS6detail17trampoline_kernelINS0_14default_configENS1_27lower_bound_config_selectorIflEEZNS1_14transform_implILb0ES3_S5_N6thrust23THRUST_200600_302600_NS6detail15normal_iteratorINS8_7pointerIfNS8_11hip_rocprim9par_det_tENS8_11use_defaultESE_EEEENSA_INSB_IlSD_SE_SE_EEEEZNS1_13binary_searchIS3_S5_NSA_INS8_10device_ptrIfEEEESG_SI_NS1_21lower_bound_search_opENS9_16wrapped_functionINS8_6system6detail7generic6detail18binary_search_lessEbEEEE10hipError_tPvRmT1_T2_T3_mmT4_T5_P12ihipStream_tbEUlRKfE_EESV_SZ_S10_mS11_S14_bEUlT_E_NS1_11comp_targetILNS1_3genE10ELNS1_11target_archE1200ELNS1_3gpuE4ELNS1_3repE0EEENS1_30default_config_static_selectorELNS0_4arch9wavefront6targetE0EEEvSY_
	.globl	_ZN7rocprim17ROCPRIM_400000_NS6detail17trampoline_kernelINS0_14default_configENS1_27lower_bound_config_selectorIflEEZNS1_14transform_implILb0ES3_S5_N6thrust23THRUST_200600_302600_NS6detail15normal_iteratorINS8_7pointerIfNS8_11hip_rocprim9par_det_tENS8_11use_defaultESE_EEEENSA_INSB_IlSD_SE_SE_EEEEZNS1_13binary_searchIS3_S5_NSA_INS8_10device_ptrIfEEEESG_SI_NS1_21lower_bound_search_opENS9_16wrapped_functionINS8_6system6detail7generic6detail18binary_search_lessEbEEEE10hipError_tPvRmT1_T2_T3_mmT4_T5_P12ihipStream_tbEUlRKfE_EESV_SZ_S10_mS11_S14_bEUlT_E_NS1_11comp_targetILNS1_3genE10ELNS1_11target_archE1200ELNS1_3gpuE4ELNS1_3repE0EEENS1_30default_config_static_selectorELNS0_4arch9wavefront6targetE0EEEvSY_
	.p2align	8
	.type	_ZN7rocprim17ROCPRIM_400000_NS6detail17trampoline_kernelINS0_14default_configENS1_27lower_bound_config_selectorIflEEZNS1_14transform_implILb0ES3_S5_N6thrust23THRUST_200600_302600_NS6detail15normal_iteratorINS8_7pointerIfNS8_11hip_rocprim9par_det_tENS8_11use_defaultESE_EEEENSA_INSB_IlSD_SE_SE_EEEEZNS1_13binary_searchIS3_S5_NSA_INS8_10device_ptrIfEEEESG_SI_NS1_21lower_bound_search_opENS9_16wrapped_functionINS8_6system6detail7generic6detail18binary_search_lessEbEEEE10hipError_tPvRmT1_T2_T3_mmT4_T5_P12ihipStream_tbEUlRKfE_EESV_SZ_S10_mS11_S14_bEUlT_E_NS1_11comp_targetILNS1_3genE10ELNS1_11target_archE1200ELNS1_3gpuE4ELNS1_3repE0EEENS1_30default_config_static_selectorELNS0_4arch9wavefront6targetE0EEEvSY_,@function
_ZN7rocprim17ROCPRIM_400000_NS6detail17trampoline_kernelINS0_14default_configENS1_27lower_bound_config_selectorIflEEZNS1_14transform_implILb0ES3_S5_N6thrust23THRUST_200600_302600_NS6detail15normal_iteratorINS8_7pointerIfNS8_11hip_rocprim9par_det_tENS8_11use_defaultESE_EEEENSA_INSB_IlSD_SE_SE_EEEEZNS1_13binary_searchIS3_S5_NSA_INS8_10device_ptrIfEEEESG_SI_NS1_21lower_bound_search_opENS9_16wrapped_functionINS8_6system6detail7generic6detail18binary_search_lessEbEEEE10hipError_tPvRmT1_T2_T3_mmT4_T5_P12ihipStream_tbEUlRKfE_EESV_SZ_S10_mS11_S14_bEUlT_E_NS1_11comp_targetILNS1_3genE10ELNS1_11target_archE1200ELNS1_3gpuE4ELNS1_3repE0EEENS1_30default_config_static_selectorELNS0_4arch9wavefront6targetE0EEEvSY_: ; @_ZN7rocprim17ROCPRIM_400000_NS6detail17trampoline_kernelINS0_14default_configENS1_27lower_bound_config_selectorIflEEZNS1_14transform_implILb0ES3_S5_N6thrust23THRUST_200600_302600_NS6detail15normal_iteratorINS8_7pointerIfNS8_11hip_rocprim9par_det_tENS8_11use_defaultESE_EEEENSA_INSB_IlSD_SE_SE_EEEEZNS1_13binary_searchIS3_S5_NSA_INS8_10device_ptrIfEEEESG_SI_NS1_21lower_bound_search_opENS9_16wrapped_functionINS8_6system6detail7generic6detail18binary_search_lessEbEEEE10hipError_tPvRmT1_T2_T3_mmT4_T5_P12ihipStream_tbEUlRKfE_EESV_SZ_S10_mS11_S14_bEUlT_E_NS1_11comp_targetILNS1_3genE10ELNS1_11target_archE1200ELNS1_3gpuE4ELNS1_3repE0EEENS1_30default_config_static_selectorELNS0_4arch9wavefront6targetE0EEEvSY_
; %bb.0:
	.section	.rodata,"a",@progbits
	.p2align	6, 0x0
	.amdhsa_kernel _ZN7rocprim17ROCPRIM_400000_NS6detail17trampoline_kernelINS0_14default_configENS1_27lower_bound_config_selectorIflEEZNS1_14transform_implILb0ES3_S5_N6thrust23THRUST_200600_302600_NS6detail15normal_iteratorINS8_7pointerIfNS8_11hip_rocprim9par_det_tENS8_11use_defaultESE_EEEENSA_INSB_IlSD_SE_SE_EEEEZNS1_13binary_searchIS3_S5_NSA_INS8_10device_ptrIfEEEESG_SI_NS1_21lower_bound_search_opENS9_16wrapped_functionINS8_6system6detail7generic6detail18binary_search_lessEbEEEE10hipError_tPvRmT1_T2_T3_mmT4_T5_P12ihipStream_tbEUlRKfE_EESV_SZ_S10_mS11_S14_bEUlT_E_NS1_11comp_targetILNS1_3genE10ELNS1_11target_archE1200ELNS1_3gpuE4ELNS1_3repE0EEENS1_30default_config_static_selectorELNS0_4arch9wavefront6targetE0EEEvSY_
		.amdhsa_group_segment_fixed_size 0
		.amdhsa_private_segment_fixed_size 0
		.amdhsa_kernarg_size 56
		.amdhsa_user_sgpr_count 6
		.amdhsa_user_sgpr_private_segment_buffer 1
		.amdhsa_user_sgpr_dispatch_ptr 0
		.amdhsa_user_sgpr_queue_ptr 0
		.amdhsa_user_sgpr_kernarg_segment_ptr 1
		.amdhsa_user_sgpr_dispatch_id 0
		.amdhsa_user_sgpr_flat_scratch_init 0
		.amdhsa_user_sgpr_private_segment_size 0
		.amdhsa_wavefront_size32 1
		.amdhsa_uses_dynamic_stack 0
		.amdhsa_system_sgpr_private_segment_wavefront_offset 0
		.amdhsa_system_sgpr_workgroup_id_x 1
		.amdhsa_system_sgpr_workgroup_id_y 0
		.amdhsa_system_sgpr_workgroup_id_z 0
		.amdhsa_system_sgpr_workgroup_info 0
		.amdhsa_system_vgpr_workitem_id 0
		.amdhsa_next_free_vgpr 1
		.amdhsa_next_free_sgpr 1
		.amdhsa_reserve_vcc 0
		.amdhsa_reserve_flat_scratch 0
		.amdhsa_float_round_mode_32 0
		.amdhsa_float_round_mode_16_64 0
		.amdhsa_float_denorm_mode_32 3
		.amdhsa_float_denorm_mode_16_64 3
		.amdhsa_dx10_clamp 1
		.amdhsa_ieee_mode 1
		.amdhsa_fp16_overflow 0
		.amdhsa_workgroup_processor_mode 1
		.amdhsa_memory_ordered 1
		.amdhsa_forward_progress 1
		.amdhsa_shared_vgpr_count 0
		.amdhsa_exception_fp_ieee_invalid_op 0
		.amdhsa_exception_fp_denorm_src 0
		.amdhsa_exception_fp_ieee_div_zero 0
		.amdhsa_exception_fp_ieee_overflow 0
		.amdhsa_exception_fp_ieee_underflow 0
		.amdhsa_exception_fp_ieee_inexact 0
		.amdhsa_exception_int_div_zero 0
	.end_amdhsa_kernel
	.section	.text._ZN7rocprim17ROCPRIM_400000_NS6detail17trampoline_kernelINS0_14default_configENS1_27lower_bound_config_selectorIflEEZNS1_14transform_implILb0ES3_S5_N6thrust23THRUST_200600_302600_NS6detail15normal_iteratorINS8_7pointerIfNS8_11hip_rocprim9par_det_tENS8_11use_defaultESE_EEEENSA_INSB_IlSD_SE_SE_EEEEZNS1_13binary_searchIS3_S5_NSA_INS8_10device_ptrIfEEEESG_SI_NS1_21lower_bound_search_opENS9_16wrapped_functionINS8_6system6detail7generic6detail18binary_search_lessEbEEEE10hipError_tPvRmT1_T2_T3_mmT4_T5_P12ihipStream_tbEUlRKfE_EESV_SZ_S10_mS11_S14_bEUlT_E_NS1_11comp_targetILNS1_3genE10ELNS1_11target_archE1200ELNS1_3gpuE4ELNS1_3repE0EEENS1_30default_config_static_selectorELNS0_4arch9wavefront6targetE0EEEvSY_,"axG",@progbits,_ZN7rocprim17ROCPRIM_400000_NS6detail17trampoline_kernelINS0_14default_configENS1_27lower_bound_config_selectorIflEEZNS1_14transform_implILb0ES3_S5_N6thrust23THRUST_200600_302600_NS6detail15normal_iteratorINS8_7pointerIfNS8_11hip_rocprim9par_det_tENS8_11use_defaultESE_EEEENSA_INSB_IlSD_SE_SE_EEEEZNS1_13binary_searchIS3_S5_NSA_INS8_10device_ptrIfEEEESG_SI_NS1_21lower_bound_search_opENS9_16wrapped_functionINS8_6system6detail7generic6detail18binary_search_lessEbEEEE10hipError_tPvRmT1_T2_T3_mmT4_T5_P12ihipStream_tbEUlRKfE_EESV_SZ_S10_mS11_S14_bEUlT_E_NS1_11comp_targetILNS1_3genE10ELNS1_11target_archE1200ELNS1_3gpuE4ELNS1_3repE0EEENS1_30default_config_static_selectorELNS0_4arch9wavefront6targetE0EEEvSY_,comdat
.Lfunc_end346:
	.size	_ZN7rocprim17ROCPRIM_400000_NS6detail17trampoline_kernelINS0_14default_configENS1_27lower_bound_config_selectorIflEEZNS1_14transform_implILb0ES3_S5_N6thrust23THRUST_200600_302600_NS6detail15normal_iteratorINS8_7pointerIfNS8_11hip_rocprim9par_det_tENS8_11use_defaultESE_EEEENSA_INSB_IlSD_SE_SE_EEEEZNS1_13binary_searchIS3_S5_NSA_INS8_10device_ptrIfEEEESG_SI_NS1_21lower_bound_search_opENS9_16wrapped_functionINS8_6system6detail7generic6detail18binary_search_lessEbEEEE10hipError_tPvRmT1_T2_T3_mmT4_T5_P12ihipStream_tbEUlRKfE_EESV_SZ_S10_mS11_S14_bEUlT_E_NS1_11comp_targetILNS1_3genE10ELNS1_11target_archE1200ELNS1_3gpuE4ELNS1_3repE0EEENS1_30default_config_static_selectorELNS0_4arch9wavefront6targetE0EEEvSY_, .Lfunc_end346-_ZN7rocprim17ROCPRIM_400000_NS6detail17trampoline_kernelINS0_14default_configENS1_27lower_bound_config_selectorIflEEZNS1_14transform_implILb0ES3_S5_N6thrust23THRUST_200600_302600_NS6detail15normal_iteratorINS8_7pointerIfNS8_11hip_rocprim9par_det_tENS8_11use_defaultESE_EEEENSA_INSB_IlSD_SE_SE_EEEEZNS1_13binary_searchIS3_S5_NSA_INS8_10device_ptrIfEEEESG_SI_NS1_21lower_bound_search_opENS9_16wrapped_functionINS8_6system6detail7generic6detail18binary_search_lessEbEEEE10hipError_tPvRmT1_T2_T3_mmT4_T5_P12ihipStream_tbEUlRKfE_EESV_SZ_S10_mS11_S14_bEUlT_E_NS1_11comp_targetILNS1_3genE10ELNS1_11target_archE1200ELNS1_3gpuE4ELNS1_3repE0EEENS1_30default_config_static_selectorELNS0_4arch9wavefront6targetE0EEEvSY_
                                        ; -- End function
	.set _ZN7rocprim17ROCPRIM_400000_NS6detail17trampoline_kernelINS0_14default_configENS1_27lower_bound_config_selectorIflEEZNS1_14transform_implILb0ES3_S5_N6thrust23THRUST_200600_302600_NS6detail15normal_iteratorINS8_7pointerIfNS8_11hip_rocprim9par_det_tENS8_11use_defaultESE_EEEENSA_INSB_IlSD_SE_SE_EEEEZNS1_13binary_searchIS3_S5_NSA_INS8_10device_ptrIfEEEESG_SI_NS1_21lower_bound_search_opENS9_16wrapped_functionINS8_6system6detail7generic6detail18binary_search_lessEbEEEE10hipError_tPvRmT1_T2_T3_mmT4_T5_P12ihipStream_tbEUlRKfE_EESV_SZ_S10_mS11_S14_bEUlT_E_NS1_11comp_targetILNS1_3genE10ELNS1_11target_archE1200ELNS1_3gpuE4ELNS1_3repE0EEENS1_30default_config_static_selectorELNS0_4arch9wavefront6targetE0EEEvSY_.num_vgpr, 0
	.set _ZN7rocprim17ROCPRIM_400000_NS6detail17trampoline_kernelINS0_14default_configENS1_27lower_bound_config_selectorIflEEZNS1_14transform_implILb0ES3_S5_N6thrust23THRUST_200600_302600_NS6detail15normal_iteratorINS8_7pointerIfNS8_11hip_rocprim9par_det_tENS8_11use_defaultESE_EEEENSA_INSB_IlSD_SE_SE_EEEEZNS1_13binary_searchIS3_S5_NSA_INS8_10device_ptrIfEEEESG_SI_NS1_21lower_bound_search_opENS9_16wrapped_functionINS8_6system6detail7generic6detail18binary_search_lessEbEEEE10hipError_tPvRmT1_T2_T3_mmT4_T5_P12ihipStream_tbEUlRKfE_EESV_SZ_S10_mS11_S14_bEUlT_E_NS1_11comp_targetILNS1_3genE10ELNS1_11target_archE1200ELNS1_3gpuE4ELNS1_3repE0EEENS1_30default_config_static_selectorELNS0_4arch9wavefront6targetE0EEEvSY_.num_agpr, 0
	.set _ZN7rocprim17ROCPRIM_400000_NS6detail17trampoline_kernelINS0_14default_configENS1_27lower_bound_config_selectorIflEEZNS1_14transform_implILb0ES3_S5_N6thrust23THRUST_200600_302600_NS6detail15normal_iteratorINS8_7pointerIfNS8_11hip_rocprim9par_det_tENS8_11use_defaultESE_EEEENSA_INSB_IlSD_SE_SE_EEEEZNS1_13binary_searchIS3_S5_NSA_INS8_10device_ptrIfEEEESG_SI_NS1_21lower_bound_search_opENS9_16wrapped_functionINS8_6system6detail7generic6detail18binary_search_lessEbEEEE10hipError_tPvRmT1_T2_T3_mmT4_T5_P12ihipStream_tbEUlRKfE_EESV_SZ_S10_mS11_S14_bEUlT_E_NS1_11comp_targetILNS1_3genE10ELNS1_11target_archE1200ELNS1_3gpuE4ELNS1_3repE0EEENS1_30default_config_static_selectorELNS0_4arch9wavefront6targetE0EEEvSY_.numbered_sgpr, 0
	.set _ZN7rocprim17ROCPRIM_400000_NS6detail17trampoline_kernelINS0_14default_configENS1_27lower_bound_config_selectorIflEEZNS1_14transform_implILb0ES3_S5_N6thrust23THRUST_200600_302600_NS6detail15normal_iteratorINS8_7pointerIfNS8_11hip_rocprim9par_det_tENS8_11use_defaultESE_EEEENSA_INSB_IlSD_SE_SE_EEEEZNS1_13binary_searchIS3_S5_NSA_INS8_10device_ptrIfEEEESG_SI_NS1_21lower_bound_search_opENS9_16wrapped_functionINS8_6system6detail7generic6detail18binary_search_lessEbEEEE10hipError_tPvRmT1_T2_T3_mmT4_T5_P12ihipStream_tbEUlRKfE_EESV_SZ_S10_mS11_S14_bEUlT_E_NS1_11comp_targetILNS1_3genE10ELNS1_11target_archE1200ELNS1_3gpuE4ELNS1_3repE0EEENS1_30default_config_static_selectorELNS0_4arch9wavefront6targetE0EEEvSY_.num_named_barrier, 0
	.set _ZN7rocprim17ROCPRIM_400000_NS6detail17trampoline_kernelINS0_14default_configENS1_27lower_bound_config_selectorIflEEZNS1_14transform_implILb0ES3_S5_N6thrust23THRUST_200600_302600_NS6detail15normal_iteratorINS8_7pointerIfNS8_11hip_rocprim9par_det_tENS8_11use_defaultESE_EEEENSA_INSB_IlSD_SE_SE_EEEEZNS1_13binary_searchIS3_S5_NSA_INS8_10device_ptrIfEEEESG_SI_NS1_21lower_bound_search_opENS9_16wrapped_functionINS8_6system6detail7generic6detail18binary_search_lessEbEEEE10hipError_tPvRmT1_T2_T3_mmT4_T5_P12ihipStream_tbEUlRKfE_EESV_SZ_S10_mS11_S14_bEUlT_E_NS1_11comp_targetILNS1_3genE10ELNS1_11target_archE1200ELNS1_3gpuE4ELNS1_3repE0EEENS1_30default_config_static_selectorELNS0_4arch9wavefront6targetE0EEEvSY_.private_seg_size, 0
	.set _ZN7rocprim17ROCPRIM_400000_NS6detail17trampoline_kernelINS0_14default_configENS1_27lower_bound_config_selectorIflEEZNS1_14transform_implILb0ES3_S5_N6thrust23THRUST_200600_302600_NS6detail15normal_iteratorINS8_7pointerIfNS8_11hip_rocprim9par_det_tENS8_11use_defaultESE_EEEENSA_INSB_IlSD_SE_SE_EEEEZNS1_13binary_searchIS3_S5_NSA_INS8_10device_ptrIfEEEESG_SI_NS1_21lower_bound_search_opENS9_16wrapped_functionINS8_6system6detail7generic6detail18binary_search_lessEbEEEE10hipError_tPvRmT1_T2_T3_mmT4_T5_P12ihipStream_tbEUlRKfE_EESV_SZ_S10_mS11_S14_bEUlT_E_NS1_11comp_targetILNS1_3genE10ELNS1_11target_archE1200ELNS1_3gpuE4ELNS1_3repE0EEENS1_30default_config_static_selectorELNS0_4arch9wavefront6targetE0EEEvSY_.uses_vcc, 0
	.set _ZN7rocprim17ROCPRIM_400000_NS6detail17trampoline_kernelINS0_14default_configENS1_27lower_bound_config_selectorIflEEZNS1_14transform_implILb0ES3_S5_N6thrust23THRUST_200600_302600_NS6detail15normal_iteratorINS8_7pointerIfNS8_11hip_rocprim9par_det_tENS8_11use_defaultESE_EEEENSA_INSB_IlSD_SE_SE_EEEEZNS1_13binary_searchIS3_S5_NSA_INS8_10device_ptrIfEEEESG_SI_NS1_21lower_bound_search_opENS9_16wrapped_functionINS8_6system6detail7generic6detail18binary_search_lessEbEEEE10hipError_tPvRmT1_T2_T3_mmT4_T5_P12ihipStream_tbEUlRKfE_EESV_SZ_S10_mS11_S14_bEUlT_E_NS1_11comp_targetILNS1_3genE10ELNS1_11target_archE1200ELNS1_3gpuE4ELNS1_3repE0EEENS1_30default_config_static_selectorELNS0_4arch9wavefront6targetE0EEEvSY_.uses_flat_scratch, 0
	.set _ZN7rocprim17ROCPRIM_400000_NS6detail17trampoline_kernelINS0_14default_configENS1_27lower_bound_config_selectorIflEEZNS1_14transform_implILb0ES3_S5_N6thrust23THRUST_200600_302600_NS6detail15normal_iteratorINS8_7pointerIfNS8_11hip_rocprim9par_det_tENS8_11use_defaultESE_EEEENSA_INSB_IlSD_SE_SE_EEEEZNS1_13binary_searchIS3_S5_NSA_INS8_10device_ptrIfEEEESG_SI_NS1_21lower_bound_search_opENS9_16wrapped_functionINS8_6system6detail7generic6detail18binary_search_lessEbEEEE10hipError_tPvRmT1_T2_T3_mmT4_T5_P12ihipStream_tbEUlRKfE_EESV_SZ_S10_mS11_S14_bEUlT_E_NS1_11comp_targetILNS1_3genE10ELNS1_11target_archE1200ELNS1_3gpuE4ELNS1_3repE0EEENS1_30default_config_static_selectorELNS0_4arch9wavefront6targetE0EEEvSY_.has_dyn_sized_stack, 0
	.set _ZN7rocprim17ROCPRIM_400000_NS6detail17trampoline_kernelINS0_14default_configENS1_27lower_bound_config_selectorIflEEZNS1_14transform_implILb0ES3_S5_N6thrust23THRUST_200600_302600_NS6detail15normal_iteratorINS8_7pointerIfNS8_11hip_rocprim9par_det_tENS8_11use_defaultESE_EEEENSA_INSB_IlSD_SE_SE_EEEEZNS1_13binary_searchIS3_S5_NSA_INS8_10device_ptrIfEEEESG_SI_NS1_21lower_bound_search_opENS9_16wrapped_functionINS8_6system6detail7generic6detail18binary_search_lessEbEEEE10hipError_tPvRmT1_T2_T3_mmT4_T5_P12ihipStream_tbEUlRKfE_EESV_SZ_S10_mS11_S14_bEUlT_E_NS1_11comp_targetILNS1_3genE10ELNS1_11target_archE1200ELNS1_3gpuE4ELNS1_3repE0EEENS1_30default_config_static_selectorELNS0_4arch9wavefront6targetE0EEEvSY_.has_recursion, 0
	.set _ZN7rocprim17ROCPRIM_400000_NS6detail17trampoline_kernelINS0_14default_configENS1_27lower_bound_config_selectorIflEEZNS1_14transform_implILb0ES3_S5_N6thrust23THRUST_200600_302600_NS6detail15normal_iteratorINS8_7pointerIfNS8_11hip_rocprim9par_det_tENS8_11use_defaultESE_EEEENSA_INSB_IlSD_SE_SE_EEEEZNS1_13binary_searchIS3_S5_NSA_INS8_10device_ptrIfEEEESG_SI_NS1_21lower_bound_search_opENS9_16wrapped_functionINS8_6system6detail7generic6detail18binary_search_lessEbEEEE10hipError_tPvRmT1_T2_T3_mmT4_T5_P12ihipStream_tbEUlRKfE_EESV_SZ_S10_mS11_S14_bEUlT_E_NS1_11comp_targetILNS1_3genE10ELNS1_11target_archE1200ELNS1_3gpuE4ELNS1_3repE0EEENS1_30default_config_static_selectorELNS0_4arch9wavefront6targetE0EEEvSY_.has_indirect_call, 0
	.section	.AMDGPU.csdata,"",@progbits
; Kernel info:
; codeLenInByte = 0
; TotalNumSgprs: 0
; NumVgprs: 0
; ScratchSize: 0
; MemoryBound: 0
; FloatMode: 240
; IeeeMode: 1
; LDSByteSize: 0 bytes/workgroup (compile time only)
; SGPRBlocks: 0
; VGPRBlocks: 0
; NumSGPRsForWavesPerEU: 1
; NumVGPRsForWavesPerEU: 1
; Occupancy: 16
; WaveLimiterHint : 0
; COMPUTE_PGM_RSRC2:SCRATCH_EN: 0
; COMPUTE_PGM_RSRC2:USER_SGPR: 6
; COMPUTE_PGM_RSRC2:TRAP_HANDLER: 0
; COMPUTE_PGM_RSRC2:TGID_X_EN: 1
; COMPUTE_PGM_RSRC2:TGID_Y_EN: 0
; COMPUTE_PGM_RSRC2:TGID_Z_EN: 0
; COMPUTE_PGM_RSRC2:TIDIG_COMP_CNT: 0
	.section	.text._ZN7rocprim17ROCPRIM_400000_NS6detail17trampoline_kernelINS0_14default_configENS1_27lower_bound_config_selectorIflEEZNS1_14transform_implILb0ES3_S5_N6thrust23THRUST_200600_302600_NS6detail15normal_iteratorINS8_7pointerIfNS8_11hip_rocprim9par_det_tENS8_11use_defaultESE_EEEENSA_INSB_IlSD_SE_SE_EEEEZNS1_13binary_searchIS3_S5_NSA_INS8_10device_ptrIfEEEESG_SI_NS1_21lower_bound_search_opENS9_16wrapped_functionINS8_6system6detail7generic6detail18binary_search_lessEbEEEE10hipError_tPvRmT1_T2_T3_mmT4_T5_P12ihipStream_tbEUlRKfE_EESV_SZ_S10_mS11_S14_bEUlT_E_NS1_11comp_targetILNS1_3genE9ELNS1_11target_archE1100ELNS1_3gpuE3ELNS1_3repE0EEENS1_30default_config_static_selectorELNS0_4arch9wavefront6targetE0EEEvSY_,"axG",@progbits,_ZN7rocprim17ROCPRIM_400000_NS6detail17trampoline_kernelINS0_14default_configENS1_27lower_bound_config_selectorIflEEZNS1_14transform_implILb0ES3_S5_N6thrust23THRUST_200600_302600_NS6detail15normal_iteratorINS8_7pointerIfNS8_11hip_rocprim9par_det_tENS8_11use_defaultESE_EEEENSA_INSB_IlSD_SE_SE_EEEEZNS1_13binary_searchIS3_S5_NSA_INS8_10device_ptrIfEEEESG_SI_NS1_21lower_bound_search_opENS9_16wrapped_functionINS8_6system6detail7generic6detail18binary_search_lessEbEEEE10hipError_tPvRmT1_T2_T3_mmT4_T5_P12ihipStream_tbEUlRKfE_EESV_SZ_S10_mS11_S14_bEUlT_E_NS1_11comp_targetILNS1_3genE9ELNS1_11target_archE1100ELNS1_3gpuE3ELNS1_3repE0EEENS1_30default_config_static_selectorELNS0_4arch9wavefront6targetE0EEEvSY_,comdat
	.protected	_ZN7rocprim17ROCPRIM_400000_NS6detail17trampoline_kernelINS0_14default_configENS1_27lower_bound_config_selectorIflEEZNS1_14transform_implILb0ES3_S5_N6thrust23THRUST_200600_302600_NS6detail15normal_iteratorINS8_7pointerIfNS8_11hip_rocprim9par_det_tENS8_11use_defaultESE_EEEENSA_INSB_IlSD_SE_SE_EEEEZNS1_13binary_searchIS3_S5_NSA_INS8_10device_ptrIfEEEESG_SI_NS1_21lower_bound_search_opENS9_16wrapped_functionINS8_6system6detail7generic6detail18binary_search_lessEbEEEE10hipError_tPvRmT1_T2_T3_mmT4_T5_P12ihipStream_tbEUlRKfE_EESV_SZ_S10_mS11_S14_bEUlT_E_NS1_11comp_targetILNS1_3genE9ELNS1_11target_archE1100ELNS1_3gpuE3ELNS1_3repE0EEENS1_30default_config_static_selectorELNS0_4arch9wavefront6targetE0EEEvSY_ ; -- Begin function _ZN7rocprim17ROCPRIM_400000_NS6detail17trampoline_kernelINS0_14default_configENS1_27lower_bound_config_selectorIflEEZNS1_14transform_implILb0ES3_S5_N6thrust23THRUST_200600_302600_NS6detail15normal_iteratorINS8_7pointerIfNS8_11hip_rocprim9par_det_tENS8_11use_defaultESE_EEEENSA_INSB_IlSD_SE_SE_EEEEZNS1_13binary_searchIS3_S5_NSA_INS8_10device_ptrIfEEEESG_SI_NS1_21lower_bound_search_opENS9_16wrapped_functionINS8_6system6detail7generic6detail18binary_search_lessEbEEEE10hipError_tPvRmT1_T2_T3_mmT4_T5_P12ihipStream_tbEUlRKfE_EESV_SZ_S10_mS11_S14_bEUlT_E_NS1_11comp_targetILNS1_3genE9ELNS1_11target_archE1100ELNS1_3gpuE3ELNS1_3repE0EEENS1_30default_config_static_selectorELNS0_4arch9wavefront6targetE0EEEvSY_
	.globl	_ZN7rocprim17ROCPRIM_400000_NS6detail17trampoline_kernelINS0_14default_configENS1_27lower_bound_config_selectorIflEEZNS1_14transform_implILb0ES3_S5_N6thrust23THRUST_200600_302600_NS6detail15normal_iteratorINS8_7pointerIfNS8_11hip_rocprim9par_det_tENS8_11use_defaultESE_EEEENSA_INSB_IlSD_SE_SE_EEEEZNS1_13binary_searchIS3_S5_NSA_INS8_10device_ptrIfEEEESG_SI_NS1_21lower_bound_search_opENS9_16wrapped_functionINS8_6system6detail7generic6detail18binary_search_lessEbEEEE10hipError_tPvRmT1_T2_T3_mmT4_T5_P12ihipStream_tbEUlRKfE_EESV_SZ_S10_mS11_S14_bEUlT_E_NS1_11comp_targetILNS1_3genE9ELNS1_11target_archE1100ELNS1_3gpuE3ELNS1_3repE0EEENS1_30default_config_static_selectorELNS0_4arch9wavefront6targetE0EEEvSY_
	.p2align	8
	.type	_ZN7rocprim17ROCPRIM_400000_NS6detail17trampoline_kernelINS0_14default_configENS1_27lower_bound_config_selectorIflEEZNS1_14transform_implILb0ES3_S5_N6thrust23THRUST_200600_302600_NS6detail15normal_iteratorINS8_7pointerIfNS8_11hip_rocprim9par_det_tENS8_11use_defaultESE_EEEENSA_INSB_IlSD_SE_SE_EEEEZNS1_13binary_searchIS3_S5_NSA_INS8_10device_ptrIfEEEESG_SI_NS1_21lower_bound_search_opENS9_16wrapped_functionINS8_6system6detail7generic6detail18binary_search_lessEbEEEE10hipError_tPvRmT1_T2_T3_mmT4_T5_P12ihipStream_tbEUlRKfE_EESV_SZ_S10_mS11_S14_bEUlT_E_NS1_11comp_targetILNS1_3genE9ELNS1_11target_archE1100ELNS1_3gpuE3ELNS1_3repE0EEENS1_30default_config_static_selectorELNS0_4arch9wavefront6targetE0EEEvSY_,@function
_ZN7rocprim17ROCPRIM_400000_NS6detail17trampoline_kernelINS0_14default_configENS1_27lower_bound_config_selectorIflEEZNS1_14transform_implILb0ES3_S5_N6thrust23THRUST_200600_302600_NS6detail15normal_iteratorINS8_7pointerIfNS8_11hip_rocprim9par_det_tENS8_11use_defaultESE_EEEENSA_INSB_IlSD_SE_SE_EEEEZNS1_13binary_searchIS3_S5_NSA_INS8_10device_ptrIfEEEESG_SI_NS1_21lower_bound_search_opENS9_16wrapped_functionINS8_6system6detail7generic6detail18binary_search_lessEbEEEE10hipError_tPvRmT1_T2_T3_mmT4_T5_P12ihipStream_tbEUlRKfE_EESV_SZ_S10_mS11_S14_bEUlT_E_NS1_11comp_targetILNS1_3genE9ELNS1_11target_archE1100ELNS1_3gpuE3ELNS1_3repE0EEENS1_30default_config_static_selectorELNS0_4arch9wavefront6targetE0EEEvSY_: ; @_ZN7rocprim17ROCPRIM_400000_NS6detail17trampoline_kernelINS0_14default_configENS1_27lower_bound_config_selectorIflEEZNS1_14transform_implILb0ES3_S5_N6thrust23THRUST_200600_302600_NS6detail15normal_iteratorINS8_7pointerIfNS8_11hip_rocprim9par_det_tENS8_11use_defaultESE_EEEENSA_INSB_IlSD_SE_SE_EEEEZNS1_13binary_searchIS3_S5_NSA_INS8_10device_ptrIfEEEESG_SI_NS1_21lower_bound_search_opENS9_16wrapped_functionINS8_6system6detail7generic6detail18binary_search_lessEbEEEE10hipError_tPvRmT1_T2_T3_mmT4_T5_P12ihipStream_tbEUlRKfE_EESV_SZ_S10_mS11_S14_bEUlT_E_NS1_11comp_targetILNS1_3genE9ELNS1_11target_archE1100ELNS1_3gpuE3ELNS1_3repE0EEENS1_30default_config_static_selectorELNS0_4arch9wavefront6targetE0EEEvSY_
; %bb.0:
	.section	.rodata,"a",@progbits
	.p2align	6, 0x0
	.amdhsa_kernel _ZN7rocprim17ROCPRIM_400000_NS6detail17trampoline_kernelINS0_14default_configENS1_27lower_bound_config_selectorIflEEZNS1_14transform_implILb0ES3_S5_N6thrust23THRUST_200600_302600_NS6detail15normal_iteratorINS8_7pointerIfNS8_11hip_rocprim9par_det_tENS8_11use_defaultESE_EEEENSA_INSB_IlSD_SE_SE_EEEEZNS1_13binary_searchIS3_S5_NSA_INS8_10device_ptrIfEEEESG_SI_NS1_21lower_bound_search_opENS9_16wrapped_functionINS8_6system6detail7generic6detail18binary_search_lessEbEEEE10hipError_tPvRmT1_T2_T3_mmT4_T5_P12ihipStream_tbEUlRKfE_EESV_SZ_S10_mS11_S14_bEUlT_E_NS1_11comp_targetILNS1_3genE9ELNS1_11target_archE1100ELNS1_3gpuE3ELNS1_3repE0EEENS1_30default_config_static_selectorELNS0_4arch9wavefront6targetE0EEEvSY_
		.amdhsa_group_segment_fixed_size 0
		.amdhsa_private_segment_fixed_size 0
		.amdhsa_kernarg_size 56
		.amdhsa_user_sgpr_count 6
		.amdhsa_user_sgpr_private_segment_buffer 1
		.amdhsa_user_sgpr_dispatch_ptr 0
		.amdhsa_user_sgpr_queue_ptr 0
		.amdhsa_user_sgpr_kernarg_segment_ptr 1
		.amdhsa_user_sgpr_dispatch_id 0
		.amdhsa_user_sgpr_flat_scratch_init 0
		.amdhsa_user_sgpr_private_segment_size 0
		.amdhsa_wavefront_size32 1
		.amdhsa_uses_dynamic_stack 0
		.amdhsa_system_sgpr_private_segment_wavefront_offset 0
		.amdhsa_system_sgpr_workgroup_id_x 1
		.amdhsa_system_sgpr_workgroup_id_y 0
		.amdhsa_system_sgpr_workgroup_id_z 0
		.amdhsa_system_sgpr_workgroup_info 0
		.amdhsa_system_vgpr_workitem_id 0
		.amdhsa_next_free_vgpr 1
		.amdhsa_next_free_sgpr 1
		.amdhsa_reserve_vcc 0
		.amdhsa_reserve_flat_scratch 0
		.amdhsa_float_round_mode_32 0
		.amdhsa_float_round_mode_16_64 0
		.amdhsa_float_denorm_mode_32 3
		.amdhsa_float_denorm_mode_16_64 3
		.amdhsa_dx10_clamp 1
		.amdhsa_ieee_mode 1
		.amdhsa_fp16_overflow 0
		.amdhsa_workgroup_processor_mode 1
		.amdhsa_memory_ordered 1
		.amdhsa_forward_progress 1
		.amdhsa_shared_vgpr_count 0
		.amdhsa_exception_fp_ieee_invalid_op 0
		.amdhsa_exception_fp_denorm_src 0
		.amdhsa_exception_fp_ieee_div_zero 0
		.amdhsa_exception_fp_ieee_overflow 0
		.amdhsa_exception_fp_ieee_underflow 0
		.amdhsa_exception_fp_ieee_inexact 0
		.amdhsa_exception_int_div_zero 0
	.end_amdhsa_kernel
	.section	.text._ZN7rocprim17ROCPRIM_400000_NS6detail17trampoline_kernelINS0_14default_configENS1_27lower_bound_config_selectorIflEEZNS1_14transform_implILb0ES3_S5_N6thrust23THRUST_200600_302600_NS6detail15normal_iteratorINS8_7pointerIfNS8_11hip_rocprim9par_det_tENS8_11use_defaultESE_EEEENSA_INSB_IlSD_SE_SE_EEEEZNS1_13binary_searchIS3_S5_NSA_INS8_10device_ptrIfEEEESG_SI_NS1_21lower_bound_search_opENS9_16wrapped_functionINS8_6system6detail7generic6detail18binary_search_lessEbEEEE10hipError_tPvRmT1_T2_T3_mmT4_T5_P12ihipStream_tbEUlRKfE_EESV_SZ_S10_mS11_S14_bEUlT_E_NS1_11comp_targetILNS1_3genE9ELNS1_11target_archE1100ELNS1_3gpuE3ELNS1_3repE0EEENS1_30default_config_static_selectorELNS0_4arch9wavefront6targetE0EEEvSY_,"axG",@progbits,_ZN7rocprim17ROCPRIM_400000_NS6detail17trampoline_kernelINS0_14default_configENS1_27lower_bound_config_selectorIflEEZNS1_14transform_implILb0ES3_S5_N6thrust23THRUST_200600_302600_NS6detail15normal_iteratorINS8_7pointerIfNS8_11hip_rocprim9par_det_tENS8_11use_defaultESE_EEEENSA_INSB_IlSD_SE_SE_EEEEZNS1_13binary_searchIS3_S5_NSA_INS8_10device_ptrIfEEEESG_SI_NS1_21lower_bound_search_opENS9_16wrapped_functionINS8_6system6detail7generic6detail18binary_search_lessEbEEEE10hipError_tPvRmT1_T2_T3_mmT4_T5_P12ihipStream_tbEUlRKfE_EESV_SZ_S10_mS11_S14_bEUlT_E_NS1_11comp_targetILNS1_3genE9ELNS1_11target_archE1100ELNS1_3gpuE3ELNS1_3repE0EEENS1_30default_config_static_selectorELNS0_4arch9wavefront6targetE0EEEvSY_,comdat
.Lfunc_end347:
	.size	_ZN7rocprim17ROCPRIM_400000_NS6detail17trampoline_kernelINS0_14default_configENS1_27lower_bound_config_selectorIflEEZNS1_14transform_implILb0ES3_S5_N6thrust23THRUST_200600_302600_NS6detail15normal_iteratorINS8_7pointerIfNS8_11hip_rocprim9par_det_tENS8_11use_defaultESE_EEEENSA_INSB_IlSD_SE_SE_EEEEZNS1_13binary_searchIS3_S5_NSA_INS8_10device_ptrIfEEEESG_SI_NS1_21lower_bound_search_opENS9_16wrapped_functionINS8_6system6detail7generic6detail18binary_search_lessEbEEEE10hipError_tPvRmT1_T2_T3_mmT4_T5_P12ihipStream_tbEUlRKfE_EESV_SZ_S10_mS11_S14_bEUlT_E_NS1_11comp_targetILNS1_3genE9ELNS1_11target_archE1100ELNS1_3gpuE3ELNS1_3repE0EEENS1_30default_config_static_selectorELNS0_4arch9wavefront6targetE0EEEvSY_, .Lfunc_end347-_ZN7rocprim17ROCPRIM_400000_NS6detail17trampoline_kernelINS0_14default_configENS1_27lower_bound_config_selectorIflEEZNS1_14transform_implILb0ES3_S5_N6thrust23THRUST_200600_302600_NS6detail15normal_iteratorINS8_7pointerIfNS8_11hip_rocprim9par_det_tENS8_11use_defaultESE_EEEENSA_INSB_IlSD_SE_SE_EEEEZNS1_13binary_searchIS3_S5_NSA_INS8_10device_ptrIfEEEESG_SI_NS1_21lower_bound_search_opENS9_16wrapped_functionINS8_6system6detail7generic6detail18binary_search_lessEbEEEE10hipError_tPvRmT1_T2_T3_mmT4_T5_P12ihipStream_tbEUlRKfE_EESV_SZ_S10_mS11_S14_bEUlT_E_NS1_11comp_targetILNS1_3genE9ELNS1_11target_archE1100ELNS1_3gpuE3ELNS1_3repE0EEENS1_30default_config_static_selectorELNS0_4arch9wavefront6targetE0EEEvSY_
                                        ; -- End function
	.set _ZN7rocprim17ROCPRIM_400000_NS6detail17trampoline_kernelINS0_14default_configENS1_27lower_bound_config_selectorIflEEZNS1_14transform_implILb0ES3_S5_N6thrust23THRUST_200600_302600_NS6detail15normal_iteratorINS8_7pointerIfNS8_11hip_rocprim9par_det_tENS8_11use_defaultESE_EEEENSA_INSB_IlSD_SE_SE_EEEEZNS1_13binary_searchIS3_S5_NSA_INS8_10device_ptrIfEEEESG_SI_NS1_21lower_bound_search_opENS9_16wrapped_functionINS8_6system6detail7generic6detail18binary_search_lessEbEEEE10hipError_tPvRmT1_T2_T3_mmT4_T5_P12ihipStream_tbEUlRKfE_EESV_SZ_S10_mS11_S14_bEUlT_E_NS1_11comp_targetILNS1_3genE9ELNS1_11target_archE1100ELNS1_3gpuE3ELNS1_3repE0EEENS1_30default_config_static_selectorELNS0_4arch9wavefront6targetE0EEEvSY_.num_vgpr, 0
	.set _ZN7rocprim17ROCPRIM_400000_NS6detail17trampoline_kernelINS0_14default_configENS1_27lower_bound_config_selectorIflEEZNS1_14transform_implILb0ES3_S5_N6thrust23THRUST_200600_302600_NS6detail15normal_iteratorINS8_7pointerIfNS8_11hip_rocprim9par_det_tENS8_11use_defaultESE_EEEENSA_INSB_IlSD_SE_SE_EEEEZNS1_13binary_searchIS3_S5_NSA_INS8_10device_ptrIfEEEESG_SI_NS1_21lower_bound_search_opENS9_16wrapped_functionINS8_6system6detail7generic6detail18binary_search_lessEbEEEE10hipError_tPvRmT1_T2_T3_mmT4_T5_P12ihipStream_tbEUlRKfE_EESV_SZ_S10_mS11_S14_bEUlT_E_NS1_11comp_targetILNS1_3genE9ELNS1_11target_archE1100ELNS1_3gpuE3ELNS1_3repE0EEENS1_30default_config_static_selectorELNS0_4arch9wavefront6targetE0EEEvSY_.num_agpr, 0
	.set _ZN7rocprim17ROCPRIM_400000_NS6detail17trampoline_kernelINS0_14default_configENS1_27lower_bound_config_selectorIflEEZNS1_14transform_implILb0ES3_S5_N6thrust23THRUST_200600_302600_NS6detail15normal_iteratorINS8_7pointerIfNS8_11hip_rocprim9par_det_tENS8_11use_defaultESE_EEEENSA_INSB_IlSD_SE_SE_EEEEZNS1_13binary_searchIS3_S5_NSA_INS8_10device_ptrIfEEEESG_SI_NS1_21lower_bound_search_opENS9_16wrapped_functionINS8_6system6detail7generic6detail18binary_search_lessEbEEEE10hipError_tPvRmT1_T2_T3_mmT4_T5_P12ihipStream_tbEUlRKfE_EESV_SZ_S10_mS11_S14_bEUlT_E_NS1_11comp_targetILNS1_3genE9ELNS1_11target_archE1100ELNS1_3gpuE3ELNS1_3repE0EEENS1_30default_config_static_selectorELNS0_4arch9wavefront6targetE0EEEvSY_.numbered_sgpr, 0
	.set _ZN7rocprim17ROCPRIM_400000_NS6detail17trampoline_kernelINS0_14default_configENS1_27lower_bound_config_selectorIflEEZNS1_14transform_implILb0ES3_S5_N6thrust23THRUST_200600_302600_NS6detail15normal_iteratorINS8_7pointerIfNS8_11hip_rocprim9par_det_tENS8_11use_defaultESE_EEEENSA_INSB_IlSD_SE_SE_EEEEZNS1_13binary_searchIS3_S5_NSA_INS8_10device_ptrIfEEEESG_SI_NS1_21lower_bound_search_opENS9_16wrapped_functionINS8_6system6detail7generic6detail18binary_search_lessEbEEEE10hipError_tPvRmT1_T2_T3_mmT4_T5_P12ihipStream_tbEUlRKfE_EESV_SZ_S10_mS11_S14_bEUlT_E_NS1_11comp_targetILNS1_3genE9ELNS1_11target_archE1100ELNS1_3gpuE3ELNS1_3repE0EEENS1_30default_config_static_selectorELNS0_4arch9wavefront6targetE0EEEvSY_.num_named_barrier, 0
	.set _ZN7rocprim17ROCPRIM_400000_NS6detail17trampoline_kernelINS0_14default_configENS1_27lower_bound_config_selectorIflEEZNS1_14transform_implILb0ES3_S5_N6thrust23THRUST_200600_302600_NS6detail15normal_iteratorINS8_7pointerIfNS8_11hip_rocprim9par_det_tENS8_11use_defaultESE_EEEENSA_INSB_IlSD_SE_SE_EEEEZNS1_13binary_searchIS3_S5_NSA_INS8_10device_ptrIfEEEESG_SI_NS1_21lower_bound_search_opENS9_16wrapped_functionINS8_6system6detail7generic6detail18binary_search_lessEbEEEE10hipError_tPvRmT1_T2_T3_mmT4_T5_P12ihipStream_tbEUlRKfE_EESV_SZ_S10_mS11_S14_bEUlT_E_NS1_11comp_targetILNS1_3genE9ELNS1_11target_archE1100ELNS1_3gpuE3ELNS1_3repE0EEENS1_30default_config_static_selectorELNS0_4arch9wavefront6targetE0EEEvSY_.private_seg_size, 0
	.set _ZN7rocprim17ROCPRIM_400000_NS6detail17trampoline_kernelINS0_14default_configENS1_27lower_bound_config_selectorIflEEZNS1_14transform_implILb0ES3_S5_N6thrust23THRUST_200600_302600_NS6detail15normal_iteratorINS8_7pointerIfNS8_11hip_rocprim9par_det_tENS8_11use_defaultESE_EEEENSA_INSB_IlSD_SE_SE_EEEEZNS1_13binary_searchIS3_S5_NSA_INS8_10device_ptrIfEEEESG_SI_NS1_21lower_bound_search_opENS9_16wrapped_functionINS8_6system6detail7generic6detail18binary_search_lessEbEEEE10hipError_tPvRmT1_T2_T3_mmT4_T5_P12ihipStream_tbEUlRKfE_EESV_SZ_S10_mS11_S14_bEUlT_E_NS1_11comp_targetILNS1_3genE9ELNS1_11target_archE1100ELNS1_3gpuE3ELNS1_3repE0EEENS1_30default_config_static_selectorELNS0_4arch9wavefront6targetE0EEEvSY_.uses_vcc, 0
	.set _ZN7rocprim17ROCPRIM_400000_NS6detail17trampoline_kernelINS0_14default_configENS1_27lower_bound_config_selectorIflEEZNS1_14transform_implILb0ES3_S5_N6thrust23THRUST_200600_302600_NS6detail15normal_iteratorINS8_7pointerIfNS8_11hip_rocprim9par_det_tENS8_11use_defaultESE_EEEENSA_INSB_IlSD_SE_SE_EEEEZNS1_13binary_searchIS3_S5_NSA_INS8_10device_ptrIfEEEESG_SI_NS1_21lower_bound_search_opENS9_16wrapped_functionINS8_6system6detail7generic6detail18binary_search_lessEbEEEE10hipError_tPvRmT1_T2_T3_mmT4_T5_P12ihipStream_tbEUlRKfE_EESV_SZ_S10_mS11_S14_bEUlT_E_NS1_11comp_targetILNS1_3genE9ELNS1_11target_archE1100ELNS1_3gpuE3ELNS1_3repE0EEENS1_30default_config_static_selectorELNS0_4arch9wavefront6targetE0EEEvSY_.uses_flat_scratch, 0
	.set _ZN7rocprim17ROCPRIM_400000_NS6detail17trampoline_kernelINS0_14default_configENS1_27lower_bound_config_selectorIflEEZNS1_14transform_implILb0ES3_S5_N6thrust23THRUST_200600_302600_NS6detail15normal_iteratorINS8_7pointerIfNS8_11hip_rocprim9par_det_tENS8_11use_defaultESE_EEEENSA_INSB_IlSD_SE_SE_EEEEZNS1_13binary_searchIS3_S5_NSA_INS8_10device_ptrIfEEEESG_SI_NS1_21lower_bound_search_opENS9_16wrapped_functionINS8_6system6detail7generic6detail18binary_search_lessEbEEEE10hipError_tPvRmT1_T2_T3_mmT4_T5_P12ihipStream_tbEUlRKfE_EESV_SZ_S10_mS11_S14_bEUlT_E_NS1_11comp_targetILNS1_3genE9ELNS1_11target_archE1100ELNS1_3gpuE3ELNS1_3repE0EEENS1_30default_config_static_selectorELNS0_4arch9wavefront6targetE0EEEvSY_.has_dyn_sized_stack, 0
	.set _ZN7rocprim17ROCPRIM_400000_NS6detail17trampoline_kernelINS0_14default_configENS1_27lower_bound_config_selectorIflEEZNS1_14transform_implILb0ES3_S5_N6thrust23THRUST_200600_302600_NS6detail15normal_iteratorINS8_7pointerIfNS8_11hip_rocprim9par_det_tENS8_11use_defaultESE_EEEENSA_INSB_IlSD_SE_SE_EEEEZNS1_13binary_searchIS3_S5_NSA_INS8_10device_ptrIfEEEESG_SI_NS1_21lower_bound_search_opENS9_16wrapped_functionINS8_6system6detail7generic6detail18binary_search_lessEbEEEE10hipError_tPvRmT1_T2_T3_mmT4_T5_P12ihipStream_tbEUlRKfE_EESV_SZ_S10_mS11_S14_bEUlT_E_NS1_11comp_targetILNS1_3genE9ELNS1_11target_archE1100ELNS1_3gpuE3ELNS1_3repE0EEENS1_30default_config_static_selectorELNS0_4arch9wavefront6targetE0EEEvSY_.has_recursion, 0
	.set _ZN7rocprim17ROCPRIM_400000_NS6detail17trampoline_kernelINS0_14default_configENS1_27lower_bound_config_selectorIflEEZNS1_14transform_implILb0ES3_S5_N6thrust23THRUST_200600_302600_NS6detail15normal_iteratorINS8_7pointerIfNS8_11hip_rocprim9par_det_tENS8_11use_defaultESE_EEEENSA_INSB_IlSD_SE_SE_EEEEZNS1_13binary_searchIS3_S5_NSA_INS8_10device_ptrIfEEEESG_SI_NS1_21lower_bound_search_opENS9_16wrapped_functionINS8_6system6detail7generic6detail18binary_search_lessEbEEEE10hipError_tPvRmT1_T2_T3_mmT4_T5_P12ihipStream_tbEUlRKfE_EESV_SZ_S10_mS11_S14_bEUlT_E_NS1_11comp_targetILNS1_3genE9ELNS1_11target_archE1100ELNS1_3gpuE3ELNS1_3repE0EEENS1_30default_config_static_selectorELNS0_4arch9wavefront6targetE0EEEvSY_.has_indirect_call, 0
	.section	.AMDGPU.csdata,"",@progbits
; Kernel info:
; codeLenInByte = 0
; TotalNumSgprs: 0
; NumVgprs: 0
; ScratchSize: 0
; MemoryBound: 0
; FloatMode: 240
; IeeeMode: 1
; LDSByteSize: 0 bytes/workgroup (compile time only)
; SGPRBlocks: 0
; VGPRBlocks: 0
; NumSGPRsForWavesPerEU: 1
; NumVGPRsForWavesPerEU: 1
; Occupancy: 16
; WaveLimiterHint : 0
; COMPUTE_PGM_RSRC2:SCRATCH_EN: 0
; COMPUTE_PGM_RSRC2:USER_SGPR: 6
; COMPUTE_PGM_RSRC2:TRAP_HANDLER: 0
; COMPUTE_PGM_RSRC2:TGID_X_EN: 1
; COMPUTE_PGM_RSRC2:TGID_Y_EN: 0
; COMPUTE_PGM_RSRC2:TGID_Z_EN: 0
; COMPUTE_PGM_RSRC2:TIDIG_COMP_CNT: 0
	.section	.text._ZN7rocprim17ROCPRIM_400000_NS6detail17trampoline_kernelINS0_14default_configENS1_27lower_bound_config_selectorIflEEZNS1_14transform_implILb0ES3_S5_N6thrust23THRUST_200600_302600_NS6detail15normal_iteratorINS8_7pointerIfNS8_11hip_rocprim9par_det_tENS8_11use_defaultESE_EEEENSA_INSB_IlSD_SE_SE_EEEEZNS1_13binary_searchIS3_S5_NSA_INS8_10device_ptrIfEEEESG_SI_NS1_21lower_bound_search_opENS9_16wrapped_functionINS8_6system6detail7generic6detail18binary_search_lessEbEEEE10hipError_tPvRmT1_T2_T3_mmT4_T5_P12ihipStream_tbEUlRKfE_EESV_SZ_S10_mS11_S14_bEUlT_E_NS1_11comp_targetILNS1_3genE8ELNS1_11target_archE1030ELNS1_3gpuE2ELNS1_3repE0EEENS1_30default_config_static_selectorELNS0_4arch9wavefront6targetE0EEEvSY_,"axG",@progbits,_ZN7rocprim17ROCPRIM_400000_NS6detail17trampoline_kernelINS0_14default_configENS1_27lower_bound_config_selectorIflEEZNS1_14transform_implILb0ES3_S5_N6thrust23THRUST_200600_302600_NS6detail15normal_iteratorINS8_7pointerIfNS8_11hip_rocprim9par_det_tENS8_11use_defaultESE_EEEENSA_INSB_IlSD_SE_SE_EEEEZNS1_13binary_searchIS3_S5_NSA_INS8_10device_ptrIfEEEESG_SI_NS1_21lower_bound_search_opENS9_16wrapped_functionINS8_6system6detail7generic6detail18binary_search_lessEbEEEE10hipError_tPvRmT1_T2_T3_mmT4_T5_P12ihipStream_tbEUlRKfE_EESV_SZ_S10_mS11_S14_bEUlT_E_NS1_11comp_targetILNS1_3genE8ELNS1_11target_archE1030ELNS1_3gpuE2ELNS1_3repE0EEENS1_30default_config_static_selectorELNS0_4arch9wavefront6targetE0EEEvSY_,comdat
	.protected	_ZN7rocprim17ROCPRIM_400000_NS6detail17trampoline_kernelINS0_14default_configENS1_27lower_bound_config_selectorIflEEZNS1_14transform_implILb0ES3_S5_N6thrust23THRUST_200600_302600_NS6detail15normal_iteratorINS8_7pointerIfNS8_11hip_rocprim9par_det_tENS8_11use_defaultESE_EEEENSA_INSB_IlSD_SE_SE_EEEEZNS1_13binary_searchIS3_S5_NSA_INS8_10device_ptrIfEEEESG_SI_NS1_21lower_bound_search_opENS9_16wrapped_functionINS8_6system6detail7generic6detail18binary_search_lessEbEEEE10hipError_tPvRmT1_T2_T3_mmT4_T5_P12ihipStream_tbEUlRKfE_EESV_SZ_S10_mS11_S14_bEUlT_E_NS1_11comp_targetILNS1_3genE8ELNS1_11target_archE1030ELNS1_3gpuE2ELNS1_3repE0EEENS1_30default_config_static_selectorELNS0_4arch9wavefront6targetE0EEEvSY_ ; -- Begin function _ZN7rocprim17ROCPRIM_400000_NS6detail17trampoline_kernelINS0_14default_configENS1_27lower_bound_config_selectorIflEEZNS1_14transform_implILb0ES3_S5_N6thrust23THRUST_200600_302600_NS6detail15normal_iteratorINS8_7pointerIfNS8_11hip_rocprim9par_det_tENS8_11use_defaultESE_EEEENSA_INSB_IlSD_SE_SE_EEEEZNS1_13binary_searchIS3_S5_NSA_INS8_10device_ptrIfEEEESG_SI_NS1_21lower_bound_search_opENS9_16wrapped_functionINS8_6system6detail7generic6detail18binary_search_lessEbEEEE10hipError_tPvRmT1_T2_T3_mmT4_T5_P12ihipStream_tbEUlRKfE_EESV_SZ_S10_mS11_S14_bEUlT_E_NS1_11comp_targetILNS1_3genE8ELNS1_11target_archE1030ELNS1_3gpuE2ELNS1_3repE0EEENS1_30default_config_static_selectorELNS0_4arch9wavefront6targetE0EEEvSY_
	.globl	_ZN7rocprim17ROCPRIM_400000_NS6detail17trampoline_kernelINS0_14default_configENS1_27lower_bound_config_selectorIflEEZNS1_14transform_implILb0ES3_S5_N6thrust23THRUST_200600_302600_NS6detail15normal_iteratorINS8_7pointerIfNS8_11hip_rocprim9par_det_tENS8_11use_defaultESE_EEEENSA_INSB_IlSD_SE_SE_EEEEZNS1_13binary_searchIS3_S5_NSA_INS8_10device_ptrIfEEEESG_SI_NS1_21lower_bound_search_opENS9_16wrapped_functionINS8_6system6detail7generic6detail18binary_search_lessEbEEEE10hipError_tPvRmT1_T2_T3_mmT4_T5_P12ihipStream_tbEUlRKfE_EESV_SZ_S10_mS11_S14_bEUlT_E_NS1_11comp_targetILNS1_3genE8ELNS1_11target_archE1030ELNS1_3gpuE2ELNS1_3repE0EEENS1_30default_config_static_selectorELNS0_4arch9wavefront6targetE0EEEvSY_
	.p2align	8
	.type	_ZN7rocprim17ROCPRIM_400000_NS6detail17trampoline_kernelINS0_14default_configENS1_27lower_bound_config_selectorIflEEZNS1_14transform_implILb0ES3_S5_N6thrust23THRUST_200600_302600_NS6detail15normal_iteratorINS8_7pointerIfNS8_11hip_rocprim9par_det_tENS8_11use_defaultESE_EEEENSA_INSB_IlSD_SE_SE_EEEEZNS1_13binary_searchIS3_S5_NSA_INS8_10device_ptrIfEEEESG_SI_NS1_21lower_bound_search_opENS9_16wrapped_functionINS8_6system6detail7generic6detail18binary_search_lessEbEEEE10hipError_tPvRmT1_T2_T3_mmT4_T5_P12ihipStream_tbEUlRKfE_EESV_SZ_S10_mS11_S14_bEUlT_E_NS1_11comp_targetILNS1_3genE8ELNS1_11target_archE1030ELNS1_3gpuE2ELNS1_3repE0EEENS1_30default_config_static_selectorELNS0_4arch9wavefront6targetE0EEEvSY_,@function
_ZN7rocprim17ROCPRIM_400000_NS6detail17trampoline_kernelINS0_14default_configENS1_27lower_bound_config_selectorIflEEZNS1_14transform_implILb0ES3_S5_N6thrust23THRUST_200600_302600_NS6detail15normal_iteratorINS8_7pointerIfNS8_11hip_rocprim9par_det_tENS8_11use_defaultESE_EEEENSA_INSB_IlSD_SE_SE_EEEEZNS1_13binary_searchIS3_S5_NSA_INS8_10device_ptrIfEEEESG_SI_NS1_21lower_bound_search_opENS9_16wrapped_functionINS8_6system6detail7generic6detail18binary_search_lessEbEEEE10hipError_tPvRmT1_T2_T3_mmT4_T5_P12ihipStream_tbEUlRKfE_EESV_SZ_S10_mS11_S14_bEUlT_E_NS1_11comp_targetILNS1_3genE8ELNS1_11target_archE1030ELNS1_3gpuE2ELNS1_3repE0EEENS1_30default_config_static_selectorELNS0_4arch9wavefront6targetE0EEEvSY_: ; @_ZN7rocprim17ROCPRIM_400000_NS6detail17trampoline_kernelINS0_14default_configENS1_27lower_bound_config_selectorIflEEZNS1_14transform_implILb0ES3_S5_N6thrust23THRUST_200600_302600_NS6detail15normal_iteratorINS8_7pointerIfNS8_11hip_rocprim9par_det_tENS8_11use_defaultESE_EEEENSA_INSB_IlSD_SE_SE_EEEEZNS1_13binary_searchIS3_S5_NSA_INS8_10device_ptrIfEEEESG_SI_NS1_21lower_bound_search_opENS9_16wrapped_functionINS8_6system6detail7generic6detail18binary_search_lessEbEEEE10hipError_tPvRmT1_T2_T3_mmT4_T5_P12ihipStream_tbEUlRKfE_EESV_SZ_S10_mS11_S14_bEUlT_E_NS1_11comp_targetILNS1_3genE8ELNS1_11target_archE1030ELNS1_3gpuE2ELNS1_3repE0EEENS1_30default_config_static_selectorELNS0_4arch9wavefront6targetE0EEEvSY_
; %bb.0:
	s_clause 0x3
	s_load_dwordx4 s[12:15], s[4:5], 0x0
	s_load_dwordx4 s[0:3], s[4:5], 0x18
	s_load_dword s16, s[4:5], 0x38
	s_load_dwordx2 s[10:11], s[4:5], 0x28
	s_waitcnt lgkmcnt(0)
	s_lshl_b64 s[8:9], s[14:15], 2
	s_add_u32 s12, s12, s8
	s_addc_u32 s13, s13, s9
	s_lshl_b64 s[8:9], s[14:15], 3
	s_add_u32 s7, s0, s8
	s_addc_u32 s1, s1, s9
	s_add_i32 s16, s16, -1
	s_lshl_b32 s8, s6, 8
	s_mov_b32 s9, 0
	s_cmp_lg_u32 s6, s16
	s_mov_b32 s0, -1
	s_cbranch_scc0 .LBB348_7
; %bb.1:
	s_cmp_eq_u64 s[10:11], 0
	s_cbranch_scc1 .LBB348_5
; %bb.2:
	v_lshlrev_b32_e32 v1, 2, v0
	s_lshl_b64 s[14:15], s[8:9], 2
	v_mov_b32_e32 v3, s10
	s_add_u32 s0, s12, s14
	s_addc_u32 s6, s13, s15
	v_add_co_u32 v1, s0, s0, v1
	v_add_co_ci_u32_e64 v2, null, s6, 0, s0
	v_mov_b32_e32 v4, s11
	s_mov_b32 s0, 0
	flat_load_dword v5, v[1:2]
	v_mov_b32_e32 v1, 0
	v_mov_b32_e32 v2, 0
	s_inst_prefetch 0x1
	.p2align	6
.LBB348_3:                              ; =>This Inner Loop Header: Depth=1
	v_sub_co_u32 v6, vcc_lo, v3, v1
	v_sub_co_ci_u32_e64 v7, null, v4, v2, vcc_lo
	v_lshrrev_b64 v[8:9], 1, v[6:7]
	v_lshrrev_b64 v[6:7], 6, v[6:7]
	v_add_co_u32 v8, vcc_lo, v8, v1
	v_add_co_ci_u32_e64 v9, null, v9, v2, vcc_lo
	v_add_co_u32 v6, vcc_lo, v8, v6
	v_add_co_ci_u32_e64 v7, null, v9, v7, vcc_lo
	v_lshlrev_b64 v[8:9], 2, v[6:7]
	v_add_co_u32 v8, vcc_lo, s2, v8
	v_add_co_ci_u32_e64 v9, null, s3, v9, vcc_lo
	global_load_dword v8, v[8:9], off
	v_add_co_u32 v9, vcc_lo, v6, 1
	v_add_co_ci_u32_e64 v10, null, 0, v7, vcc_lo
	s_waitcnt vmcnt(0) lgkmcnt(0)
	v_cmp_lt_f32_e32 vcc_lo, v8, v5
	v_cndmask_b32_e32 v4, v7, v4, vcc_lo
	v_cndmask_b32_e32 v3, v6, v3, vcc_lo
	;; [unrolled: 1-line block ×4, first 2 shown]
	v_cmp_ge_u64_e32 vcc_lo, v[1:2], v[3:4]
	s_or_b32 s0, vcc_lo, s0
	s_andn2_b32 exec_lo, exec_lo, s0
	s_cbranch_execnz .LBB348_3
; %bb.4:
	s_inst_prefetch 0x2
	s_or_b32 exec_lo, exec_lo, s0
	s_branch .LBB348_6
.LBB348_5:
	v_mov_b32_e32 v1, 0
	v_mov_b32_e32 v2, 0
.LBB348_6:
	v_lshlrev_b32_e32 v3, 3, v0
	s_lshl_b64 s[14:15], s[8:9], 3
	s_add_u32 s0, s7, s14
	s_addc_u32 s6, s1, s15
	v_add_co_u32 v3, s0, s0, v3
	v_add_co_ci_u32_e64 v4, null, s6, 0, s0
	s_mov_b32 s0, 0
	flat_store_dwordx2 v[3:4], v[1:2]
.LBB348_7:
	s_and_b32 vcc_lo, exec_lo, s0
	s_cbranch_vccz .LBB348_16
; %bb.8:
	s_load_dword s0, s[4:5], 0x10
                                        ; implicit-def: $vgpr5
	s_waitcnt lgkmcnt(0)
	s_sub_i32 s4, s0, s8
	v_cmp_le_u32_e64 s0, s4, v0
	v_cmp_gt_u32_e32 vcc_lo, s4, v0
	s_and_saveexec_b32 s4, vcc_lo
	s_cbranch_execz .LBB348_10
; %bb.9:
	v_lshlrev_b32_e32 v1, 2, v0
	s_lshl_b64 s[14:15], s[8:9], 2
	s_add_u32 s5, s12, s14
	s_addc_u32 s6, s13, s15
	v_add_co_u32 v1, s5, s5, v1
	v_add_co_ci_u32_e64 v2, null, s6, 0, s5
	flat_load_dword v5, v[1:2]
.LBB348_10:
	s_or_b32 exec_lo, exec_lo, s4
	s_cmp_lg_u64 s[10:11], 0
	v_mov_b32_e32 v1, 0
	v_mov_b32_e32 v2, 0
	s_cselect_b32 s4, -1, 0
	s_xor_b32 s0, s0, -1
	s_and_b32 s0, s0, s4
	s_and_saveexec_b32 s4, s0
	s_cbranch_execz .LBB348_14
; %bb.11:
	v_mov_b32_e32 v1, 0
	v_mov_b32_e32 v3, s10
	;; [unrolled: 1-line block ×4, first 2 shown]
	s_mov_b32 s5, 0
	s_inst_prefetch 0x1
	.p2align	6
.LBB348_12:                             ; =>This Inner Loop Header: Depth=1
	v_sub_co_u32 v6, s0, v3, v1
	v_sub_co_ci_u32_e64 v7, null, v4, v2, s0
	v_lshrrev_b64 v[8:9], 1, v[6:7]
	v_lshrrev_b64 v[6:7], 6, v[6:7]
	v_add_co_u32 v8, s0, v8, v1
	v_add_co_ci_u32_e64 v9, null, v9, v2, s0
	v_add_co_u32 v6, s0, v8, v6
	v_add_co_ci_u32_e64 v7, null, v9, v7, s0
	v_lshlrev_b64 v[8:9], 2, v[6:7]
	v_add_co_u32 v8, s0, s2, v8
	v_add_co_ci_u32_e64 v9, null, s3, v9, s0
	global_load_dword v8, v[8:9], off
	v_add_co_u32 v9, s0, v6, 1
	v_add_co_ci_u32_e64 v10, null, 0, v7, s0
	s_waitcnt vmcnt(0) lgkmcnt(0)
	v_cmp_lt_f32_e64 s0, v8, v5
	v_cndmask_b32_e64 v4, v7, v4, s0
	v_cndmask_b32_e64 v3, v6, v3, s0
	;; [unrolled: 1-line block ×4, first 2 shown]
	v_cmp_ge_u64_e64 s0, v[1:2], v[3:4]
	s_or_b32 s5, s0, s5
	s_andn2_b32 exec_lo, exec_lo, s5
	s_cbranch_execnz .LBB348_12
; %bb.13:
	s_inst_prefetch 0x2
	s_or_b32 exec_lo, exec_lo, s5
.LBB348_14:
	s_or_b32 exec_lo, exec_lo, s4
	s_and_saveexec_b32 s0, vcc_lo
	s_cbranch_execz .LBB348_16
; %bb.15:
	v_lshlrev_b32_e32 v0, 3, v0
	s_lshl_b64 s[2:3], s[8:9], 3
	s_add_u32 s0, s7, s2
	s_addc_u32 s1, s1, s3
	v_add_co_u32 v3, s0, s0, v0
	v_add_co_ci_u32_e64 v4, null, s1, 0, s0
	flat_store_dwordx2 v[3:4], v[1:2]
.LBB348_16:
	s_endpgm
	.section	.rodata,"a",@progbits
	.p2align	6, 0x0
	.amdhsa_kernel _ZN7rocprim17ROCPRIM_400000_NS6detail17trampoline_kernelINS0_14default_configENS1_27lower_bound_config_selectorIflEEZNS1_14transform_implILb0ES3_S5_N6thrust23THRUST_200600_302600_NS6detail15normal_iteratorINS8_7pointerIfNS8_11hip_rocprim9par_det_tENS8_11use_defaultESE_EEEENSA_INSB_IlSD_SE_SE_EEEEZNS1_13binary_searchIS3_S5_NSA_INS8_10device_ptrIfEEEESG_SI_NS1_21lower_bound_search_opENS9_16wrapped_functionINS8_6system6detail7generic6detail18binary_search_lessEbEEEE10hipError_tPvRmT1_T2_T3_mmT4_T5_P12ihipStream_tbEUlRKfE_EESV_SZ_S10_mS11_S14_bEUlT_E_NS1_11comp_targetILNS1_3genE8ELNS1_11target_archE1030ELNS1_3gpuE2ELNS1_3repE0EEENS1_30default_config_static_selectorELNS0_4arch9wavefront6targetE0EEEvSY_
		.amdhsa_group_segment_fixed_size 0
		.amdhsa_private_segment_fixed_size 0
		.amdhsa_kernarg_size 312
		.amdhsa_user_sgpr_count 6
		.amdhsa_user_sgpr_private_segment_buffer 1
		.amdhsa_user_sgpr_dispatch_ptr 0
		.amdhsa_user_sgpr_queue_ptr 0
		.amdhsa_user_sgpr_kernarg_segment_ptr 1
		.amdhsa_user_sgpr_dispatch_id 0
		.amdhsa_user_sgpr_flat_scratch_init 0
		.amdhsa_user_sgpr_private_segment_size 0
		.amdhsa_wavefront_size32 1
		.amdhsa_uses_dynamic_stack 0
		.amdhsa_system_sgpr_private_segment_wavefront_offset 0
		.amdhsa_system_sgpr_workgroup_id_x 1
		.amdhsa_system_sgpr_workgroup_id_y 0
		.amdhsa_system_sgpr_workgroup_id_z 0
		.amdhsa_system_sgpr_workgroup_info 0
		.amdhsa_system_vgpr_workitem_id 0
		.amdhsa_next_free_vgpr 11
		.amdhsa_next_free_sgpr 17
		.amdhsa_reserve_vcc 1
		.amdhsa_reserve_flat_scratch 0
		.amdhsa_float_round_mode_32 0
		.amdhsa_float_round_mode_16_64 0
		.amdhsa_float_denorm_mode_32 3
		.amdhsa_float_denorm_mode_16_64 3
		.amdhsa_dx10_clamp 1
		.amdhsa_ieee_mode 1
		.amdhsa_fp16_overflow 0
		.amdhsa_workgroup_processor_mode 1
		.amdhsa_memory_ordered 1
		.amdhsa_forward_progress 1
		.amdhsa_shared_vgpr_count 0
		.amdhsa_exception_fp_ieee_invalid_op 0
		.amdhsa_exception_fp_denorm_src 0
		.amdhsa_exception_fp_ieee_div_zero 0
		.amdhsa_exception_fp_ieee_overflow 0
		.amdhsa_exception_fp_ieee_underflow 0
		.amdhsa_exception_fp_ieee_inexact 0
		.amdhsa_exception_int_div_zero 0
	.end_amdhsa_kernel
	.section	.text._ZN7rocprim17ROCPRIM_400000_NS6detail17trampoline_kernelINS0_14default_configENS1_27lower_bound_config_selectorIflEEZNS1_14transform_implILb0ES3_S5_N6thrust23THRUST_200600_302600_NS6detail15normal_iteratorINS8_7pointerIfNS8_11hip_rocprim9par_det_tENS8_11use_defaultESE_EEEENSA_INSB_IlSD_SE_SE_EEEEZNS1_13binary_searchIS3_S5_NSA_INS8_10device_ptrIfEEEESG_SI_NS1_21lower_bound_search_opENS9_16wrapped_functionINS8_6system6detail7generic6detail18binary_search_lessEbEEEE10hipError_tPvRmT1_T2_T3_mmT4_T5_P12ihipStream_tbEUlRKfE_EESV_SZ_S10_mS11_S14_bEUlT_E_NS1_11comp_targetILNS1_3genE8ELNS1_11target_archE1030ELNS1_3gpuE2ELNS1_3repE0EEENS1_30default_config_static_selectorELNS0_4arch9wavefront6targetE0EEEvSY_,"axG",@progbits,_ZN7rocprim17ROCPRIM_400000_NS6detail17trampoline_kernelINS0_14default_configENS1_27lower_bound_config_selectorIflEEZNS1_14transform_implILb0ES3_S5_N6thrust23THRUST_200600_302600_NS6detail15normal_iteratorINS8_7pointerIfNS8_11hip_rocprim9par_det_tENS8_11use_defaultESE_EEEENSA_INSB_IlSD_SE_SE_EEEEZNS1_13binary_searchIS3_S5_NSA_INS8_10device_ptrIfEEEESG_SI_NS1_21lower_bound_search_opENS9_16wrapped_functionINS8_6system6detail7generic6detail18binary_search_lessEbEEEE10hipError_tPvRmT1_T2_T3_mmT4_T5_P12ihipStream_tbEUlRKfE_EESV_SZ_S10_mS11_S14_bEUlT_E_NS1_11comp_targetILNS1_3genE8ELNS1_11target_archE1030ELNS1_3gpuE2ELNS1_3repE0EEENS1_30default_config_static_selectorELNS0_4arch9wavefront6targetE0EEEvSY_,comdat
.Lfunc_end348:
	.size	_ZN7rocprim17ROCPRIM_400000_NS6detail17trampoline_kernelINS0_14default_configENS1_27lower_bound_config_selectorIflEEZNS1_14transform_implILb0ES3_S5_N6thrust23THRUST_200600_302600_NS6detail15normal_iteratorINS8_7pointerIfNS8_11hip_rocprim9par_det_tENS8_11use_defaultESE_EEEENSA_INSB_IlSD_SE_SE_EEEEZNS1_13binary_searchIS3_S5_NSA_INS8_10device_ptrIfEEEESG_SI_NS1_21lower_bound_search_opENS9_16wrapped_functionINS8_6system6detail7generic6detail18binary_search_lessEbEEEE10hipError_tPvRmT1_T2_T3_mmT4_T5_P12ihipStream_tbEUlRKfE_EESV_SZ_S10_mS11_S14_bEUlT_E_NS1_11comp_targetILNS1_3genE8ELNS1_11target_archE1030ELNS1_3gpuE2ELNS1_3repE0EEENS1_30default_config_static_selectorELNS0_4arch9wavefront6targetE0EEEvSY_, .Lfunc_end348-_ZN7rocprim17ROCPRIM_400000_NS6detail17trampoline_kernelINS0_14default_configENS1_27lower_bound_config_selectorIflEEZNS1_14transform_implILb0ES3_S5_N6thrust23THRUST_200600_302600_NS6detail15normal_iteratorINS8_7pointerIfNS8_11hip_rocprim9par_det_tENS8_11use_defaultESE_EEEENSA_INSB_IlSD_SE_SE_EEEEZNS1_13binary_searchIS3_S5_NSA_INS8_10device_ptrIfEEEESG_SI_NS1_21lower_bound_search_opENS9_16wrapped_functionINS8_6system6detail7generic6detail18binary_search_lessEbEEEE10hipError_tPvRmT1_T2_T3_mmT4_T5_P12ihipStream_tbEUlRKfE_EESV_SZ_S10_mS11_S14_bEUlT_E_NS1_11comp_targetILNS1_3genE8ELNS1_11target_archE1030ELNS1_3gpuE2ELNS1_3repE0EEENS1_30default_config_static_selectorELNS0_4arch9wavefront6targetE0EEEvSY_
                                        ; -- End function
	.set _ZN7rocprim17ROCPRIM_400000_NS6detail17trampoline_kernelINS0_14default_configENS1_27lower_bound_config_selectorIflEEZNS1_14transform_implILb0ES3_S5_N6thrust23THRUST_200600_302600_NS6detail15normal_iteratorINS8_7pointerIfNS8_11hip_rocprim9par_det_tENS8_11use_defaultESE_EEEENSA_INSB_IlSD_SE_SE_EEEEZNS1_13binary_searchIS3_S5_NSA_INS8_10device_ptrIfEEEESG_SI_NS1_21lower_bound_search_opENS9_16wrapped_functionINS8_6system6detail7generic6detail18binary_search_lessEbEEEE10hipError_tPvRmT1_T2_T3_mmT4_T5_P12ihipStream_tbEUlRKfE_EESV_SZ_S10_mS11_S14_bEUlT_E_NS1_11comp_targetILNS1_3genE8ELNS1_11target_archE1030ELNS1_3gpuE2ELNS1_3repE0EEENS1_30default_config_static_selectorELNS0_4arch9wavefront6targetE0EEEvSY_.num_vgpr, 11
	.set _ZN7rocprim17ROCPRIM_400000_NS6detail17trampoline_kernelINS0_14default_configENS1_27lower_bound_config_selectorIflEEZNS1_14transform_implILb0ES3_S5_N6thrust23THRUST_200600_302600_NS6detail15normal_iteratorINS8_7pointerIfNS8_11hip_rocprim9par_det_tENS8_11use_defaultESE_EEEENSA_INSB_IlSD_SE_SE_EEEEZNS1_13binary_searchIS3_S5_NSA_INS8_10device_ptrIfEEEESG_SI_NS1_21lower_bound_search_opENS9_16wrapped_functionINS8_6system6detail7generic6detail18binary_search_lessEbEEEE10hipError_tPvRmT1_T2_T3_mmT4_T5_P12ihipStream_tbEUlRKfE_EESV_SZ_S10_mS11_S14_bEUlT_E_NS1_11comp_targetILNS1_3genE8ELNS1_11target_archE1030ELNS1_3gpuE2ELNS1_3repE0EEENS1_30default_config_static_selectorELNS0_4arch9wavefront6targetE0EEEvSY_.num_agpr, 0
	.set _ZN7rocprim17ROCPRIM_400000_NS6detail17trampoline_kernelINS0_14default_configENS1_27lower_bound_config_selectorIflEEZNS1_14transform_implILb0ES3_S5_N6thrust23THRUST_200600_302600_NS6detail15normal_iteratorINS8_7pointerIfNS8_11hip_rocprim9par_det_tENS8_11use_defaultESE_EEEENSA_INSB_IlSD_SE_SE_EEEEZNS1_13binary_searchIS3_S5_NSA_INS8_10device_ptrIfEEEESG_SI_NS1_21lower_bound_search_opENS9_16wrapped_functionINS8_6system6detail7generic6detail18binary_search_lessEbEEEE10hipError_tPvRmT1_T2_T3_mmT4_T5_P12ihipStream_tbEUlRKfE_EESV_SZ_S10_mS11_S14_bEUlT_E_NS1_11comp_targetILNS1_3genE8ELNS1_11target_archE1030ELNS1_3gpuE2ELNS1_3repE0EEENS1_30default_config_static_selectorELNS0_4arch9wavefront6targetE0EEEvSY_.numbered_sgpr, 17
	.set _ZN7rocprim17ROCPRIM_400000_NS6detail17trampoline_kernelINS0_14default_configENS1_27lower_bound_config_selectorIflEEZNS1_14transform_implILb0ES3_S5_N6thrust23THRUST_200600_302600_NS6detail15normal_iteratorINS8_7pointerIfNS8_11hip_rocprim9par_det_tENS8_11use_defaultESE_EEEENSA_INSB_IlSD_SE_SE_EEEEZNS1_13binary_searchIS3_S5_NSA_INS8_10device_ptrIfEEEESG_SI_NS1_21lower_bound_search_opENS9_16wrapped_functionINS8_6system6detail7generic6detail18binary_search_lessEbEEEE10hipError_tPvRmT1_T2_T3_mmT4_T5_P12ihipStream_tbEUlRKfE_EESV_SZ_S10_mS11_S14_bEUlT_E_NS1_11comp_targetILNS1_3genE8ELNS1_11target_archE1030ELNS1_3gpuE2ELNS1_3repE0EEENS1_30default_config_static_selectorELNS0_4arch9wavefront6targetE0EEEvSY_.num_named_barrier, 0
	.set _ZN7rocprim17ROCPRIM_400000_NS6detail17trampoline_kernelINS0_14default_configENS1_27lower_bound_config_selectorIflEEZNS1_14transform_implILb0ES3_S5_N6thrust23THRUST_200600_302600_NS6detail15normal_iteratorINS8_7pointerIfNS8_11hip_rocprim9par_det_tENS8_11use_defaultESE_EEEENSA_INSB_IlSD_SE_SE_EEEEZNS1_13binary_searchIS3_S5_NSA_INS8_10device_ptrIfEEEESG_SI_NS1_21lower_bound_search_opENS9_16wrapped_functionINS8_6system6detail7generic6detail18binary_search_lessEbEEEE10hipError_tPvRmT1_T2_T3_mmT4_T5_P12ihipStream_tbEUlRKfE_EESV_SZ_S10_mS11_S14_bEUlT_E_NS1_11comp_targetILNS1_3genE8ELNS1_11target_archE1030ELNS1_3gpuE2ELNS1_3repE0EEENS1_30default_config_static_selectorELNS0_4arch9wavefront6targetE0EEEvSY_.private_seg_size, 0
	.set _ZN7rocprim17ROCPRIM_400000_NS6detail17trampoline_kernelINS0_14default_configENS1_27lower_bound_config_selectorIflEEZNS1_14transform_implILb0ES3_S5_N6thrust23THRUST_200600_302600_NS6detail15normal_iteratorINS8_7pointerIfNS8_11hip_rocprim9par_det_tENS8_11use_defaultESE_EEEENSA_INSB_IlSD_SE_SE_EEEEZNS1_13binary_searchIS3_S5_NSA_INS8_10device_ptrIfEEEESG_SI_NS1_21lower_bound_search_opENS9_16wrapped_functionINS8_6system6detail7generic6detail18binary_search_lessEbEEEE10hipError_tPvRmT1_T2_T3_mmT4_T5_P12ihipStream_tbEUlRKfE_EESV_SZ_S10_mS11_S14_bEUlT_E_NS1_11comp_targetILNS1_3genE8ELNS1_11target_archE1030ELNS1_3gpuE2ELNS1_3repE0EEENS1_30default_config_static_selectorELNS0_4arch9wavefront6targetE0EEEvSY_.uses_vcc, 1
	.set _ZN7rocprim17ROCPRIM_400000_NS6detail17trampoline_kernelINS0_14default_configENS1_27lower_bound_config_selectorIflEEZNS1_14transform_implILb0ES3_S5_N6thrust23THRUST_200600_302600_NS6detail15normal_iteratorINS8_7pointerIfNS8_11hip_rocprim9par_det_tENS8_11use_defaultESE_EEEENSA_INSB_IlSD_SE_SE_EEEEZNS1_13binary_searchIS3_S5_NSA_INS8_10device_ptrIfEEEESG_SI_NS1_21lower_bound_search_opENS9_16wrapped_functionINS8_6system6detail7generic6detail18binary_search_lessEbEEEE10hipError_tPvRmT1_T2_T3_mmT4_T5_P12ihipStream_tbEUlRKfE_EESV_SZ_S10_mS11_S14_bEUlT_E_NS1_11comp_targetILNS1_3genE8ELNS1_11target_archE1030ELNS1_3gpuE2ELNS1_3repE0EEENS1_30default_config_static_selectorELNS0_4arch9wavefront6targetE0EEEvSY_.uses_flat_scratch, 0
	.set _ZN7rocprim17ROCPRIM_400000_NS6detail17trampoline_kernelINS0_14default_configENS1_27lower_bound_config_selectorIflEEZNS1_14transform_implILb0ES3_S5_N6thrust23THRUST_200600_302600_NS6detail15normal_iteratorINS8_7pointerIfNS8_11hip_rocprim9par_det_tENS8_11use_defaultESE_EEEENSA_INSB_IlSD_SE_SE_EEEEZNS1_13binary_searchIS3_S5_NSA_INS8_10device_ptrIfEEEESG_SI_NS1_21lower_bound_search_opENS9_16wrapped_functionINS8_6system6detail7generic6detail18binary_search_lessEbEEEE10hipError_tPvRmT1_T2_T3_mmT4_T5_P12ihipStream_tbEUlRKfE_EESV_SZ_S10_mS11_S14_bEUlT_E_NS1_11comp_targetILNS1_3genE8ELNS1_11target_archE1030ELNS1_3gpuE2ELNS1_3repE0EEENS1_30default_config_static_selectorELNS0_4arch9wavefront6targetE0EEEvSY_.has_dyn_sized_stack, 0
	.set _ZN7rocprim17ROCPRIM_400000_NS6detail17trampoline_kernelINS0_14default_configENS1_27lower_bound_config_selectorIflEEZNS1_14transform_implILb0ES3_S5_N6thrust23THRUST_200600_302600_NS6detail15normal_iteratorINS8_7pointerIfNS8_11hip_rocprim9par_det_tENS8_11use_defaultESE_EEEENSA_INSB_IlSD_SE_SE_EEEEZNS1_13binary_searchIS3_S5_NSA_INS8_10device_ptrIfEEEESG_SI_NS1_21lower_bound_search_opENS9_16wrapped_functionINS8_6system6detail7generic6detail18binary_search_lessEbEEEE10hipError_tPvRmT1_T2_T3_mmT4_T5_P12ihipStream_tbEUlRKfE_EESV_SZ_S10_mS11_S14_bEUlT_E_NS1_11comp_targetILNS1_3genE8ELNS1_11target_archE1030ELNS1_3gpuE2ELNS1_3repE0EEENS1_30default_config_static_selectorELNS0_4arch9wavefront6targetE0EEEvSY_.has_recursion, 0
	.set _ZN7rocprim17ROCPRIM_400000_NS6detail17trampoline_kernelINS0_14default_configENS1_27lower_bound_config_selectorIflEEZNS1_14transform_implILb0ES3_S5_N6thrust23THRUST_200600_302600_NS6detail15normal_iteratorINS8_7pointerIfNS8_11hip_rocprim9par_det_tENS8_11use_defaultESE_EEEENSA_INSB_IlSD_SE_SE_EEEEZNS1_13binary_searchIS3_S5_NSA_INS8_10device_ptrIfEEEESG_SI_NS1_21lower_bound_search_opENS9_16wrapped_functionINS8_6system6detail7generic6detail18binary_search_lessEbEEEE10hipError_tPvRmT1_T2_T3_mmT4_T5_P12ihipStream_tbEUlRKfE_EESV_SZ_S10_mS11_S14_bEUlT_E_NS1_11comp_targetILNS1_3genE8ELNS1_11target_archE1030ELNS1_3gpuE2ELNS1_3repE0EEENS1_30default_config_static_selectorELNS0_4arch9wavefront6targetE0EEEvSY_.has_indirect_call, 0
	.section	.AMDGPU.csdata,"",@progbits
; Kernel info:
; codeLenInByte = 816
; TotalNumSgprs: 19
; NumVgprs: 11
; ScratchSize: 0
; MemoryBound: 0
; FloatMode: 240
; IeeeMode: 1
; LDSByteSize: 0 bytes/workgroup (compile time only)
; SGPRBlocks: 0
; VGPRBlocks: 1
; NumSGPRsForWavesPerEU: 19
; NumVGPRsForWavesPerEU: 11
; Occupancy: 16
; WaveLimiterHint : 0
; COMPUTE_PGM_RSRC2:SCRATCH_EN: 0
; COMPUTE_PGM_RSRC2:USER_SGPR: 6
; COMPUTE_PGM_RSRC2:TRAP_HANDLER: 0
; COMPUTE_PGM_RSRC2:TGID_X_EN: 1
; COMPUTE_PGM_RSRC2:TGID_Y_EN: 0
; COMPUTE_PGM_RSRC2:TGID_Z_EN: 0
; COMPUTE_PGM_RSRC2:TIDIG_COMP_CNT: 0
	.section	.text._ZN7rocprim17ROCPRIM_400000_NS6detail17trampoline_kernelINS0_14default_configENS1_27lower_bound_config_selectorIflEEZNS1_14transform_implILb0ES3_S5_N6thrust23THRUST_200600_302600_NS6detail15normal_iteratorINS8_7pointerIfNS8_11hip_rocprim5par_tENS8_11use_defaultESE_EEEENSA_INSB_IlSD_SE_SE_EEEEZNS1_13binary_searchIS3_S5_NSA_INS8_10device_ptrIfEEEESG_SI_NS1_21lower_bound_search_opENS9_16wrapped_functionINS8_6system6detail7generic6detail18binary_search_lessEbEEEE10hipError_tPvRmT1_T2_T3_mmT4_T5_P12ihipStream_tbEUlRKfE_EESV_SZ_S10_mS11_S14_bEUlT_E_NS1_11comp_targetILNS1_3genE0ELNS1_11target_archE4294967295ELNS1_3gpuE0ELNS1_3repE0EEENS1_30default_config_static_selectorELNS0_4arch9wavefront6targetE0EEEvSY_,"axG",@progbits,_ZN7rocprim17ROCPRIM_400000_NS6detail17trampoline_kernelINS0_14default_configENS1_27lower_bound_config_selectorIflEEZNS1_14transform_implILb0ES3_S5_N6thrust23THRUST_200600_302600_NS6detail15normal_iteratorINS8_7pointerIfNS8_11hip_rocprim5par_tENS8_11use_defaultESE_EEEENSA_INSB_IlSD_SE_SE_EEEEZNS1_13binary_searchIS3_S5_NSA_INS8_10device_ptrIfEEEESG_SI_NS1_21lower_bound_search_opENS9_16wrapped_functionINS8_6system6detail7generic6detail18binary_search_lessEbEEEE10hipError_tPvRmT1_T2_T3_mmT4_T5_P12ihipStream_tbEUlRKfE_EESV_SZ_S10_mS11_S14_bEUlT_E_NS1_11comp_targetILNS1_3genE0ELNS1_11target_archE4294967295ELNS1_3gpuE0ELNS1_3repE0EEENS1_30default_config_static_selectorELNS0_4arch9wavefront6targetE0EEEvSY_,comdat
	.protected	_ZN7rocprim17ROCPRIM_400000_NS6detail17trampoline_kernelINS0_14default_configENS1_27lower_bound_config_selectorIflEEZNS1_14transform_implILb0ES3_S5_N6thrust23THRUST_200600_302600_NS6detail15normal_iteratorINS8_7pointerIfNS8_11hip_rocprim5par_tENS8_11use_defaultESE_EEEENSA_INSB_IlSD_SE_SE_EEEEZNS1_13binary_searchIS3_S5_NSA_INS8_10device_ptrIfEEEESG_SI_NS1_21lower_bound_search_opENS9_16wrapped_functionINS8_6system6detail7generic6detail18binary_search_lessEbEEEE10hipError_tPvRmT1_T2_T3_mmT4_T5_P12ihipStream_tbEUlRKfE_EESV_SZ_S10_mS11_S14_bEUlT_E_NS1_11comp_targetILNS1_3genE0ELNS1_11target_archE4294967295ELNS1_3gpuE0ELNS1_3repE0EEENS1_30default_config_static_selectorELNS0_4arch9wavefront6targetE0EEEvSY_ ; -- Begin function _ZN7rocprim17ROCPRIM_400000_NS6detail17trampoline_kernelINS0_14default_configENS1_27lower_bound_config_selectorIflEEZNS1_14transform_implILb0ES3_S5_N6thrust23THRUST_200600_302600_NS6detail15normal_iteratorINS8_7pointerIfNS8_11hip_rocprim5par_tENS8_11use_defaultESE_EEEENSA_INSB_IlSD_SE_SE_EEEEZNS1_13binary_searchIS3_S5_NSA_INS8_10device_ptrIfEEEESG_SI_NS1_21lower_bound_search_opENS9_16wrapped_functionINS8_6system6detail7generic6detail18binary_search_lessEbEEEE10hipError_tPvRmT1_T2_T3_mmT4_T5_P12ihipStream_tbEUlRKfE_EESV_SZ_S10_mS11_S14_bEUlT_E_NS1_11comp_targetILNS1_3genE0ELNS1_11target_archE4294967295ELNS1_3gpuE0ELNS1_3repE0EEENS1_30default_config_static_selectorELNS0_4arch9wavefront6targetE0EEEvSY_
	.globl	_ZN7rocprim17ROCPRIM_400000_NS6detail17trampoline_kernelINS0_14default_configENS1_27lower_bound_config_selectorIflEEZNS1_14transform_implILb0ES3_S5_N6thrust23THRUST_200600_302600_NS6detail15normal_iteratorINS8_7pointerIfNS8_11hip_rocprim5par_tENS8_11use_defaultESE_EEEENSA_INSB_IlSD_SE_SE_EEEEZNS1_13binary_searchIS3_S5_NSA_INS8_10device_ptrIfEEEESG_SI_NS1_21lower_bound_search_opENS9_16wrapped_functionINS8_6system6detail7generic6detail18binary_search_lessEbEEEE10hipError_tPvRmT1_T2_T3_mmT4_T5_P12ihipStream_tbEUlRKfE_EESV_SZ_S10_mS11_S14_bEUlT_E_NS1_11comp_targetILNS1_3genE0ELNS1_11target_archE4294967295ELNS1_3gpuE0ELNS1_3repE0EEENS1_30default_config_static_selectorELNS0_4arch9wavefront6targetE0EEEvSY_
	.p2align	8
	.type	_ZN7rocprim17ROCPRIM_400000_NS6detail17trampoline_kernelINS0_14default_configENS1_27lower_bound_config_selectorIflEEZNS1_14transform_implILb0ES3_S5_N6thrust23THRUST_200600_302600_NS6detail15normal_iteratorINS8_7pointerIfNS8_11hip_rocprim5par_tENS8_11use_defaultESE_EEEENSA_INSB_IlSD_SE_SE_EEEEZNS1_13binary_searchIS3_S5_NSA_INS8_10device_ptrIfEEEESG_SI_NS1_21lower_bound_search_opENS9_16wrapped_functionINS8_6system6detail7generic6detail18binary_search_lessEbEEEE10hipError_tPvRmT1_T2_T3_mmT4_T5_P12ihipStream_tbEUlRKfE_EESV_SZ_S10_mS11_S14_bEUlT_E_NS1_11comp_targetILNS1_3genE0ELNS1_11target_archE4294967295ELNS1_3gpuE0ELNS1_3repE0EEENS1_30default_config_static_selectorELNS0_4arch9wavefront6targetE0EEEvSY_,@function
_ZN7rocprim17ROCPRIM_400000_NS6detail17trampoline_kernelINS0_14default_configENS1_27lower_bound_config_selectorIflEEZNS1_14transform_implILb0ES3_S5_N6thrust23THRUST_200600_302600_NS6detail15normal_iteratorINS8_7pointerIfNS8_11hip_rocprim5par_tENS8_11use_defaultESE_EEEENSA_INSB_IlSD_SE_SE_EEEEZNS1_13binary_searchIS3_S5_NSA_INS8_10device_ptrIfEEEESG_SI_NS1_21lower_bound_search_opENS9_16wrapped_functionINS8_6system6detail7generic6detail18binary_search_lessEbEEEE10hipError_tPvRmT1_T2_T3_mmT4_T5_P12ihipStream_tbEUlRKfE_EESV_SZ_S10_mS11_S14_bEUlT_E_NS1_11comp_targetILNS1_3genE0ELNS1_11target_archE4294967295ELNS1_3gpuE0ELNS1_3repE0EEENS1_30default_config_static_selectorELNS0_4arch9wavefront6targetE0EEEvSY_: ; @_ZN7rocprim17ROCPRIM_400000_NS6detail17trampoline_kernelINS0_14default_configENS1_27lower_bound_config_selectorIflEEZNS1_14transform_implILb0ES3_S5_N6thrust23THRUST_200600_302600_NS6detail15normal_iteratorINS8_7pointerIfNS8_11hip_rocprim5par_tENS8_11use_defaultESE_EEEENSA_INSB_IlSD_SE_SE_EEEEZNS1_13binary_searchIS3_S5_NSA_INS8_10device_ptrIfEEEESG_SI_NS1_21lower_bound_search_opENS9_16wrapped_functionINS8_6system6detail7generic6detail18binary_search_lessEbEEEE10hipError_tPvRmT1_T2_T3_mmT4_T5_P12ihipStream_tbEUlRKfE_EESV_SZ_S10_mS11_S14_bEUlT_E_NS1_11comp_targetILNS1_3genE0ELNS1_11target_archE4294967295ELNS1_3gpuE0ELNS1_3repE0EEENS1_30default_config_static_selectorELNS0_4arch9wavefront6targetE0EEEvSY_
; %bb.0:
	.section	.rodata,"a",@progbits
	.p2align	6, 0x0
	.amdhsa_kernel _ZN7rocprim17ROCPRIM_400000_NS6detail17trampoline_kernelINS0_14default_configENS1_27lower_bound_config_selectorIflEEZNS1_14transform_implILb0ES3_S5_N6thrust23THRUST_200600_302600_NS6detail15normal_iteratorINS8_7pointerIfNS8_11hip_rocprim5par_tENS8_11use_defaultESE_EEEENSA_INSB_IlSD_SE_SE_EEEEZNS1_13binary_searchIS3_S5_NSA_INS8_10device_ptrIfEEEESG_SI_NS1_21lower_bound_search_opENS9_16wrapped_functionINS8_6system6detail7generic6detail18binary_search_lessEbEEEE10hipError_tPvRmT1_T2_T3_mmT4_T5_P12ihipStream_tbEUlRKfE_EESV_SZ_S10_mS11_S14_bEUlT_E_NS1_11comp_targetILNS1_3genE0ELNS1_11target_archE4294967295ELNS1_3gpuE0ELNS1_3repE0EEENS1_30default_config_static_selectorELNS0_4arch9wavefront6targetE0EEEvSY_
		.amdhsa_group_segment_fixed_size 0
		.amdhsa_private_segment_fixed_size 0
		.amdhsa_kernarg_size 56
		.amdhsa_user_sgpr_count 6
		.amdhsa_user_sgpr_private_segment_buffer 1
		.amdhsa_user_sgpr_dispatch_ptr 0
		.amdhsa_user_sgpr_queue_ptr 0
		.amdhsa_user_sgpr_kernarg_segment_ptr 1
		.amdhsa_user_sgpr_dispatch_id 0
		.amdhsa_user_sgpr_flat_scratch_init 0
		.amdhsa_user_sgpr_private_segment_size 0
		.amdhsa_wavefront_size32 1
		.amdhsa_uses_dynamic_stack 0
		.amdhsa_system_sgpr_private_segment_wavefront_offset 0
		.amdhsa_system_sgpr_workgroup_id_x 1
		.amdhsa_system_sgpr_workgroup_id_y 0
		.amdhsa_system_sgpr_workgroup_id_z 0
		.amdhsa_system_sgpr_workgroup_info 0
		.amdhsa_system_vgpr_workitem_id 0
		.amdhsa_next_free_vgpr 1
		.amdhsa_next_free_sgpr 1
		.amdhsa_reserve_vcc 0
		.amdhsa_reserve_flat_scratch 0
		.amdhsa_float_round_mode_32 0
		.amdhsa_float_round_mode_16_64 0
		.amdhsa_float_denorm_mode_32 3
		.amdhsa_float_denorm_mode_16_64 3
		.amdhsa_dx10_clamp 1
		.amdhsa_ieee_mode 1
		.amdhsa_fp16_overflow 0
		.amdhsa_workgroup_processor_mode 1
		.amdhsa_memory_ordered 1
		.amdhsa_forward_progress 1
		.amdhsa_shared_vgpr_count 0
		.amdhsa_exception_fp_ieee_invalid_op 0
		.amdhsa_exception_fp_denorm_src 0
		.amdhsa_exception_fp_ieee_div_zero 0
		.amdhsa_exception_fp_ieee_overflow 0
		.amdhsa_exception_fp_ieee_underflow 0
		.amdhsa_exception_fp_ieee_inexact 0
		.amdhsa_exception_int_div_zero 0
	.end_amdhsa_kernel
	.section	.text._ZN7rocprim17ROCPRIM_400000_NS6detail17trampoline_kernelINS0_14default_configENS1_27lower_bound_config_selectorIflEEZNS1_14transform_implILb0ES3_S5_N6thrust23THRUST_200600_302600_NS6detail15normal_iteratorINS8_7pointerIfNS8_11hip_rocprim5par_tENS8_11use_defaultESE_EEEENSA_INSB_IlSD_SE_SE_EEEEZNS1_13binary_searchIS3_S5_NSA_INS8_10device_ptrIfEEEESG_SI_NS1_21lower_bound_search_opENS9_16wrapped_functionINS8_6system6detail7generic6detail18binary_search_lessEbEEEE10hipError_tPvRmT1_T2_T3_mmT4_T5_P12ihipStream_tbEUlRKfE_EESV_SZ_S10_mS11_S14_bEUlT_E_NS1_11comp_targetILNS1_3genE0ELNS1_11target_archE4294967295ELNS1_3gpuE0ELNS1_3repE0EEENS1_30default_config_static_selectorELNS0_4arch9wavefront6targetE0EEEvSY_,"axG",@progbits,_ZN7rocprim17ROCPRIM_400000_NS6detail17trampoline_kernelINS0_14default_configENS1_27lower_bound_config_selectorIflEEZNS1_14transform_implILb0ES3_S5_N6thrust23THRUST_200600_302600_NS6detail15normal_iteratorINS8_7pointerIfNS8_11hip_rocprim5par_tENS8_11use_defaultESE_EEEENSA_INSB_IlSD_SE_SE_EEEEZNS1_13binary_searchIS3_S5_NSA_INS8_10device_ptrIfEEEESG_SI_NS1_21lower_bound_search_opENS9_16wrapped_functionINS8_6system6detail7generic6detail18binary_search_lessEbEEEE10hipError_tPvRmT1_T2_T3_mmT4_T5_P12ihipStream_tbEUlRKfE_EESV_SZ_S10_mS11_S14_bEUlT_E_NS1_11comp_targetILNS1_3genE0ELNS1_11target_archE4294967295ELNS1_3gpuE0ELNS1_3repE0EEENS1_30default_config_static_selectorELNS0_4arch9wavefront6targetE0EEEvSY_,comdat
.Lfunc_end349:
	.size	_ZN7rocprim17ROCPRIM_400000_NS6detail17trampoline_kernelINS0_14default_configENS1_27lower_bound_config_selectorIflEEZNS1_14transform_implILb0ES3_S5_N6thrust23THRUST_200600_302600_NS6detail15normal_iteratorINS8_7pointerIfNS8_11hip_rocprim5par_tENS8_11use_defaultESE_EEEENSA_INSB_IlSD_SE_SE_EEEEZNS1_13binary_searchIS3_S5_NSA_INS8_10device_ptrIfEEEESG_SI_NS1_21lower_bound_search_opENS9_16wrapped_functionINS8_6system6detail7generic6detail18binary_search_lessEbEEEE10hipError_tPvRmT1_T2_T3_mmT4_T5_P12ihipStream_tbEUlRKfE_EESV_SZ_S10_mS11_S14_bEUlT_E_NS1_11comp_targetILNS1_3genE0ELNS1_11target_archE4294967295ELNS1_3gpuE0ELNS1_3repE0EEENS1_30default_config_static_selectorELNS0_4arch9wavefront6targetE0EEEvSY_, .Lfunc_end349-_ZN7rocprim17ROCPRIM_400000_NS6detail17trampoline_kernelINS0_14default_configENS1_27lower_bound_config_selectorIflEEZNS1_14transform_implILb0ES3_S5_N6thrust23THRUST_200600_302600_NS6detail15normal_iteratorINS8_7pointerIfNS8_11hip_rocprim5par_tENS8_11use_defaultESE_EEEENSA_INSB_IlSD_SE_SE_EEEEZNS1_13binary_searchIS3_S5_NSA_INS8_10device_ptrIfEEEESG_SI_NS1_21lower_bound_search_opENS9_16wrapped_functionINS8_6system6detail7generic6detail18binary_search_lessEbEEEE10hipError_tPvRmT1_T2_T3_mmT4_T5_P12ihipStream_tbEUlRKfE_EESV_SZ_S10_mS11_S14_bEUlT_E_NS1_11comp_targetILNS1_3genE0ELNS1_11target_archE4294967295ELNS1_3gpuE0ELNS1_3repE0EEENS1_30default_config_static_selectorELNS0_4arch9wavefront6targetE0EEEvSY_
                                        ; -- End function
	.set _ZN7rocprim17ROCPRIM_400000_NS6detail17trampoline_kernelINS0_14default_configENS1_27lower_bound_config_selectorIflEEZNS1_14transform_implILb0ES3_S5_N6thrust23THRUST_200600_302600_NS6detail15normal_iteratorINS8_7pointerIfNS8_11hip_rocprim5par_tENS8_11use_defaultESE_EEEENSA_INSB_IlSD_SE_SE_EEEEZNS1_13binary_searchIS3_S5_NSA_INS8_10device_ptrIfEEEESG_SI_NS1_21lower_bound_search_opENS9_16wrapped_functionINS8_6system6detail7generic6detail18binary_search_lessEbEEEE10hipError_tPvRmT1_T2_T3_mmT4_T5_P12ihipStream_tbEUlRKfE_EESV_SZ_S10_mS11_S14_bEUlT_E_NS1_11comp_targetILNS1_3genE0ELNS1_11target_archE4294967295ELNS1_3gpuE0ELNS1_3repE0EEENS1_30default_config_static_selectorELNS0_4arch9wavefront6targetE0EEEvSY_.num_vgpr, 0
	.set _ZN7rocprim17ROCPRIM_400000_NS6detail17trampoline_kernelINS0_14default_configENS1_27lower_bound_config_selectorIflEEZNS1_14transform_implILb0ES3_S5_N6thrust23THRUST_200600_302600_NS6detail15normal_iteratorINS8_7pointerIfNS8_11hip_rocprim5par_tENS8_11use_defaultESE_EEEENSA_INSB_IlSD_SE_SE_EEEEZNS1_13binary_searchIS3_S5_NSA_INS8_10device_ptrIfEEEESG_SI_NS1_21lower_bound_search_opENS9_16wrapped_functionINS8_6system6detail7generic6detail18binary_search_lessEbEEEE10hipError_tPvRmT1_T2_T3_mmT4_T5_P12ihipStream_tbEUlRKfE_EESV_SZ_S10_mS11_S14_bEUlT_E_NS1_11comp_targetILNS1_3genE0ELNS1_11target_archE4294967295ELNS1_3gpuE0ELNS1_3repE0EEENS1_30default_config_static_selectorELNS0_4arch9wavefront6targetE0EEEvSY_.num_agpr, 0
	.set _ZN7rocprim17ROCPRIM_400000_NS6detail17trampoline_kernelINS0_14default_configENS1_27lower_bound_config_selectorIflEEZNS1_14transform_implILb0ES3_S5_N6thrust23THRUST_200600_302600_NS6detail15normal_iteratorINS8_7pointerIfNS8_11hip_rocprim5par_tENS8_11use_defaultESE_EEEENSA_INSB_IlSD_SE_SE_EEEEZNS1_13binary_searchIS3_S5_NSA_INS8_10device_ptrIfEEEESG_SI_NS1_21lower_bound_search_opENS9_16wrapped_functionINS8_6system6detail7generic6detail18binary_search_lessEbEEEE10hipError_tPvRmT1_T2_T3_mmT4_T5_P12ihipStream_tbEUlRKfE_EESV_SZ_S10_mS11_S14_bEUlT_E_NS1_11comp_targetILNS1_3genE0ELNS1_11target_archE4294967295ELNS1_3gpuE0ELNS1_3repE0EEENS1_30default_config_static_selectorELNS0_4arch9wavefront6targetE0EEEvSY_.numbered_sgpr, 0
	.set _ZN7rocprim17ROCPRIM_400000_NS6detail17trampoline_kernelINS0_14default_configENS1_27lower_bound_config_selectorIflEEZNS1_14transform_implILb0ES3_S5_N6thrust23THRUST_200600_302600_NS6detail15normal_iteratorINS8_7pointerIfNS8_11hip_rocprim5par_tENS8_11use_defaultESE_EEEENSA_INSB_IlSD_SE_SE_EEEEZNS1_13binary_searchIS3_S5_NSA_INS8_10device_ptrIfEEEESG_SI_NS1_21lower_bound_search_opENS9_16wrapped_functionINS8_6system6detail7generic6detail18binary_search_lessEbEEEE10hipError_tPvRmT1_T2_T3_mmT4_T5_P12ihipStream_tbEUlRKfE_EESV_SZ_S10_mS11_S14_bEUlT_E_NS1_11comp_targetILNS1_3genE0ELNS1_11target_archE4294967295ELNS1_3gpuE0ELNS1_3repE0EEENS1_30default_config_static_selectorELNS0_4arch9wavefront6targetE0EEEvSY_.num_named_barrier, 0
	.set _ZN7rocprim17ROCPRIM_400000_NS6detail17trampoline_kernelINS0_14default_configENS1_27lower_bound_config_selectorIflEEZNS1_14transform_implILb0ES3_S5_N6thrust23THRUST_200600_302600_NS6detail15normal_iteratorINS8_7pointerIfNS8_11hip_rocprim5par_tENS8_11use_defaultESE_EEEENSA_INSB_IlSD_SE_SE_EEEEZNS1_13binary_searchIS3_S5_NSA_INS8_10device_ptrIfEEEESG_SI_NS1_21lower_bound_search_opENS9_16wrapped_functionINS8_6system6detail7generic6detail18binary_search_lessEbEEEE10hipError_tPvRmT1_T2_T3_mmT4_T5_P12ihipStream_tbEUlRKfE_EESV_SZ_S10_mS11_S14_bEUlT_E_NS1_11comp_targetILNS1_3genE0ELNS1_11target_archE4294967295ELNS1_3gpuE0ELNS1_3repE0EEENS1_30default_config_static_selectorELNS0_4arch9wavefront6targetE0EEEvSY_.private_seg_size, 0
	.set _ZN7rocprim17ROCPRIM_400000_NS6detail17trampoline_kernelINS0_14default_configENS1_27lower_bound_config_selectorIflEEZNS1_14transform_implILb0ES3_S5_N6thrust23THRUST_200600_302600_NS6detail15normal_iteratorINS8_7pointerIfNS8_11hip_rocprim5par_tENS8_11use_defaultESE_EEEENSA_INSB_IlSD_SE_SE_EEEEZNS1_13binary_searchIS3_S5_NSA_INS8_10device_ptrIfEEEESG_SI_NS1_21lower_bound_search_opENS9_16wrapped_functionINS8_6system6detail7generic6detail18binary_search_lessEbEEEE10hipError_tPvRmT1_T2_T3_mmT4_T5_P12ihipStream_tbEUlRKfE_EESV_SZ_S10_mS11_S14_bEUlT_E_NS1_11comp_targetILNS1_3genE0ELNS1_11target_archE4294967295ELNS1_3gpuE0ELNS1_3repE0EEENS1_30default_config_static_selectorELNS0_4arch9wavefront6targetE0EEEvSY_.uses_vcc, 0
	.set _ZN7rocprim17ROCPRIM_400000_NS6detail17trampoline_kernelINS0_14default_configENS1_27lower_bound_config_selectorIflEEZNS1_14transform_implILb0ES3_S5_N6thrust23THRUST_200600_302600_NS6detail15normal_iteratorINS8_7pointerIfNS8_11hip_rocprim5par_tENS8_11use_defaultESE_EEEENSA_INSB_IlSD_SE_SE_EEEEZNS1_13binary_searchIS3_S5_NSA_INS8_10device_ptrIfEEEESG_SI_NS1_21lower_bound_search_opENS9_16wrapped_functionINS8_6system6detail7generic6detail18binary_search_lessEbEEEE10hipError_tPvRmT1_T2_T3_mmT4_T5_P12ihipStream_tbEUlRKfE_EESV_SZ_S10_mS11_S14_bEUlT_E_NS1_11comp_targetILNS1_3genE0ELNS1_11target_archE4294967295ELNS1_3gpuE0ELNS1_3repE0EEENS1_30default_config_static_selectorELNS0_4arch9wavefront6targetE0EEEvSY_.uses_flat_scratch, 0
	.set _ZN7rocprim17ROCPRIM_400000_NS6detail17trampoline_kernelINS0_14default_configENS1_27lower_bound_config_selectorIflEEZNS1_14transform_implILb0ES3_S5_N6thrust23THRUST_200600_302600_NS6detail15normal_iteratorINS8_7pointerIfNS8_11hip_rocprim5par_tENS8_11use_defaultESE_EEEENSA_INSB_IlSD_SE_SE_EEEEZNS1_13binary_searchIS3_S5_NSA_INS8_10device_ptrIfEEEESG_SI_NS1_21lower_bound_search_opENS9_16wrapped_functionINS8_6system6detail7generic6detail18binary_search_lessEbEEEE10hipError_tPvRmT1_T2_T3_mmT4_T5_P12ihipStream_tbEUlRKfE_EESV_SZ_S10_mS11_S14_bEUlT_E_NS1_11comp_targetILNS1_3genE0ELNS1_11target_archE4294967295ELNS1_3gpuE0ELNS1_3repE0EEENS1_30default_config_static_selectorELNS0_4arch9wavefront6targetE0EEEvSY_.has_dyn_sized_stack, 0
	.set _ZN7rocprim17ROCPRIM_400000_NS6detail17trampoline_kernelINS0_14default_configENS1_27lower_bound_config_selectorIflEEZNS1_14transform_implILb0ES3_S5_N6thrust23THRUST_200600_302600_NS6detail15normal_iteratorINS8_7pointerIfNS8_11hip_rocprim5par_tENS8_11use_defaultESE_EEEENSA_INSB_IlSD_SE_SE_EEEEZNS1_13binary_searchIS3_S5_NSA_INS8_10device_ptrIfEEEESG_SI_NS1_21lower_bound_search_opENS9_16wrapped_functionINS8_6system6detail7generic6detail18binary_search_lessEbEEEE10hipError_tPvRmT1_T2_T3_mmT4_T5_P12ihipStream_tbEUlRKfE_EESV_SZ_S10_mS11_S14_bEUlT_E_NS1_11comp_targetILNS1_3genE0ELNS1_11target_archE4294967295ELNS1_3gpuE0ELNS1_3repE0EEENS1_30default_config_static_selectorELNS0_4arch9wavefront6targetE0EEEvSY_.has_recursion, 0
	.set _ZN7rocprim17ROCPRIM_400000_NS6detail17trampoline_kernelINS0_14default_configENS1_27lower_bound_config_selectorIflEEZNS1_14transform_implILb0ES3_S5_N6thrust23THRUST_200600_302600_NS6detail15normal_iteratorINS8_7pointerIfNS8_11hip_rocprim5par_tENS8_11use_defaultESE_EEEENSA_INSB_IlSD_SE_SE_EEEEZNS1_13binary_searchIS3_S5_NSA_INS8_10device_ptrIfEEEESG_SI_NS1_21lower_bound_search_opENS9_16wrapped_functionINS8_6system6detail7generic6detail18binary_search_lessEbEEEE10hipError_tPvRmT1_T2_T3_mmT4_T5_P12ihipStream_tbEUlRKfE_EESV_SZ_S10_mS11_S14_bEUlT_E_NS1_11comp_targetILNS1_3genE0ELNS1_11target_archE4294967295ELNS1_3gpuE0ELNS1_3repE0EEENS1_30default_config_static_selectorELNS0_4arch9wavefront6targetE0EEEvSY_.has_indirect_call, 0
	.section	.AMDGPU.csdata,"",@progbits
; Kernel info:
; codeLenInByte = 0
; TotalNumSgprs: 0
; NumVgprs: 0
; ScratchSize: 0
; MemoryBound: 0
; FloatMode: 240
; IeeeMode: 1
; LDSByteSize: 0 bytes/workgroup (compile time only)
; SGPRBlocks: 0
; VGPRBlocks: 0
; NumSGPRsForWavesPerEU: 1
; NumVGPRsForWavesPerEU: 1
; Occupancy: 16
; WaveLimiterHint : 0
; COMPUTE_PGM_RSRC2:SCRATCH_EN: 0
; COMPUTE_PGM_RSRC2:USER_SGPR: 6
; COMPUTE_PGM_RSRC2:TRAP_HANDLER: 0
; COMPUTE_PGM_RSRC2:TGID_X_EN: 1
; COMPUTE_PGM_RSRC2:TGID_Y_EN: 0
; COMPUTE_PGM_RSRC2:TGID_Z_EN: 0
; COMPUTE_PGM_RSRC2:TIDIG_COMP_CNT: 0
	.section	.text._ZN7rocprim17ROCPRIM_400000_NS6detail17trampoline_kernelINS0_14default_configENS1_27lower_bound_config_selectorIflEEZNS1_14transform_implILb0ES3_S5_N6thrust23THRUST_200600_302600_NS6detail15normal_iteratorINS8_7pointerIfNS8_11hip_rocprim5par_tENS8_11use_defaultESE_EEEENSA_INSB_IlSD_SE_SE_EEEEZNS1_13binary_searchIS3_S5_NSA_INS8_10device_ptrIfEEEESG_SI_NS1_21lower_bound_search_opENS9_16wrapped_functionINS8_6system6detail7generic6detail18binary_search_lessEbEEEE10hipError_tPvRmT1_T2_T3_mmT4_T5_P12ihipStream_tbEUlRKfE_EESV_SZ_S10_mS11_S14_bEUlT_E_NS1_11comp_targetILNS1_3genE5ELNS1_11target_archE942ELNS1_3gpuE9ELNS1_3repE0EEENS1_30default_config_static_selectorELNS0_4arch9wavefront6targetE0EEEvSY_,"axG",@progbits,_ZN7rocprim17ROCPRIM_400000_NS6detail17trampoline_kernelINS0_14default_configENS1_27lower_bound_config_selectorIflEEZNS1_14transform_implILb0ES3_S5_N6thrust23THRUST_200600_302600_NS6detail15normal_iteratorINS8_7pointerIfNS8_11hip_rocprim5par_tENS8_11use_defaultESE_EEEENSA_INSB_IlSD_SE_SE_EEEEZNS1_13binary_searchIS3_S5_NSA_INS8_10device_ptrIfEEEESG_SI_NS1_21lower_bound_search_opENS9_16wrapped_functionINS8_6system6detail7generic6detail18binary_search_lessEbEEEE10hipError_tPvRmT1_T2_T3_mmT4_T5_P12ihipStream_tbEUlRKfE_EESV_SZ_S10_mS11_S14_bEUlT_E_NS1_11comp_targetILNS1_3genE5ELNS1_11target_archE942ELNS1_3gpuE9ELNS1_3repE0EEENS1_30default_config_static_selectorELNS0_4arch9wavefront6targetE0EEEvSY_,comdat
	.protected	_ZN7rocprim17ROCPRIM_400000_NS6detail17trampoline_kernelINS0_14default_configENS1_27lower_bound_config_selectorIflEEZNS1_14transform_implILb0ES3_S5_N6thrust23THRUST_200600_302600_NS6detail15normal_iteratorINS8_7pointerIfNS8_11hip_rocprim5par_tENS8_11use_defaultESE_EEEENSA_INSB_IlSD_SE_SE_EEEEZNS1_13binary_searchIS3_S5_NSA_INS8_10device_ptrIfEEEESG_SI_NS1_21lower_bound_search_opENS9_16wrapped_functionINS8_6system6detail7generic6detail18binary_search_lessEbEEEE10hipError_tPvRmT1_T2_T3_mmT4_T5_P12ihipStream_tbEUlRKfE_EESV_SZ_S10_mS11_S14_bEUlT_E_NS1_11comp_targetILNS1_3genE5ELNS1_11target_archE942ELNS1_3gpuE9ELNS1_3repE0EEENS1_30default_config_static_selectorELNS0_4arch9wavefront6targetE0EEEvSY_ ; -- Begin function _ZN7rocprim17ROCPRIM_400000_NS6detail17trampoline_kernelINS0_14default_configENS1_27lower_bound_config_selectorIflEEZNS1_14transform_implILb0ES3_S5_N6thrust23THRUST_200600_302600_NS6detail15normal_iteratorINS8_7pointerIfNS8_11hip_rocprim5par_tENS8_11use_defaultESE_EEEENSA_INSB_IlSD_SE_SE_EEEEZNS1_13binary_searchIS3_S5_NSA_INS8_10device_ptrIfEEEESG_SI_NS1_21lower_bound_search_opENS9_16wrapped_functionINS8_6system6detail7generic6detail18binary_search_lessEbEEEE10hipError_tPvRmT1_T2_T3_mmT4_T5_P12ihipStream_tbEUlRKfE_EESV_SZ_S10_mS11_S14_bEUlT_E_NS1_11comp_targetILNS1_3genE5ELNS1_11target_archE942ELNS1_3gpuE9ELNS1_3repE0EEENS1_30default_config_static_selectorELNS0_4arch9wavefront6targetE0EEEvSY_
	.globl	_ZN7rocprim17ROCPRIM_400000_NS6detail17trampoline_kernelINS0_14default_configENS1_27lower_bound_config_selectorIflEEZNS1_14transform_implILb0ES3_S5_N6thrust23THRUST_200600_302600_NS6detail15normal_iteratorINS8_7pointerIfNS8_11hip_rocprim5par_tENS8_11use_defaultESE_EEEENSA_INSB_IlSD_SE_SE_EEEEZNS1_13binary_searchIS3_S5_NSA_INS8_10device_ptrIfEEEESG_SI_NS1_21lower_bound_search_opENS9_16wrapped_functionINS8_6system6detail7generic6detail18binary_search_lessEbEEEE10hipError_tPvRmT1_T2_T3_mmT4_T5_P12ihipStream_tbEUlRKfE_EESV_SZ_S10_mS11_S14_bEUlT_E_NS1_11comp_targetILNS1_3genE5ELNS1_11target_archE942ELNS1_3gpuE9ELNS1_3repE0EEENS1_30default_config_static_selectorELNS0_4arch9wavefront6targetE0EEEvSY_
	.p2align	8
	.type	_ZN7rocprim17ROCPRIM_400000_NS6detail17trampoline_kernelINS0_14default_configENS1_27lower_bound_config_selectorIflEEZNS1_14transform_implILb0ES3_S5_N6thrust23THRUST_200600_302600_NS6detail15normal_iteratorINS8_7pointerIfNS8_11hip_rocprim5par_tENS8_11use_defaultESE_EEEENSA_INSB_IlSD_SE_SE_EEEEZNS1_13binary_searchIS3_S5_NSA_INS8_10device_ptrIfEEEESG_SI_NS1_21lower_bound_search_opENS9_16wrapped_functionINS8_6system6detail7generic6detail18binary_search_lessEbEEEE10hipError_tPvRmT1_T2_T3_mmT4_T5_P12ihipStream_tbEUlRKfE_EESV_SZ_S10_mS11_S14_bEUlT_E_NS1_11comp_targetILNS1_3genE5ELNS1_11target_archE942ELNS1_3gpuE9ELNS1_3repE0EEENS1_30default_config_static_selectorELNS0_4arch9wavefront6targetE0EEEvSY_,@function
_ZN7rocprim17ROCPRIM_400000_NS6detail17trampoline_kernelINS0_14default_configENS1_27lower_bound_config_selectorIflEEZNS1_14transform_implILb0ES3_S5_N6thrust23THRUST_200600_302600_NS6detail15normal_iteratorINS8_7pointerIfNS8_11hip_rocprim5par_tENS8_11use_defaultESE_EEEENSA_INSB_IlSD_SE_SE_EEEEZNS1_13binary_searchIS3_S5_NSA_INS8_10device_ptrIfEEEESG_SI_NS1_21lower_bound_search_opENS9_16wrapped_functionINS8_6system6detail7generic6detail18binary_search_lessEbEEEE10hipError_tPvRmT1_T2_T3_mmT4_T5_P12ihipStream_tbEUlRKfE_EESV_SZ_S10_mS11_S14_bEUlT_E_NS1_11comp_targetILNS1_3genE5ELNS1_11target_archE942ELNS1_3gpuE9ELNS1_3repE0EEENS1_30default_config_static_selectorELNS0_4arch9wavefront6targetE0EEEvSY_: ; @_ZN7rocprim17ROCPRIM_400000_NS6detail17trampoline_kernelINS0_14default_configENS1_27lower_bound_config_selectorIflEEZNS1_14transform_implILb0ES3_S5_N6thrust23THRUST_200600_302600_NS6detail15normal_iteratorINS8_7pointerIfNS8_11hip_rocprim5par_tENS8_11use_defaultESE_EEEENSA_INSB_IlSD_SE_SE_EEEEZNS1_13binary_searchIS3_S5_NSA_INS8_10device_ptrIfEEEESG_SI_NS1_21lower_bound_search_opENS9_16wrapped_functionINS8_6system6detail7generic6detail18binary_search_lessEbEEEE10hipError_tPvRmT1_T2_T3_mmT4_T5_P12ihipStream_tbEUlRKfE_EESV_SZ_S10_mS11_S14_bEUlT_E_NS1_11comp_targetILNS1_3genE5ELNS1_11target_archE942ELNS1_3gpuE9ELNS1_3repE0EEENS1_30default_config_static_selectorELNS0_4arch9wavefront6targetE0EEEvSY_
; %bb.0:
	.section	.rodata,"a",@progbits
	.p2align	6, 0x0
	.amdhsa_kernel _ZN7rocprim17ROCPRIM_400000_NS6detail17trampoline_kernelINS0_14default_configENS1_27lower_bound_config_selectorIflEEZNS1_14transform_implILb0ES3_S5_N6thrust23THRUST_200600_302600_NS6detail15normal_iteratorINS8_7pointerIfNS8_11hip_rocprim5par_tENS8_11use_defaultESE_EEEENSA_INSB_IlSD_SE_SE_EEEEZNS1_13binary_searchIS3_S5_NSA_INS8_10device_ptrIfEEEESG_SI_NS1_21lower_bound_search_opENS9_16wrapped_functionINS8_6system6detail7generic6detail18binary_search_lessEbEEEE10hipError_tPvRmT1_T2_T3_mmT4_T5_P12ihipStream_tbEUlRKfE_EESV_SZ_S10_mS11_S14_bEUlT_E_NS1_11comp_targetILNS1_3genE5ELNS1_11target_archE942ELNS1_3gpuE9ELNS1_3repE0EEENS1_30default_config_static_selectorELNS0_4arch9wavefront6targetE0EEEvSY_
		.amdhsa_group_segment_fixed_size 0
		.amdhsa_private_segment_fixed_size 0
		.amdhsa_kernarg_size 56
		.amdhsa_user_sgpr_count 6
		.amdhsa_user_sgpr_private_segment_buffer 1
		.amdhsa_user_sgpr_dispatch_ptr 0
		.amdhsa_user_sgpr_queue_ptr 0
		.amdhsa_user_sgpr_kernarg_segment_ptr 1
		.amdhsa_user_sgpr_dispatch_id 0
		.amdhsa_user_sgpr_flat_scratch_init 0
		.amdhsa_user_sgpr_private_segment_size 0
		.amdhsa_wavefront_size32 1
		.amdhsa_uses_dynamic_stack 0
		.amdhsa_system_sgpr_private_segment_wavefront_offset 0
		.amdhsa_system_sgpr_workgroup_id_x 1
		.amdhsa_system_sgpr_workgroup_id_y 0
		.amdhsa_system_sgpr_workgroup_id_z 0
		.amdhsa_system_sgpr_workgroup_info 0
		.amdhsa_system_vgpr_workitem_id 0
		.amdhsa_next_free_vgpr 1
		.amdhsa_next_free_sgpr 1
		.amdhsa_reserve_vcc 0
		.amdhsa_reserve_flat_scratch 0
		.amdhsa_float_round_mode_32 0
		.amdhsa_float_round_mode_16_64 0
		.amdhsa_float_denorm_mode_32 3
		.amdhsa_float_denorm_mode_16_64 3
		.amdhsa_dx10_clamp 1
		.amdhsa_ieee_mode 1
		.amdhsa_fp16_overflow 0
		.amdhsa_workgroup_processor_mode 1
		.amdhsa_memory_ordered 1
		.amdhsa_forward_progress 1
		.amdhsa_shared_vgpr_count 0
		.amdhsa_exception_fp_ieee_invalid_op 0
		.amdhsa_exception_fp_denorm_src 0
		.amdhsa_exception_fp_ieee_div_zero 0
		.amdhsa_exception_fp_ieee_overflow 0
		.amdhsa_exception_fp_ieee_underflow 0
		.amdhsa_exception_fp_ieee_inexact 0
		.amdhsa_exception_int_div_zero 0
	.end_amdhsa_kernel
	.section	.text._ZN7rocprim17ROCPRIM_400000_NS6detail17trampoline_kernelINS0_14default_configENS1_27lower_bound_config_selectorIflEEZNS1_14transform_implILb0ES3_S5_N6thrust23THRUST_200600_302600_NS6detail15normal_iteratorINS8_7pointerIfNS8_11hip_rocprim5par_tENS8_11use_defaultESE_EEEENSA_INSB_IlSD_SE_SE_EEEEZNS1_13binary_searchIS3_S5_NSA_INS8_10device_ptrIfEEEESG_SI_NS1_21lower_bound_search_opENS9_16wrapped_functionINS8_6system6detail7generic6detail18binary_search_lessEbEEEE10hipError_tPvRmT1_T2_T3_mmT4_T5_P12ihipStream_tbEUlRKfE_EESV_SZ_S10_mS11_S14_bEUlT_E_NS1_11comp_targetILNS1_3genE5ELNS1_11target_archE942ELNS1_3gpuE9ELNS1_3repE0EEENS1_30default_config_static_selectorELNS0_4arch9wavefront6targetE0EEEvSY_,"axG",@progbits,_ZN7rocprim17ROCPRIM_400000_NS6detail17trampoline_kernelINS0_14default_configENS1_27lower_bound_config_selectorIflEEZNS1_14transform_implILb0ES3_S5_N6thrust23THRUST_200600_302600_NS6detail15normal_iteratorINS8_7pointerIfNS8_11hip_rocprim5par_tENS8_11use_defaultESE_EEEENSA_INSB_IlSD_SE_SE_EEEEZNS1_13binary_searchIS3_S5_NSA_INS8_10device_ptrIfEEEESG_SI_NS1_21lower_bound_search_opENS9_16wrapped_functionINS8_6system6detail7generic6detail18binary_search_lessEbEEEE10hipError_tPvRmT1_T2_T3_mmT4_T5_P12ihipStream_tbEUlRKfE_EESV_SZ_S10_mS11_S14_bEUlT_E_NS1_11comp_targetILNS1_3genE5ELNS1_11target_archE942ELNS1_3gpuE9ELNS1_3repE0EEENS1_30default_config_static_selectorELNS0_4arch9wavefront6targetE0EEEvSY_,comdat
.Lfunc_end350:
	.size	_ZN7rocprim17ROCPRIM_400000_NS6detail17trampoline_kernelINS0_14default_configENS1_27lower_bound_config_selectorIflEEZNS1_14transform_implILb0ES3_S5_N6thrust23THRUST_200600_302600_NS6detail15normal_iteratorINS8_7pointerIfNS8_11hip_rocprim5par_tENS8_11use_defaultESE_EEEENSA_INSB_IlSD_SE_SE_EEEEZNS1_13binary_searchIS3_S5_NSA_INS8_10device_ptrIfEEEESG_SI_NS1_21lower_bound_search_opENS9_16wrapped_functionINS8_6system6detail7generic6detail18binary_search_lessEbEEEE10hipError_tPvRmT1_T2_T3_mmT4_T5_P12ihipStream_tbEUlRKfE_EESV_SZ_S10_mS11_S14_bEUlT_E_NS1_11comp_targetILNS1_3genE5ELNS1_11target_archE942ELNS1_3gpuE9ELNS1_3repE0EEENS1_30default_config_static_selectorELNS0_4arch9wavefront6targetE0EEEvSY_, .Lfunc_end350-_ZN7rocprim17ROCPRIM_400000_NS6detail17trampoline_kernelINS0_14default_configENS1_27lower_bound_config_selectorIflEEZNS1_14transform_implILb0ES3_S5_N6thrust23THRUST_200600_302600_NS6detail15normal_iteratorINS8_7pointerIfNS8_11hip_rocprim5par_tENS8_11use_defaultESE_EEEENSA_INSB_IlSD_SE_SE_EEEEZNS1_13binary_searchIS3_S5_NSA_INS8_10device_ptrIfEEEESG_SI_NS1_21lower_bound_search_opENS9_16wrapped_functionINS8_6system6detail7generic6detail18binary_search_lessEbEEEE10hipError_tPvRmT1_T2_T3_mmT4_T5_P12ihipStream_tbEUlRKfE_EESV_SZ_S10_mS11_S14_bEUlT_E_NS1_11comp_targetILNS1_3genE5ELNS1_11target_archE942ELNS1_3gpuE9ELNS1_3repE0EEENS1_30default_config_static_selectorELNS0_4arch9wavefront6targetE0EEEvSY_
                                        ; -- End function
	.set _ZN7rocprim17ROCPRIM_400000_NS6detail17trampoline_kernelINS0_14default_configENS1_27lower_bound_config_selectorIflEEZNS1_14transform_implILb0ES3_S5_N6thrust23THRUST_200600_302600_NS6detail15normal_iteratorINS8_7pointerIfNS8_11hip_rocprim5par_tENS8_11use_defaultESE_EEEENSA_INSB_IlSD_SE_SE_EEEEZNS1_13binary_searchIS3_S5_NSA_INS8_10device_ptrIfEEEESG_SI_NS1_21lower_bound_search_opENS9_16wrapped_functionINS8_6system6detail7generic6detail18binary_search_lessEbEEEE10hipError_tPvRmT1_T2_T3_mmT4_T5_P12ihipStream_tbEUlRKfE_EESV_SZ_S10_mS11_S14_bEUlT_E_NS1_11comp_targetILNS1_3genE5ELNS1_11target_archE942ELNS1_3gpuE9ELNS1_3repE0EEENS1_30default_config_static_selectorELNS0_4arch9wavefront6targetE0EEEvSY_.num_vgpr, 0
	.set _ZN7rocprim17ROCPRIM_400000_NS6detail17trampoline_kernelINS0_14default_configENS1_27lower_bound_config_selectorIflEEZNS1_14transform_implILb0ES3_S5_N6thrust23THRUST_200600_302600_NS6detail15normal_iteratorINS8_7pointerIfNS8_11hip_rocprim5par_tENS8_11use_defaultESE_EEEENSA_INSB_IlSD_SE_SE_EEEEZNS1_13binary_searchIS3_S5_NSA_INS8_10device_ptrIfEEEESG_SI_NS1_21lower_bound_search_opENS9_16wrapped_functionINS8_6system6detail7generic6detail18binary_search_lessEbEEEE10hipError_tPvRmT1_T2_T3_mmT4_T5_P12ihipStream_tbEUlRKfE_EESV_SZ_S10_mS11_S14_bEUlT_E_NS1_11comp_targetILNS1_3genE5ELNS1_11target_archE942ELNS1_3gpuE9ELNS1_3repE0EEENS1_30default_config_static_selectorELNS0_4arch9wavefront6targetE0EEEvSY_.num_agpr, 0
	.set _ZN7rocprim17ROCPRIM_400000_NS6detail17trampoline_kernelINS0_14default_configENS1_27lower_bound_config_selectorIflEEZNS1_14transform_implILb0ES3_S5_N6thrust23THRUST_200600_302600_NS6detail15normal_iteratorINS8_7pointerIfNS8_11hip_rocprim5par_tENS8_11use_defaultESE_EEEENSA_INSB_IlSD_SE_SE_EEEEZNS1_13binary_searchIS3_S5_NSA_INS8_10device_ptrIfEEEESG_SI_NS1_21lower_bound_search_opENS9_16wrapped_functionINS8_6system6detail7generic6detail18binary_search_lessEbEEEE10hipError_tPvRmT1_T2_T3_mmT4_T5_P12ihipStream_tbEUlRKfE_EESV_SZ_S10_mS11_S14_bEUlT_E_NS1_11comp_targetILNS1_3genE5ELNS1_11target_archE942ELNS1_3gpuE9ELNS1_3repE0EEENS1_30default_config_static_selectorELNS0_4arch9wavefront6targetE0EEEvSY_.numbered_sgpr, 0
	.set _ZN7rocprim17ROCPRIM_400000_NS6detail17trampoline_kernelINS0_14default_configENS1_27lower_bound_config_selectorIflEEZNS1_14transform_implILb0ES3_S5_N6thrust23THRUST_200600_302600_NS6detail15normal_iteratorINS8_7pointerIfNS8_11hip_rocprim5par_tENS8_11use_defaultESE_EEEENSA_INSB_IlSD_SE_SE_EEEEZNS1_13binary_searchIS3_S5_NSA_INS8_10device_ptrIfEEEESG_SI_NS1_21lower_bound_search_opENS9_16wrapped_functionINS8_6system6detail7generic6detail18binary_search_lessEbEEEE10hipError_tPvRmT1_T2_T3_mmT4_T5_P12ihipStream_tbEUlRKfE_EESV_SZ_S10_mS11_S14_bEUlT_E_NS1_11comp_targetILNS1_3genE5ELNS1_11target_archE942ELNS1_3gpuE9ELNS1_3repE0EEENS1_30default_config_static_selectorELNS0_4arch9wavefront6targetE0EEEvSY_.num_named_barrier, 0
	.set _ZN7rocprim17ROCPRIM_400000_NS6detail17trampoline_kernelINS0_14default_configENS1_27lower_bound_config_selectorIflEEZNS1_14transform_implILb0ES3_S5_N6thrust23THRUST_200600_302600_NS6detail15normal_iteratorINS8_7pointerIfNS8_11hip_rocprim5par_tENS8_11use_defaultESE_EEEENSA_INSB_IlSD_SE_SE_EEEEZNS1_13binary_searchIS3_S5_NSA_INS8_10device_ptrIfEEEESG_SI_NS1_21lower_bound_search_opENS9_16wrapped_functionINS8_6system6detail7generic6detail18binary_search_lessEbEEEE10hipError_tPvRmT1_T2_T3_mmT4_T5_P12ihipStream_tbEUlRKfE_EESV_SZ_S10_mS11_S14_bEUlT_E_NS1_11comp_targetILNS1_3genE5ELNS1_11target_archE942ELNS1_3gpuE9ELNS1_3repE0EEENS1_30default_config_static_selectorELNS0_4arch9wavefront6targetE0EEEvSY_.private_seg_size, 0
	.set _ZN7rocprim17ROCPRIM_400000_NS6detail17trampoline_kernelINS0_14default_configENS1_27lower_bound_config_selectorIflEEZNS1_14transform_implILb0ES3_S5_N6thrust23THRUST_200600_302600_NS6detail15normal_iteratorINS8_7pointerIfNS8_11hip_rocprim5par_tENS8_11use_defaultESE_EEEENSA_INSB_IlSD_SE_SE_EEEEZNS1_13binary_searchIS3_S5_NSA_INS8_10device_ptrIfEEEESG_SI_NS1_21lower_bound_search_opENS9_16wrapped_functionINS8_6system6detail7generic6detail18binary_search_lessEbEEEE10hipError_tPvRmT1_T2_T3_mmT4_T5_P12ihipStream_tbEUlRKfE_EESV_SZ_S10_mS11_S14_bEUlT_E_NS1_11comp_targetILNS1_3genE5ELNS1_11target_archE942ELNS1_3gpuE9ELNS1_3repE0EEENS1_30default_config_static_selectorELNS0_4arch9wavefront6targetE0EEEvSY_.uses_vcc, 0
	.set _ZN7rocprim17ROCPRIM_400000_NS6detail17trampoline_kernelINS0_14default_configENS1_27lower_bound_config_selectorIflEEZNS1_14transform_implILb0ES3_S5_N6thrust23THRUST_200600_302600_NS6detail15normal_iteratorINS8_7pointerIfNS8_11hip_rocprim5par_tENS8_11use_defaultESE_EEEENSA_INSB_IlSD_SE_SE_EEEEZNS1_13binary_searchIS3_S5_NSA_INS8_10device_ptrIfEEEESG_SI_NS1_21lower_bound_search_opENS9_16wrapped_functionINS8_6system6detail7generic6detail18binary_search_lessEbEEEE10hipError_tPvRmT1_T2_T3_mmT4_T5_P12ihipStream_tbEUlRKfE_EESV_SZ_S10_mS11_S14_bEUlT_E_NS1_11comp_targetILNS1_3genE5ELNS1_11target_archE942ELNS1_3gpuE9ELNS1_3repE0EEENS1_30default_config_static_selectorELNS0_4arch9wavefront6targetE0EEEvSY_.uses_flat_scratch, 0
	.set _ZN7rocprim17ROCPRIM_400000_NS6detail17trampoline_kernelINS0_14default_configENS1_27lower_bound_config_selectorIflEEZNS1_14transform_implILb0ES3_S5_N6thrust23THRUST_200600_302600_NS6detail15normal_iteratorINS8_7pointerIfNS8_11hip_rocprim5par_tENS8_11use_defaultESE_EEEENSA_INSB_IlSD_SE_SE_EEEEZNS1_13binary_searchIS3_S5_NSA_INS8_10device_ptrIfEEEESG_SI_NS1_21lower_bound_search_opENS9_16wrapped_functionINS8_6system6detail7generic6detail18binary_search_lessEbEEEE10hipError_tPvRmT1_T2_T3_mmT4_T5_P12ihipStream_tbEUlRKfE_EESV_SZ_S10_mS11_S14_bEUlT_E_NS1_11comp_targetILNS1_3genE5ELNS1_11target_archE942ELNS1_3gpuE9ELNS1_3repE0EEENS1_30default_config_static_selectorELNS0_4arch9wavefront6targetE0EEEvSY_.has_dyn_sized_stack, 0
	.set _ZN7rocprim17ROCPRIM_400000_NS6detail17trampoline_kernelINS0_14default_configENS1_27lower_bound_config_selectorIflEEZNS1_14transform_implILb0ES3_S5_N6thrust23THRUST_200600_302600_NS6detail15normal_iteratorINS8_7pointerIfNS8_11hip_rocprim5par_tENS8_11use_defaultESE_EEEENSA_INSB_IlSD_SE_SE_EEEEZNS1_13binary_searchIS3_S5_NSA_INS8_10device_ptrIfEEEESG_SI_NS1_21lower_bound_search_opENS9_16wrapped_functionINS8_6system6detail7generic6detail18binary_search_lessEbEEEE10hipError_tPvRmT1_T2_T3_mmT4_T5_P12ihipStream_tbEUlRKfE_EESV_SZ_S10_mS11_S14_bEUlT_E_NS1_11comp_targetILNS1_3genE5ELNS1_11target_archE942ELNS1_3gpuE9ELNS1_3repE0EEENS1_30default_config_static_selectorELNS0_4arch9wavefront6targetE0EEEvSY_.has_recursion, 0
	.set _ZN7rocprim17ROCPRIM_400000_NS6detail17trampoline_kernelINS0_14default_configENS1_27lower_bound_config_selectorIflEEZNS1_14transform_implILb0ES3_S5_N6thrust23THRUST_200600_302600_NS6detail15normal_iteratorINS8_7pointerIfNS8_11hip_rocprim5par_tENS8_11use_defaultESE_EEEENSA_INSB_IlSD_SE_SE_EEEEZNS1_13binary_searchIS3_S5_NSA_INS8_10device_ptrIfEEEESG_SI_NS1_21lower_bound_search_opENS9_16wrapped_functionINS8_6system6detail7generic6detail18binary_search_lessEbEEEE10hipError_tPvRmT1_T2_T3_mmT4_T5_P12ihipStream_tbEUlRKfE_EESV_SZ_S10_mS11_S14_bEUlT_E_NS1_11comp_targetILNS1_3genE5ELNS1_11target_archE942ELNS1_3gpuE9ELNS1_3repE0EEENS1_30default_config_static_selectorELNS0_4arch9wavefront6targetE0EEEvSY_.has_indirect_call, 0
	.section	.AMDGPU.csdata,"",@progbits
; Kernel info:
; codeLenInByte = 0
; TotalNumSgprs: 0
; NumVgprs: 0
; ScratchSize: 0
; MemoryBound: 0
; FloatMode: 240
; IeeeMode: 1
; LDSByteSize: 0 bytes/workgroup (compile time only)
; SGPRBlocks: 0
; VGPRBlocks: 0
; NumSGPRsForWavesPerEU: 1
; NumVGPRsForWavesPerEU: 1
; Occupancy: 16
; WaveLimiterHint : 0
; COMPUTE_PGM_RSRC2:SCRATCH_EN: 0
; COMPUTE_PGM_RSRC2:USER_SGPR: 6
; COMPUTE_PGM_RSRC2:TRAP_HANDLER: 0
; COMPUTE_PGM_RSRC2:TGID_X_EN: 1
; COMPUTE_PGM_RSRC2:TGID_Y_EN: 0
; COMPUTE_PGM_RSRC2:TGID_Z_EN: 0
; COMPUTE_PGM_RSRC2:TIDIG_COMP_CNT: 0
	.section	.text._ZN7rocprim17ROCPRIM_400000_NS6detail17trampoline_kernelINS0_14default_configENS1_27lower_bound_config_selectorIflEEZNS1_14transform_implILb0ES3_S5_N6thrust23THRUST_200600_302600_NS6detail15normal_iteratorINS8_7pointerIfNS8_11hip_rocprim5par_tENS8_11use_defaultESE_EEEENSA_INSB_IlSD_SE_SE_EEEEZNS1_13binary_searchIS3_S5_NSA_INS8_10device_ptrIfEEEESG_SI_NS1_21lower_bound_search_opENS9_16wrapped_functionINS8_6system6detail7generic6detail18binary_search_lessEbEEEE10hipError_tPvRmT1_T2_T3_mmT4_T5_P12ihipStream_tbEUlRKfE_EESV_SZ_S10_mS11_S14_bEUlT_E_NS1_11comp_targetILNS1_3genE4ELNS1_11target_archE910ELNS1_3gpuE8ELNS1_3repE0EEENS1_30default_config_static_selectorELNS0_4arch9wavefront6targetE0EEEvSY_,"axG",@progbits,_ZN7rocprim17ROCPRIM_400000_NS6detail17trampoline_kernelINS0_14default_configENS1_27lower_bound_config_selectorIflEEZNS1_14transform_implILb0ES3_S5_N6thrust23THRUST_200600_302600_NS6detail15normal_iteratorINS8_7pointerIfNS8_11hip_rocprim5par_tENS8_11use_defaultESE_EEEENSA_INSB_IlSD_SE_SE_EEEEZNS1_13binary_searchIS3_S5_NSA_INS8_10device_ptrIfEEEESG_SI_NS1_21lower_bound_search_opENS9_16wrapped_functionINS8_6system6detail7generic6detail18binary_search_lessEbEEEE10hipError_tPvRmT1_T2_T3_mmT4_T5_P12ihipStream_tbEUlRKfE_EESV_SZ_S10_mS11_S14_bEUlT_E_NS1_11comp_targetILNS1_3genE4ELNS1_11target_archE910ELNS1_3gpuE8ELNS1_3repE0EEENS1_30default_config_static_selectorELNS0_4arch9wavefront6targetE0EEEvSY_,comdat
	.protected	_ZN7rocprim17ROCPRIM_400000_NS6detail17trampoline_kernelINS0_14default_configENS1_27lower_bound_config_selectorIflEEZNS1_14transform_implILb0ES3_S5_N6thrust23THRUST_200600_302600_NS6detail15normal_iteratorINS8_7pointerIfNS8_11hip_rocprim5par_tENS8_11use_defaultESE_EEEENSA_INSB_IlSD_SE_SE_EEEEZNS1_13binary_searchIS3_S5_NSA_INS8_10device_ptrIfEEEESG_SI_NS1_21lower_bound_search_opENS9_16wrapped_functionINS8_6system6detail7generic6detail18binary_search_lessEbEEEE10hipError_tPvRmT1_T2_T3_mmT4_T5_P12ihipStream_tbEUlRKfE_EESV_SZ_S10_mS11_S14_bEUlT_E_NS1_11comp_targetILNS1_3genE4ELNS1_11target_archE910ELNS1_3gpuE8ELNS1_3repE0EEENS1_30default_config_static_selectorELNS0_4arch9wavefront6targetE0EEEvSY_ ; -- Begin function _ZN7rocprim17ROCPRIM_400000_NS6detail17trampoline_kernelINS0_14default_configENS1_27lower_bound_config_selectorIflEEZNS1_14transform_implILb0ES3_S5_N6thrust23THRUST_200600_302600_NS6detail15normal_iteratorINS8_7pointerIfNS8_11hip_rocprim5par_tENS8_11use_defaultESE_EEEENSA_INSB_IlSD_SE_SE_EEEEZNS1_13binary_searchIS3_S5_NSA_INS8_10device_ptrIfEEEESG_SI_NS1_21lower_bound_search_opENS9_16wrapped_functionINS8_6system6detail7generic6detail18binary_search_lessEbEEEE10hipError_tPvRmT1_T2_T3_mmT4_T5_P12ihipStream_tbEUlRKfE_EESV_SZ_S10_mS11_S14_bEUlT_E_NS1_11comp_targetILNS1_3genE4ELNS1_11target_archE910ELNS1_3gpuE8ELNS1_3repE0EEENS1_30default_config_static_selectorELNS0_4arch9wavefront6targetE0EEEvSY_
	.globl	_ZN7rocprim17ROCPRIM_400000_NS6detail17trampoline_kernelINS0_14default_configENS1_27lower_bound_config_selectorIflEEZNS1_14transform_implILb0ES3_S5_N6thrust23THRUST_200600_302600_NS6detail15normal_iteratorINS8_7pointerIfNS8_11hip_rocprim5par_tENS8_11use_defaultESE_EEEENSA_INSB_IlSD_SE_SE_EEEEZNS1_13binary_searchIS3_S5_NSA_INS8_10device_ptrIfEEEESG_SI_NS1_21lower_bound_search_opENS9_16wrapped_functionINS8_6system6detail7generic6detail18binary_search_lessEbEEEE10hipError_tPvRmT1_T2_T3_mmT4_T5_P12ihipStream_tbEUlRKfE_EESV_SZ_S10_mS11_S14_bEUlT_E_NS1_11comp_targetILNS1_3genE4ELNS1_11target_archE910ELNS1_3gpuE8ELNS1_3repE0EEENS1_30default_config_static_selectorELNS0_4arch9wavefront6targetE0EEEvSY_
	.p2align	8
	.type	_ZN7rocprim17ROCPRIM_400000_NS6detail17trampoline_kernelINS0_14default_configENS1_27lower_bound_config_selectorIflEEZNS1_14transform_implILb0ES3_S5_N6thrust23THRUST_200600_302600_NS6detail15normal_iteratorINS8_7pointerIfNS8_11hip_rocprim5par_tENS8_11use_defaultESE_EEEENSA_INSB_IlSD_SE_SE_EEEEZNS1_13binary_searchIS3_S5_NSA_INS8_10device_ptrIfEEEESG_SI_NS1_21lower_bound_search_opENS9_16wrapped_functionINS8_6system6detail7generic6detail18binary_search_lessEbEEEE10hipError_tPvRmT1_T2_T3_mmT4_T5_P12ihipStream_tbEUlRKfE_EESV_SZ_S10_mS11_S14_bEUlT_E_NS1_11comp_targetILNS1_3genE4ELNS1_11target_archE910ELNS1_3gpuE8ELNS1_3repE0EEENS1_30default_config_static_selectorELNS0_4arch9wavefront6targetE0EEEvSY_,@function
_ZN7rocprim17ROCPRIM_400000_NS6detail17trampoline_kernelINS0_14default_configENS1_27lower_bound_config_selectorIflEEZNS1_14transform_implILb0ES3_S5_N6thrust23THRUST_200600_302600_NS6detail15normal_iteratorINS8_7pointerIfNS8_11hip_rocprim5par_tENS8_11use_defaultESE_EEEENSA_INSB_IlSD_SE_SE_EEEEZNS1_13binary_searchIS3_S5_NSA_INS8_10device_ptrIfEEEESG_SI_NS1_21lower_bound_search_opENS9_16wrapped_functionINS8_6system6detail7generic6detail18binary_search_lessEbEEEE10hipError_tPvRmT1_T2_T3_mmT4_T5_P12ihipStream_tbEUlRKfE_EESV_SZ_S10_mS11_S14_bEUlT_E_NS1_11comp_targetILNS1_3genE4ELNS1_11target_archE910ELNS1_3gpuE8ELNS1_3repE0EEENS1_30default_config_static_selectorELNS0_4arch9wavefront6targetE0EEEvSY_: ; @_ZN7rocprim17ROCPRIM_400000_NS6detail17trampoline_kernelINS0_14default_configENS1_27lower_bound_config_selectorIflEEZNS1_14transform_implILb0ES3_S5_N6thrust23THRUST_200600_302600_NS6detail15normal_iteratorINS8_7pointerIfNS8_11hip_rocprim5par_tENS8_11use_defaultESE_EEEENSA_INSB_IlSD_SE_SE_EEEEZNS1_13binary_searchIS3_S5_NSA_INS8_10device_ptrIfEEEESG_SI_NS1_21lower_bound_search_opENS9_16wrapped_functionINS8_6system6detail7generic6detail18binary_search_lessEbEEEE10hipError_tPvRmT1_T2_T3_mmT4_T5_P12ihipStream_tbEUlRKfE_EESV_SZ_S10_mS11_S14_bEUlT_E_NS1_11comp_targetILNS1_3genE4ELNS1_11target_archE910ELNS1_3gpuE8ELNS1_3repE0EEENS1_30default_config_static_selectorELNS0_4arch9wavefront6targetE0EEEvSY_
; %bb.0:
	.section	.rodata,"a",@progbits
	.p2align	6, 0x0
	.amdhsa_kernel _ZN7rocprim17ROCPRIM_400000_NS6detail17trampoline_kernelINS0_14default_configENS1_27lower_bound_config_selectorIflEEZNS1_14transform_implILb0ES3_S5_N6thrust23THRUST_200600_302600_NS6detail15normal_iteratorINS8_7pointerIfNS8_11hip_rocprim5par_tENS8_11use_defaultESE_EEEENSA_INSB_IlSD_SE_SE_EEEEZNS1_13binary_searchIS3_S5_NSA_INS8_10device_ptrIfEEEESG_SI_NS1_21lower_bound_search_opENS9_16wrapped_functionINS8_6system6detail7generic6detail18binary_search_lessEbEEEE10hipError_tPvRmT1_T2_T3_mmT4_T5_P12ihipStream_tbEUlRKfE_EESV_SZ_S10_mS11_S14_bEUlT_E_NS1_11comp_targetILNS1_3genE4ELNS1_11target_archE910ELNS1_3gpuE8ELNS1_3repE0EEENS1_30default_config_static_selectorELNS0_4arch9wavefront6targetE0EEEvSY_
		.amdhsa_group_segment_fixed_size 0
		.amdhsa_private_segment_fixed_size 0
		.amdhsa_kernarg_size 56
		.amdhsa_user_sgpr_count 6
		.amdhsa_user_sgpr_private_segment_buffer 1
		.amdhsa_user_sgpr_dispatch_ptr 0
		.amdhsa_user_sgpr_queue_ptr 0
		.amdhsa_user_sgpr_kernarg_segment_ptr 1
		.amdhsa_user_sgpr_dispatch_id 0
		.amdhsa_user_sgpr_flat_scratch_init 0
		.amdhsa_user_sgpr_private_segment_size 0
		.amdhsa_wavefront_size32 1
		.amdhsa_uses_dynamic_stack 0
		.amdhsa_system_sgpr_private_segment_wavefront_offset 0
		.amdhsa_system_sgpr_workgroup_id_x 1
		.amdhsa_system_sgpr_workgroup_id_y 0
		.amdhsa_system_sgpr_workgroup_id_z 0
		.amdhsa_system_sgpr_workgroup_info 0
		.amdhsa_system_vgpr_workitem_id 0
		.amdhsa_next_free_vgpr 1
		.amdhsa_next_free_sgpr 1
		.amdhsa_reserve_vcc 0
		.amdhsa_reserve_flat_scratch 0
		.amdhsa_float_round_mode_32 0
		.amdhsa_float_round_mode_16_64 0
		.amdhsa_float_denorm_mode_32 3
		.amdhsa_float_denorm_mode_16_64 3
		.amdhsa_dx10_clamp 1
		.amdhsa_ieee_mode 1
		.amdhsa_fp16_overflow 0
		.amdhsa_workgroup_processor_mode 1
		.amdhsa_memory_ordered 1
		.amdhsa_forward_progress 1
		.amdhsa_shared_vgpr_count 0
		.amdhsa_exception_fp_ieee_invalid_op 0
		.amdhsa_exception_fp_denorm_src 0
		.amdhsa_exception_fp_ieee_div_zero 0
		.amdhsa_exception_fp_ieee_overflow 0
		.amdhsa_exception_fp_ieee_underflow 0
		.amdhsa_exception_fp_ieee_inexact 0
		.amdhsa_exception_int_div_zero 0
	.end_amdhsa_kernel
	.section	.text._ZN7rocprim17ROCPRIM_400000_NS6detail17trampoline_kernelINS0_14default_configENS1_27lower_bound_config_selectorIflEEZNS1_14transform_implILb0ES3_S5_N6thrust23THRUST_200600_302600_NS6detail15normal_iteratorINS8_7pointerIfNS8_11hip_rocprim5par_tENS8_11use_defaultESE_EEEENSA_INSB_IlSD_SE_SE_EEEEZNS1_13binary_searchIS3_S5_NSA_INS8_10device_ptrIfEEEESG_SI_NS1_21lower_bound_search_opENS9_16wrapped_functionINS8_6system6detail7generic6detail18binary_search_lessEbEEEE10hipError_tPvRmT1_T2_T3_mmT4_T5_P12ihipStream_tbEUlRKfE_EESV_SZ_S10_mS11_S14_bEUlT_E_NS1_11comp_targetILNS1_3genE4ELNS1_11target_archE910ELNS1_3gpuE8ELNS1_3repE0EEENS1_30default_config_static_selectorELNS0_4arch9wavefront6targetE0EEEvSY_,"axG",@progbits,_ZN7rocprim17ROCPRIM_400000_NS6detail17trampoline_kernelINS0_14default_configENS1_27lower_bound_config_selectorIflEEZNS1_14transform_implILb0ES3_S5_N6thrust23THRUST_200600_302600_NS6detail15normal_iteratorINS8_7pointerIfNS8_11hip_rocprim5par_tENS8_11use_defaultESE_EEEENSA_INSB_IlSD_SE_SE_EEEEZNS1_13binary_searchIS3_S5_NSA_INS8_10device_ptrIfEEEESG_SI_NS1_21lower_bound_search_opENS9_16wrapped_functionINS8_6system6detail7generic6detail18binary_search_lessEbEEEE10hipError_tPvRmT1_T2_T3_mmT4_T5_P12ihipStream_tbEUlRKfE_EESV_SZ_S10_mS11_S14_bEUlT_E_NS1_11comp_targetILNS1_3genE4ELNS1_11target_archE910ELNS1_3gpuE8ELNS1_3repE0EEENS1_30default_config_static_selectorELNS0_4arch9wavefront6targetE0EEEvSY_,comdat
.Lfunc_end351:
	.size	_ZN7rocprim17ROCPRIM_400000_NS6detail17trampoline_kernelINS0_14default_configENS1_27lower_bound_config_selectorIflEEZNS1_14transform_implILb0ES3_S5_N6thrust23THRUST_200600_302600_NS6detail15normal_iteratorINS8_7pointerIfNS8_11hip_rocprim5par_tENS8_11use_defaultESE_EEEENSA_INSB_IlSD_SE_SE_EEEEZNS1_13binary_searchIS3_S5_NSA_INS8_10device_ptrIfEEEESG_SI_NS1_21lower_bound_search_opENS9_16wrapped_functionINS8_6system6detail7generic6detail18binary_search_lessEbEEEE10hipError_tPvRmT1_T2_T3_mmT4_T5_P12ihipStream_tbEUlRKfE_EESV_SZ_S10_mS11_S14_bEUlT_E_NS1_11comp_targetILNS1_3genE4ELNS1_11target_archE910ELNS1_3gpuE8ELNS1_3repE0EEENS1_30default_config_static_selectorELNS0_4arch9wavefront6targetE0EEEvSY_, .Lfunc_end351-_ZN7rocprim17ROCPRIM_400000_NS6detail17trampoline_kernelINS0_14default_configENS1_27lower_bound_config_selectorIflEEZNS1_14transform_implILb0ES3_S5_N6thrust23THRUST_200600_302600_NS6detail15normal_iteratorINS8_7pointerIfNS8_11hip_rocprim5par_tENS8_11use_defaultESE_EEEENSA_INSB_IlSD_SE_SE_EEEEZNS1_13binary_searchIS3_S5_NSA_INS8_10device_ptrIfEEEESG_SI_NS1_21lower_bound_search_opENS9_16wrapped_functionINS8_6system6detail7generic6detail18binary_search_lessEbEEEE10hipError_tPvRmT1_T2_T3_mmT4_T5_P12ihipStream_tbEUlRKfE_EESV_SZ_S10_mS11_S14_bEUlT_E_NS1_11comp_targetILNS1_3genE4ELNS1_11target_archE910ELNS1_3gpuE8ELNS1_3repE0EEENS1_30default_config_static_selectorELNS0_4arch9wavefront6targetE0EEEvSY_
                                        ; -- End function
	.set _ZN7rocprim17ROCPRIM_400000_NS6detail17trampoline_kernelINS0_14default_configENS1_27lower_bound_config_selectorIflEEZNS1_14transform_implILb0ES3_S5_N6thrust23THRUST_200600_302600_NS6detail15normal_iteratorINS8_7pointerIfNS8_11hip_rocprim5par_tENS8_11use_defaultESE_EEEENSA_INSB_IlSD_SE_SE_EEEEZNS1_13binary_searchIS3_S5_NSA_INS8_10device_ptrIfEEEESG_SI_NS1_21lower_bound_search_opENS9_16wrapped_functionINS8_6system6detail7generic6detail18binary_search_lessEbEEEE10hipError_tPvRmT1_T2_T3_mmT4_T5_P12ihipStream_tbEUlRKfE_EESV_SZ_S10_mS11_S14_bEUlT_E_NS1_11comp_targetILNS1_3genE4ELNS1_11target_archE910ELNS1_3gpuE8ELNS1_3repE0EEENS1_30default_config_static_selectorELNS0_4arch9wavefront6targetE0EEEvSY_.num_vgpr, 0
	.set _ZN7rocprim17ROCPRIM_400000_NS6detail17trampoline_kernelINS0_14default_configENS1_27lower_bound_config_selectorIflEEZNS1_14transform_implILb0ES3_S5_N6thrust23THRUST_200600_302600_NS6detail15normal_iteratorINS8_7pointerIfNS8_11hip_rocprim5par_tENS8_11use_defaultESE_EEEENSA_INSB_IlSD_SE_SE_EEEEZNS1_13binary_searchIS3_S5_NSA_INS8_10device_ptrIfEEEESG_SI_NS1_21lower_bound_search_opENS9_16wrapped_functionINS8_6system6detail7generic6detail18binary_search_lessEbEEEE10hipError_tPvRmT1_T2_T3_mmT4_T5_P12ihipStream_tbEUlRKfE_EESV_SZ_S10_mS11_S14_bEUlT_E_NS1_11comp_targetILNS1_3genE4ELNS1_11target_archE910ELNS1_3gpuE8ELNS1_3repE0EEENS1_30default_config_static_selectorELNS0_4arch9wavefront6targetE0EEEvSY_.num_agpr, 0
	.set _ZN7rocprim17ROCPRIM_400000_NS6detail17trampoline_kernelINS0_14default_configENS1_27lower_bound_config_selectorIflEEZNS1_14transform_implILb0ES3_S5_N6thrust23THRUST_200600_302600_NS6detail15normal_iteratorINS8_7pointerIfNS8_11hip_rocprim5par_tENS8_11use_defaultESE_EEEENSA_INSB_IlSD_SE_SE_EEEEZNS1_13binary_searchIS3_S5_NSA_INS8_10device_ptrIfEEEESG_SI_NS1_21lower_bound_search_opENS9_16wrapped_functionINS8_6system6detail7generic6detail18binary_search_lessEbEEEE10hipError_tPvRmT1_T2_T3_mmT4_T5_P12ihipStream_tbEUlRKfE_EESV_SZ_S10_mS11_S14_bEUlT_E_NS1_11comp_targetILNS1_3genE4ELNS1_11target_archE910ELNS1_3gpuE8ELNS1_3repE0EEENS1_30default_config_static_selectorELNS0_4arch9wavefront6targetE0EEEvSY_.numbered_sgpr, 0
	.set _ZN7rocprim17ROCPRIM_400000_NS6detail17trampoline_kernelINS0_14default_configENS1_27lower_bound_config_selectorIflEEZNS1_14transform_implILb0ES3_S5_N6thrust23THRUST_200600_302600_NS6detail15normal_iteratorINS8_7pointerIfNS8_11hip_rocprim5par_tENS8_11use_defaultESE_EEEENSA_INSB_IlSD_SE_SE_EEEEZNS1_13binary_searchIS3_S5_NSA_INS8_10device_ptrIfEEEESG_SI_NS1_21lower_bound_search_opENS9_16wrapped_functionINS8_6system6detail7generic6detail18binary_search_lessEbEEEE10hipError_tPvRmT1_T2_T3_mmT4_T5_P12ihipStream_tbEUlRKfE_EESV_SZ_S10_mS11_S14_bEUlT_E_NS1_11comp_targetILNS1_3genE4ELNS1_11target_archE910ELNS1_3gpuE8ELNS1_3repE0EEENS1_30default_config_static_selectorELNS0_4arch9wavefront6targetE0EEEvSY_.num_named_barrier, 0
	.set _ZN7rocprim17ROCPRIM_400000_NS6detail17trampoline_kernelINS0_14default_configENS1_27lower_bound_config_selectorIflEEZNS1_14transform_implILb0ES3_S5_N6thrust23THRUST_200600_302600_NS6detail15normal_iteratorINS8_7pointerIfNS8_11hip_rocprim5par_tENS8_11use_defaultESE_EEEENSA_INSB_IlSD_SE_SE_EEEEZNS1_13binary_searchIS3_S5_NSA_INS8_10device_ptrIfEEEESG_SI_NS1_21lower_bound_search_opENS9_16wrapped_functionINS8_6system6detail7generic6detail18binary_search_lessEbEEEE10hipError_tPvRmT1_T2_T3_mmT4_T5_P12ihipStream_tbEUlRKfE_EESV_SZ_S10_mS11_S14_bEUlT_E_NS1_11comp_targetILNS1_3genE4ELNS1_11target_archE910ELNS1_3gpuE8ELNS1_3repE0EEENS1_30default_config_static_selectorELNS0_4arch9wavefront6targetE0EEEvSY_.private_seg_size, 0
	.set _ZN7rocprim17ROCPRIM_400000_NS6detail17trampoline_kernelINS0_14default_configENS1_27lower_bound_config_selectorIflEEZNS1_14transform_implILb0ES3_S5_N6thrust23THRUST_200600_302600_NS6detail15normal_iteratorINS8_7pointerIfNS8_11hip_rocprim5par_tENS8_11use_defaultESE_EEEENSA_INSB_IlSD_SE_SE_EEEEZNS1_13binary_searchIS3_S5_NSA_INS8_10device_ptrIfEEEESG_SI_NS1_21lower_bound_search_opENS9_16wrapped_functionINS8_6system6detail7generic6detail18binary_search_lessEbEEEE10hipError_tPvRmT1_T2_T3_mmT4_T5_P12ihipStream_tbEUlRKfE_EESV_SZ_S10_mS11_S14_bEUlT_E_NS1_11comp_targetILNS1_3genE4ELNS1_11target_archE910ELNS1_3gpuE8ELNS1_3repE0EEENS1_30default_config_static_selectorELNS0_4arch9wavefront6targetE0EEEvSY_.uses_vcc, 0
	.set _ZN7rocprim17ROCPRIM_400000_NS6detail17trampoline_kernelINS0_14default_configENS1_27lower_bound_config_selectorIflEEZNS1_14transform_implILb0ES3_S5_N6thrust23THRUST_200600_302600_NS6detail15normal_iteratorINS8_7pointerIfNS8_11hip_rocprim5par_tENS8_11use_defaultESE_EEEENSA_INSB_IlSD_SE_SE_EEEEZNS1_13binary_searchIS3_S5_NSA_INS8_10device_ptrIfEEEESG_SI_NS1_21lower_bound_search_opENS9_16wrapped_functionINS8_6system6detail7generic6detail18binary_search_lessEbEEEE10hipError_tPvRmT1_T2_T3_mmT4_T5_P12ihipStream_tbEUlRKfE_EESV_SZ_S10_mS11_S14_bEUlT_E_NS1_11comp_targetILNS1_3genE4ELNS1_11target_archE910ELNS1_3gpuE8ELNS1_3repE0EEENS1_30default_config_static_selectorELNS0_4arch9wavefront6targetE0EEEvSY_.uses_flat_scratch, 0
	.set _ZN7rocprim17ROCPRIM_400000_NS6detail17trampoline_kernelINS0_14default_configENS1_27lower_bound_config_selectorIflEEZNS1_14transform_implILb0ES3_S5_N6thrust23THRUST_200600_302600_NS6detail15normal_iteratorINS8_7pointerIfNS8_11hip_rocprim5par_tENS8_11use_defaultESE_EEEENSA_INSB_IlSD_SE_SE_EEEEZNS1_13binary_searchIS3_S5_NSA_INS8_10device_ptrIfEEEESG_SI_NS1_21lower_bound_search_opENS9_16wrapped_functionINS8_6system6detail7generic6detail18binary_search_lessEbEEEE10hipError_tPvRmT1_T2_T3_mmT4_T5_P12ihipStream_tbEUlRKfE_EESV_SZ_S10_mS11_S14_bEUlT_E_NS1_11comp_targetILNS1_3genE4ELNS1_11target_archE910ELNS1_3gpuE8ELNS1_3repE0EEENS1_30default_config_static_selectorELNS0_4arch9wavefront6targetE0EEEvSY_.has_dyn_sized_stack, 0
	.set _ZN7rocprim17ROCPRIM_400000_NS6detail17trampoline_kernelINS0_14default_configENS1_27lower_bound_config_selectorIflEEZNS1_14transform_implILb0ES3_S5_N6thrust23THRUST_200600_302600_NS6detail15normal_iteratorINS8_7pointerIfNS8_11hip_rocprim5par_tENS8_11use_defaultESE_EEEENSA_INSB_IlSD_SE_SE_EEEEZNS1_13binary_searchIS3_S5_NSA_INS8_10device_ptrIfEEEESG_SI_NS1_21lower_bound_search_opENS9_16wrapped_functionINS8_6system6detail7generic6detail18binary_search_lessEbEEEE10hipError_tPvRmT1_T2_T3_mmT4_T5_P12ihipStream_tbEUlRKfE_EESV_SZ_S10_mS11_S14_bEUlT_E_NS1_11comp_targetILNS1_3genE4ELNS1_11target_archE910ELNS1_3gpuE8ELNS1_3repE0EEENS1_30default_config_static_selectorELNS0_4arch9wavefront6targetE0EEEvSY_.has_recursion, 0
	.set _ZN7rocprim17ROCPRIM_400000_NS6detail17trampoline_kernelINS0_14default_configENS1_27lower_bound_config_selectorIflEEZNS1_14transform_implILb0ES3_S5_N6thrust23THRUST_200600_302600_NS6detail15normal_iteratorINS8_7pointerIfNS8_11hip_rocprim5par_tENS8_11use_defaultESE_EEEENSA_INSB_IlSD_SE_SE_EEEEZNS1_13binary_searchIS3_S5_NSA_INS8_10device_ptrIfEEEESG_SI_NS1_21lower_bound_search_opENS9_16wrapped_functionINS8_6system6detail7generic6detail18binary_search_lessEbEEEE10hipError_tPvRmT1_T2_T3_mmT4_T5_P12ihipStream_tbEUlRKfE_EESV_SZ_S10_mS11_S14_bEUlT_E_NS1_11comp_targetILNS1_3genE4ELNS1_11target_archE910ELNS1_3gpuE8ELNS1_3repE0EEENS1_30default_config_static_selectorELNS0_4arch9wavefront6targetE0EEEvSY_.has_indirect_call, 0
	.section	.AMDGPU.csdata,"",@progbits
; Kernel info:
; codeLenInByte = 0
; TotalNumSgprs: 0
; NumVgprs: 0
; ScratchSize: 0
; MemoryBound: 0
; FloatMode: 240
; IeeeMode: 1
; LDSByteSize: 0 bytes/workgroup (compile time only)
; SGPRBlocks: 0
; VGPRBlocks: 0
; NumSGPRsForWavesPerEU: 1
; NumVGPRsForWavesPerEU: 1
; Occupancy: 16
; WaveLimiterHint : 0
; COMPUTE_PGM_RSRC2:SCRATCH_EN: 0
; COMPUTE_PGM_RSRC2:USER_SGPR: 6
; COMPUTE_PGM_RSRC2:TRAP_HANDLER: 0
; COMPUTE_PGM_RSRC2:TGID_X_EN: 1
; COMPUTE_PGM_RSRC2:TGID_Y_EN: 0
; COMPUTE_PGM_RSRC2:TGID_Z_EN: 0
; COMPUTE_PGM_RSRC2:TIDIG_COMP_CNT: 0
	.section	.text._ZN7rocprim17ROCPRIM_400000_NS6detail17trampoline_kernelINS0_14default_configENS1_27lower_bound_config_selectorIflEEZNS1_14transform_implILb0ES3_S5_N6thrust23THRUST_200600_302600_NS6detail15normal_iteratorINS8_7pointerIfNS8_11hip_rocprim5par_tENS8_11use_defaultESE_EEEENSA_INSB_IlSD_SE_SE_EEEEZNS1_13binary_searchIS3_S5_NSA_INS8_10device_ptrIfEEEESG_SI_NS1_21lower_bound_search_opENS9_16wrapped_functionINS8_6system6detail7generic6detail18binary_search_lessEbEEEE10hipError_tPvRmT1_T2_T3_mmT4_T5_P12ihipStream_tbEUlRKfE_EESV_SZ_S10_mS11_S14_bEUlT_E_NS1_11comp_targetILNS1_3genE3ELNS1_11target_archE908ELNS1_3gpuE7ELNS1_3repE0EEENS1_30default_config_static_selectorELNS0_4arch9wavefront6targetE0EEEvSY_,"axG",@progbits,_ZN7rocprim17ROCPRIM_400000_NS6detail17trampoline_kernelINS0_14default_configENS1_27lower_bound_config_selectorIflEEZNS1_14transform_implILb0ES3_S5_N6thrust23THRUST_200600_302600_NS6detail15normal_iteratorINS8_7pointerIfNS8_11hip_rocprim5par_tENS8_11use_defaultESE_EEEENSA_INSB_IlSD_SE_SE_EEEEZNS1_13binary_searchIS3_S5_NSA_INS8_10device_ptrIfEEEESG_SI_NS1_21lower_bound_search_opENS9_16wrapped_functionINS8_6system6detail7generic6detail18binary_search_lessEbEEEE10hipError_tPvRmT1_T2_T3_mmT4_T5_P12ihipStream_tbEUlRKfE_EESV_SZ_S10_mS11_S14_bEUlT_E_NS1_11comp_targetILNS1_3genE3ELNS1_11target_archE908ELNS1_3gpuE7ELNS1_3repE0EEENS1_30default_config_static_selectorELNS0_4arch9wavefront6targetE0EEEvSY_,comdat
	.protected	_ZN7rocprim17ROCPRIM_400000_NS6detail17trampoline_kernelINS0_14default_configENS1_27lower_bound_config_selectorIflEEZNS1_14transform_implILb0ES3_S5_N6thrust23THRUST_200600_302600_NS6detail15normal_iteratorINS8_7pointerIfNS8_11hip_rocprim5par_tENS8_11use_defaultESE_EEEENSA_INSB_IlSD_SE_SE_EEEEZNS1_13binary_searchIS3_S5_NSA_INS8_10device_ptrIfEEEESG_SI_NS1_21lower_bound_search_opENS9_16wrapped_functionINS8_6system6detail7generic6detail18binary_search_lessEbEEEE10hipError_tPvRmT1_T2_T3_mmT4_T5_P12ihipStream_tbEUlRKfE_EESV_SZ_S10_mS11_S14_bEUlT_E_NS1_11comp_targetILNS1_3genE3ELNS1_11target_archE908ELNS1_3gpuE7ELNS1_3repE0EEENS1_30default_config_static_selectorELNS0_4arch9wavefront6targetE0EEEvSY_ ; -- Begin function _ZN7rocprim17ROCPRIM_400000_NS6detail17trampoline_kernelINS0_14default_configENS1_27lower_bound_config_selectorIflEEZNS1_14transform_implILb0ES3_S5_N6thrust23THRUST_200600_302600_NS6detail15normal_iteratorINS8_7pointerIfNS8_11hip_rocprim5par_tENS8_11use_defaultESE_EEEENSA_INSB_IlSD_SE_SE_EEEEZNS1_13binary_searchIS3_S5_NSA_INS8_10device_ptrIfEEEESG_SI_NS1_21lower_bound_search_opENS9_16wrapped_functionINS8_6system6detail7generic6detail18binary_search_lessEbEEEE10hipError_tPvRmT1_T2_T3_mmT4_T5_P12ihipStream_tbEUlRKfE_EESV_SZ_S10_mS11_S14_bEUlT_E_NS1_11comp_targetILNS1_3genE3ELNS1_11target_archE908ELNS1_3gpuE7ELNS1_3repE0EEENS1_30default_config_static_selectorELNS0_4arch9wavefront6targetE0EEEvSY_
	.globl	_ZN7rocprim17ROCPRIM_400000_NS6detail17trampoline_kernelINS0_14default_configENS1_27lower_bound_config_selectorIflEEZNS1_14transform_implILb0ES3_S5_N6thrust23THRUST_200600_302600_NS6detail15normal_iteratorINS8_7pointerIfNS8_11hip_rocprim5par_tENS8_11use_defaultESE_EEEENSA_INSB_IlSD_SE_SE_EEEEZNS1_13binary_searchIS3_S5_NSA_INS8_10device_ptrIfEEEESG_SI_NS1_21lower_bound_search_opENS9_16wrapped_functionINS8_6system6detail7generic6detail18binary_search_lessEbEEEE10hipError_tPvRmT1_T2_T3_mmT4_T5_P12ihipStream_tbEUlRKfE_EESV_SZ_S10_mS11_S14_bEUlT_E_NS1_11comp_targetILNS1_3genE3ELNS1_11target_archE908ELNS1_3gpuE7ELNS1_3repE0EEENS1_30default_config_static_selectorELNS0_4arch9wavefront6targetE0EEEvSY_
	.p2align	8
	.type	_ZN7rocprim17ROCPRIM_400000_NS6detail17trampoline_kernelINS0_14default_configENS1_27lower_bound_config_selectorIflEEZNS1_14transform_implILb0ES3_S5_N6thrust23THRUST_200600_302600_NS6detail15normal_iteratorINS8_7pointerIfNS8_11hip_rocprim5par_tENS8_11use_defaultESE_EEEENSA_INSB_IlSD_SE_SE_EEEEZNS1_13binary_searchIS3_S5_NSA_INS8_10device_ptrIfEEEESG_SI_NS1_21lower_bound_search_opENS9_16wrapped_functionINS8_6system6detail7generic6detail18binary_search_lessEbEEEE10hipError_tPvRmT1_T2_T3_mmT4_T5_P12ihipStream_tbEUlRKfE_EESV_SZ_S10_mS11_S14_bEUlT_E_NS1_11comp_targetILNS1_3genE3ELNS1_11target_archE908ELNS1_3gpuE7ELNS1_3repE0EEENS1_30default_config_static_selectorELNS0_4arch9wavefront6targetE0EEEvSY_,@function
_ZN7rocprim17ROCPRIM_400000_NS6detail17trampoline_kernelINS0_14default_configENS1_27lower_bound_config_selectorIflEEZNS1_14transform_implILb0ES3_S5_N6thrust23THRUST_200600_302600_NS6detail15normal_iteratorINS8_7pointerIfNS8_11hip_rocprim5par_tENS8_11use_defaultESE_EEEENSA_INSB_IlSD_SE_SE_EEEEZNS1_13binary_searchIS3_S5_NSA_INS8_10device_ptrIfEEEESG_SI_NS1_21lower_bound_search_opENS9_16wrapped_functionINS8_6system6detail7generic6detail18binary_search_lessEbEEEE10hipError_tPvRmT1_T2_T3_mmT4_T5_P12ihipStream_tbEUlRKfE_EESV_SZ_S10_mS11_S14_bEUlT_E_NS1_11comp_targetILNS1_3genE3ELNS1_11target_archE908ELNS1_3gpuE7ELNS1_3repE0EEENS1_30default_config_static_selectorELNS0_4arch9wavefront6targetE0EEEvSY_: ; @_ZN7rocprim17ROCPRIM_400000_NS6detail17trampoline_kernelINS0_14default_configENS1_27lower_bound_config_selectorIflEEZNS1_14transform_implILb0ES3_S5_N6thrust23THRUST_200600_302600_NS6detail15normal_iteratorINS8_7pointerIfNS8_11hip_rocprim5par_tENS8_11use_defaultESE_EEEENSA_INSB_IlSD_SE_SE_EEEEZNS1_13binary_searchIS3_S5_NSA_INS8_10device_ptrIfEEEESG_SI_NS1_21lower_bound_search_opENS9_16wrapped_functionINS8_6system6detail7generic6detail18binary_search_lessEbEEEE10hipError_tPvRmT1_T2_T3_mmT4_T5_P12ihipStream_tbEUlRKfE_EESV_SZ_S10_mS11_S14_bEUlT_E_NS1_11comp_targetILNS1_3genE3ELNS1_11target_archE908ELNS1_3gpuE7ELNS1_3repE0EEENS1_30default_config_static_selectorELNS0_4arch9wavefront6targetE0EEEvSY_
; %bb.0:
	.section	.rodata,"a",@progbits
	.p2align	6, 0x0
	.amdhsa_kernel _ZN7rocprim17ROCPRIM_400000_NS6detail17trampoline_kernelINS0_14default_configENS1_27lower_bound_config_selectorIflEEZNS1_14transform_implILb0ES3_S5_N6thrust23THRUST_200600_302600_NS6detail15normal_iteratorINS8_7pointerIfNS8_11hip_rocprim5par_tENS8_11use_defaultESE_EEEENSA_INSB_IlSD_SE_SE_EEEEZNS1_13binary_searchIS3_S5_NSA_INS8_10device_ptrIfEEEESG_SI_NS1_21lower_bound_search_opENS9_16wrapped_functionINS8_6system6detail7generic6detail18binary_search_lessEbEEEE10hipError_tPvRmT1_T2_T3_mmT4_T5_P12ihipStream_tbEUlRKfE_EESV_SZ_S10_mS11_S14_bEUlT_E_NS1_11comp_targetILNS1_3genE3ELNS1_11target_archE908ELNS1_3gpuE7ELNS1_3repE0EEENS1_30default_config_static_selectorELNS0_4arch9wavefront6targetE0EEEvSY_
		.amdhsa_group_segment_fixed_size 0
		.amdhsa_private_segment_fixed_size 0
		.amdhsa_kernarg_size 56
		.amdhsa_user_sgpr_count 6
		.amdhsa_user_sgpr_private_segment_buffer 1
		.amdhsa_user_sgpr_dispatch_ptr 0
		.amdhsa_user_sgpr_queue_ptr 0
		.amdhsa_user_sgpr_kernarg_segment_ptr 1
		.amdhsa_user_sgpr_dispatch_id 0
		.amdhsa_user_sgpr_flat_scratch_init 0
		.amdhsa_user_sgpr_private_segment_size 0
		.amdhsa_wavefront_size32 1
		.amdhsa_uses_dynamic_stack 0
		.amdhsa_system_sgpr_private_segment_wavefront_offset 0
		.amdhsa_system_sgpr_workgroup_id_x 1
		.amdhsa_system_sgpr_workgroup_id_y 0
		.amdhsa_system_sgpr_workgroup_id_z 0
		.amdhsa_system_sgpr_workgroup_info 0
		.amdhsa_system_vgpr_workitem_id 0
		.amdhsa_next_free_vgpr 1
		.amdhsa_next_free_sgpr 1
		.amdhsa_reserve_vcc 0
		.amdhsa_reserve_flat_scratch 0
		.amdhsa_float_round_mode_32 0
		.amdhsa_float_round_mode_16_64 0
		.amdhsa_float_denorm_mode_32 3
		.amdhsa_float_denorm_mode_16_64 3
		.amdhsa_dx10_clamp 1
		.amdhsa_ieee_mode 1
		.amdhsa_fp16_overflow 0
		.amdhsa_workgroup_processor_mode 1
		.amdhsa_memory_ordered 1
		.amdhsa_forward_progress 1
		.amdhsa_shared_vgpr_count 0
		.amdhsa_exception_fp_ieee_invalid_op 0
		.amdhsa_exception_fp_denorm_src 0
		.amdhsa_exception_fp_ieee_div_zero 0
		.amdhsa_exception_fp_ieee_overflow 0
		.amdhsa_exception_fp_ieee_underflow 0
		.amdhsa_exception_fp_ieee_inexact 0
		.amdhsa_exception_int_div_zero 0
	.end_amdhsa_kernel
	.section	.text._ZN7rocprim17ROCPRIM_400000_NS6detail17trampoline_kernelINS0_14default_configENS1_27lower_bound_config_selectorIflEEZNS1_14transform_implILb0ES3_S5_N6thrust23THRUST_200600_302600_NS6detail15normal_iteratorINS8_7pointerIfNS8_11hip_rocprim5par_tENS8_11use_defaultESE_EEEENSA_INSB_IlSD_SE_SE_EEEEZNS1_13binary_searchIS3_S5_NSA_INS8_10device_ptrIfEEEESG_SI_NS1_21lower_bound_search_opENS9_16wrapped_functionINS8_6system6detail7generic6detail18binary_search_lessEbEEEE10hipError_tPvRmT1_T2_T3_mmT4_T5_P12ihipStream_tbEUlRKfE_EESV_SZ_S10_mS11_S14_bEUlT_E_NS1_11comp_targetILNS1_3genE3ELNS1_11target_archE908ELNS1_3gpuE7ELNS1_3repE0EEENS1_30default_config_static_selectorELNS0_4arch9wavefront6targetE0EEEvSY_,"axG",@progbits,_ZN7rocprim17ROCPRIM_400000_NS6detail17trampoline_kernelINS0_14default_configENS1_27lower_bound_config_selectorIflEEZNS1_14transform_implILb0ES3_S5_N6thrust23THRUST_200600_302600_NS6detail15normal_iteratorINS8_7pointerIfNS8_11hip_rocprim5par_tENS8_11use_defaultESE_EEEENSA_INSB_IlSD_SE_SE_EEEEZNS1_13binary_searchIS3_S5_NSA_INS8_10device_ptrIfEEEESG_SI_NS1_21lower_bound_search_opENS9_16wrapped_functionINS8_6system6detail7generic6detail18binary_search_lessEbEEEE10hipError_tPvRmT1_T2_T3_mmT4_T5_P12ihipStream_tbEUlRKfE_EESV_SZ_S10_mS11_S14_bEUlT_E_NS1_11comp_targetILNS1_3genE3ELNS1_11target_archE908ELNS1_3gpuE7ELNS1_3repE0EEENS1_30default_config_static_selectorELNS0_4arch9wavefront6targetE0EEEvSY_,comdat
.Lfunc_end352:
	.size	_ZN7rocprim17ROCPRIM_400000_NS6detail17trampoline_kernelINS0_14default_configENS1_27lower_bound_config_selectorIflEEZNS1_14transform_implILb0ES3_S5_N6thrust23THRUST_200600_302600_NS6detail15normal_iteratorINS8_7pointerIfNS8_11hip_rocprim5par_tENS8_11use_defaultESE_EEEENSA_INSB_IlSD_SE_SE_EEEEZNS1_13binary_searchIS3_S5_NSA_INS8_10device_ptrIfEEEESG_SI_NS1_21lower_bound_search_opENS9_16wrapped_functionINS8_6system6detail7generic6detail18binary_search_lessEbEEEE10hipError_tPvRmT1_T2_T3_mmT4_T5_P12ihipStream_tbEUlRKfE_EESV_SZ_S10_mS11_S14_bEUlT_E_NS1_11comp_targetILNS1_3genE3ELNS1_11target_archE908ELNS1_3gpuE7ELNS1_3repE0EEENS1_30default_config_static_selectorELNS0_4arch9wavefront6targetE0EEEvSY_, .Lfunc_end352-_ZN7rocprim17ROCPRIM_400000_NS6detail17trampoline_kernelINS0_14default_configENS1_27lower_bound_config_selectorIflEEZNS1_14transform_implILb0ES3_S5_N6thrust23THRUST_200600_302600_NS6detail15normal_iteratorINS8_7pointerIfNS8_11hip_rocprim5par_tENS8_11use_defaultESE_EEEENSA_INSB_IlSD_SE_SE_EEEEZNS1_13binary_searchIS3_S5_NSA_INS8_10device_ptrIfEEEESG_SI_NS1_21lower_bound_search_opENS9_16wrapped_functionINS8_6system6detail7generic6detail18binary_search_lessEbEEEE10hipError_tPvRmT1_T2_T3_mmT4_T5_P12ihipStream_tbEUlRKfE_EESV_SZ_S10_mS11_S14_bEUlT_E_NS1_11comp_targetILNS1_3genE3ELNS1_11target_archE908ELNS1_3gpuE7ELNS1_3repE0EEENS1_30default_config_static_selectorELNS0_4arch9wavefront6targetE0EEEvSY_
                                        ; -- End function
	.set _ZN7rocprim17ROCPRIM_400000_NS6detail17trampoline_kernelINS0_14default_configENS1_27lower_bound_config_selectorIflEEZNS1_14transform_implILb0ES3_S5_N6thrust23THRUST_200600_302600_NS6detail15normal_iteratorINS8_7pointerIfNS8_11hip_rocprim5par_tENS8_11use_defaultESE_EEEENSA_INSB_IlSD_SE_SE_EEEEZNS1_13binary_searchIS3_S5_NSA_INS8_10device_ptrIfEEEESG_SI_NS1_21lower_bound_search_opENS9_16wrapped_functionINS8_6system6detail7generic6detail18binary_search_lessEbEEEE10hipError_tPvRmT1_T2_T3_mmT4_T5_P12ihipStream_tbEUlRKfE_EESV_SZ_S10_mS11_S14_bEUlT_E_NS1_11comp_targetILNS1_3genE3ELNS1_11target_archE908ELNS1_3gpuE7ELNS1_3repE0EEENS1_30default_config_static_selectorELNS0_4arch9wavefront6targetE0EEEvSY_.num_vgpr, 0
	.set _ZN7rocprim17ROCPRIM_400000_NS6detail17trampoline_kernelINS0_14default_configENS1_27lower_bound_config_selectorIflEEZNS1_14transform_implILb0ES3_S5_N6thrust23THRUST_200600_302600_NS6detail15normal_iteratorINS8_7pointerIfNS8_11hip_rocprim5par_tENS8_11use_defaultESE_EEEENSA_INSB_IlSD_SE_SE_EEEEZNS1_13binary_searchIS3_S5_NSA_INS8_10device_ptrIfEEEESG_SI_NS1_21lower_bound_search_opENS9_16wrapped_functionINS8_6system6detail7generic6detail18binary_search_lessEbEEEE10hipError_tPvRmT1_T2_T3_mmT4_T5_P12ihipStream_tbEUlRKfE_EESV_SZ_S10_mS11_S14_bEUlT_E_NS1_11comp_targetILNS1_3genE3ELNS1_11target_archE908ELNS1_3gpuE7ELNS1_3repE0EEENS1_30default_config_static_selectorELNS0_4arch9wavefront6targetE0EEEvSY_.num_agpr, 0
	.set _ZN7rocprim17ROCPRIM_400000_NS6detail17trampoline_kernelINS0_14default_configENS1_27lower_bound_config_selectorIflEEZNS1_14transform_implILb0ES3_S5_N6thrust23THRUST_200600_302600_NS6detail15normal_iteratorINS8_7pointerIfNS8_11hip_rocprim5par_tENS8_11use_defaultESE_EEEENSA_INSB_IlSD_SE_SE_EEEEZNS1_13binary_searchIS3_S5_NSA_INS8_10device_ptrIfEEEESG_SI_NS1_21lower_bound_search_opENS9_16wrapped_functionINS8_6system6detail7generic6detail18binary_search_lessEbEEEE10hipError_tPvRmT1_T2_T3_mmT4_T5_P12ihipStream_tbEUlRKfE_EESV_SZ_S10_mS11_S14_bEUlT_E_NS1_11comp_targetILNS1_3genE3ELNS1_11target_archE908ELNS1_3gpuE7ELNS1_3repE0EEENS1_30default_config_static_selectorELNS0_4arch9wavefront6targetE0EEEvSY_.numbered_sgpr, 0
	.set _ZN7rocprim17ROCPRIM_400000_NS6detail17trampoline_kernelINS0_14default_configENS1_27lower_bound_config_selectorIflEEZNS1_14transform_implILb0ES3_S5_N6thrust23THRUST_200600_302600_NS6detail15normal_iteratorINS8_7pointerIfNS8_11hip_rocprim5par_tENS8_11use_defaultESE_EEEENSA_INSB_IlSD_SE_SE_EEEEZNS1_13binary_searchIS3_S5_NSA_INS8_10device_ptrIfEEEESG_SI_NS1_21lower_bound_search_opENS9_16wrapped_functionINS8_6system6detail7generic6detail18binary_search_lessEbEEEE10hipError_tPvRmT1_T2_T3_mmT4_T5_P12ihipStream_tbEUlRKfE_EESV_SZ_S10_mS11_S14_bEUlT_E_NS1_11comp_targetILNS1_3genE3ELNS1_11target_archE908ELNS1_3gpuE7ELNS1_3repE0EEENS1_30default_config_static_selectorELNS0_4arch9wavefront6targetE0EEEvSY_.num_named_barrier, 0
	.set _ZN7rocprim17ROCPRIM_400000_NS6detail17trampoline_kernelINS0_14default_configENS1_27lower_bound_config_selectorIflEEZNS1_14transform_implILb0ES3_S5_N6thrust23THRUST_200600_302600_NS6detail15normal_iteratorINS8_7pointerIfNS8_11hip_rocprim5par_tENS8_11use_defaultESE_EEEENSA_INSB_IlSD_SE_SE_EEEEZNS1_13binary_searchIS3_S5_NSA_INS8_10device_ptrIfEEEESG_SI_NS1_21lower_bound_search_opENS9_16wrapped_functionINS8_6system6detail7generic6detail18binary_search_lessEbEEEE10hipError_tPvRmT1_T2_T3_mmT4_T5_P12ihipStream_tbEUlRKfE_EESV_SZ_S10_mS11_S14_bEUlT_E_NS1_11comp_targetILNS1_3genE3ELNS1_11target_archE908ELNS1_3gpuE7ELNS1_3repE0EEENS1_30default_config_static_selectorELNS0_4arch9wavefront6targetE0EEEvSY_.private_seg_size, 0
	.set _ZN7rocprim17ROCPRIM_400000_NS6detail17trampoline_kernelINS0_14default_configENS1_27lower_bound_config_selectorIflEEZNS1_14transform_implILb0ES3_S5_N6thrust23THRUST_200600_302600_NS6detail15normal_iteratorINS8_7pointerIfNS8_11hip_rocprim5par_tENS8_11use_defaultESE_EEEENSA_INSB_IlSD_SE_SE_EEEEZNS1_13binary_searchIS3_S5_NSA_INS8_10device_ptrIfEEEESG_SI_NS1_21lower_bound_search_opENS9_16wrapped_functionINS8_6system6detail7generic6detail18binary_search_lessEbEEEE10hipError_tPvRmT1_T2_T3_mmT4_T5_P12ihipStream_tbEUlRKfE_EESV_SZ_S10_mS11_S14_bEUlT_E_NS1_11comp_targetILNS1_3genE3ELNS1_11target_archE908ELNS1_3gpuE7ELNS1_3repE0EEENS1_30default_config_static_selectorELNS0_4arch9wavefront6targetE0EEEvSY_.uses_vcc, 0
	.set _ZN7rocprim17ROCPRIM_400000_NS6detail17trampoline_kernelINS0_14default_configENS1_27lower_bound_config_selectorIflEEZNS1_14transform_implILb0ES3_S5_N6thrust23THRUST_200600_302600_NS6detail15normal_iteratorINS8_7pointerIfNS8_11hip_rocprim5par_tENS8_11use_defaultESE_EEEENSA_INSB_IlSD_SE_SE_EEEEZNS1_13binary_searchIS3_S5_NSA_INS8_10device_ptrIfEEEESG_SI_NS1_21lower_bound_search_opENS9_16wrapped_functionINS8_6system6detail7generic6detail18binary_search_lessEbEEEE10hipError_tPvRmT1_T2_T3_mmT4_T5_P12ihipStream_tbEUlRKfE_EESV_SZ_S10_mS11_S14_bEUlT_E_NS1_11comp_targetILNS1_3genE3ELNS1_11target_archE908ELNS1_3gpuE7ELNS1_3repE0EEENS1_30default_config_static_selectorELNS0_4arch9wavefront6targetE0EEEvSY_.uses_flat_scratch, 0
	.set _ZN7rocprim17ROCPRIM_400000_NS6detail17trampoline_kernelINS0_14default_configENS1_27lower_bound_config_selectorIflEEZNS1_14transform_implILb0ES3_S5_N6thrust23THRUST_200600_302600_NS6detail15normal_iteratorINS8_7pointerIfNS8_11hip_rocprim5par_tENS8_11use_defaultESE_EEEENSA_INSB_IlSD_SE_SE_EEEEZNS1_13binary_searchIS3_S5_NSA_INS8_10device_ptrIfEEEESG_SI_NS1_21lower_bound_search_opENS9_16wrapped_functionINS8_6system6detail7generic6detail18binary_search_lessEbEEEE10hipError_tPvRmT1_T2_T3_mmT4_T5_P12ihipStream_tbEUlRKfE_EESV_SZ_S10_mS11_S14_bEUlT_E_NS1_11comp_targetILNS1_3genE3ELNS1_11target_archE908ELNS1_3gpuE7ELNS1_3repE0EEENS1_30default_config_static_selectorELNS0_4arch9wavefront6targetE0EEEvSY_.has_dyn_sized_stack, 0
	.set _ZN7rocprim17ROCPRIM_400000_NS6detail17trampoline_kernelINS0_14default_configENS1_27lower_bound_config_selectorIflEEZNS1_14transform_implILb0ES3_S5_N6thrust23THRUST_200600_302600_NS6detail15normal_iteratorINS8_7pointerIfNS8_11hip_rocprim5par_tENS8_11use_defaultESE_EEEENSA_INSB_IlSD_SE_SE_EEEEZNS1_13binary_searchIS3_S5_NSA_INS8_10device_ptrIfEEEESG_SI_NS1_21lower_bound_search_opENS9_16wrapped_functionINS8_6system6detail7generic6detail18binary_search_lessEbEEEE10hipError_tPvRmT1_T2_T3_mmT4_T5_P12ihipStream_tbEUlRKfE_EESV_SZ_S10_mS11_S14_bEUlT_E_NS1_11comp_targetILNS1_3genE3ELNS1_11target_archE908ELNS1_3gpuE7ELNS1_3repE0EEENS1_30default_config_static_selectorELNS0_4arch9wavefront6targetE0EEEvSY_.has_recursion, 0
	.set _ZN7rocprim17ROCPRIM_400000_NS6detail17trampoline_kernelINS0_14default_configENS1_27lower_bound_config_selectorIflEEZNS1_14transform_implILb0ES3_S5_N6thrust23THRUST_200600_302600_NS6detail15normal_iteratorINS8_7pointerIfNS8_11hip_rocprim5par_tENS8_11use_defaultESE_EEEENSA_INSB_IlSD_SE_SE_EEEEZNS1_13binary_searchIS3_S5_NSA_INS8_10device_ptrIfEEEESG_SI_NS1_21lower_bound_search_opENS9_16wrapped_functionINS8_6system6detail7generic6detail18binary_search_lessEbEEEE10hipError_tPvRmT1_T2_T3_mmT4_T5_P12ihipStream_tbEUlRKfE_EESV_SZ_S10_mS11_S14_bEUlT_E_NS1_11comp_targetILNS1_3genE3ELNS1_11target_archE908ELNS1_3gpuE7ELNS1_3repE0EEENS1_30default_config_static_selectorELNS0_4arch9wavefront6targetE0EEEvSY_.has_indirect_call, 0
	.section	.AMDGPU.csdata,"",@progbits
; Kernel info:
; codeLenInByte = 0
; TotalNumSgprs: 0
; NumVgprs: 0
; ScratchSize: 0
; MemoryBound: 0
; FloatMode: 240
; IeeeMode: 1
; LDSByteSize: 0 bytes/workgroup (compile time only)
; SGPRBlocks: 0
; VGPRBlocks: 0
; NumSGPRsForWavesPerEU: 1
; NumVGPRsForWavesPerEU: 1
; Occupancy: 16
; WaveLimiterHint : 0
; COMPUTE_PGM_RSRC2:SCRATCH_EN: 0
; COMPUTE_PGM_RSRC2:USER_SGPR: 6
; COMPUTE_PGM_RSRC2:TRAP_HANDLER: 0
; COMPUTE_PGM_RSRC2:TGID_X_EN: 1
; COMPUTE_PGM_RSRC2:TGID_Y_EN: 0
; COMPUTE_PGM_RSRC2:TGID_Z_EN: 0
; COMPUTE_PGM_RSRC2:TIDIG_COMP_CNT: 0
	.section	.text._ZN7rocprim17ROCPRIM_400000_NS6detail17trampoline_kernelINS0_14default_configENS1_27lower_bound_config_selectorIflEEZNS1_14transform_implILb0ES3_S5_N6thrust23THRUST_200600_302600_NS6detail15normal_iteratorINS8_7pointerIfNS8_11hip_rocprim5par_tENS8_11use_defaultESE_EEEENSA_INSB_IlSD_SE_SE_EEEEZNS1_13binary_searchIS3_S5_NSA_INS8_10device_ptrIfEEEESG_SI_NS1_21lower_bound_search_opENS9_16wrapped_functionINS8_6system6detail7generic6detail18binary_search_lessEbEEEE10hipError_tPvRmT1_T2_T3_mmT4_T5_P12ihipStream_tbEUlRKfE_EESV_SZ_S10_mS11_S14_bEUlT_E_NS1_11comp_targetILNS1_3genE2ELNS1_11target_archE906ELNS1_3gpuE6ELNS1_3repE0EEENS1_30default_config_static_selectorELNS0_4arch9wavefront6targetE0EEEvSY_,"axG",@progbits,_ZN7rocprim17ROCPRIM_400000_NS6detail17trampoline_kernelINS0_14default_configENS1_27lower_bound_config_selectorIflEEZNS1_14transform_implILb0ES3_S5_N6thrust23THRUST_200600_302600_NS6detail15normal_iteratorINS8_7pointerIfNS8_11hip_rocprim5par_tENS8_11use_defaultESE_EEEENSA_INSB_IlSD_SE_SE_EEEEZNS1_13binary_searchIS3_S5_NSA_INS8_10device_ptrIfEEEESG_SI_NS1_21lower_bound_search_opENS9_16wrapped_functionINS8_6system6detail7generic6detail18binary_search_lessEbEEEE10hipError_tPvRmT1_T2_T3_mmT4_T5_P12ihipStream_tbEUlRKfE_EESV_SZ_S10_mS11_S14_bEUlT_E_NS1_11comp_targetILNS1_3genE2ELNS1_11target_archE906ELNS1_3gpuE6ELNS1_3repE0EEENS1_30default_config_static_selectorELNS0_4arch9wavefront6targetE0EEEvSY_,comdat
	.protected	_ZN7rocprim17ROCPRIM_400000_NS6detail17trampoline_kernelINS0_14default_configENS1_27lower_bound_config_selectorIflEEZNS1_14transform_implILb0ES3_S5_N6thrust23THRUST_200600_302600_NS6detail15normal_iteratorINS8_7pointerIfNS8_11hip_rocprim5par_tENS8_11use_defaultESE_EEEENSA_INSB_IlSD_SE_SE_EEEEZNS1_13binary_searchIS3_S5_NSA_INS8_10device_ptrIfEEEESG_SI_NS1_21lower_bound_search_opENS9_16wrapped_functionINS8_6system6detail7generic6detail18binary_search_lessEbEEEE10hipError_tPvRmT1_T2_T3_mmT4_T5_P12ihipStream_tbEUlRKfE_EESV_SZ_S10_mS11_S14_bEUlT_E_NS1_11comp_targetILNS1_3genE2ELNS1_11target_archE906ELNS1_3gpuE6ELNS1_3repE0EEENS1_30default_config_static_selectorELNS0_4arch9wavefront6targetE0EEEvSY_ ; -- Begin function _ZN7rocprim17ROCPRIM_400000_NS6detail17trampoline_kernelINS0_14default_configENS1_27lower_bound_config_selectorIflEEZNS1_14transform_implILb0ES3_S5_N6thrust23THRUST_200600_302600_NS6detail15normal_iteratorINS8_7pointerIfNS8_11hip_rocprim5par_tENS8_11use_defaultESE_EEEENSA_INSB_IlSD_SE_SE_EEEEZNS1_13binary_searchIS3_S5_NSA_INS8_10device_ptrIfEEEESG_SI_NS1_21lower_bound_search_opENS9_16wrapped_functionINS8_6system6detail7generic6detail18binary_search_lessEbEEEE10hipError_tPvRmT1_T2_T3_mmT4_T5_P12ihipStream_tbEUlRKfE_EESV_SZ_S10_mS11_S14_bEUlT_E_NS1_11comp_targetILNS1_3genE2ELNS1_11target_archE906ELNS1_3gpuE6ELNS1_3repE0EEENS1_30default_config_static_selectorELNS0_4arch9wavefront6targetE0EEEvSY_
	.globl	_ZN7rocprim17ROCPRIM_400000_NS6detail17trampoline_kernelINS0_14default_configENS1_27lower_bound_config_selectorIflEEZNS1_14transform_implILb0ES3_S5_N6thrust23THRUST_200600_302600_NS6detail15normal_iteratorINS8_7pointerIfNS8_11hip_rocprim5par_tENS8_11use_defaultESE_EEEENSA_INSB_IlSD_SE_SE_EEEEZNS1_13binary_searchIS3_S5_NSA_INS8_10device_ptrIfEEEESG_SI_NS1_21lower_bound_search_opENS9_16wrapped_functionINS8_6system6detail7generic6detail18binary_search_lessEbEEEE10hipError_tPvRmT1_T2_T3_mmT4_T5_P12ihipStream_tbEUlRKfE_EESV_SZ_S10_mS11_S14_bEUlT_E_NS1_11comp_targetILNS1_3genE2ELNS1_11target_archE906ELNS1_3gpuE6ELNS1_3repE0EEENS1_30default_config_static_selectorELNS0_4arch9wavefront6targetE0EEEvSY_
	.p2align	8
	.type	_ZN7rocprim17ROCPRIM_400000_NS6detail17trampoline_kernelINS0_14default_configENS1_27lower_bound_config_selectorIflEEZNS1_14transform_implILb0ES3_S5_N6thrust23THRUST_200600_302600_NS6detail15normal_iteratorINS8_7pointerIfNS8_11hip_rocprim5par_tENS8_11use_defaultESE_EEEENSA_INSB_IlSD_SE_SE_EEEEZNS1_13binary_searchIS3_S5_NSA_INS8_10device_ptrIfEEEESG_SI_NS1_21lower_bound_search_opENS9_16wrapped_functionINS8_6system6detail7generic6detail18binary_search_lessEbEEEE10hipError_tPvRmT1_T2_T3_mmT4_T5_P12ihipStream_tbEUlRKfE_EESV_SZ_S10_mS11_S14_bEUlT_E_NS1_11comp_targetILNS1_3genE2ELNS1_11target_archE906ELNS1_3gpuE6ELNS1_3repE0EEENS1_30default_config_static_selectorELNS0_4arch9wavefront6targetE0EEEvSY_,@function
_ZN7rocprim17ROCPRIM_400000_NS6detail17trampoline_kernelINS0_14default_configENS1_27lower_bound_config_selectorIflEEZNS1_14transform_implILb0ES3_S5_N6thrust23THRUST_200600_302600_NS6detail15normal_iteratorINS8_7pointerIfNS8_11hip_rocprim5par_tENS8_11use_defaultESE_EEEENSA_INSB_IlSD_SE_SE_EEEEZNS1_13binary_searchIS3_S5_NSA_INS8_10device_ptrIfEEEESG_SI_NS1_21lower_bound_search_opENS9_16wrapped_functionINS8_6system6detail7generic6detail18binary_search_lessEbEEEE10hipError_tPvRmT1_T2_T3_mmT4_T5_P12ihipStream_tbEUlRKfE_EESV_SZ_S10_mS11_S14_bEUlT_E_NS1_11comp_targetILNS1_3genE2ELNS1_11target_archE906ELNS1_3gpuE6ELNS1_3repE0EEENS1_30default_config_static_selectorELNS0_4arch9wavefront6targetE0EEEvSY_: ; @_ZN7rocprim17ROCPRIM_400000_NS6detail17trampoline_kernelINS0_14default_configENS1_27lower_bound_config_selectorIflEEZNS1_14transform_implILb0ES3_S5_N6thrust23THRUST_200600_302600_NS6detail15normal_iteratorINS8_7pointerIfNS8_11hip_rocprim5par_tENS8_11use_defaultESE_EEEENSA_INSB_IlSD_SE_SE_EEEEZNS1_13binary_searchIS3_S5_NSA_INS8_10device_ptrIfEEEESG_SI_NS1_21lower_bound_search_opENS9_16wrapped_functionINS8_6system6detail7generic6detail18binary_search_lessEbEEEE10hipError_tPvRmT1_T2_T3_mmT4_T5_P12ihipStream_tbEUlRKfE_EESV_SZ_S10_mS11_S14_bEUlT_E_NS1_11comp_targetILNS1_3genE2ELNS1_11target_archE906ELNS1_3gpuE6ELNS1_3repE0EEENS1_30default_config_static_selectorELNS0_4arch9wavefront6targetE0EEEvSY_
; %bb.0:
	.section	.rodata,"a",@progbits
	.p2align	6, 0x0
	.amdhsa_kernel _ZN7rocprim17ROCPRIM_400000_NS6detail17trampoline_kernelINS0_14default_configENS1_27lower_bound_config_selectorIflEEZNS1_14transform_implILb0ES3_S5_N6thrust23THRUST_200600_302600_NS6detail15normal_iteratorINS8_7pointerIfNS8_11hip_rocprim5par_tENS8_11use_defaultESE_EEEENSA_INSB_IlSD_SE_SE_EEEEZNS1_13binary_searchIS3_S5_NSA_INS8_10device_ptrIfEEEESG_SI_NS1_21lower_bound_search_opENS9_16wrapped_functionINS8_6system6detail7generic6detail18binary_search_lessEbEEEE10hipError_tPvRmT1_T2_T3_mmT4_T5_P12ihipStream_tbEUlRKfE_EESV_SZ_S10_mS11_S14_bEUlT_E_NS1_11comp_targetILNS1_3genE2ELNS1_11target_archE906ELNS1_3gpuE6ELNS1_3repE0EEENS1_30default_config_static_selectorELNS0_4arch9wavefront6targetE0EEEvSY_
		.amdhsa_group_segment_fixed_size 0
		.amdhsa_private_segment_fixed_size 0
		.amdhsa_kernarg_size 56
		.amdhsa_user_sgpr_count 6
		.amdhsa_user_sgpr_private_segment_buffer 1
		.amdhsa_user_sgpr_dispatch_ptr 0
		.amdhsa_user_sgpr_queue_ptr 0
		.amdhsa_user_sgpr_kernarg_segment_ptr 1
		.amdhsa_user_sgpr_dispatch_id 0
		.amdhsa_user_sgpr_flat_scratch_init 0
		.amdhsa_user_sgpr_private_segment_size 0
		.amdhsa_wavefront_size32 1
		.amdhsa_uses_dynamic_stack 0
		.amdhsa_system_sgpr_private_segment_wavefront_offset 0
		.amdhsa_system_sgpr_workgroup_id_x 1
		.amdhsa_system_sgpr_workgroup_id_y 0
		.amdhsa_system_sgpr_workgroup_id_z 0
		.amdhsa_system_sgpr_workgroup_info 0
		.amdhsa_system_vgpr_workitem_id 0
		.amdhsa_next_free_vgpr 1
		.amdhsa_next_free_sgpr 1
		.amdhsa_reserve_vcc 0
		.amdhsa_reserve_flat_scratch 0
		.amdhsa_float_round_mode_32 0
		.amdhsa_float_round_mode_16_64 0
		.amdhsa_float_denorm_mode_32 3
		.amdhsa_float_denorm_mode_16_64 3
		.amdhsa_dx10_clamp 1
		.amdhsa_ieee_mode 1
		.amdhsa_fp16_overflow 0
		.amdhsa_workgroup_processor_mode 1
		.amdhsa_memory_ordered 1
		.amdhsa_forward_progress 1
		.amdhsa_shared_vgpr_count 0
		.amdhsa_exception_fp_ieee_invalid_op 0
		.amdhsa_exception_fp_denorm_src 0
		.amdhsa_exception_fp_ieee_div_zero 0
		.amdhsa_exception_fp_ieee_overflow 0
		.amdhsa_exception_fp_ieee_underflow 0
		.amdhsa_exception_fp_ieee_inexact 0
		.amdhsa_exception_int_div_zero 0
	.end_amdhsa_kernel
	.section	.text._ZN7rocprim17ROCPRIM_400000_NS6detail17trampoline_kernelINS0_14default_configENS1_27lower_bound_config_selectorIflEEZNS1_14transform_implILb0ES3_S5_N6thrust23THRUST_200600_302600_NS6detail15normal_iteratorINS8_7pointerIfNS8_11hip_rocprim5par_tENS8_11use_defaultESE_EEEENSA_INSB_IlSD_SE_SE_EEEEZNS1_13binary_searchIS3_S5_NSA_INS8_10device_ptrIfEEEESG_SI_NS1_21lower_bound_search_opENS9_16wrapped_functionINS8_6system6detail7generic6detail18binary_search_lessEbEEEE10hipError_tPvRmT1_T2_T3_mmT4_T5_P12ihipStream_tbEUlRKfE_EESV_SZ_S10_mS11_S14_bEUlT_E_NS1_11comp_targetILNS1_3genE2ELNS1_11target_archE906ELNS1_3gpuE6ELNS1_3repE0EEENS1_30default_config_static_selectorELNS0_4arch9wavefront6targetE0EEEvSY_,"axG",@progbits,_ZN7rocprim17ROCPRIM_400000_NS6detail17trampoline_kernelINS0_14default_configENS1_27lower_bound_config_selectorIflEEZNS1_14transform_implILb0ES3_S5_N6thrust23THRUST_200600_302600_NS6detail15normal_iteratorINS8_7pointerIfNS8_11hip_rocprim5par_tENS8_11use_defaultESE_EEEENSA_INSB_IlSD_SE_SE_EEEEZNS1_13binary_searchIS3_S5_NSA_INS8_10device_ptrIfEEEESG_SI_NS1_21lower_bound_search_opENS9_16wrapped_functionINS8_6system6detail7generic6detail18binary_search_lessEbEEEE10hipError_tPvRmT1_T2_T3_mmT4_T5_P12ihipStream_tbEUlRKfE_EESV_SZ_S10_mS11_S14_bEUlT_E_NS1_11comp_targetILNS1_3genE2ELNS1_11target_archE906ELNS1_3gpuE6ELNS1_3repE0EEENS1_30default_config_static_selectorELNS0_4arch9wavefront6targetE0EEEvSY_,comdat
.Lfunc_end353:
	.size	_ZN7rocprim17ROCPRIM_400000_NS6detail17trampoline_kernelINS0_14default_configENS1_27lower_bound_config_selectorIflEEZNS1_14transform_implILb0ES3_S5_N6thrust23THRUST_200600_302600_NS6detail15normal_iteratorINS8_7pointerIfNS8_11hip_rocprim5par_tENS8_11use_defaultESE_EEEENSA_INSB_IlSD_SE_SE_EEEEZNS1_13binary_searchIS3_S5_NSA_INS8_10device_ptrIfEEEESG_SI_NS1_21lower_bound_search_opENS9_16wrapped_functionINS8_6system6detail7generic6detail18binary_search_lessEbEEEE10hipError_tPvRmT1_T2_T3_mmT4_T5_P12ihipStream_tbEUlRKfE_EESV_SZ_S10_mS11_S14_bEUlT_E_NS1_11comp_targetILNS1_3genE2ELNS1_11target_archE906ELNS1_3gpuE6ELNS1_3repE0EEENS1_30default_config_static_selectorELNS0_4arch9wavefront6targetE0EEEvSY_, .Lfunc_end353-_ZN7rocprim17ROCPRIM_400000_NS6detail17trampoline_kernelINS0_14default_configENS1_27lower_bound_config_selectorIflEEZNS1_14transform_implILb0ES3_S5_N6thrust23THRUST_200600_302600_NS6detail15normal_iteratorINS8_7pointerIfNS8_11hip_rocprim5par_tENS8_11use_defaultESE_EEEENSA_INSB_IlSD_SE_SE_EEEEZNS1_13binary_searchIS3_S5_NSA_INS8_10device_ptrIfEEEESG_SI_NS1_21lower_bound_search_opENS9_16wrapped_functionINS8_6system6detail7generic6detail18binary_search_lessEbEEEE10hipError_tPvRmT1_T2_T3_mmT4_T5_P12ihipStream_tbEUlRKfE_EESV_SZ_S10_mS11_S14_bEUlT_E_NS1_11comp_targetILNS1_3genE2ELNS1_11target_archE906ELNS1_3gpuE6ELNS1_3repE0EEENS1_30default_config_static_selectorELNS0_4arch9wavefront6targetE0EEEvSY_
                                        ; -- End function
	.set _ZN7rocprim17ROCPRIM_400000_NS6detail17trampoline_kernelINS0_14default_configENS1_27lower_bound_config_selectorIflEEZNS1_14transform_implILb0ES3_S5_N6thrust23THRUST_200600_302600_NS6detail15normal_iteratorINS8_7pointerIfNS8_11hip_rocprim5par_tENS8_11use_defaultESE_EEEENSA_INSB_IlSD_SE_SE_EEEEZNS1_13binary_searchIS3_S5_NSA_INS8_10device_ptrIfEEEESG_SI_NS1_21lower_bound_search_opENS9_16wrapped_functionINS8_6system6detail7generic6detail18binary_search_lessEbEEEE10hipError_tPvRmT1_T2_T3_mmT4_T5_P12ihipStream_tbEUlRKfE_EESV_SZ_S10_mS11_S14_bEUlT_E_NS1_11comp_targetILNS1_3genE2ELNS1_11target_archE906ELNS1_3gpuE6ELNS1_3repE0EEENS1_30default_config_static_selectorELNS0_4arch9wavefront6targetE0EEEvSY_.num_vgpr, 0
	.set _ZN7rocprim17ROCPRIM_400000_NS6detail17trampoline_kernelINS0_14default_configENS1_27lower_bound_config_selectorIflEEZNS1_14transform_implILb0ES3_S5_N6thrust23THRUST_200600_302600_NS6detail15normal_iteratorINS8_7pointerIfNS8_11hip_rocprim5par_tENS8_11use_defaultESE_EEEENSA_INSB_IlSD_SE_SE_EEEEZNS1_13binary_searchIS3_S5_NSA_INS8_10device_ptrIfEEEESG_SI_NS1_21lower_bound_search_opENS9_16wrapped_functionINS8_6system6detail7generic6detail18binary_search_lessEbEEEE10hipError_tPvRmT1_T2_T3_mmT4_T5_P12ihipStream_tbEUlRKfE_EESV_SZ_S10_mS11_S14_bEUlT_E_NS1_11comp_targetILNS1_3genE2ELNS1_11target_archE906ELNS1_3gpuE6ELNS1_3repE0EEENS1_30default_config_static_selectorELNS0_4arch9wavefront6targetE0EEEvSY_.num_agpr, 0
	.set _ZN7rocprim17ROCPRIM_400000_NS6detail17trampoline_kernelINS0_14default_configENS1_27lower_bound_config_selectorIflEEZNS1_14transform_implILb0ES3_S5_N6thrust23THRUST_200600_302600_NS6detail15normal_iteratorINS8_7pointerIfNS8_11hip_rocprim5par_tENS8_11use_defaultESE_EEEENSA_INSB_IlSD_SE_SE_EEEEZNS1_13binary_searchIS3_S5_NSA_INS8_10device_ptrIfEEEESG_SI_NS1_21lower_bound_search_opENS9_16wrapped_functionINS8_6system6detail7generic6detail18binary_search_lessEbEEEE10hipError_tPvRmT1_T2_T3_mmT4_T5_P12ihipStream_tbEUlRKfE_EESV_SZ_S10_mS11_S14_bEUlT_E_NS1_11comp_targetILNS1_3genE2ELNS1_11target_archE906ELNS1_3gpuE6ELNS1_3repE0EEENS1_30default_config_static_selectorELNS0_4arch9wavefront6targetE0EEEvSY_.numbered_sgpr, 0
	.set _ZN7rocprim17ROCPRIM_400000_NS6detail17trampoline_kernelINS0_14default_configENS1_27lower_bound_config_selectorIflEEZNS1_14transform_implILb0ES3_S5_N6thrust23THRUST_200600_302600_NS6detail15normal_iteratorINS8_7pointerIfNS8_11hip_rocprim5par_tENS8_11use_defaultESE_EEEENSA_INSB_IlSD_SE_SE_EEEEZNS1_13binary_searchIS3_S5_NSA_INS8_10device_ptrIfEEEESG_SI_NS1_21lower_bound_search_opENS9_16wrapped_functionINS8_6system6detail7generic6detail18binary_search_lessEbEEEE10hipError_tPvRmT1_T2_T3_mmT4_T5_P12ihipStream_tbEUlRKfE_EESV_SZ_S10_mS11_S14_bEUlT_E_NS1_11comp_targetILNS1_3genE2ELNS1_11target_archE906ELNS1_3gpuE6ELNS1_3repE0EEENS1_30default_config_static_selectorELNS0_4arch9wavefront6targetE0EEEvSY_.num_named_barrier, 0
	.set _ZN7rocprim17ROCPRIM_400000_NS6detail17trampoline_kernelINS0_14default_configENS1_27lower_bound_config_selectorIflEEZNS1_14transform_implILb0ES3_S5_N6thrust23THRUST_200600_302600_NS6detail15normal_iteratorINS8_7pointerIfNS8_11hip_rocprim5par_tENS8_11use_defaultESE_EEEENSA_INSB_IlSD_SE_SE_EEEEZNS1_13binary_searchIS3_S5_NSA_INS8_10device_ptrIfEEEESG_SI_NS1_21lower_bound_search_opENS9_16wrapped_functionINS8_6system6detail7generic6detail18binary_search_lessEbEEEE10hipError_tPvRmT1_T2_T3_mmT4_T5_P12ihipStream_tbEUlRKfE_EESV_SZ_S10_mS11_S14_bEUlT_E_NS1_11comp_targetILNS1_3genE2ELNS1_11target_archE906ELNS1_3gpuE6ELNS1_3repE0EEENS1_30default_config_static_selectorELNS0_4arch9wavefront6targetE0EEEvSY_.private_seg_size, 0
	.set _ZN7rocprim17ROCPRIM_400000_NS6detail17trampoline_kernelINS0_14default_configENS1_27lower_bound_config_selectorIflEEZNS1_14transform_implILb0ES3_S5_N6thrust23THRUST_200600_302600_NS6detail15normal_iteratorINS8_7pointerIfNS8_11hip_rocprim5par_tENS8_11use_defaultESE_EEEENSA_INSB_IlSD_SE_SE_EEEEZNS1_13binary_searchIS3_S5_NSA_INS8_10device_ptrIfEEEESG_SI_NS1_21lower_bound_search_opENS9_16wrapped_functionINS8_6system6detail7generic6detail18binary_search_lessEbEEEE10hipError_tPvRmT1_T2_T3_mmT4_T5_P12ihipStream_tbEUlRKfE_EESV_SZ_S10_mS11_S14_bEUlT_E_NS1_11comp_targetILNS1_3genE2ELNS1_11target_archE906ELNS1_3gpuE6ELNS1_3repE0EEENS1_30default_config_static_selectorELNS0_4arch9wavefront6targetE0EEEvSY_.uses_vcc, 0
	.set _ZN7rocprim17ROCPRIM_400000_NS6detail17trampoline_kernelINS0_14default_configENS1_27lower_bound_config_selectorIflEEZNS1_14transform_implILb0ES3_S5_N6thrust23THRUST_200600_302600_NS6detail15normal_iteratorINS8_7pointerIfNS8_11hip_rocprim5par_tENS8_11use_defaultESE_EEEENSA_INSB_IlSD_SE_SE_EEEEZNS1_13binary_searchIS3_S5_NSA_INS8_10device_ptrIfEEEESG_SI_NS1_21lower_bound_search_opENS9_16wrapped_functionINS8_6system6detail7generic6detail18binary_search_lessEbEEEE10hipError_tPvRmT1_T2_T3_mmT4_T5_P12ihipStream_tbEUlRKfE_EESV_SZ_S10_mS11_S14_bEUlT_E_NS1_11comp_targetILNS1_3genE2ELNS1_11target_archE906ELNS1_3gpuE6ELNS1_3repE0EEENS1_30default_config_static_selectorELNS0_4arch9wavefront6targetE0EEEvSY_.uses_flat_scratch, 0
	.set _ZN7rocprim17ROCPRIM_400000_NS6detail17trampoline_kernelINS0_14default_configENS1_27lower_bound_config_selectorIflEEZNS1_14transform_implILb0ES3_S5_N6thrust23THRUST_200600_302600_NS6detail15normal_iteratorINS8_7pointerIfNS8_11hip_rocprim5par_tENS8_11use_defaultESE_EEEENSA_INSB_IlSD_SE_SE_EEEEZNS1_13binary_searchIS3_S5_NSA_INS8_10device_ptrIfEEEESG_SI_NS1_21lower_bound_search_opENS9_16wrapped_functionINS8_6system6detail7generic6detail18binary_search_lessEbEEEE10hipError_tPvRmT1_T2_T3_mmT4_T5_P12ihipStream_tbEUlRKfE_EESV_SZ_S10_mS11_S14_bEUlT_E_NS1_11comp_targetILNS1_3genE2ELNS1_11target_archE906ELNS1_3gpuE6ELNS1_3repE0EEENS1_30default_config_static_selectorELNS0_4arch9wavefront6targetE0EEEvSY_.has_dyn_sized_stack, 0
	.set _ZN7rocprim17ROCPRIM_400000_NS6detail17trampoline_kernelINS0_14default_configENS1_27lower_bound_config_selectorIflEEZNS1_14transform_implILb0ES3_S5_N6thrust23THRUST_200600_302600_NS6detail15normal_iteratorINS8_7pointerIfNS8_11hip_rocprim5par_tENS8_11use_defaultESE_EEEENSA_INSB_IlSD_SE_SE_EEEEZNS1_13binary_searchIS3_S5_NSA_INS8_10device_ptrIfEEEESG_SI_NS1_21lower_bound_search_opENS9_16wrapped_functionINS8_6system6detail7generic6detail18binary_search_lessEbEEEE10hipError_tPvRmT1_T2_T3_mmT4_T5_P12ihipStream_tbEUlRKfE_EESV_SZ_S10_mS11_S14_bEUlT_E_NS1_11comp_targetILNS1_3genE2ELNS1_11target_archE906ELNS1_3gpuE6ELNS1_3repE0EEENS1_30default_config_static_selectorELNS0_4arch9wavefront6targetE0EEEvSY_.has_recursion, 0
	.set _ZN7rocprim17ROCPRIM_400000_NS6detail17trampoline_kernelINS0_14default_configENS1_27lower_bound_config_selectorIflEEZNS1_14transform_implILb0ES3_S5_N6thrust23THRUST_200600_302600_NS6detail15normal_iteratorINS8_7pointerIfNS8_11hip_rocprim5par_tENS8_11use_defaultESE_EEEENSA_INSB_IlSD_SE_SE_EEEEZNS1_13binary_searchIS3_S5_NSA_INS8_10device_ptrIfEEEESG_SI_NS1_21lower_bound_search_opENS9_16wrapped_functionINS8_6system6detail7generic6detail18binary_search_lessEbEEEE10hipError_tPvRmT1_T2_T3_mmT4_T5_P12ihipStream_tbEUlRKfE_EESV_SZ_S10_mS11_S14_bEUlT_E_NS1_11comp_targetILNS1_3genE2ELNS1_11target_archE906ELNS1_3gpuE6ELNS1_3repE0EEENS1_30default_config_static_selectorELNS0_4arch9wavefront6targetE0EEEvSY_.has_indirect_call, 0
	.section	.AMDGPU.csdata,"",@progbits
; Kernel info:
; codeLenInByte = 0
; TotalNumSgprs: 0
; NumVgprs: 0
; ScratchSize: 0
; MemoryBound: 0
; FloatMode: 240
; IeeeMode: 1
; LDSByteSize: 0 bytes/workgroup (compile time only)
; SGPRBlocks: 0
; VGPRBlocks: 0
; NumSGPRsForWavesPerEU: 1
; NumVGPRsForWavesPerEU: 1
; Occupancy: 16
; WaveLimiterHint : 0
; COMPUTE_PGM_RSRC2:SCRATCH_EN: 0
; COMPUTE_PGM_RSRC2:USER_SGPR: 6
; COMPUTE_PGM_RSRC2:TRAP_HANDLER: 0
; COMPUTE_PGM_RSRC2:TGID_X_EN: 1
; COMPUTE_PGM_RSRC2:TGID_Y_EN: 0
; COMPUTE_PGM_RSRC2:TGID_Z_EN: 0
; COMPUTE_PGM_RSRC2:TIDIG_COMP_CNT: 0
	.section	.text._ZN7rocprim17ROCPRIM_400000_NS6detail17trampoline_kernelINS0_14default_configENS1_27lower_bound_config_selectorIflEEZNS1_14transform_implILb0ES3_S5_N6thrust23THRUST_200600_302600_NS6detail15normal_iteratorINS8_7pointerIfNS8_11hip_rocprim5par_tENS8_11use_defaultESE_EEEENSA_INSB_IlSD_SE_SE_EEEEZNS1_13binary_searchIS3_S5_NSA_INS8_10device_ptrIfEEEESG_SI_NS1_21lower_bound_search_opENS9_16wrapped_functionINS8_6system6detail7generic6detail18binary_search_lessEbEEEE10hipError_tPvRmT1_T2_T3_mmT4_T5_P12ihipStream_tbEUlRKfE_EESV_SZ_S10_mS11_S14_bEUlT_E_NS1_11comp_targetILNS1_3genE10ELNS1_11target_archE1201ELNS1_3gpuE5ELNS1_3repE0EEENS1_30default_config_static_selectorELNS0_4arch9wavefront6targetE0EEEvSY_,"axG",@progbits,_ZN7rocprim17ROCPRIM_400000_NS6detail17trampoline_kernelINS0_14default_configENS1_27lower_bound_config_selectorIflEEZNS1_14transform_implILb0ES3_S5_N6thrust23THRUST_200600_302600_NS6detail15normal_iteratorINS8_7pointerIfNS8_11hip_rocprim5par_tENS8_11use_defaultESE_EEEENSA_INSB_IlSD_SE_SE_EEEEZNS1_13binary_searchIS3_S5_NSA_INS8_10device_ptrIfEEEESG_SI_NS1_21lower_bound_search_opENS9_16wrapped_functionINS8_6system6detail7generic6detail18binary_search_lessEbEEEE10hipError_tPvRmT1_T2_T3_mmT4_T5_P12ihipStream_tbEUlRKfE_EESV_SZ_S10_mS11_S14_bEUlT_E_NS1_11comp_targetILNS1_3genE10ELNS1_11target_archE1201ELNS1_3gpuE5ELNS1_3repE0EEENS1_30default_config_static_selectorELNS0_4arch9wavefront6targetE0EEEvSY_,comdat
	.protected	_ZN7rocprim17ROCPRIM_400000_NS6detail17trampoline_kernelINS0_14default_configENS1_27lower_bound_config_selectorIflEEZNS1_14transform_implILb0ES3_S5_N6thrust23THRUST_200600_302600_NS6detail15normal_iteratorINS8_7pointerIfNS8_11hip_rocprim5par_tENS8_11use_defaultESE_EEEENSA_INSB_IlSD_SE_SE_EEEEZNS1_13binary_searchIS3_S5_NSA_INS8_10device_ptrIfEEEESG_SI_NS1_21lower_bound_search_opENS9_16wrapped_functionINS8_6system6detail7generic6detail18binary_search_lessEbEEEE10hipError_tPvRmT1_T2_T3_mmT4_T5_P12ihipStream_tbEUlRKfE_EESV_SZ_S10_mS11_S14_bEUlT_E_NS1_11comp_targetILNS1_3genE10ELNS1_11target_archE1201ELNS1_3gpuE5ELNS1_3repE0EEENS1_30default_config_static_selectorELNS0_4arch9wavefront6targetE0EEEvSY_ ; -- Begin function _ZN7rocprim17ROCPRIM_400000_NS6detail17trampoline_kernelINS0_14default_configENS1_27lower_bound_config_selectorIflEEZNS1_14transform_implILb0ES3_S5_N6thrust23THRUST_200600_302600_NS6detail15normal_iteratorINS8_7pointerIfNS8_11hip_rocprim5par_tENS8_11use_defaultESE_EEEENSA_INSB_IlSD_SE_SE_EEEEZNS1_13binary_searchIS3_S5_NSA_INS8_10device_ptrIfEEEESG_SI_NS1_21lower_bound_search_opENS9_16wrapped_functionINS8_6system6detail7generic6detail18binary_search_lessEbEEEE10hipError_tPvRmT1_T2_T3_mmT4_T5_P12ihipStream_tbEUlRKfE_EESV_SZ_S10_mS11_S14_bEUlT_E_NS1_11comp_targetILNS1_3genE10ELNS1_11target_archE1201ELNS1_3gpuE5ELNS1_3repE0EEENS1_30default_config_static_selectorELNS0_4arch9wavefront6targetE0EEEvSY_
	.globl	_ZN7rocprim17ROCPRIM_400000_NS6detail17trampoline_kernelINS0_14default_configENS1_27lower_bound_config_selectorIflEEZNS1_14transform_implILb0ES3_S5_N6thrust23THRUST_200600_302600_NS6detail15normal_iteratorINS8_7pointerIfNS8_11hip_rocprim5par_tENS8_11use_defaultESE_EEEENSA_INSB_IlSD_SE_SE_EEEEZNS1_13binary_searchIS3_S5_NSA_INS8_10device_ptrIfEEEESG_SI_NS1_21lower_bound_search_opENS9_16wrapped_functionINS8_6system6detail7generic6detail18binary_search_lessEbEEEE10hipError_tPvRmT1_T2_T3_mmT4_T5_P12ihipStream_tbEUlRKfE_EESV_SZ_S10_mS11_S14_bEUlT_E_NS1_11comp_targetILNS1_3genE10ELNS1_11target_archE1201ELNS1_3gpuE5ELNS1_3repE0EEENS1_30default_config_static_selectorELNS0_4arch9wavefront6targetE0EEEvSY_
	.p2align	8
	.type	_ZN7rocprim17ROCPRIM_400000_NS6detail17trampoline_kernelINS0_14default_configENS1_27lower_bound_config_selectorIflEEZNS1_14transform_implILb0ES3_S5_N6thrust23THRUST_200600_302600_NS6detail15normal_iteratorINS8_7pointerIfNS8_11hip_rocprim5par_tENS8_11use_defaultESE_EEEENSA_INSB_IlSD_SE_SE_EEEEZNS1_13binary_searchIS3_S5_NSA_INS8_10device_ptrIfEEEESG_SI_NS1_21lower_bound_search_opENS9_16wrapped_functionINS8_6system6detail7generic6detail18binary_search_lessEbEEEE10hipError_tPvRmT1_T2_T3_mmT4_T5_P12ihipStream_tbEUlRKfE_EESV_SZ_S10_mS11_S14_bEUlT_E_NS1_11comp_targetILNS1_3genE10ELNS1_11target_archE1201ELNS1_3gpuE5ELNS1_3repE0EEENS1_30default_config_static_selectorELNS0_4arch9wavefront6targetE0EEEvSY_,@function
_ZN7rocprim17ROCPRIM_400000_NS6detail17trampoline_kernelINS0_14default_configENS1_27lower_bound_config_selectorIflEEZNS1_14transform_implILb0ES3_S5_N6thrust23THRUST_200600_302600_NS6detail15normal_iteratorINS8_7pointerIfNS8_11hip_rocprim5par_tENS8_11use_defaultESE_EEEENSA_INSB_IlSD_SE_SE_EEEEZNS1_13binary_searchIS3_S5_NSA_INS8_10device_ptrIfEEEESG_SI_NS1_21lower_bound_search_opENS9_16wrapped_functionINS8_6system6detail7generic6detail18binary_search_lessEbEEEE10hipError_tPvRmT1_T2_T3_mmT4_T5_P12ihipStream_tbEUlRKfE_EESV_SZ_S10_mS11_S14_bEUlT_E_NS1_11comp_targetILNS1_3genE10ELNS1_11target_archE1201ELNS1_3gpuE5ELNS1_3repE0EEENS1_30default_config_static_selectorELNS0_4arch9wavefront6targetE0EEEvSY_: ; @_ZN7rocprim17ROCPRIM_400000_NS6detail17trampoline_kernelINS0_14default_configENS1_27lower_bound_config_selectorIflEEZNS1_14transform_implILb0ES3_S5_N6thrust23THRUST_200600_302600_NS6detail15normal_iteratorINS8_7pointerIfNS8_11hip_rocprim5par_tENS8_11use_defaultESE_EEEENSA_INSB_IlSD_SE_SE_EEEEZNS1_13binary_searchIS3_S5_NSA_INS8_10device_ptrIfEEEESG_SI_NS1_21lower_bound_search_opENS9_16wrapped_functionINS8_6system6detail7generic6detail18binary_search_lessEbEEEE10hipError_tPvRmT1_T2_T3_mmT4_T5_P12ihipStream_tbEUlRKfE_EESV_SZ_S10_mS11_S14_bEUlT_E_NS1_11comp_targetILNS1_3genE10ELNS1_11target_archE1201ELNS1_3gpuE5ELNS1_3repE0EEENS1_30default_config_static_selectorELNS0_4arch9wavefront6targetE0EEEvSY_
; %bb.0:
	.section	.rodata,"a",@progbits
	.p2align	6, 0x0
	.amdhsa_kernel _ZN7rocprim17ROCPRIM_400000_NS6detail17trampoline_kernelINS0_14default_configENS1_27lower_bound_config_selectorIflEEZNS1_14transform_implILb0ES3_S5_N6thrust23THRUST_200600_302600_NS6detail15normal_iteratorINS8_7pointerIfNS8_11hip_rocprim5par_tENS8_11use_defaultESE_EEEENSA_INSB_IlSD_SE_SE_EEEEZNS1_13binary_searchIS3_S5_NSA_INS8_10device_ptrIfEEEESG_SI_NS1_21lower_bound_search_opENS9_16wrapped_functionINS8_6system6detail7generic6detail18binary_search_lessEbEEEE10hipError_tPvRmT1_T2_T3_mmT4_T5_P12ihipStream_tbEUlRKfE_EESV_SZ_S10_mS11_S14_bEUlT_E_NS1_11comp_targetILNS1_3genE10ELNS1_11target_archE1201ELNS1_3gpuE5ELNS1_3repE0EEENS1_30default_config_static_selectorELNS0_4arch9wavefront6targetE0EEEvSY_
		.amdhsa_group_segment_fixed_size 0
		.amdhsa_private_segment_fixed_size 0
		.amdhsa_kernarg_size 56
		.amdhsa_user_sgpr_count 6
		.amdhsa_user_sgpr_private_segment_buffer 1
		.amdhsa_user_sgpr_dispatch_ptr 0
		.amdhsa_user_sgpr_queue_ptr 0
		.amdhsa_user_sgpr_kernarg_segment_ptr 1
		.amdhsa_user_sgpr_dispatch_id 0
		.amdhsa_user_sgpr_flat_scratch_init 0
		.amdhsa_user_sgpr_private_segment_size 0
		.amdhsa_wavefront_size32 1
		.amdhsa_uses_dynamic_stack 0
		.amdhsa_system_sgpr_private_segment_wavefront_offset 0
		.amdhsa_system_sgpr_workgroup_id_x 1
		.amdhsa_system_sgpr_workgroup_id_y 0
		.amdhsa_system_sgpr_workgroup_id_z 0
		.amdhsa_system_sgpr_workgroup_info 0
		.amdhsa_system_vgpr_workitem_id 0
		.amdhsa_next_free_vgpr 1
		.amdhsa_next_free_sgpr 1
		.amdhsa_reserve_vcc 0
		.amdhsa_reserve_flat_scratch 0
		.amdhsa_float_round_mode_32 0
		.amdhsa_float_round_mode_16_64 0
		.amdhsa_float_denorm_mode_32 3
		.amdhsa_float_denorm_mode_16_64 3
		.amdhsa_dx10_clamp 1
		.amdhsa_ieee_mode 1
		.amdhsa_fp16_overflow 0
		.amdhsa_workgroup_processor_mode 1
		.amdhsa_memory_ordered 1
		.amdhsa_forward_progress 1
		.amdhsa_shared_vgpr_count 0
		.amdhsa_exception_fp_ieee_invalid_op 0
		.amdhsa_exception_fp_denorm_src 0
		.amdhsa_exception_fp_ieee_div_zero 0
		.amdhsa_exception_fp_ieee_overflow 0
		.amdhsa_exception_fp_ieee_underflow 0
		.amdhsa_exception_fp_ieee_inexact 0
		.amdhsa_exception_int_div_zero 0
	.end_amdhsa_kernel
	.section	.text._ZN7rocprim17ROCPRIM_400000_NS6detail17trampoline_kernelINS0_14default_configENS1_27lower_bound_config_selectorIflEEZNS1_14transform_implILb0ES3_S5_N6thrust23THRUST_200600_302600_NS6detail15normal_iteratorINS8_7pointerIfNS8_11hip_rocprim5par_tENS8_11use_defaultESE_EEEENSA_INSB_IlSD_SE_SE_EEEEZNS1_13binary_searchIS3_S5_NSA_INS8_10device_ptrIfEEEESG_SI_NS1_21lower_bound_search_opENS9_16wrapped_functionINS8_6system6detail7generic6detail18binary_search_lessEbEEEE10hipError_tPvRmT1_T2_T3_mmT4_T5_P12ihipStream_tbEUlRKfE_EESV_SZ_S10_mS11_S14_bEUlT_E_NS1_11comp_targetILNS1_3genE10ELNS1_11target_archE1201ELNS1_3gpuE5ELNS1_3repE0EEENS1_30default_config_static_selectorELNS0_4arch9wavefront6targetE0EEEvSY_,"axG",@progbits,_ZN7rocprim17ROCPRIM_400000_NS6detail17trampoline_kernelINS0_14default_configENS1_27lower_bound_config_selectorIflEEZNS1_14transform_implILb0ES3_S5_N6thrust23THRUST_200600_302600_NS6detail15normal_iteratorINS8_7pointerIfNS8_11hip_rocprim5par_tENS8_11use_defaultESE_EEEENSA_INSB_IlSD_SE_SE_EEEEZNS1_13binary_searchIS3_S5_NSA_INS8_10device_ptrIfEEEESG_SI_NS1_21lower_bound_search_opENS9_16wrapped_functionINS8_6system6detail7generic6detail18binary_search_lessEbEEEE10hipError_tPvRmT1_T2_T3_mmT4_T5_P12ihipStream_tbEUlRKfE_EESV_SZ_S10_mS11_S14_bEUlT_E_NS1_11comp_targetILNS1_3genE10ELNS1_11target_archE1201ELNS1_3gpuE5ELNS1_3repE0EEENS1_30default_config_static_selectorELNS0_4arch9wavefront6targetE0EEEvSY_,comdat
.Lfunc_end354:
	.size	_ZN7rocprim17ROCPRIM_400000_NS6detail17trampoline_kernelINS0_14default_configENS1_27lower_bound_config_selectorIflEEZNS1_14transform_implILb0ES3_S5_N6thrust23THRUST_200600_302600_NS6detail15normal_iteratorINS8_7pointerIfNS8_11hip_rocprim5par_tENS8_11use_defaultESE_EEEENSA_INSB_IlSD_SE_SE_EEEEZNS1_13binary_searchIS3_S5_NSA_INS8_10device_ptrIfEEEESG_SI_NS1_21lower_bound_search_opENS9_16wrapped_functionINS8_6system6detail7generic6detail18binary_search_lessEbEEEE10hipError_tPvRmT1_T2_T3_mmT4_T5_P12ihipStream_tbEUlRKfE_EESV_SZ_S10_mS11_S14_bEUlT_E_NS1_11comp_targetILNS1_3genE10ELNS1_11target_archE1201ELNS1_3gpuE5ELNS1_3repE0EEENS1_30default_config_static_selectorELNS0_4arch9wavefront6targetE0EEEvSY_, .Lfunc_end354-_ZN7rocprim17ROCPRIM_400000_NS6detail17trampoline_kernelINS0_14default_configENS1_27lower_bound_config_selectorIflEEZNS1_14transform_implILb0ES3_S5_N6thrust23THRUST_200600_302600_NS6detail15normal_iteratorINS8_7pointerIfNS8_11hip_rocprim5par_tENS8_11use_defaultESE_EEEENSA_INSB_IlSD_SE_SE_EEEEZNS1_13binary_searchIS3_S5_NSA_INS8_10device_ptrIfEEEESG_SI_NS1_21lower_bound_search_opENS9_16wrapped_functionINS8_6system6detail7generic6detail18binary_search_lessEbEEEE10hipError_tPvRmT1_T2_T3_mmT4_T5_P12ihipStream_tbEUlRKfE_EESV_SZ_S10_mS11_S14_bEUlT_E_NS1_11comp_targetILNS1_3genE10ELNS1_11target_archE1201ELNS1_3gpuE5ELNS1_3repE0EEENS1_30default_config_static_selectorELNS0_4arch9wavefront6targetE0EEEvSY_
                                        ; -- End function
	.set _ZN7rocprim17ROCPRIM_400000_NS6detail17trampoline_kernelINS0_14default_configENS1_27lower_bound_config_selectorIflEEZNS1_14transform_implILb0ES3_S5_N6thrust23THRUST_200600_302600_NS6detail15normal_iteratorINS8_7pointerIfNS8_11hip_rocprim5par_tENS8_11use_defaultESE_EEEENSA_INSB_IlSD_SE_SE_EEEEZNS1_13binary_searchIS3_S5_NSA_INS8_10device_ptrIfEEEESG_SI_NS1_21lower_bound_search_opENS9_16wrapped_functionINS8_6system6detail7generic6detail18binary_search_lessEbEEEE10hipError_tPvRmT1_T2_T3_mmT4_T5_P12ihipStream_tbEUlRKfE_EESV_SZ_S10_mS11_S14_bEUlT_E_NS1_11comp_targetILNS1_3genE10ELNS1_11target_archE1201ELNS1_3gpuE5ELNS1_3repE0EEENS1_30default_config_static_selectorELNS0_4arch9wavefront6targetE0EEEvSY_.num_vgpr, 0
	.set _ZN7rocprim17ROCPRIM_400000_NS6detail17trampoline_kernelINS0_14default_configENS1_27lower_bound_config_selectorIflEEZNS1_14transform_implILb0ES3_S5_N6thrust23THRUST_200600_302600_NS6detail15normal_iteratorINS8_7pointerIfNS8_11hip_rocprim5par_tENS8_11use_defaultESE_EEEENSA_INSB_IlSD_SE_SE_EEEEZNS1_13binary_searchIS3_S5_NSA_INS8_10device_ptrIfEEEESG_SI_NS1_21lower_bound_search_opENS9_16wrapped_functionINS8_6system6detail7generic6detail18binary_search_lessEbEEEE10hipError_tPvRmT1_T2_T3_mmT4_T5_P12ihipStream_tbEUlRKfE_EESV_SZ_S10_mS11_S14_bEUlT_E_NS1_11comp_targetILNS1_3genE10ELNS1_11target_archE1201ELNS1_3gpuE5ELNS1_3repE0EEENS1_30default_config_static_selectorELNS0_4arch9wavefront6targetE0EEEvSY_.num_agpr, 0
	.set _ZN7rocprim17ROCPRIM_400000_NS6detail17trampoline_kernelINS0_14default_configENS1_27lower_bound_config_selectorIflEEZNS1_14transform_implILb0ES3_S5_N6thrust23THRUST_200600_302600_NS6detail15normal_iteratorINS8_7pointerIfNS8_11hip_rocprim5par_tENS8_11use_defaultESE_EEEENSA_INSB_IlSD_SE_SE_EEEEZNS1_13binary_searchIS3_S5_NSA_INS8_10device_ptrIfEEEESG_SI_NS1_21lower_bound_search_opENS9_16wrapped_functionINS8_6system6detail7generic6detail18binary_search_lessEbEEEE10hipError_tPvRmT1_T2_T3_mmT4_T5_P12ihipStream_tbEUlRKfE_EESV_SZ_S10_mS11_S14_bEUlT_E_NS1_11comp_targetILNS1_3genE10ELNS1_11target_archE1201ELNS1_3gpuE5ELNS1_3repE0EEENS1_30default_config_static_selectorELNS0_4arch9wavefront6targetE0EEEvSY_.numbered_sgpr, 0
	.set _ZN7rocprim17ROCPRIM_400000_NS6detail17trampoline_kernelINS0_14default_configENS1_27lower_bound_config_selectorIflEEZNS1_14transform_implILb0ES3_S5_N6thrust23THRUST_200600_302600_NS6detail15normal_iteratorINS8_7pointerIfNS8_11hip_rocprim5par_tENS8_11use_defaultESE_EEEENSA_INSB_IlSD_SE_SE_EEEEZNS1_13binary_searchIS3_S5_NSA_INS8_10device_ptrIfEEEESG_SI_NS1_21lower_bound_search_opENS9_16wrapped_functionINS8_6system6detail7generic6detail18binary_search_lessEbEEEE10hipError_tPvRmT1_T2_T3_mmT4_T5_P12ihipStream_tbEUlRKfE_EESV_SZ_S10_mS11_S14_bEUlT_E_NS1_11comp_targetILNS1_3genE10ELNS1_11target_archE1201ELNS1_3gpuE5ELNS1_3repE0EEENS1_30default_config_static_selectorELNS0_4arch9wavefront6targetE0EEEvSY_.num_named_barrier, 0
	.set _ZN7rocprim17ROCPRIM_400000_NS6detail17trampoline_kernelINS0_14default_configENS1_27lower_bound_config_selectorIflEEZNS1_14transform_implILb0ES3_S5_N6thrust23THRUST_200600_302600_NS6detail15normal_iteratorINS8_7pointerIfNS8_11hip_rocprim5par_tENS8_11use_defaultESE_EEEENSA_INSB_IlSD_SE_SE_EEEEZNS1_13binary_searchIS3_S5_NSA_INS8_10device_ptrIfEEEESG_SI_NS1_21lower_bound_search_opENS9_16wrapped_functionINS8_6system6detail7generic6detail18binary_search_lessEbEEEE10hipError_tPvRmT1_T2_T3_mmT4_T5_P12ihipStream_tbEUlRKfE_EESV_SZ_S10_mS11_S14_bEUlT_E_NS1_11comp_targetILNS1_3genE10ELNS1_11target_archE1201ELNS1_3gpuE5ELNS1_3repE0EEENS1_30default_config_static_selectorELNS0_4arch9wavefront6targetE0EEEvSY_.private_seg_size, 0
	.set _ZN7rocprim17ROCPRIM_400000_NS6detail17trampoline_kernelINS0_14default_configENS1_27lower_bound_config_selectorIflEEZNS1_14transform_implILb0ES3_S5_N6thrust23THRUST_200600_302600_NS6detail15normal_iteratorINS8_7pointerIfNS8_11hip_rocprim5par_tENS8_11use_defaultESE_EEEENSA_INSB_IlSD_SE_SE_EEEEZNS1_13binary_searchIS3_S5_NSA_INS8_10device_ptrIfEEEESG_SI_NS1_21lower_bound_search_opENS9_16wrapped_functionINS8_6system6detail7generic6detail18binary_search_lessEbEEEE10hipError_tPvRmT1_T2_T3_mmT4_T5_P12ihipStream_tbEUlRKfE_EESV_SZ_S10_mS11_S14_bEUlT_E_NS1_11comp_targetILNS1_3genE10ELNS1_11target_archE1201ELNS1_3gpuE5ELNS1_3repE0EEENS1_30default_config_static_selectorELNS0_4arch9wavefront6targetE0EEEvSY_.uses_vcc, 0
	.set _ZN7rocprim17ROCPRIM_400000_NS6detail17trampoline_kernelINS0_14default_configENS1_27lower_bound_config_selectorIflEEZNS1_14transform_implILb0ES3_S5_N6thrust23THRUST_200600_302600_NS6detail15normal_iteratorINS8_7pointerIfNS8_11hip_rocprim5par_tENS8_11use_defaultESE_EEEENSA_INSB_IlSD_SE_SE_EEEEZNS1_13binary_searchIS3_S5_NSA_INS8_10device_ptrIfEEEESG_SI_NS1_21lower_bound_search_opENS9_16wrapped_functionINS8_6system6detail7generic6detail18binary_search_lessEbEEEE10hipError_tPvRmT1_T2_T3_mmT4_T5_P12ihipStream_tbEUlRKfE_EESV_SZ_S10_mS11_S14_bEUlT_E_NS1_11comp_targetILNS1_3genE10ELNS1_11target_archE1201ELNS1_3gpuE5ELNS1_3repE0EEENS1_30default_config_static_selectorELNS0_4arch9wavefront6targetE0EEEvSY_.uses_flat_scratch, 0
	.set _ZN7rocprim17ROCPRIM_400000_NS6detail17trampoline_kernelINS0_14default_configENS1_27lower_bound_config_selectorIflEEZNS1_14transform_implILb0ES3_S5_N6thrust23THRUST_200600_302600_NS6detail15normal_iteratorINS8_7pointerIfNS8_11hip_rocprim5par_tENS8_11use_defaultESE_EEEENSA_INSB_IlSD_SE_SE_EEEEZNS1_13binary_searchIS3_S5_NSA_INS8_10device_ptrIfEEEESG_SI_NS1_21lower_bound_search_opENS9_16wrapped_functionINS8_6system6detail7generic6detail18binary_search_lessEbEEEE10hipError_tPvRmT1_T2_T3_mmT4_T5_P12ihipStream_tbEUlRKfE_EESV_SZ_S10_mS11_S14_bEUlT_E_NS1_11comp_targetILNS1_3genE10ELNS1_11target_archE1201ELNS1_3gpuE5ELNS1_3repE0EEENS1_30default_config_static_selectorELNS0_4arch9wavefront6targetE0EEEvSY_.has_dyn_sized_stack, 0
	.set _ZN7rocprim17ROCPRIM_400000_NS6detail17trampoline_kernelINS0_14default_configENS1_27lower_bound_config_selectorIflEEZNS1_14transform_implILb0ES3_S5_N6thrust23THRUST_200600_302600_NS6detail15normal_iteratorINS8_7pointerIfNS8_11hip_rocprim5par_tENS8_11use_defaultESE_EEEENSA_INSB_IlSD_SE_SE_EEEEZNS1_13binary_searchIS3_S5_NSA_INS8_10device_ptrIfEEEESG_SI_NS1_21lower_bound_search_opENS9_16wrapped_functionINS8_6system6detail7generic6detail18binary_search_lessEbEEEE10hipError_tPvRmT1_T2_T3_mmT4_T5_P12ihipStream_tbEUlRKfE_EESV_SZ_S10_mS11_S14_bEUlT_E_NS1_11comp_targetILNS1_3genE10ELNS1_11target_archE1201ELNS1_3gpuE5ELNS1_3repE0EEENS1_30default_config_static_selectorELNS0_4arch9wavefront6targetE0EEEvSY_.has_recursion, 0
	.set _ZN7rocprim17ROCPRIM_400000_NS6detail17trampoline_kernelINS0_14default_configENS1_27lower_bound_config_selectorIflEEZNS1_14transform_implILb0ES3_S5_N6thrust23THRUST_200600_302600_NS6detail15normal_iteratorINS8_7pointerIfNS8_11hip_rocprim5par_tENS8_11use_defaultESE_EEEENSA_INSB_IlSD_SE_SE_EEEEZNS1_13binary_searchIS3_S5_NSA_INS8_10device_ptrIfEEEESG_SI_NS1_21lower_bound_search_opENS9_16wrapped_functionINS8_6system6detail7generic6detail18binary_search_lessEbEEEE10hipError_tPvRmT1_T2_T3_mmT4_T5_P12ihipStream_tbEUlRKfE_EESV_SZ_S10_mS11_S14_bEUlT_E_NS1_11comp_targetILNS1_3genE10ELNS1_11target_archE1201ELNS1_3gpuE5ELNS1_3repE0EEENS1_30default_config_static_selectorELNS0_4arch9wavefront6targetE0EEEvSY_.has_indirect_call, 0
	.section	.AMDGPU.csdata,"",@progbits
; Kernel info:
; codeLenInByte = 0
; TotalNumSgprs: 0
; NumVgprs: 0
; ScratchSize: 0
; MemoryBound: 0
; FloatMode: 240
; IeeeMode: 1
; LDSByteSize: 0 bytes/workgroup (compile time only)
; SGPRBlocks: 0
; VGPRBlocks: 0
; NumSGPRsForWavesPerEU: 1
; NumVGPRsForWavesPerEU: 1
; Occupancy: 16
; WaveLimiterHint : 0
; COMPUTE_PGM_RSRC2:SCRATCH_EN: 0
; COMPUTE_PGM_RSRC2:USER_SGPR: 6
; COMPUTE_PGM_RSRC2:TRAP_HANDLER: 0
; COMPUTE_PGM_RSRC2:TGID_X_EN: 1
; COMPUTE_PGM_RSRC2:TGID_Y_EN: 0
; COMPUTE_PGM_RSRC2:TGID_Z_EN: 0
; COMPUTE_PGM_RSRC2:TIDIG_COMP_CNT: 0
	.section	.text._ZN7rocprim17ROCPRIM_400000_NS6detail17trampoline_kernelINS0_14default_configENS1_27lower_bound_config_selectorIflEEZNS1_14transform_implILb0ES3_S5_N6thrust23THRUST_200600_302600_NS6detail15normal_iteratorINS8_7pointerIfNS8_11hip_rocprim5par_tENS8_11use_defaultESE_EEEENSA_INSB_IlSD_SE_SE_EEEEZNS1_13binary_searchIS3_S5_NSA_INS8_10device_ptrIfEEEESG_SI_NS1_21lower_bound_search_opENS9_16wrapped_functionINS8_6system6detail7generic6detail18binary_search_lessEbEEEE10hipError_tPvRmT1_T2_T3_mmT4_T5_P12ihipStream_tbEUlRKfE_EESV_SZ_S10_mS11_S14_bEUlT_E_NS1_11comp_targetILNS1_3genE10ELNS1_11target_archE1200ELNS1_3gpuE4ELNS1_3repE0EEENS1_30default_config_static_selectorELNS0_4arch9wavefront6targetE0EEEvSY_,"axG",@progbits,_ZN7rocprim17ROCPRIM_400000_NS6detail17trampoline_kernelINS0_14default_configENS1_27lower_bound_config_selectorIflEEZNS1_14transform_implILb0ES3_S5_N6thrust23THRUST_200600_302600_NS6detail15normal_iteratorINS8_7pointerIfNS8_11hip_rocprim5par_tENS8_11use_defaultESE_EEEENSA_INSB_IlSD_SE_SE_EEEEZNS1_13binary_searchIS3_S5_NSA_INS8_10device_ptrIfEEEESG_SI_NS1_21lower_bound_search_opENS9_16wrapped_functionINS8_6system6detail7generic6detail18binary_search_lessEbEEEE10hipError_tPvRmT1_T2_T3_mmT4_T5_P12ihipStream_tbEUlRKfE_EESV_SZ_S10_mS11_S14_bEUlT_E_NS1_11comp_targetILNS1_3genE10ELNS1_11target_archE1200ELNS1_3gpuE4ELNS1_3repE0EEENS1_30default_config_static_selectorELNS0_4arch9wavefront6targetE0EEEvSY_,comdat
	.protected	_ZN7rocprim17ROCPRIM_400000_NS6detail17trampoline_kernelINS0_14default_configENS1_27lower_bound_config_selectorIflEEZNS1_14transform_implILb0ES3_S5_N6thrust23THRUST_200600_302600_NS6detail15normal_iteratorINS8_7pointerIfNS8_11hip_rocprim5par_tENS8_11use_defaultESE_EEEENSA_INSB_IlSD_SE_SE_EEEEZNS1_13binary_searchIS3_S5_NSA_INS8_10device_ptrIfEEEESG_SI_NS1_21lower_bound_search_opENS9_16wrapped_functionINS8_6system6detail7generic6detail18binary_search_lessEbEEEE10hipError_tPvRmT1_T2_T3_mmT4_T5_P12ihipStream_tbEUlRKfE_EESV_SZ_S10_mS11_S14_bEUlT_E_NS1_11comp_targetILNS1_3genE10ELNS1_11target_archE1200ELNS1_3gpuE4ELNS1_3repE0EEENS1_30default_config_static_selectorELNS0_4arch9wavefront6targetE0EEEvSY_ ; -- Begin function _ZN7rocprim17ROCPRIM_400000_NS6detail17trampoline_kernelINS0_14default_configENS1_27lower_bound_config_selectorIflEEZNS1_14transform_implILb0ES3_S5_N6thrust23THRUST_200600_302600_NS6detail15normal_iteratorINS8_7pointerIfNS8_11hip_rocprim5par_tENS8_11use_defaultESE_EEEENSA_INSB_IlSD_SE_SE_EEEEZNS1_13binary_searchIS3_S5_NSA_INS8_10device_ptrIfEEEESG_SI_NS1_21lower_bound_search_opENS9_16wrapped_functionINS8_6system6detail7generic6detail18binary_search_lessEbEEEE10hipError_tPvRmT1_T2_T3_mmT4_T5_P12ihipStream_tbEUlRKfE_EESV_SZ_S10_mS11_S14_bEUlT_E_NS1_11comp_targetILNS1_3genE10ELNS1_11target_archE1200ELNS1_3gpuE4ELNS1_3repE0EEENS1_30default_config_static_selectorELNS0_4arch9wavefront6targetE0EEEvSY_
	.globl	_ZN7rocprim17ROCPRIM_400000_NS6detail17trampoline_kernelINS0_14default_configENS1_27lower_bound_config_selectorIflEEZNS1_14transform_implILb0ES3_S5_N6thrust23THRUST_200600_302600_NS6detail15normal_iteratorINS8_7pointerIfNS8_11hip_rocprim5par_tENS8_11use_defaultESE_EEEENSA_INSB_IlSD_SE_SE_EEEEZNS1_13binary_searchIS3_S5_NSA_INS8_10device_ptrIfEEEESG_SI_NS1_21lower_bound_search_opENS9_16wrapped_functionINS8_6system6detail7generic6detail18binary_search_lessEbEEEE10hipError_tPvRmT1_T2_T3_mmT4_T5_P12ihipStream_tbEUlRKfE_EESV_SZ_S10_mS11_S14_bEUlT_E_NS1_11comp_targetILNS1_3genE10ELNS1_11target_archE1200ELNS1_3gpuE4ELNS1_3repE0EEENS1_30default_config_static_selectorELNS0_4arch9wavefront6targetE0EEEvSY_
	.p2align	8
	.type	_ZN7rocprim17ROCPRIM_400000_NS6detail17trampoline_kernelINS0_14default_configENS1_27lower_bound_config_selectorIflEEZNS1_14transform_implILb0ES3_S5_N6thrust23THRUST_200600_302600_NS6detail15normal_iteratorINS8_7pointerIfNS8_11hip_rocprim5par_tENS8_11use_defaultESE_EEEENSA_INSB_IlSD_SE_SE_EEEEZNS1_13binary_searchIS3_S5_NSA_INS8_10device_ptrIfEEEESG_SI_NS1_21lower_bound_search_opENS9_16wrapped_functionINS8_6system6detail7generic6detail18binary_search_lessEbEEEE10hipError_tPvRmT1_T2_T3_mmT4_T5_P12ihipStream_tbEUlRKfE_EESV_SZ_S10_mS11_S14_bEUlT_E_NS1_11comp_targetILNS1_3genE10ELNS1_11target_archE1200ELNS1_3gpuE4ELNS1_3repE0EEENS1_30default_config_static_selectorELNS0_4arch9wavefront6targetE0EEEvSY_,@function
_ZN7rocprim17ROCPRIM_400000_NS6detail17trampoline_kernelINS0_14default_configENS1_27lower_bound_config_selectorIflEEZNS1_14transform_implILb0ES3_S5_N6thrust23THRUST_200600_302600_NS6detail15normal_iteratorINS8_7pointerIfNS8_11hip_rocprim5par_tENS8_11use_defaultESE_EEEENSA_INSB_IlSD_SE_SE_EEEEZNS1_13binary_searchIS3_S5_NSA_INS8_10device_ptrIfEEEESG_SI_NS1_21lower_bound_search_opENS9_16wrapped_functionINS8_6system6detail7generic6detail18binary_search_lessEbEEEE10hipError_tPvRmT1_T2_T3_mmT4_T5_P12ihipStream_tbEUlRKfE_EESV_SZ_S10_mS11_S14_bEUlT_E_NS1_11comp_targetILNS1_3genE10ELNS1_11target_archE1200ELNS1_3gpuE4ELNS1_3repE0EEENS1_30default_config_static_selectorELNS0_4arch9wavefront6targetE0EEEvSY_: ; @_ZN7rocprim17ROCPRIM_400000_NS6detail17trampoline_kernelINS0_14default_configENS1_27lower_bound_config_selectorIflEEZNS1_14transform_implILb0ES3_S5_N6thrust23THRUST_200600_302600_NS6detail15normal_iteratorINS8_7pointerIfNS8_11hip_rocprim5par_tENS8_11use_defaultESE_EEEENSA_INSB_IlSD_SE_SE_EEEEZNS1_13binary_searchIS3_S5_NSA_INS8_10device_ptrIfEEEESG_SI_NS1_21lower_bound_search_opENS9_16wrapped_functionINS8_6system6detail7generic6detail18binary_search_lessEbEEEE10hipError_tPvRmT1_T2_T3_mmT4_T5_P12ihipStream_tbEUlRKfE_EESV_SZ_S10_mS11_S14_bEUlT_E_NS1_11comp_targetILNS1_3genE10ELNS1_11target_archE1200ELNS1_3gpuE4ELNS1_3repE0EEENS1_30default_config_static_selectorELNS0_4arch9wavefront6targetE0EEEvSY_
; %bb.0:
	.section	.rodata,"a",@progbits
	.p2align	6, 0x0
	.amdhsa_kernel _ZN7rocprim17ROCPRIM_400000_NS6detail17trampoline_kernelINS0_14default_configENS1_27lower_bound_config_selectorIflEEZNS1_14transform_implILb0ES3_S5_N6thrust23THRUST_200600_302600_NS6detail15normal_iteratorINS8_7pointerIfNS8_11hip_rocprim5par_tENS8_11use_defaultESE_EEEENSA_INSB_IlSD_SE_SE_EEEEZNS1_13binary_searchIS3_S5_NSA_INS8_10device_ptrIfEEEESG_SI_NS1_21lower_bound_search_opENS9_16wrapped_functionINS8_6system6detail7generic6detail18binary_search_lessEbEEEE10hipError_tPvRmT1_T2_T3_mmT4_T5_P12ihipStream_tbEUlRKfE_EESV_SZ_S10_mS11_S14_bEUlT_E_NS1_11comp_targetILNS1_3genE10ELNS1_11target_archE1200ELNS1_3gpuE4ELNS1_3repE0EEENS1_30default_config_static_selectorELNS0_4arch9wavefront6targetE0EEEvSY_
		.amdhsa_group_segment_fixed_size 0
		.amdhsa_private_segment_fixed_size 0
		.amdhsa_kernarg_size 56
		.amdhsa_user_sgpr_count 6
		.amdhsa_user_sgpr_private_segment_buffer 1
		.amdhsa_user_sgpr_dispatch_ptr 0
		.amdhsa_user_sgpr_queue_ptr 0
		.amdhsa_user_sgpr_kernarg_segment_ptr 1
		.amdhsa_user_sgpr_dispatch_id 0
		.amdhsa_user_sgpr_flat_scratch_init 0
		.amdhsa_user_sgpr_private_segment_size 0
		.amdhsa_wavefront_size32 1
		.amdhsa_uses_dynamic_stack 0
		.amdhsa_system_sgpr_private_segment_wavefront_offset 0
		.amdhsa_system_sgpr_workgroup_id_x 1
		.amdhsa_system_sgpr_workgroup_id_y 0
		.amdhsa_system_sgpr_workgroup_id_z 0
		.amdhsa_system_sgpr_workgroup_info 0
		.amdhsa_system_vgpr_workitem_id 0
		.amdhsa_next_free_vgpr 1
		.amdhsa_next_free_sgpr 1
		.amdhsa_reserve_vcc 0
		.amdhsa_reserve_flat_scratch 0
		.amdhsa_float_round_mode_32 0
		.amdhsa_float_round_mode_16_64 0
		.amdhsa_float_denorm_mode_32 3
		.amdhsa_float_denorm_mode_16_64 3
		.amdhsa_dx10_clamp 1
		.amdhsa_ieee_mode 1
		.amdhsa_fp16_overflow 0
		.amdhsa_workgroup_processor_mode 1
		.amdhsa_memory_ordered 1
		.amdhsa_forward_progress 1
		.amdhsa_shared_vgpr_count 0
		.amdhsa_exception_fp_ieee_invalid_op 0
		.amdhsa_exception_fp_denorm_src 0
		.amdhsa_exception_fp_ieee_div_zero 0
		.amdhsa_exception_fp_ieee_overflow 0
		.amdhsa_exception_fp_ieee_underflow 0
		.amdhsa_exception_fp_ieee_inexact 0
		.amdhsa_exception_int_div_zero 0
	.end_amdhsa_kernel
	.section	.text._ZN7rocprim17ROCPRIM_400000_NS6detail17trampoline_kernelINS0_14default_configENS1_27lower_bound_config_selectorIflEEZNS1_14transform_implILb0ES3_S5_N6thrust23THRUST_200600_302600_NS6detail15normal_iteratorINS8_7pointerIfNS8_11hip_rocprim5par_tENS8_11use_defaultESE_EEEENSA_INSB_IlSD_SE_SE_EEEEZNS1_13binary_searchIS3_S5_NSA_INS8_10device_ptrIfEEEESG_SI_NS1_21lower_bound_search_opENS9_16wrapped_functionINS8_6system6detail7generic6detail18binary_search_lessEbEEEE10hipError_tPvRmT1_T2_T3_mmT4_T5_P12ihipStream_tbEUlRKfE_EESV_SZ_S10_mS11_S14_bEUlT_E_NS1_11comp_targetILNS1_3genE10ELNS1_11target_archE1200ELNS1_3gpuE4ELNS1_3repE0EEENS1_30default_config_static_selectorELNS0_4arch9wavefront6targetE0EEEvSY_,"axG",@progbits,_ZN7rocprim17ROCPRIM_400000_NS6detail17trampoline_kernelINS0_14default_configENS1_27lower_bound_config_selectorIflEEZNS1_14transform_implILb0ES3_S5_N6thrust23THRUST_200600_302600_NS6detail15normal_iteratorINS8_7pointerIfNS8_11hip_rocprim5par_tENS8_11use_defaultESE_EEEENSA_INSB_IlSD_SE_SE_EEEEZNS1_13binary_searchIS3_S5_NSA_INS8_10device_ptrIfEEEESG_SI_NS1_21lower_bound_search_opENS9_16wrapped_functionINS8_6system6detail7generic6detail18binary_search_lessEbEEEE10hipError_tPvRmT1_T2_T3_mmT4_T5_P12ihipStream_tbEUlRKfE_EESV_SZ_S10_mS11_S14_bEUlT_E_NS1_11comp_targetILNS1_3genE10ELNS1_11target_archE1200ELNS1_3gpuE4ELNS1_3repE0EEENS1_30default_config_static_selectorELNS0_4arch9wavefront6targetE0EEEvSY_,comdat
.Lfunc_end355:
	.size	_ZN7rocprim17ROCPRIM_400000_NS6detail17trampoline_kernelINS0_14default_configENS1_27lower_bound_config_selectorIflEEZNS1_14transform_implILb0ES3_S5_N6thrust23THRUST_200600_302600_NS6detail15normal_iteratorINS8_7pointerIfNS8_11hip_rocprim5par_tENS8_11use_defaultESE_EEEENSA_INSB_IlSD_SE_SE_EEEEZNS1_13binary_searchIS3_S5_NSA_INS8_10device_ptrIfEEEESG_SI_NS1_21lower_bound_search_opENS9_16wrapped_functionINS8_6system6detail7generic6detail18binary_search_lessEbEEEE10hipError_tPvRmT1_T2_T3_mmT4_T5_P12ihipStream_tbEUlRKfE_EESV_SZ_S10_mS11_S14_bEUlT_E_NS1_11comp_targetILNS1_3genE10ELNS1_11target_archE1200ELNS1_3gpuE4ELNS1_3repE0EEENS1_30default_config_static_selectorELNS0_4arch9wavefront6targetE0EEEvSY_, .Lfunc_end355-_ZN7rocprim17ROCPRIM_400000_NS6detail17trampoline_kernelINS0_14default_configENS1_27lower_bound_config_selectorIflEEZNS1_14transform_implILb0ES3_S5_N6thrust23THRUST_200600_302600_NS6detail15normal_iteratorINS8_7pointerIfNS8_11hip_rocprim5par_tENS8_11use_defaultESE_EEEENSA_INSB_IlSD_SE_SE_EEEEZNS1_13binary_searchIS3_S5_NSA_INS8_10device_ptrIfEEEESG_SI_NS1_21lower_bound_search_opENS9_16wrapped_functionINS8_6system6detail7generic6detail18binary_search_lessEbEEEE10hipError_tPvRmT1_T2_T3_mmT4_T5_P12ihipStream_tbEUlRKfE_EESV_SZ_S10_mS11_S14_bEUlT_E_NS1_11comp_targetILNS1_3genE10ELNS1_11target_archE1200ELNS1_3gpuE4ELNS1_3repE0EEENS1_30default_config_static_selectorELNS0_4arch9wavefront6targetE0EEEvSY_
                                        ; -- End function
	.set _ZN7rocprim17ROCPRIM_400000_NS6detail17trampoline_kernelINS0_14default_configENS1_27lower_bound_config_selectorIflEEZNS1_14transform_implILb0ES3_S5_N6thrust23THRUST_200600_302600_NS6detail15normal_iteratorINS8_7pointerIfNS8_11hip_rocprim5par_tENS8_11use_defaultESE_EEEENSA_INSB_IlSD_SE_SE_EEEEZNS1_13binary_searchIS3_S5_NSA_INS8_10device_ptrIfEEEESG_SI_NS1_21lower_bound_search_opENS9_16wrapped_functionINS8_6system6detail7generic6detail18binary_search_lessEbEEEE10hipError_tPvRmT1_T2_T3_mmT4_T5_P12ihipStream_tbEUlRKfE_EESV_SZ_S10_mS11_S14_bEUlT_E_NS1_11comp_targetILNS1_3genE10ELNS1_11target_archE1200ELNS1_3gpuE4ELNS1_3repE0EEENS1_30default_config_static_selectorELNS0_4arch9wavefront6targetE0EEEvSY_.num_vgpr, 0
	.set _ZN7rocprim17ROCPRIM_400000_NS6detail17trampoline_kernelINS0_14default_configENS1_27lower_bound_config_selectorIflEEZNS1_14transform_implILb0ES3_S5_N6thrust23THRUST_200600_302600_NS6detail15normal_iteratorINS8_7pointerIfNS8_11hip_rocprim5par_tENS8_11use_defaultESE_EEEENSA_INSB_IlSD_SE_SE_EEEEZNS1_13binary_searchIS3_S5_NSA_INS8_10device_ptrIfEEEESG_SI_NS1_21lower_bound_search_opENS9_16wrapped_functionINS8_6system6detail7generic6detail18binary_search_lessEbEEEE10hipError_tPvRmT1_T2_T3_mmT4_T5_P12ihipStream_tbEUlRKfE_EESV_SZ_S10_mS11_S14_bEUlT_E_NS1_11comp_targetILNS1_3genE10ELNS1_11target_archE1200ELNS1_3gpuE4ELNS1_3repE0EEENS1_30default_config_static_selectorELNS0_4arch9wavefront6targetE0EEEvSY_.num_agpr, 0
	.set _ZN7rocprim17ROCPRIM_400000_NS6detail17trampoline_kernelINS0_14default_configENS1_27lower_bound_config_selectorIflEEZNS1_14transform_implILb0ES3_S5_N6thrust23THRUST_200600_302600_NS6detail15normal_iteratorINS8_7pointerIfNS8_11hip_rocprim5par_tENS8_11use_defaultESE_EEEENSA_INSB_IlSD_SE_SE_EEEEZNS1_13binary_searchIS3_S5_NSA_INS8_10device_ptrIfEEEESG_SI_NS1_21lower_bound_search_opENS9_16wrapped_functionINS8_6system6detail7generic6detail18binary_search_lessEbEEEE10hipError_tPvRmT1_T2_T3_mmT4_T5_P12ihipStream_tbEUlRKfE_EESV_SZ_S10_mS11_S14_bEUlT_E_NS1_11comp_targetILNS1_3genE10ELNS1_11target_archE1200ELNS1_3gpuE4ELNS1_3repE0EEENS1_30default_config_static_selectorELNS0_4arch9wavefront6targetE0EEEvSY_.numbered_sgpr, 0
	.set _ZN7rocprim17ROCPRIM_400000_NS6detail17trampoline_kernelINS0_14default_configENS1_27lower_bound_config_selectorIflEEZNS1_14transform_implILb0ES3_S5_N6thrust23THRUST_200600_302600_NS6detail15normal_iteratorINS8_7pointerIfNS8_11hip_rocprim5par_tENS8_11use_defaultESE_EEEENSA_INSB_IlSD_SE_SE_EEEEZNS1_13binary_searchIS3_S5_NSA_INS8_10device_ptrIfEEEESG_SI_NS1_21lower_bound_search_opENS9_16wrapped_functionINS8_6system6detail7generic6detail18binary_search_lessEbEEEE10hipError_tPvRmT1_T2_T3_mmT4_T5_P12ihipStream_tbEUlRKfE_EESV_SZ_S10_mS11_S14_bEUlT_E_NS1_11comp_targetILNS1_3genE10ELNS1_11target_archE1200ELNS1_3gpuE4ELNS1_3repE0EEENS1_30default_config_static_selectorELNS0_4arch9wavefront6targetE0EEEvSY_.num_named_barrier, 0
	.set _ZN7rocprim17ROCPRIM_400000_NS6detail17trampoline_kernelINS0_14default_configENS1_27lower_bound_config_selectorIflEEZNS1_14transform_implILb0ES3_S5_N6thrust23THRUST_200600_302600_NS6detail15normal_iteratorINS8_7pointerIfNS8_11hip_rocprim5par_tENS8_11use_defaultESE_EEEENSA_INSB_IlSD_SE_SE_EEEEZNS1_13binary_searchIS3_S5_NSA_INS8_10device_ptrIfEEEESG_SI_NS1_21lower_bound_search_opENS9_16wrapped_functionINS8_6system6detail7generic6detail18binary_search_lessEbEEEE10hipError_tPvRmT1_T2_T3_mmT4_T5_P12ihipStream_tbEUlRKfE_EESV_SZ_S10_mS11_S14_bEUlT_E_NS1_11comp_targetILNS1_3genE10ELNS1_11target_archE1200ELNS1_3gpuE4ELNS1_3repE0EEENS1_30default_config_static_selectorELNS0_4arch9wavefront6targetE0EEEvSY_.private_seg_size, 0
	.set _ZN7rocprim17ROCPRIM_400000_NS6detail17trampoline_kernelINS0_14default_configENS1_27lower_bound_config_selectorIflEEZNS1_14transform_implILb0ES3_S5_N6thrust23THRUST_200600_302600_NS6detail15normal_iteratorINS8_7pointerIfNS8_11hip_rocprim5par_tENS8_11use_defaultESE_EEEENSA_INSB_IlSD_SE_SE_EEEEZNS1_13binary_searchIS3_S5_NSA_INS8_10device_ptrIfEEEESG_SI_NS1_21lower_bound_search_opENS9_16wrapped_functionINS8_6system6detail7generic6detail18binary_search_lessEbEEEE10hipError_tPvRmT1_T2_T3_mmT4_T5_P12ihipStream_tbEUlRKfE_EESV_SZ_S10_mS11_S14_bEUlT_E_NS1_11comp_targetILNS1_3genE10ELNS1_11target_archE1200ELNS1_3gpuE4ELNS1_3repE0EEENS1_30default_config_static_selectorELNS0_4arch9wavefront6targetE0EEEvSY_.uses_vcc, 0
	.set _ZN7rocprim17ROCPRIM_400000_NS6detail17trampoline_kernelINS0_14default_configENS1_27lower_bound_config_selectorIflEEZNS1_14transform_implILb0ES3_S5_N6thrust23THRUST_200600_302600_NS6detail15normal_iteratorINS8_7pointerIfNS8_11hip_rocprim5par_tENS8_11use_defaultESE_EEEENSA_INSB_IlSD_SE_SE_EEEEZNS1_13binary_searchIS3_S5_NSA_INS8_10device_ptrIfEEEESG_SI_NS1_21lower_bound_search_opENS9_16wrapped_functionINS8_6system6detail7generic6detail18binary_search_lessEbEEEE10hipError_tPvRmT1_T2_T3_mmT4_T5_P12ihipStream_tbEUlRKfE_EESV_SZ_S10_mS11_S14_bEUlT_E_NS1_11comp_targetILNS1_3genE10ELNS1_11target_archE1200ELNS1_3gpuE4ELNS1_3repE0EEENS1_30default_config_static_selectorELNS0_4arch9wavefront6targetE0EEEvSY_.uses_flat_scratch, 0
	.set _ZN7rocprim17ROCPRIM_400000_NS6detail17trampoline_kernelINS0_14default_configENS1_27lower_bound_config_selectorIflEEZNS1_14transform_implILb0ES3_S5_N6thrust23THRUST_200600_302600_NS6detail15normal_iteratorINS8_7pointerIfNS8_11hip_rocprim5par_tENS8_11use_defaultESE_EEEENSA_INSB_IlSD_SE_SE_EEEEZNS1_13binary_searchIS3_S5_NSA_INS8_10device_ptrIfEEEESG_SI_NS1_21lower_bound_search_opENS9_16wrapped_functionINS8_6system6detail7generic6detail18binary_search_lessEbEEEE10hipError_tPvRmT1_T2_T3_mmT4_T5_P12ihipStream_tbEUlRKfE_EESV_SZ_S10_mS11_S14_bEUlT_E_NS1_11comp_targetILNS1_3genE10ELNS1_11target_archE1200ELNS1_3gpuE4ELNS1_3repE0EEENS1_30default_config_static_selectorELNS0_4arch9wavefront6targetE0EEEvSY_.has_dyn_sized_stack, 0
	.set _ZN7rocprim17ROCPRIM_400000_NS6detail17trampoline_kernelINS0_14default_configENS1_27lower_bound_config_selectorIflEEZNS1_14transform_implILb0ES3_S5_N6thrust23THRUST_200600_302600_NS6detail15normal_iteratorINS8_7pointerIfNS8_11hip_rocprim5par_tENS8_11use_defaultESE_EEEENSA_INSB_IlSD_SE_SE_EEEEZNS1_13binary_searchIS3_S5_NSA_INS8_10device_ptrIfEEEESG_SI_NS1_21lower_bound_search_opENS9_16wrapped_functionINS8_6system6detail7generic6detail18binary_search_lessEbEEEE10hipError_tPvRmT1_T2_T3_mmT4_T5_P12ihipStream_tbEUlRKfE_EESV_SZ_S10_mS11_S14_bEUlT_E_NS1_11comp_targetILNS1_3genE10ELNS1_11target_archE1200ELNS1_3gpuE4ELNS1_3repE0EEENS1_30default_config_static_selectorELNS0_4arch9wavefront6targetE0EEEvSY_.has_recursion, 0
	.set _ZN7rocprim17ROCPRIM_400000_NS6detail17trampoline_kernelINS0_14default_configENS1_27lower_bound_config_selectorIflEEZNS1_14transform_implILb0ES3_S5_N6thrust23THRUST_200600_302600_NS6detail15normal_iteratorINS8_7pointerIfNS8_11hip_rocprim5par_tENS8_11use_defaultESE_EEEENSA_INSB_IlSD_SE_SE_EEEEZNS1_13binary_searchIS3_S5_NSA_INS8_10device_ptrIfEEEESG_SI_NS1_21lower_bound_search_opENS9_16wrapped_functionINS8_6system6detail7generic6detail18binary_search_lessEbEEEE10hipError_tPvRmT1_T2_T3_mmT4_T5_P12ihipStream_tbEUlRKfE_EESV_SZ_S10_mS11_S14_bEUlT_E_NS1_11comp_targetILNS1_3genE10ELNS1_11target_archE1200ELNS1_3gpuE4ELNS1_3repE0EEENS1_30default_config_static_selectorELNS0_4arch9wavefront6targetE0EEEvSY_.has_indirect_call, 0
	.section	.AMDGPU.csdata,"",@progbits
; Kernel info:
; codeLenInByte = 0
; TotalNumSgprs: 0
; NumVgprs: 0
; ScratchSize: 0
; MemoryBound: 0
; FloatMode: 240
; IeeeMode: 1
; LDSByteSize: 0 bytes/workgroup (compile time only)
; SGPRBlocks: 0
; VGPRBlocks: 0
; NumSGPRsForWavesPerEU: 1
; NumVGPRsForWavesPerEU: 1
; Occupancy: 16
; WaveLimiterHint : 0
; COMPUTE_PGM_RSRC2:SCRATCH_EN: 0
; COMPUTE_PGM_RSRC2:USER_SGPR: 6
; COMPUTE_PGM_RSRC2:TRAP_HANDLER: 0
; COMPUTE_PGM_RSRC2:TGID_X_EN: 1
; COMPUTE_PGM_RSRC2:TGID_Y_EN: 0
; COMPUTE_PGM_RSRC2:TGID_Z_EN: 0
; COMPUTE_PGM_RSRC2:TIDIG_COMP_CNT: 0
	.section	.text._ZN7rocprim17ROCPRIM_400000_NS6detail17trampoline_kernelINS0_14default_configENS1_27lower_bound_config_selectorIflEEZNS1_14transform_implILb0ES3_S5_N6thrust23THRUST_200600_302600_NS6detail15normal_iteratorINS8_7pointerIfNS8_11hip_rocprim5par_tENS8_11use_defaultESE_EEEENSA_INSB_IlSD_SE_SE_EEEEZNS1_13binary_searchIS3_S5_NSA_INS8_10device_ptrIfEEEESG_SI_NS1_21lower_bound_search_opENS9_16wrapped_functionINS8_6system6detail7generic6detail18binary_search_lessEbEEEE10hipError_tPvRmT1_T2_T3_mmT4_T5_P12ihipStream_tbEUlRKfE_EESV_SZ_S10_mS11_S14_bEUlT_E_NS1_11comp_targetILNS1_3genE9ELNS1_11target_archE1100ELNS1_3gpuE3ELNS1_3repE0EEENS1_30default_config_static_selectorELNS0_4arch9wavefront6targetE0EEEvSY_,"axG",@progbits,_ZN7rocprim17ROCPRIM_400000_NS6detail17trampoline_kernelINS0_14default_configENS1_27lower_bound_config_selectorIflEEZNS1_14transform_implILb0ES3_S5_N6thrust23THRUST_200600_302600_NS6detail15normal_iteratorINS8_7pointerIfNS8_11hip_rocprim5par_tENS8_11use_defaultESE_EEEENSA_INSB_IlSD_SE_SE_EEEEZNS1_13binary_searchIS3_S5_NSA_INS8_10device_ptrIfEEEESG_SI_NS1_21lower_bound_search_opENS9_16wrapped_functionINS8_6system6detail7generic6detail18binary_search_lessEbEEEE10hipError_tPvRmT1_T2_T3_mmT4_T5_P12ihipStream_tbEUlRKfE_EESV_SZ_S10_mS11_S14_bEUlT_E_NS1_11comp_targetILNS1_3genE9ELNS1_11target_archE1100ELNS1_3gpuE3ELNS1_3repE0EEENS1_30default_config_static_selectorELNS0_4arch9wavefront6targetE0EEEvSY_,comdat
	.protected	_ZN7rocprim17ROCPRIM_400000_NS6detail17trampoline_kernelINS0_14default_configENS1_27lower_bound_config_selectorIflEEZNS1_14transform_implILb0ES3_S5_N6thrust23THRUST_200600_302600_NS6detail15normal_iteratorINS8_7pointerIfNS8_11hip_rocprim5par_tENS8_11use_defaultESE_EEEENSA_INSB_IlSD_SE_SE_EEEEZNS1_13binary_searchIS3_S5_NSA_INS8_10device_ptrIfEEEESG_SI_NS1_21lower_bound_search_opENS9_16wrapped_functionINS8_6system6detail7generic6detail18binary_search_lessEbEEEE10hipError_tPvRmT1_T2_T3_mmT4_T5_P12ihipStream_tbEUlRKfE_EESV_SZ_S10_mS11_S14_bEUlT_E_NS1_11comp_targetILNS1_3genE9ELNS1_11target_archE1100ELNS1_3gpuE3ELNS1_3repE0EEENS1_30default_config_static_selectorELNS0_4arch9wavefront6targetE0EEEvSY_ ; -- Begin function _ZN7rocprim17ROCPRIM_400000_NS6detail17trampoline_kernelINS0_14default_configENS1_27lower_bound_config_selectorIflEEZNS1_14transform_implILb0ES3_S5_N6thrust23THRUST_200600_302600_NS6detail15normal_iteratorINS8_7pointerIfNS8_11hip_rocprim5par_tENS8_11use_defaultESE_EEEENSA_INSB_IlSD_SE_SE_EEEEZNS1_13binary_searchIS3_S5_NSA_INS8_10device_ptrIfEEEESG_SI_NS1_21lower_bound_search_opENS9_16wrapped_functionINS8_6system6detail7generic6detail18binary_search_lessEbEEEE10hipError_tPvRmT1_T2_T3_mmT4_T5_P12ihipStream_tbEUlRKfE_EESV_SZ_S10_mS11_S14_bEUlT_E_NS1_11comp_targetILNS1_3genE9ELNS1_11target_archE1100ELNS1_3gpuE3ELNS1_3repE0EEENS1_30default_config_static_selectorELNS0_4arch9wavefront6targetE0EEEvSY_
	.globl	_ZN7rocprim17ROCPRIM_400000_NS6detail17trampoline_kernelINS0_14default_configENS1_27lower_bound_config_selectorIflEEZNS1_14transform_implILb0ES3_S5_N6thrust23THRUST_200600_302600_NS6detail15normal_iteratorINS8_7pointerIfNS8_11hip_rocprim5par_tENS8_11use_defaultESE_EEEENSA_INSB_IlSD_SE_SE_EEEEZNS1_13binary_searchIS3_S5_NSA_INS8_10device_ptrIfEEEESG_SI_NS1_21lower_bound_search_opENS9_16wrapped_functionINS8_6system6detail7generic6detail18binary_search_lessEbEEEE10hipError_tPvRmT1_T2_T3_mmT4_T5_P12ihipStream_tbEUlRKfE_EESV_SZ_S10_mS11_S14_bEUlT_E_NS1_11comp_targetILNS1_3genE9ELNS1_11target_archE1100ELNS1_3gpuE3ELNS1_3repE0EEENS1_30default_config_static_selectorELNS0_4arch9wavefront6targetE0EEEvSY_
	.p2align	8
	.type	_ZN7rocprim17ROCPRIM_400000_NS6detail17trampoline_kernelINS0_14default_configENS1_27lower_bound_config_selectorIflEEZNS1_14transform_implILb0ES3_S5_N6thrust23THRUST_200600_302600_NS6detail15normal_iteratorINS8_7pointerIfNS8_11hip_rocprim5par_tENS8_11use_defaultESE_EEEENSA_INSB_IlSD_SE_SE_EEEEZNS1_13binary_searchIS3_S5_NSA_INS8_10device_ptrIfEEEESG_SI_NS1_21lower_bound_search_opENS9_16wrapped_functionINS8_6system6detail7generic6detail18binary_search_lessEbEEEE10hipError_tPvRmT1_T2_T3_mmT4_T5_P12ihipStream_tbEUlRKfE_EESV_SZ_S10_mS11_S14_bEUlT_E_NS1_11comp_targetILNS1_3genE9ELNS1_11target_archE1100ELNS1_3gpuE3ELNS1_3repE0EEENS1_30default_config_static_selectorELNS0_4arch9wavefront6targetE0EEEvSY_,@function
_ZN7rocprim17ROCPRIM_400000_NS6detail17trampoline_kernelINS0_14default_configENS1_27lower_bound_config_selectorIflEEZNS1_14transform_implILb0ES3_S5_N6thrust23THRUST_200600_302600_NS6detail15normal_iteratorINS8_7pointerIfNS8_11hip_rocprim5par_tENS8_11use_defaultESE_EEEENSA_INSB_IlSD_SE_SE_EEEEZNS1_13binary_searchIS3_S5_NSA_INS8_10device_ptrIfEEEESG_SI_NS1_21lower_bound_search_opENS9_16wrapped_functionINS8_6system6detail7generic6detail18binary_search_lessEbEEEE10hipError_tPvRmT1_T2_T3_mmT4_T5_P12ihipStream_tbEUlRKfE_EESV_SZ_S10_mS11_S14_bEUlT_E_NS1_11comp_targetILNS1_3genE9ELNS1_11target_archE1100ELNS1_3gpuE3ELNS1_3repE0EEENS1_30default_config_static_selectorELNS0_4arch9wavefront6targetE0EEEvSY_: ; @_ZN7rocprim17ROCPRIM_400000_NS6detail17trampoline_kernelINS0_14default_configENS1_27lower_bound_config_selectorIflEEZNS1_14transform_implILb0ES3_S5_N6thrust23THRUST_200600_302600_NS6detail15normal_iteratorINS8_7pointerIfNS8_11hip_rocprim5par_tENS8_11use_defaultESE_EEEENSA_INSB_IlSD_SE_SE_EEEEZNS1_13binary_searchIS3_S5_NSA_INS8_10device_ptrIfEEEESG_SI_NS1_21lower_bound_search_opENS9_16wrapped_functionINS8_6system6detail7generic6detail18binary_search_lessEbEEEE10hipError_tPvRmT1_T2_T3_mmT4_T5_P12ihipStream_tbEUlRKfE_EESV_SZ_S10_mS11_S14_bEUlT_E_NS1_11comp_targetILNS1_3genE9ELNS1_11target_archE1100ELNS1_3gpuE3ELNS1_3repE0EEENS1_30default_config_static_selectorELNS0_4arch9wavefront6targetE0EEEvSY_
; %bb.0:
	.section	.rodata,"a",@progbits
	.p2align	6, 0x0
	.amdhsa_kernel _ZN7rocprim17ROCPRIM_400000_NS6detail17trampoline_kernelINS0_14default_configENS1_27lower_bound_config_selectorIflEEZNS1_14transform_implILb0ES3_S5_N6thrust23THRUST_200600_302600_NS6detail15normal_iteratorINS8_7pointerIfNS8_11hip_rocprim5par_tENS8_11use_defaultESE_EEEENSA_INSB_IlSD_SE_SE_EEEEZNS1_13binary_searchIS3_S5_NSA_INS8_10device_ptrIfEEEESG_SI_NS1_21lower_bound_search_opENS9_16wrapped_functionINS8_6system6detail7generic6detail18binary_search_lessEbEEEE10hipError_tPvRmT1_T2_T3_mmT4_T5_P12ihipStream_tbEUlRKfE_EESV_SZ_S10_mS11_S14_bEUlT_E_NS1_11comp_targetILNS1_3genE9ELNS1_11target_archE1100ELNS1_3gpuE3ELNS1_3repE0EEENS1_30default_config_static_selectorELNS0_4arch9wavefront6targetE0EEEvSY_
		.amdhsa_group_segment_fixed_size 0
		.amdhsa_private_segment_fixed_size 0
		.amdhsa_kernarg_size 56
		.amdhsa_user_sgpr_count 6
		.amdhsa_user_sgpr_private_segment_buffer 1
		.amdhsa_user_sgpr_dispatch_ptr 0
		.amdhsa_user_sgpr_queue_ptr 0
		.amdhsa_user_sgpr_kernarg_segment_ptr 1
		.amdhsa_user_sgpr_dispatch_id 0
		.amdhsa_user_sgpr_flat_scratch_init 0
		.amdhsa_user_sgpr_private_segment_size 0
		.amdhsa_wavefront_size32 1
		.amdhsa_uses_dynamic_stack 0
		.amdhsa_system_sgpr_private_segment_wavefront_offset 0
		.amdhsa_system_sgpr_workgroup_id_x 1
		.amdhsa_system_sgpr_workgroup_id_y 0
		.amdhsa_system_sgpr_workgroup_id_z 0
		.amdhsa_system_sgpr_workgroup_info 0
		.amdhsa_system_vgpr_workitem_id 0
		.amdhsa_next_free_vgpr 1
		.amdhsa_next_free_sgpr 1
		.amdhsa_reserve_vcc 0
		.amdhsa_reserve_flat_scratch 0
		.amdhsa_float_round_mode_32 0
		.amdhsa_float_round_mode_16_64 0
		.amdhsa_float_denorm_mode_32 3
		.amdhsa_float_denorm_mode_16_64 3
		.amdhsa_dx10_clamp 1
		.amdhsa_ieee_mode 1
		.amdhsa_fp16_overflow 0
		.amdhsa_workgroup_processor_mode 1
		.amdhsa_memory_ordered 1
		.amdhsa_forward_progress 1
		.amdhsa_shared_vgpr_count 0
		.amdhsa_exception_fp_ieee_invalid_op 0
		.amdhsa_exception_fp_denorm_src 0
		.amdhsa_exception_fp_ieee_div_zero 0
		.amdhsa_exception_fp_ieee_overflow 0
		.amdhsa_exception_fp_ieee_underflow 0
		.amdhsa_exception_fp_ieee_inexact 0
		.amdhsa_exception_int_div_zero 0
	.end_amdhsa_kernel
	.section	.text._ZN7rocprim17ROCPRIM_400000_NS6detail17trampoline_kernelINS0_14default_configENS1_27lower_bound_config_selectorIflEEZNS1_14transform_implILb0ES3_S5_N6thrust23THRUST_200600_302600_NS6detail15normal_iteratorINS8_7pointerIfNS8_11hip_rocprim5par_tENS8_11use_defaultESE_EEEENSA_INSB_IlSD_SE_SE_EEEEZNS1_13binary_searchIS3_S5_NSA_INS8_10device_ptrIfEEEESG_SI_NS1_21lower_bound_search_opENS9_16wrapped_functionINS8_6system6detail7generic6detail18binary_search_lessEbEEEE10hipError_tPvRmT1_T2_T3_mmT4_T5_P12ihipStream_tbEUlRKfE_EESV_SZ_S10_mS11_S14_bEUlT_E_NS1_11comp_targetILNS1_3genE9ELNS1_11target_archE1100ELNS1_3gpuE3ELNS1_3repE0EEENS1_30default_config_static_selectorELNS0_4arch9wavefront6targetE0EEEvSY_,"axG",@progbits,_ZN7rocprim17ROCPRIM_400000_NS6detail17trampoline_kernelINS0_14default_configENS1_27lower_bound_config_selectorIflEEZNS1_14transform_implILb0ES3_S5_N6thrust23THRUST_200600_302600_NS6detail15normal_iteratorINS8_7pointerIfNS8_11hip_rocprim5par_tENS8_11use_defaultESE_EEEENSA_INSB_IlSD_SE_SE_EEEEZNS1_13binary_searchIS3_S5_NSA_INS8_10device_ptrIfEEEESG_SI_NS1_21lower_bound_search_opENS9_16wrapped_functionINS8_6system6detail7generic6detail18binary_search_lessEbEEEE10hipError_tPvRmT1_T2_T3_mmT4_T5_P12ihipStream_tbEUlRKfE_EESV_SZ_S10_mS11_S14_bEUlT_E_NS1_11comp_targetILNS1_3genE9ELNS1_11target_archE1100ELNS1_3gpuE3ELNS1_3repE0EEENS1_30default_config_static_selectorELNS0_4arch9wavefront6targetE0EEEvSY_,comdat
.Lfunc_end356:
	.size	_ZN7rocprim17ROCPRIM_400000_NS6detail17trampoline_kernelINS0_14default_configENS1_27lower_bound_config_selectorIflEEZNS1_14transform_implILb0ES3_S5_N6thrust23THRUST_200600_302600_NS6detail15normal_iteratorINS8_7pointerIfNS8_11hip_rocprim5par_tENS8_11use_defaultESE_EEEENSA_INSB_IlSD_SE_SE_EEEEZNS1_13binary_searchIS3_S5_NSA_INS8_10device_ptrIfEEEESG_SI_NS1_21lower_bound_search_opENS9_16wrapped_functionINS8_6system6detail7generic6detail18binary_search_lessEbEEEE10hipError_tPvRmT1_T2_T3_mmT4_T5_P12ihipStream_tbEUlRKfE_EESV_SZ_S10_mS11_S14_bEUlT_E_NS1_11comp_targetILNS1_3genE9ELNS1_11target_archE1100ELNS1_3gpuE3ELNS1_3repE0EEENS1_30default_config_static_selectorELNS0_4arch9wavefront6targetE0EEEvSY_, .Lfunc_end356-_ZN7rocprim17ROCPRIM_400000_NS6detail17trampoline_kernelINS0_14default_configENS1_27lower_bound_config_selectorIflEEZNS1_14transform_implILb0ES3_S5_N6thrust23THRUST_200600_302600_NS6detail15normal_iteratorINS8_7pointerIfNS8_11hip_rocprim5par_tENS8_11use_defaultESE_EEEENSA_INSB_IlSD_SE_SE_EEEEZNS1_13binary_searchIS3_S5_NSA_INS8_10device_ptrIfEEEESG_SI_NS1_21lower_bound_search_opENS9_16wrapped_functionINS8_6system6detail7generic6detail18binary_search_lessEbEEEE10hipError_tPvRmT1_T2_T3_mmT4_T5_P12ihipStream_tbEUlRKfE_EESV_SZ_S10_mS11_S14_bEUlT_E_NS1_11comp_targetILNS1_3genE9ELNS1_11target_archE1100ELNS1_3gpuE3ELNS1_3repE0EEENS1_30default_config_static_selectorELNS0_4arch9wavefront6targetE0EEEvSY_
                                        ; -- End function
	.set _ZN7rocprim17ROCPRIM_400000_NS6detail17trampoline_kernelINS0_14default_configENS1_27lower_bound_config_selectorIflEEZNS1_14transform_implILb0ES3_S5_N6thrust23THRUST_200600_302600_NS6detail15normal_iteratorINS8_7pointerIfNS8_11hip_rocprim5par_tENS8_11use_defaultESE_EEEENSA_INSB_IlSD_SE_SE_EEEEZNS1_13binary_searchIS3_S5_NSA_INS8_10device_ptrIfEEEESG_SI_NS1_21lower_bound_search_opENS9_16wrapped_functionINS8_6system6detail7generic6detail18binary_search_lessEbEEEE10hipError_tPvRmT1_T2_T3_mmT4_T5_P12ihipStream_tbEUlRKfE_EESV_SZ_S10_mS11_S14_bEUlT_E_NS1_11comp_targetILNS1_3genE9ELNS1_11target_archE1100ELNS1_3gpuE3ELNS1_3repE0EEENS1_30default_config_static_selectorELNS0_4arch9wavefront6targetE0EEEvSY_.num_vgpr, 0
	.set _ZN7rocprim17ROCPRIM_400000_NS6detail17trampoline_kernelINS0_14default_configENS1_27lower_bound_config_selectorIflEEZNS1_14transform_implILb0ES3_S5_N6thrust23THRUST_200600_302600_NS6detail15normal_iteratorINS8_7pointerIfNS8_11hip_rocprim5par_tENS8_11use_defaultESE_EEEENSA_INSB_IlSD_SE_SE_EEEEZNS1_13binary_searchIS3_S5_NSA_INS8_10device_ptrIfEEEESG_SI_NS1_21lower_bound_search_opENS9_16wrapped_functionINS8_6system6detail7generic6detail18binary_search_lessEbEEEE10hipError_tPvRmT1_T2_T3_mmT4_T5_P12ihipStream_tbEUlRKfE_EESV_SZ_S10_mS11_S14_bEUlT_E_NS1_11comp_targetILNS1_3genE9ELNS1_11target_archE1100ELNS1_3gpuE3ELNS1_3repE0EEENS1_30default_config_static_selectorELNS0_4arch9wavefront6targetE0EEEvSY_.num_agpr, 0
	.set _ZN7rocprim17ROCPRIM_400000_NS6detail17trampoline_kernelINS0_14default_configENS1_27lower_bound_config_selectorIflEEZNS1_14transform_implILb0ES3_S5_N6thrust23THRUST_200600_302600_NS6detail15normal_iteratorINS8_7pointerIfNS8_11hip_rocprim5par_tENS8_11use_defaultESE_EEEENSA_INSB_IlSD_SE_SE_EEEEZNS1_13binary_searchIS3_S5_NSA_INS8_10device_ptrIfEEEESG_SI_NS1_21lower_bound_search_opENS9_16wrapped_functionINS8_6system6detail7generic6detail18binary_search_lessEbEEEE10hipError_tPvRmT1_T2_T3_mmT4_T5_P12ihipStream_tbEUlRKfE_EESV_SZ_S10_mS11_S14_bEUlT_E_NS1_11comp_targetILNS1_3genE9ELNS1_11target_archE1100ELNS1_3gpuE3ELNS1_3repE0EEENS1_30default_config_static_selectorELNS0_4arch9wavefront6targetE0EEEvSY_.numbered_sgpr, 0
	.set _ZN7rocprim17ROCPRIM_400000_NS6detail17trampoline_kernelINS0_14default_configENS1_27lower_bound_config_selectorIflEEZNS1_14transform_implILb0ES3_S5_N6thrust23THRUST_200600_302600_NS6detail15normal_iteratorINS8_7pointerIfNS8_11hip_rocprim5par_tENS8_11use_defaultESE_EEEENSA_INSB_IlSD_SE_SE_EEEEZNS1_13binary_searchIS3_S5_NSA_INS8_10device_ptrIfEEEESG_SI_NS1_21lower_bound_search_opENS9_16wrapped_functionINS8_6system6detail7generic6detail18binary_search_lessEbEEEE10hipError_tPvRmT1_T2_T3_mmT4_T5_P12ihipStream_tbEUlRKfE_EESV_SZ_S10_mS11_S14_bEUlT_E_NS1_11comp_targetILNS1_3genE9ELNS1_11target_archE1100ELNS1_3gpuE3ELNS1_3repE0EEENS1_30default_config_static_selectorELNS0_4arch9wavefront6targetE0EEEvSY_.num_named_barrier, 0
	.set _ZN7rocprim17ROCPRIM_400000_NS6detail17trampoline_kernelINS0_14default_configENS1_27lower_bound_config_selectorIflEEZNS1_14transform_implILb0ES3_S5_N6thrust23THRUST_200600_302600_NS6detail15normal_iteratorINS8_7pointerIfNS8_11hip_rocprim5par_tENS8_11use_defaultESE_EEEENSA_INSB_IlSD_SE_SE_EEEEZNS1_13binary_searchIS3_S5_NSA_INS8_10device_ptrIfEEEESG_SI_NS1_21lower_bound_search_opENS9_16wrapped_functionINS8_6system6detail7generic6detail18binary_search_lessEbEEEE10hipError_tPvRmT1_T2_T3_mmT4_T5_P12ihipStream_tbEUlRKfE_EESV_SZ_S10_mS11_S14_bEUlT_E_NS1_11comp_targetILNS1_3genE9ELNS1_11target_archE1100ELNS1_3gpuE3ELNS1_3repE0EEENS1_30default_config_static_selectorELNS0_4arch9wavefront6targetE0EEEvSY_.private_seg_size, 0
	.set _ZN7rocprim17ROCPRIM_400000_NS6detail17trampoline_kernelINS0_14default_configENS1_27lower_bound_config_selectorIflEEZNS1_14transform_implILb0ES3_S5_N6thrust23THRUST_200600_302600_NS6detail15normal_iteratorINS8_7pointerIfNS8_11hip_rocprim5par_tENS8_11use_defaultESE_EEEENSA_INSB_IlSD_SE_SE_EEEEZNS1_13binary_searchIS3_S5_NSA_INS8_10device_ptrIfEEEESG_SI_NS1_21lower_bound_search_opENS9_16wrapped_functionINS8_6system6detail7generic6detail18binary_search_lessEbEEEE10hipError_tPvRmT1_T2_T3_mmT4_T5_P12ihipStream_tbEUlRKfE_EESV_SZ_S10_mS11_S14_bEUlT_E_NS1_11comp_targetILNS1_3genE9ELNS1_11target_archE1100ELNS1_3gpuE3ELNS1_3repE0EEENS1_30default_config_static_selectorELNS0_4arch9wavefront6targetE0EEEvSY_.uses_vcc, 0
	.set _ZN7rocprim17ROCPRIM_400000_NS6detail17trampoline_kernelINS0_14default_configENS1_27lower_bound_config_selectorIflEEZNS1_14transform_implILb0ES3_S5_N6thrust23THRUST_200600_302600_NS6detail15normal_iteratorINS8_7pointerIfNS8_11hip_rocprim5par_tENS8_11use_defaultESE_EEEENSA_INSB_IlSD_SE_SE_EEEEZNS1_13binary_searchIS3_S5_NSA_INS8_10device_ptrIfEEEESG_SI_NS1_21lower_bound_search_opENS9_16wrapped_functionINS8_6system6detail7generic6detail18binary_search_lessEbEEEE10hipError_tPvRmT1_T2_T3_mmT4_T5_P12ihipStream_tbEUlRKfE_EESV_SZ_S10_mS11_S14_bEUlT_E_NS1_11comp_targetILNS1_3genE9ELNS1_11target_archE1100ELNS1_3gpuE3ELNS1_3repE0EEENS1_30default_config_static_selectorELNS0_4arch9wavefront6targetE0EEEvSY_.uses_flat_scratch, 0
	.set _ZN7rocprim17ROCPRIM_400000_NS6detail17trampoline_kernelINS0_14default_configENS1_27lower_bound_config_selectorIflEEZNS1_14transform_implILb0ES3_S5_N6thrust23THRUST_200600_302600_NS6detail15normal_iteratorINS8_7pointerIfNS8_11hip_rocprim5par_tENS8_11use_defaultESE_EEEENSA_INSB_IlSD_SE_SE_EEEEZNS1_13binary_searchIS3_S5_NSA_INS8_10device_ptrIfEEEESG_SI_NS1_21lower_bound_search_opENS9_16wrapped_functionINS8_6system6detail7generic6detail18binary_search_lessEbEEEE10hipError_tPvRmT1_T2_T3_mmT4_T5_P12ihipStream_tbEUlRKfE_EESV_SZ_S10_mS11_S14_bEUlT_E_NS1_11comp_targetILNS1_3genE9ELNS1_11target_archE1100ELNS1_3gpuE3ELNS1_3repE0EEENS1_30default_config_static_selectorELNS0_4arch9wavefront6targetE0EEEvSY_.has_dyn_sized_stack, 0
	.set _ZN7rocprim17ROCPRIM_400000_NS6detail17trampoline_kernelINS0_14default_configENS1_27lower_bound_config_selectorIflEEZNS1_14transform_implILb0ES3_S5_N6thrust23THRUST_200600_302600_NS6detail15normal_iteratorINS8_7pointerIfNS8_11hip_rocprim5par_tENS8_11use_defaultESE_EEEENSA_INSB_IlSD_SE_SE_EEEEZNS1_13binary_searchIS3_S5_NSA_INS8_10device_ptrIfEEEESG_SI_NS1_21lower_bound_search_opENS9_16wrapped_functionINS8_6system6detail7generic6detail18binary_search_lessEbEEEE10hipError_tPvRmT1_T2_T3_mmT4_T5_P12ihipStream_tbEUlRKfE_EESV_SZ_S10_mS11_S14_bEUlT_E_NS1_11comp_targetILNS1_3genE9ELNS1_11target_archE1100ELNS1_3gpuE3ELNS1_3repE0EEENS1_30default_config_static_selectorELNS0_4arch9wavefront6targetE0EEEvSY_.has_recursion, 0
	.set _ZN7rocprim17ROCPRIM_400000_NS6detail17trampoline_kernelINS0_14default_configENS1_27lower_bound_config_selectorIflEEZNS1_14transform_implILb0ES3_S5_N6thrust23THRUST_200600_302600_NS6detail15normal_iteratorINS8_7pointerIfNS8_11hip_rocprim5par_tENS8_11use_defaultESE_EEEENSA_INSB_IlSD_SE_SE_EEEEZNS1_13binary_searchIS3_S5_NSA_INS8_10device_ptrIfEEEESG_SI_NS1_21lower_bound_search_opENS9_16wrapped_functionINS8_6system6detail7generic6detail18binary_search_lessEbEEEE10hipError_tPvRmT1_T2_T3_mmT4_T5_P12ihipStream_tbEUlRKfE_EESV_SZ_S10_mS11_S14_bEUlT_E_NS1_11comp_targetILNS1_3genE9ELNS1_11target_archE1100ELNS1_3gpuE3ELNS1_3repE0EEENS1_30default_config_static_selectorELNS0_4arch9wavefront6targetE0EEEvSY_.has_indirect_call, 0
	.section	.AMDGPU.csdata,"",@progbits
; Kernel info:
; codeLenInByte = 0
; TotalNumSgprs: 0
; NumVgprs: 0
; ScratchSize: 0
; MemoryBound: 0
; FloatMode: 240
; IeeeMode: 1
; LDSByteSize: 0 bytes/workgroup (compile time only)
; SGPRBlocks: 0
; VGPRBlocks: 0
; NumSGPRsForWavesPerEU: 1
; NumVGPRsForWavesPerEU: 1
; Occupancy: 16
; WaveLimiterHint : 0
; COMPUTE_PGM_RSRC2:SCRATCH_EN: 0
; COMPUTE_PGM_RSRC2:USER_SGPR: 6
; COMPUTE_PGM_RSRC2:TRAP_HANDLER: 0
; COMPUTE_PGM_RSRC2:TGID_X_EN: 1
; COMPUTE_PGM_RSRC2:TGID_Y_EN: 0
; COMPUTE_PGM_RSRC2:TGID_Z_EN: 0
; COMPUTE_PGM_RSRC2:TIDIG_COMP_CNT: 0
	.section	.text._ZN7rocprim17ROCPRIM_400000_NS6detail17trampoline_kernelINS0_14default_configENS1_27lower_bound_config_selectorIflEEZNS1_14transform_implILb0ES3_S5_N6thrust23THRUST_200600_302600_NS6detail15normal_iteratorINS8_7pointerIfNS8_11hip_rocprim5par_tENS8_11use_defaultESE_EEEENSA_INSB_IlSD_SE_SE_EEEEZNS1_13binary_searchIS3_S5_NSA_INS8_10device_ptrIfEEEESG_SI_NS1_21lower_bound_search_opENS9_16wrapped_functionINS8_6system6detail7generic6detail18binary_search_lessEbEEEE10hipError_tPvRmT1_T2_T3_mmT4_T5_P12ihipStream_tbEUlRKfE_EESV_SZ_S10_mS11_S14_bEUlT_E_NS1_11comp_targetILNS1_3genE8ELNS1_11target_archE1030ELNS1_3gpuE2ELNS1_3repE0EEENS1_30default_config_static_selectorELNS0_4arch9wavefront6targetE0EEEvSY_,"axG",@progbits,_ZN7rocprim17ROCPRIM_400000_NS6detail17trampoline_kernelINS0_14default_configENS1_27lower_bound_config_selectorIflEEZNS1_14transform_implILb0ES3_S5_N6thrust23THRUST_200600_302600_NS6detail15normal_iteratorINS8_7pointerIfNS8_11hip_rocprim5par_tENS8_11use_defaultESE_EEEENSA_INSB_IlSD_SE_SE_EEEEZNS1_13binary_searchIS3_S5_NSA_INS8_10device_ptrIfEEEESG_SI_NS1_21lower_bound_search_opENS9_16wrapped_functionINS8_6system6detail7generic6detail18binary_search_lessEbEEEE10hipError_tPvRmT1_T2_T3_mmT4_T5_P12ihipStream_tbEUlRKfE_EESV_SZ_S10_mS11_S14_bEUlT_E_NS1_11comp_targetILNS1_3genE8ELNS1_11target_archE1030ELNS1_3gpuE2ELNS1_3repE0EEENS1_30default_config_static_selectorELNS0_4arch9wavefront6targetE0EEEvSY_,comdat
	.protected	_ZN7rocprim17ROCPRIM_400000_NS6detail17trampoline_kernelINS0_14default_configENS1_27lower_bound_config_selectorIflEEZNS1_14transform_implILb0ES3_S5_N6thrust23THRUST_200600_302600_NS6detail15normal_iteratorINS8_7pointerIfNS8_11hip_rocprim5par_tENS8_11use_defaultESE_EEEENSA_INSB_IlSD_SE_SE_EEEEZNS1_13binary_searchIS3_S5_NSA_INS8_10device_ptrIfEEEESG_SI_NS1_21lower_bound_search_opENS9_16wrapped_functionINS8_6system6detail7generic6detail18binary_search_lessEbEEEE10hipError_tPvRmT1_T2_T3_mmT4_T5_P12ihipStream_tbEUlRKfE_EESV_SZ_S10_mS11_S14_bEUlT_E_NS1_11comp_targetILNS1_3genE8ELNS1_11target_archE1030ELNS1_3gpuE2ELNS1_3repE0EEENS1_30default_config_static_selectorELNS0_4arch9wavefront6targetE0EEEvSY_ ; -- Begin function _ZN7rocprim17ROCPRIM_400000_NS6detail17trampoline_kernelINS0_14default_configENS1_27lower_bound_config_selectorIflEEZNS1_14transform_implILb0ES3_S5_N6thrust23THRUST_200600_302600_NS6detail15normal_iteratorINS8_7pointerIfNS8_11hip_rocprim5par_tENS8_11use_defaultESE_EEEENSA_INSB_IlSD_SE_SE_EEEEZNS1_13binary_searchIS3_S5_NSA_INS8_10device_ptrIfEEEESG_SI_NS1_21lower_bound_search_opENS9_16wrapped_functionINS8_6system6detail7generic6detail18binary_search_lessEbEEEE10hipError_tPvRmT1_T2_T3_mmT4_T5_P12ihipStream_tbEUlRKfE_EESV_SZ_S10_mS11_S14_bEUlT_E_NS1_11comp_targetILNS1_3genE8ELNS1_11target_archE1030ELNS1_3gpuE2ELNS1_3repE0EEENS1_30default_config_static_selectorELNS0_4arch9wavefront6targetE0EEEvSY_
	.globl	_ZN7rocprim17ROCPRIM_400000_NS6detail17trampoline_kernelINS0_14default_configENS1_27lower_bound_config_selectorIflEEZNS1_14transform_implILb0ES3_S5_N6thrust23THRUST_200600_302600_NS6detail15normal_iteratorINS8_7pointerIfNS8_11hip_rocprim5par_tENS8_11use_defaultESE_EEEENSA_INSB_IlSD_SE_SE_EEEEZNS1_13binary_searchIS3_S5_NSA_INS8_10device_ptrIfEEEESG_SI_NS1_21lower_bound_search_opENS9_16wrapped_functionINS8_6system6detail7generic6detail18binary_search_lessEbEEEE10hipError_tPvRmT1_T2_T3_mmT4_T5_P12ihipStream_tbEUlRKfE_EESV_SZ_S10_mS11_S14_bEUlT_E_NS1_11comp_targetILNS1_3genE8ELNS1_11target_archE1030ELNS1_3gpuE2ELNS1_3repE0EEENS1_30default_config_static_selectorELNS0_4arch9wavefront6targetE0EEEvSY_
	.p2align	8
	.type	_ZN7rocprim17ROCPRIM_400000_NS6detail17trampoline_kernelINS0_14default_configENS1_27lower_bound_config_selectorIflEEZNS1_14transform_implILb0ES3_S5_N6thrust23THRUST_200600_302600_NS6detail15normal_iteratorINS8_7pointerIfNS8_11hip_rocprim5par_tENS8_11use_defaultESE_EEEENSA_INSB_IlSD_SE_SE_EEEEZNS1_13binary_searchIS3_S5_NSA_INS8_10device_ptrIfEEEESG_SI_NS1_21lower_bound_search_opENS9_16wrapped_functionINS8_6system6detail7generic6detail18binary_search_lessEbEEEE10hipError_tPvRmT1_T2_T3_mmT4_T5_P12ihipStream_tbEUlRKfE_EESV_SZ_S10_mS11_S14_bEUlT_E_NS1_11comp_targetILNS1_3genE8ELNS1_11target_archE1030ELNS1_3gpuE2ELNS1_3repE0EEENS1_30default_config_static_selectorELNS0_4arch9wavefront6targetE0EEEvSY_,@function
_ZN7rocprim17ROCPRIM_400000_NS6detail17trampoline_kernelINS0_14default_configENS1_27lower_bound_config_selectorIflEEZNS1_14transform_implILb0ES3_S5_N6thrust23THRUST_200600_302600_NS6detail15normal_iteratorINS8_7pointerIfNS8_11hip_rocprim5par_tENS8_11use_defaultESE_EEEENSA_INSB_IlSD_SE_SE_EEEEZNS1_13binary_searchIS3_S5_NSA_INS8_10device_ptrIfEEEESG_SI_NS1_21lower_bound_search_opENS9_16wrapped_functionINS8_6system6detail7generic6detail18binary_search_lessEbEEEE10hipError_tPvRmT1_T2_T3_mmT4_T5_P12ihipStream_tbEUlRKfE_EESV_SZ_S10_mS11_S14_bEUlT_E_NS1_11comp_targetILNS1_3genE8ELNS1_11target_archE1030ELNS1_3gpuE2ELNS1_3repE0EEENS1_30default_config_static_selectorELNS0_4arch9wavefront6targetE0EEEvSY_: ; @_ZN7rocprim17ROCPRIM_400000_NS6detail17trampoline_kernelINS0_14default_configENS1_27lower_bound_config_selectorIflEEZNS1_14transform_implILb0ES3_S5_N6thrust23THRUST_200600_302600_NS6detail15normal_iteratorINS8_7pointerIfNS8_11hip_rocprim5par_tENS8_11use_defaultESE_EEEENSA_INSB_IlSD_SE_SE_EEEEZNS1_13binary_searchIS3_S5_NSA_INS8_10device_ptrIfEEEESG_SI_NS1_21lower_bound_search_opENS9_16wrapped_functionINS8_6system6detail7generic6detail18binary_search_lessEbEEEE10hipError_tPvRmT1_T2_T3_mmT4_T5_P12ihipStream_tbEUlRKfE_EESV_SZ_S10_mS11_S14_bEUlT_E_NS1_11comp_targetILNS1_3genE8ELNS1_11target_archE1030ELNS1_3gpuE2ELNS1_3repE0EEENS1_30default_config_static_selectorELNS0_4arch9wavefront6targetE0EEEvSY_
; %bb.0:
	s_clause 0x3
	s_load_dwordx4 s[12:15], s[4:5], 0x0
	s_load_dwordx4 s[0:3], s[4:5], 0x18
	s_load_dword s16, s[4:5], 0x38
	s_load_dwordx2 s[10:11], s[4:5], 0x28
	s_waitcnt lgkmcnt(0)
	s_lshl_b64 s[8:9], s[14:15], 2
	s_add_u32 s12, s12, s8
	s_addc_u32 s13, s13, s9
	s_lshl_b64 s[8:9], s[14:15], 3
	s_add_u32 s7, s0, s8
	s_addc_u32 s1, s1, s9
	s_add_i32 s16, s16, -1
	s_lshl_b32 s8, s6, 8
	s_mov_b32 s9, 0
	s_cmp_lg_u32 s6, s16
	s_mov_b32 s0, -1
	s_cbranch_scc0 .LBB357_7
; %bb.1:
	s_cmp_eq_u64 s[10:11], 0
	s_cbranch_scc1 .LBB357_5
; %bb.2:
	v_lshlrev_b32_e32 v1, 2, v0
	s_lshl_b64 s[14:15], s[8:9], 2
	v_mov_b32_e32 v3, s10
	s_add_u32 s0, s12, s14
	s_addc_u32 s6, s13, s15
	v_add_co_u32 v1, s0, s0, v1
	v_add_co_ci_u32_e64 v2, null, s6, 0, s0
	v_mov_b32_e32 v4, s11
	s_mov_b32 s0, 0
	flat_load_dword v5, v[1:2]
	v_mov_b32_e32 v1, 0
	v_mov_b32_e32 v2, 0
	s_inst_prefetch 0x1
	.p2align	6
.LBB357_3:                              ; =>This Inner Loop Header: Depth=1
	v_sub_co_u32 v6, vcc_lo, v3, v1
	v_sub_co_ci_u32_e64 v7, null, v4, v2, vcc_lo
	v_lshrrev_b64 v[8:9], 1, v[6:7]
	v_lshrrev_b64 v[6:7], 6, v[6:7]
	v_add_co_u32 v8, vcc_lo, v8, v1
	v_add_co_ci_u32_e64 v9, null, v9, v2, vcc_lo
	v_add_co_u32 v6, vcc_lo, v8, v6
	v_add_co_ci_u32_e64 v7, null, v9, v7, vcc_lo
	v_lshlrev_b64 v[8:9], 2, v[6:7]
	v_add_co_u32 v8, vcc_lo, s2, v8
	v_add_co_ci_u32_e64 v9, null, s3, v9, vcc_lo
	global_load_dword v8, v[8:9], off
	v_add_co_u32 v9, vcc_lo, v6, 1
	v_add_co_ci_u32_e64 v10, null, 0, v7, vcc_lo
	s_waitcnt vmcnt(0) lgkmcnt(0)
	v_cmp_lt_f32_e32 vcc_lo, v8, v5
	v_cndmask_b32_e32 v4, v7, v4, vcc_lo
	v_cndmask_b32_e32 v3, v6, v3, vcc_lo
	;; [unrolled: 1-line block ×4, first 2 shown]
	v_cmp_ge_u64_e32 vcc_lo, v[1:2], v[3:4]
	s_or_b32 s0, vcc_lo, s0
	s_andn2_b32 exec_lo, exec_lo, s0
	s_cbranch_execnz .LBB357_3
; %bb.4:
	s_inst_prefetch 0x2
	s_or_b32 exec_lo, exec_lo, s0
	s_branch .LBB357_6
.LBB357_5:
	v_mov_b32_e32 v1, 0
	v_mov_b32_e32 v2, 0
.LBB357_6:
	v_lshlrev_b32_e32 v3, 3, v0
	s_lshl_b64 s[14:15], s[8:9], 3
	s_add_u32 s0, s7, s14
	s_addc_u32 s6, s1, s15
	v_add_co_u32 v3, s0, s0, v3
	v_add_co_ci_u32_e64 v4, null, s6, 0, s0
	s_mov_b32 s0, 0
	flat_store_dwordx2 v[3:4], v[1:2]
.LBB357_7:
	s_and_b32 vcc_lo, exec_lo, s0
	s_cbranch_vccz .LBB357_16
; %bb.8:
	s_load_dword s0, s[4:5], 0x10
                                        ; implicit-def: $vgpr5
	s_waitcnt lgkmcnt(0)
	s_sub_i32 s4, s0, s8
	v_cmp_le_u32_e64 s0, s4, v0
	v_cmp_gt_u32_e32 vcc_lo, s4, v0
	s_and_saveexec_b32 s4, vcc_lo
	s_cbranch_execz .LBB357_10
; %bb.9:
	v_lshlrev_b32_e32 v1, 2, v0
	s_lshl_b64 s[14:15], s[8:9], 2
	s_add_u32 s5, s12, s14
	s_addc_u32 s6, s13, s15
	v_add_co_u32 v1, s5, s5, v1
	v_add_co_ci_u32_e64 v2, null, s6, 0, s5
	flat_load_dword v5, v[1:2]
.LBB357_10:
	s_or_b32 exec_lo, exec_lo, s4
	s_cmp_lg_u64 s[10:11], 0
	v_mov_b32_e32 v1, 0
	v_mov_b32_e32 v2, 0
	s_cselect_b32 s4, -1, 0
	s_xor_b32 s0, s0, -1
	s_and_b32 s0, s0, s4
	s_and_saveexec_b32 s4, s0
	s_cbranch_execz .LBB357_14
; %bb.11:
	v_mov_b32_e32 v1, 0
	v_mov_b32_e32 v3, s10
	;; [unrolled: 1-line block ×4, first 2 shown]
	s_mov_b32 s5, 0
	s_inst_prefetch 0x1
	.p2align	6
.LBB357_12:                             ; =>This Inner Loop Header: Depth=1
	v_sub_co_u32 v6, s0, v3, v1
	v_sub_co_ci_u32_e64 v7, null, v4, v2, s0
	v_lshrrev_b64 v[8:9], 1, v[6:7]
	v_lshrrev_b64 v[6:7], 6, v[6:7]
	v_add_co_u32 v8, s0, v8, v1
	v_add_co_ci_u32_e64 v9, null, v9, v2, s0
	v_add_co_u32 v6, s0, v8, v6
	v_add_co_ci_u32_e64 v7, null, v9, v7, s0
	v_lshlrev_b64 v[8:9], 2, v[6:7]
	v_add_co_u32 v8, s0, s2, v8
	v_add_co_ci_u32_e64 v9, null, s3, v9, s0
	global_load_dword v8, v[8:9], off
	v_add_co_u32 v9, s0, v6, 1
	v_add_co_ci_u32_e64 v10, null, 0, v7, s0
	s_waitcnt vmcnt(0) lgkmcnt(0)
	v_cmp_lt_f32_e64 s0, v8, v5
	v_cndmask_b32_e64 v4, v7, v4, s0
	v_cndmask_b32_e64 v3, v6, v3, s0
	;; [unrolled: 1-line block ×4, first 2 shown]
	v_cmp_ge_u64_e64 s0, v[1:2], v[3:4]
	s_or_b32 s5, s0, s5
	s_andn2_b32 exec_lo, exec_lo, s5
	s_cbranch_execnz .LBB357_12
; %bb.13:
	s_inst_prefetch 0x2
	s_or_b32 exec_lo, exec_lo, s5
.LBB357_14:
	s_or_b32 exec_lo, exec_lo, s4
	s_and_saveexec_b32 s0, vcc_lo
	s_cbranch_execz .LBB357_16
; %bb.15:
	v_lshlrev_b32_e32 v0, 3, v0
	s_lshl_b64 s[2:3], s[8:9], 3
	s_add_u32 s0, s7, s2
	s_addc_u32 s1, s1, s3
	v_add_co_u32 v3, s0, s0, v0
	v_add_co_ci_u32_e64 v4, null, s1, 0, s0
	flat_store_dwordx2 v[3:4], v[1:2]
.LBB357_16:
	s_endpgm
	.section	.rodata,"a",@progbits
	.p2align	6, 0x0
	.amdhsa_kernel _ZN7rocprim17ROCPRIM_400000_NS6detail17trampoline_kernelINS0_14default_configENS1_27lower_bound_config_selectorIflEEZNS1_14transform_implILb0ES3_S5_N6thrust23THRUST_200600_302600_NS6detail15normal_iteratorINS8_7pointerIfNS8_11hip_rocprim5par_tENS8_11use_defaultESE_EEEENSA_INSB_IlSD_SE_SE_EEEEZNS1_13binary_searchIS3_S5_NSA_INS8_10device_ptrIfEEEESG_SI_NS1_21lower_bound_search_opENS9_16wrapped_functionINS8_6system6detail7generic6detail18binary_search_lessEbEEEE10hipError_tPvRmT1_T2_T3_mmT4_T5_P12ihipStream_tbEUlRKfE_EESV_SZ_S10_mS11_S14_bEUlT_E_NS1_11comp_targetILNS1_3genE8ELNS1_11target_archE1030ELNS1_3gpuE2ELNS1_3repE0EEENS1_30default_config_static_selectorELNS0_4arch9wavefront6targetE0EEEvSY_
		.amdhsa_group_segment_fixed_size 0
		.amdhsa_private_segment_fixed_size 0
		.amdhsa_kernarg_size 312
		.amdhsa_user_sgpr_count 6
		.amdhsa_user_sgpr_private_segment_buffer 1
		.amdhsa_user_sgpr_dispatch_ptr 0
		.amdhsa_user_sgpr_queue_ptr 0
		.amdhsa_user_sgpr_kernarg_segment_ptr 1
		.amdhsa_user_sgpr_dispatch_id 0
		.amdhsa_user_sgpr_flat_scratch_init 0
		.amdhsa_user_sgpr_private_segment_size 0
		.amdhsa_wavefront_size32 1
		.amdhsa_uses_dynamic_stack 0
		.amdhsa_system_sgpr_private_segment_wavefront_offset 0
		.amdhsa_system_sgpr_workgroup_id_x 1
		.amdhsa_system_sgpr_workgroup_id_y 0
		.amdhsa_system_sgpr_workgroup_id_z 0
		.amdhsa_system_sgpr_workgroup_info 0
		.amdhsa_system_vgpr_workitem_id 0
		.amdhsa_next_free_vgpr 11
		.amdhsa_next_free_sgpr 17
		.amdhsa_reserve_vcc 1
		.amdhsa_reserve_flat_scratch 0
		.amdhsa_float_round_mode_32 0
		.amdhsa_float_round_mode_16_64 0
		.amdhsa_float_denorm_mode_32 3
		.amdhsa_float_denorm_mode_16_64 3
		.amdhsa_dx10_clamp 1
		.amdhsa_ieee_mode 1
		.amdhsa_fp16_overflow 0
		.amdhsa_workgroup_processor_mode 1
		.amdhsa_memory_ordered 1
		.amdhsa_forward_progress 1
		.amdhsa_shared_vgpr_count 0
		.amdhsa_exception_fp_ieee_invalid_op 0
		.amdhsa_exception_fp_denorm_src 0
		.amdhsa_exception_fp_ieee_div_zero 0
		.amdhsa_exception_fp_ieee_overflow 0
		.amdhsa_exception_fp_ieee_underflow 0
		.amdhsa_exception_fp_ieee_inexact 0
		.amdhsa_exception_int_div_zero 0
	.end_amdhsa_kernel
	.section	.text._ZN7rocprim17ROCPRIM_400000_NS6detail17trampoline_kernelINS0_14default_configENS1_27lower_bound_config_selectorIflEEZNS1_14transform_implILb0ES3_S5_N6thrust23THRUST_200600_302600_NS6detail15normal_iteratorINS8_7pointerIfNS8_11hip_rocprim5par_tENS8_11use_defaultESE_EEEENSA_INSB_IlSD_SE_SE_EEEEZNS1_13binary_searchIS3_S5_NSA_INS8_10device_ptrIfEEEESG_SI_NS1_21lower_bound_search_opENS9_16wrapped_functionINS8_6system6detail7generic6detail18binary_search_lessEbEEEE10hipError_tPvRmT1_T2_T3_mmT4_T5_P12ihipStream_tbEUlRKfE_EESV_SZ_S10_mS11_S14_bEUlT_E_NS1_11comp_targetILNS1_3genE8ELNS1_11target_archE1030ELNS1_3gpuE2ELNS1_3repE0EEENS1_30default_config_static_selectorELNS0_4arch9wavefront6targetE0EEEvSY_,"axG",@progbits,_ZN7rocprim17ROCPRIM_400000_NS6detail17trampoline_kernelINS0_14default_configENS1_27lower_bound_config_selectorIflEEZNS1_14transform_implILb0ES3_S5_N6thrust23THRUST_200600_302600_NS6detail15normal_iteratorINS8_7pointerIfNS8_11hip_rocprim5par_tENS8_11use_defaultESE_EEEENSA_INSB_IlSD_SE_SE_EEEEZNS1_13binary_searchIS3_S5_NSA_INS8_10device_ptrIfEEEESG_SI_NS1_21lower_bound_search_opENS9_16wrapped_functionINS8_6system6detail7generic6detail18binary_search_lessEbEEEE10hipError_tPvRmT1_T2_T3_mmT4_T5_P12ihipStream_tbEUlRKfE_EESV_SZ_S10_mS11_S14_bEUlT_E_NS1_11comp_targetILNS1_3genE8ELNS1_11target_archE1030ELNS1_3gpuE2ELNS1_3repE0EEENS1_30default_config_static_selectorELNS0_4arch9wavefront6targetE0EEEvSY_,comdat
.Lfunc_end357:
	.size	_ZN7rocprim17ROCPRIM_400000_NS6detail17trampoline_kernelINS0_14default_configENS1_27lower_bound_config_selectorIflEEZNS1_14transform_implILb0ES3_S5_N6thrust23THRUST_200600_302600_NS6detail15normal_iteratorINS8_7pointerIfNS8_11hip_rocprim5par_tENS8_11use_defaultESE_EEEENSA_INSB_IlSD_SE_SE_EEEEZNS1_13binary_searchIS3_S5_NSA_INS8_10device_ptrIfEEEESG_SI_NS1_21lower_bound_search_opENS9_16wrapped_functionINS8_6system6detail7generic6detail18binary_search_lessEbEEEE10hipError_tPvRmT1_T2_T3_mmT4_T5_P12ihipStream_tbEUlRKfE_EESV_SZ_S10_mS11_S14_bEUlT_E_NS1_11comp_targetILNS1_3genE8ELNS1_11target_archE1030ELNS1_3gpuE2ELNS1_3repE0EEENS1_30default_config_static_selectorELNS0_4arch9wavefront6targetE0EEEvSY_, .Lfunc_end357-_ZN7rocprim17ROCPRIM_400000_NS6detail17trampoline_kernelINS0_14default_configENS1_27lower_bound_config_selectorIflEEZNS1_14transform_implILb0ES3_S5_N6thrust23THRUST_200600_302600_NS6detail15normal_iteratorINS8_7pointerIfNS8_11hip_rocprim5par_tENS8_11use_defaultESE_EEEENSA_INSB_IlSD_SE_SE_EEEEZNS1_13binary_searchIS3_S5_NSA_INS8_10device_ptrIfEEEESG_SI_NS1_21lower_bound_search_opENS9_16wrapped_functionINS8_6system6detail7generic6detail18binary_search_lessEbEEEE10hipError_tPvRmT1_T2_T3_mmT4_T5_P12ihipStream_tbEUlRKfE_EESV_SZ_S10_mS11_S14_bEUlT_E_NS1_11comp_targetILNS1_3genE8ELNS1_11target_archE1030ELNS1_3gpuE2ELNS1_3repE0EEENS1_30default_config_static_selectorELNS0_4arch9wavefront6targetE0EEEvSY_
                                        ; -- End function
	.set _ZN7rocprim17ROCPRIM_400000_NS6detail17trampoline_kernelINS0_14default_configENS1_27lower_bound_config_selectorIflEEZNS1_14transform_implILb0ES3_S5_N6thrust23THRUST_200600_302600_NS6detail15normal_iteratorINS8_7pointerIfNS8_11hip_rocprim5par_tENS8_11use_defaultESE_EEEENSA_INSB_IlSD_SE_SE_EEEEZNS1_13binary_searchIS3_S5_NSA_INS8_10device_ptrIfEEEESG_SI_NS1_21lower_bound_search_opENS9_16wrapped_functionINS8_6system6detail7generic6detail18binary_search_lessEbEEEE10hipError_tPvRmT1_T2_T3_mmT4_T5_P12ihipStream_tbEUlRKfE_EESV_SZ_S10_mS11_S14_bEUlT_E_NS1_11comp_targetILNS1_3genE8ELNS1_11target_archE1030ELNS1_3gpuE2ELNS1_3repE0EEENS1_30default_config_static_selectorELNS0_4arch9wavefront6targetE0EEEvSY_.num_vgpr, 11
	.set _ZN7rocprim17ROCPRIM_400000_NS6detail17trampoline_kernelINS0_14default_configENS1_27lower_bound_config_selectorIflEEZNS1_14transform_implILb0ES3_S5_N6thrust23THRUST_200600_302600_NS6detail15normal_iteratorINS8_7pointerIfNS8_11hip_rocprim5par_tENS8_11use_defaultESE_EEEENSA_INSB_IlSD_SE_SE_EEEEZNS1_13binary_searchIS3_S5_NSA_INS8_10device_ptrIfEEEESG_SI_NS1_21lower_bound_search_opENS9_16wrapped_functionINS8_6system6detail7generic6detail18binary_search_lessEbEEEE10hipError_tPvRmT1_T2_T3_mmT4_T5_P12ihipStream_tbEUlRKfE_EESV_SZ_S10_mS11_S14_bEUlT_E_NS1_11comp_targetILNS1_3genE8ELNS1_11target_archE1030ELNS1_3gpuE2ELNS1_3repE0EEENS1_30default_config_static_selectorELNS0_4arch9wavefront6targetE0EEEvSY_.num_agpr, 0
	.set _ZN7rocprim17ROCPRIM_400000_NS6detail17trampoline_kernelINS0_14default_configENS1_27lower_bound_config_selectorIflEEZNS1_14transform_implILb0ES3_S5_N6thrust23THRUST_200600_302600_NS6detail15normal_iteratorINS8_7pointerIfNS8_11hip_rocprim5par_tENS8_11use_defaultESE_EEEENSA_INSB_IlSD_SE_SE_EEEEZNS1_13binary_searchIS3_S5_NSA_INS8_10device_ptrIfEEEESG_SI_NS1_21lower_bound_search_opENS9_16wrapped_functionINS8_6system6detail7generic6detail18binary_search_lessEbEEEE10hipError_tPvRmT1_T2_T3_mmT4_T5_P12ihipStream_tbEUlRKfE_EESV_SZ_S10_mS11_S14_bEUlT_E_NS1_11comp_targetILNS1_3genE8ELNS1_11target_archE1030ELNS1_3gpuE2ELNS1_3repE0EEENS1_30default_config_static_selectorELNS0_4arch9wavefront6targetE0EEEvSY_.numbered_sgpr, 17
	.set _ZN7rocprim17ROCPRIM_400000_NS6detail17trampoline_kernelINS0_14default_configENS1_27lower_bound_config_selectorIflEEZNS1_14transform_implILb0ES3_S5_N6thrust23THRUST_200600_302600_NS6detail15normal_iteratorINS8_7pointerIfNS8_11hip_rocprim5par_tENS8_11use_defaultESE_EEEENSA_INSB_IlSD_SE_SE_EEEEZNS1_13binary_searchIS3_S5_NSA_INS8_10device_ptrIfEEEESG_SI_NS1_21lower_bound_search_opENS9_16wrapped_functionINS8_6system6detail7generic6detail18binary_search_lessEbEEEE10hipError_tPvRmT1_T2_T3_mmT4_T5_P12ihipStream_tbEUlRKfE_EESV_SZ_S10_mS11_S14_bEUlT_E_NS1_11comp_targetILNS1_3genE8ELNS1_11target_archE1030ELNS1_3gpuE2ELNS1_3repE0EEENS1_30default_config_static_selectorELNS0_4arch9wavefront6targetE0EEEvSY_.num_named_barrier, 0
	.set _ZN7rocprim17ROCPRIM_400000_NS6detail17trampoline_kernelINS0_14default_configENS1_27lower_bound_config_selectorIflEEZNS1_14transform_implILb0ES3_S5_N6thrust23THRUST_200600_302600_NS6detail15normal_iteratorINS8_7pointerIfNS8_11hip_rocprim5par_tENS8_11use_defaultESE_EEEENSA_INSB_IlSD_SE_SE_EEEEZNS1_13binary_searchIS3_S5_NSA_INS8_10device_ptrIfEEEESG_SI_NS1_21lower_bound_search_opENS9_16wrapped_functionINS8_6system6detail7generic6detail18binary_search_lessEbEEEE10hipError_tPvRmT1_T2_T3_mmT4_T5_P12ihipStream_tbEUlRKfE_EESV_SZ_S10_mS11_S14_bEUlT_E_NS1_11comp_targetILNS1_3genE8ELNS1_11target_archE1030ELNS1_3gpuE2ELNS1_3repE0EEENS1_30default_config_static_selectorELNS0_4arch9wavefront6targetE0EEEvSY_.private_seg_size, 0
	.set _ZN7rocprim17ROCPRIM_400000_NS6detail17trampoline_kernelINS0_14default_configENS1_27lower_bound_config_selectorIflEEZNS1_14transform_implILb0ES3_S5_N6thrust23THRUST_200600_302600_NS6detail15normal_iteratorINS8_7pointerIfNS8_11hip_rocprim5par_tENS8_11use_defaultESE_EEEENSA_INSB_IlSD_SE_SE_EEEEZNS1_13binary_searchIS3_S5_NSA_INS8_10device_ptrIfEEEESG_SI_NS1_21lower_bound_search_opENS9_16wrapped_functionINS8_6system6detail7generic6detail18binary_search_lessEbEEEE10hipError_tPvRmT1_T2_T3_mmT4_T5_P12ihipStream_tbEUlRKfE_EESV_SZ_S10_mS11_S14_bEUlT_E_NS1_11comp_targetILNS1_3genE8ELNS1_11target_archE1030ELNS1_3gpuE2ELNS1_3repE0EEENS1_30default_config_static_selectorELNS0_4arch9wavefront6targetE0EEEvSY_.uses_vcc, 1
	.set _ZN7rocprim17ROCPRIM_400000_NS6detail17trampoline_kernelINS0_14default_configENS1_27lower_bound_config_selectorIflEEZNS1_14transform_implILb0ES3_S5_N6thrust23THRUST_200600_302600_NS6detail15normal_iteratorINS8_7pointerIfNS8_11hip_rocprim5par_tENS8_11use_defaultESE_EEEENSA_INSB_IlSD_SE_SE_EEEEZNS1_13binary_searchIS3_S5_NSA_INS8_10device_ptrIfEEEESG_SI_NS1_21lower_bound_search_opENS9_16wrapped_functionINS8_6system6detail7generic6detail18binary_search_lessEbEEEE10hipError_tPvRmT1_T2_T3_mmT4_T5_P12ihipStream_tbEUlRKfE_EESV_SZ_S10_mS11_S14_bEUlT_E_NS1_11comp_targetILNS1_3genE8ELNS1_11target_archE1030ELNS1_3gpuE2ELNS1_3repE0EEENS1_30default_config_static_selectorELNS0_4arch9wavefront6targetE0EEEvSY_.uses_flat_scratch, 0
	.set _ZN7rocprim17ROCPRIM_400000_NS6detail17trampoline_kernelINS0_14default_configENS1_27lower_bound_config_selectorIflEEZNS1_14transform_implILb0ES3_S5_N6thrust23THRUST_200600_302600_NS6detail15normal_iteratorINS8_7pointerIfNS8_11hip_rocprim5par_tENS8_11use_defaultESE_EEEENSA_INSB_IlSD_SE_SE_EEEEZNS1_13binary_searchIS3_S5_NSA_INS8_10device_ptrIfEEEESG_SI_NS1_21lower_bound_search_opENS9_16wrapped_functionINS8_6system6detail7generic6detail18binary_search_lessEbEEEE10hipError_tPvRmT1_T2_T3_mmT4_T5_P12ihipStream_tbEUlRKfE_EESV_SZ_S10_mS11_S14_bEUlT_E_NS1_11comp_targetILNS1_3genE8ELNS1_11target_archE1030ELNS1_3gpuE2ELNS1_3repE0EEENS1_30default_config_static_selectorELNS0_4arch9wavefront6targetE0EEEvSY_.has_dyn_sized_stack, 0
	.set _ZN7rocprim17ROCPRIM_400000_NS6detail17trampoline_kernelINS0_14default_configENS1_27lower_bound_config_selectorIflEEZNS1_14transform_implILb0ES3_S5_N6thrust23THRUST_200600_302600_NS6detail15normal_iteratorINS8_7pointerIfNS8_11hip_rocprim5par_tENS8_11use_defaultESE_EEEENSA_INSB_IlSD_SE_SE_EEEEZNS1_13binary_searchIS3_S5_NSA_INS8_10device_ptrIfEEEESG_SI_NS1_21lower_bound_search_opENS9_16wrapped_functionINS8_6system6detail7generic6detail18binary_search_lessEbEEEE10hipError_tPvRmT1_T2_T3_mmT4_T5_P12ihipStream_tbEUlRKfE_EESV_SZ_S10_mS11_S14_bEUlT_E_NS1_11comp_targetILNS1_3genE8ELNS1_11target_archE1030ELNS1_3gpuE2ELNS1_3repE0EEENS1_30default_config_static_selectorELNS0_4arch9wavefront6targetE0EEEvSY_.has_recursion, 0
	.set _ZN7rocprim17ROCPRIM_400000_NS6detail17trampoline_kernelINS0_14default_configENS1_27lower_bound_config_selectorIflEEZNS1_14transform_implILb0ES3_S5_N6thrust23THRUST_200600_302600_NS6detail15normal_iteratorINS8_7pointerIfNS8_11hip_rocprim5par_tENS8_11use_defaultESE_EEEENSA_INSB_IlSD_SE_SE_EEEEZNS1_13binary_searchIS3_S5_NSA_INS8_10device_ptrIfEEEESG_SI_NS1_21lower_bound_search_opENS9_16wrapped_functionINS8_6system6detail7generic6detail18binary_search_lessEbEEEE10hipError_tPvRmT1_T2_T3_mmT4_T5_P12ihipStream_tbEUlRKfE_EESV_SZ_S10_mS11_S14_bEUlT_E_NS1_11comp_targetILNS1_3genE8ELNS1_11target_archE1030ELNS1_3gpuE2ELNS1_3repE0EEENS1_30default_config_static_selectorELNS0_4arch9wavefront6targetE0EEEvSY_.has_indirect_call, 0
	.section	.AMDGPU.csdata,"",@progbits
; Kernel info:
; codeLenInByte = 816
; TotalNumSgprs: 19
; NumVgprs: 11
; ScratchSize: 0
; MemoryBound: 0
; FloatMode: 240
; IeeeMode: 1
; LDSByteSize: 0 bytes/workgroup (compile time only)
; SGPRBlocks: 0
; VGPRBlocks: 1
; NumSGPRsForWavesPerEU: 19
; NumVGPRsForWavesPerEU: 11
; Occupancy: 16
; WaveLimiterHint : 0
; COMPUTE_PGM_RSRC2:SCRATCH_EN: 0
; COMPUTE_PGM_RSRC2:USER_SGPR: 6
; COMPUTE_PGM_RSRC2:TRAP_HANDLER: 0
; COMPUTE_PGM_RSRC2:TGID_X_EN: 1
; COMPUTE_PGM_RSRC2:TGID_Y_EN: 0
; COMPUTE_PGM_RSRC2:TGID_Z_EN: 0
; COMPUTE_PGM_RSRC2:TIDIG_COMP_CNT: 0
	.section	.text._ZN7rocprim17ROCPRIM_400000_NS6detail17trampoline_kernelINS0_14default_configENS1_27lower_bound_config_selectorIylEEZNS1_14transform_implILb0ES3_S5_N6thrust23THRUST_200600_302600_NS6detail15normal_iteratorINS8_7pointerIyNS8_11hip_rocprim5par_tENS8_11use_defaultESE_EEEENSA_INSB_IlSD_SE_SE_EEEEZNS1_13binary_searchIS3_S5_NSA_INS8_10device_ptrIyEEEESG_SI_NS1_21lower_bound_search_opENS9_16wrapped_functionINS8_6system6detail7generic6detail18binary_search_lessEbEEEE10hipError_tPvRmT1_T2_T3_mmT4_T5_P12ihipStream_tbEUlRKyE_EESV_SZ_S10_mS11_S14_bEUlT_E_NS1_11comp_targetILNS1_3genE0ELNS1_11target_archE4294967295ELNS1_3gpuE0ELNS1_3repE0EEENS1_30default_config_static_selectorELNS0_4arch9wavefront6targetE0EEEvSY_,"axG",@progbits,_ZN7rocprim17ROCPRIM_400000_NS6detail17trampoline_kernelINS0_14default_configENS1_27lower_bound_config_selectorIylEEZNS1_14transform_implILb0ES3_S5_N6thrust23THRUST_200600_302600_NS6detail15normal_iteratorINS8_7pointerIyNS8_11hip_rocprim5par_tENS8_11use_defaultESE_EEEENSA_INSB_IlSD_SE_SE_EEEEZNS1_13binary_searchIS3_S5_NSA_INS8_10device_ptrIyEEEESG_SI_NS1_21lower_bound_search_opENS9_16wrapped_functionINS8_6system6detail7generic6detail18binary_search_lessEbEEEE10hipError_tPvRmT1_T2_T3_mmT4_T5_P12ihipStream_tbEUlRKyE_EESV_SZ_S10_mS11_S14_bEUlT_E_NS1_11comp_targetILNS1_3genE0ELNS1_11target_archE4294967295ELNS1_3gpuE0ELNS1_3repE0EEENS1_30default_config_static_selectorELNS0_4arch9wavefront6targetE0EEEvSY_,comdat
	.protected	_ZN7rocprim17ROCPRIM_400000_NS6detail17trampoline_kernelINS0_14default_configENS1_27lower_bound_config_selectorIylEEZNS1_14transform_implILb0ES3_S5_N6thrust23THRUST_200600_302600_NS6detail15normal_iteratorINS8_7pointerIyNS8_11hip_rocprim5par_tENS8_11use_defaultESE_EEEENSA_INSB_IlSD_SE_SE_EEEEZNS1_13binary_searchIS3_S5_NSA_INS8_10device_ptrIyEEEESG_SI_NS1_21lower_bound_search_opENS9_16wrapped_functionINS8_6system6detail7generic6detail18binary_search_lessEbEEEE10hipError_tPvRmT1_T2_T3_mmT4_T5_P12ihipStream_tbEUlRKyE_EESV_SZ_S10_mS11_S14_bEUlT_E_NS1_11comp_targetILNS1_3genE0ELNS1_11target_archE4294967295ELNS1_3gpuE0ELNS1_3repE0EEENS1_30default_config_static_selectorELNS0_4arch9wavefront6targetE0EEEvSY_ ; -- Begin function _ZN7rocprim17ROCPRIM_400000_NS6detail17trampoline_kernelINS0_14default_configENS1_27lower_bound_config_selectorIylEEZNS1_14transform_implILb0ES3_S5_N6thrust23THRUST_200600_302600_NS6detail15normal_iteratorINS8_7pointerIyNS8_11hip_rocprim5par_tENS8_11use_defaultESE_EEEENSA_INSB_IlSD_SE_SE_EEEEZNS1_13binary_searchIS3_S5_NSA_INS8_10device_ptrIyEEEESG_SI_NS1_21lower_bound_search_opENS9_16wrapped_functionINS8_6system6detail7generic6detail18binary_search_lessEbEEEE10hipError_tPvRmT1_T2_T3_mmT4_T5_P12ihipStream_tbEUlRKyE_EESV_SZ_S10_mS11_S14_bEUlT_E_NS1_11comp_targetILNS1_3genE0ELNS1_11target_archE4294967295ELNS1_3gpuE0ELNS1_3repE0EEENS1_30default_config_static_selectorELNS0_4arch9wavefront6targetE0EEEvSY_
	.globl	_ZN7rocprim17ROCPRIM_400000_NS6detail17trampoline_kernelINS0_14default_configENS1_27lower_bound_config_selectorIylEEZNS1_14transform_implILb0ES3_S5_N6thrust23THRUST_200600_302600_NS6detail15normal_iteratorINS8_7pointerIyNS8_11hip_rocprim5par_tENS8_11use_defaultESE_EEEENSA_INSB_IlSD_SE_SE_EEEEZNS1_13binary_searchIS3_S5_NSA_INS8_10device_ptrIyEEEESG_SI_NS1_21lower_bound_search_opENS9_16wrapped_functionINS8_6system6detail7generic6detail18binary_search_lessEbEEEE10hipError_tPvRmT1_T2_T3_mmT4_T5_P12ihipStream_tbEUlRKyE_EESV_SZ_S10_mS11_S14_bEUlT_E_NS1_11comp_targetILNS1_3genE0ELNS1_11target_archE4294967295ELNS1_3gpuE0ELNS1_3repE0EEENS1_30default_config_static_selectorELNS0_4arch9wavefront6targetE0EEEvSY_
	.p2align	8
	.type	_ZN7rocprim17ROCPRIM_400000_NS6detail17trampoline_kernelINS0_14default_configENS1_27lower_bound_config_selectorIylEEZNS1_14transform_implILb0ES3_S5_N6thrust23THRUST_200600_302600_NS6detail15normal_iteratorINS8_7pointerIyNS8_11hip_rocprim5par_tENS8_11use_defaultESE_EEEENSA_INSB_IlSD_SE_SE_EEEEZNS1_13binary_searchIS3_S5_NSA_INS8_10device_ptrIyEEEESG_SI_NS1_21lower_bound_search_opENS9_16wrapped_functionINS8_6system6detail7generic6detail18binary_search_lessEbEEEE10hipError_tPvRmT1_T2_T3_mmT4_T5_P12ihipStream_tbEUlRKyE_EESV_SZ_S10_mS11_S14_bEUlT_E_NS1_11comp_targetILNS1_3genE0ELNS1_11target_archE4294967295ELNS1_3gpuE0ELNS1_3repE0EEENS1_30default_config_static_selectorELNS0_4arch9wavefront6targetE0EEEvSY_,@function
_ZN7rocprim17ROCPRIM_400000_NS6detail17trampoline_kernelINS0_14default_configENS1_27lower_bound_config_selectorIylEEZNS1_14transform_implILb0ES3_S5_N6thrust23THRUST_200600_302600_NS6detail15normal_iteratorINS8_7pointerIyNS8_11hip_rocprim5par_tENS8_11use_defaultESE_EEEENSA_INSB_IlSD_SE_SE_EEEEZNS1_13binary_searchIS3_S5_NSA_INS8_10device_ptrIyEEEESG_SI_NS1_21lower_bound_search_opENS9_16wrapped_functionINS8_6system6detail7generic6detail18binary_search_lessEbEEEE10hipError_tPvRmT1_T2_T3_mmT4_T5_P12ihipStream_tbEUlRKyE_EESV_SZ_S10_mS11_S14_bEUlT_E_NS1_11comp_targetILNS1_3genE0ELNS1_11target_archE4294967295ELNS1_3gpuE0ELNS1_3repE0EEENS1_30default_config_static_selectorELNS0_4arch9wavefront6targetE0EEEvSY_: ; @_ZN7rocprim17ROCPRIM_400000_NS6detail17trampoline_kernelINS0_14default_configENS1_27lower_bound_config_selectorIylEEZNS1_14transform_implILb0ES3_S5_N6thrust23THRUST_200600_302600_NS6detail15normal_iteratorINS8_7pointerIyNS8_11hip_rocprim5par_tENS8_11use_defaultESE_EEEENSA_INSB_IlSD_SE_SE_EEEEZNS1_13binary_searchIS3_S5_NSA_INS8_10device_ptrIyEEEESG_SI_NS1_21lower_bound_search_opENS9_16wrapped_functionINS8_6system6detail7generic6detail18binary_search_lessEbEEEE10hipError_tPvRmT1_T2_T3_mmT4_T5_P12ihipStream_tbEUlRKyE_EESV_SZ_S10_mS11_S14_bEUlT_E_NS1_11comp_targetILNS1_3genE0ELNS1_11target_archE4294967295ELNS1_3gpuE0ELNS1_3repE0EEENS1_30default_config_static_selectorELNS0_4arch9wavefront6targetE0EEEvSY_
; %bb.0:
	.section	.rodata,"a",@progbits
	.p2align	6, 0x0
	.amdhsa_kernel _ZN7rocprim17ROCPRIM_400000_NS6detail17trampoline_kernelINS0_14default_configENS1_27lower_bound_config_selectorIylEEZNS1_14transform_implILb0ES3_S5_N6thrust23THRUST_200600_302600_NS6detail15normal_iteratorINS8_7pointerIyNS8_11hip_rocprim5par_tENS8_11use_defaultESE_EEEENSA_INSB_IlSD_SE_SE_EEEEZNS1_13binary_searchIS3_S5_NSA_INS8_10device_ptrIyEEEESG_SI_NS1_21lower_bound_search_opENS9_16wrapped_functionINS8_6system6detail7generic6detail18binary_search_lessEbEEEE10hipError_tPvRmT1_T2_T3_mmT4_T5_P12ihipStream_tbEUlRKyE_EESV_SZ_S10_mS11_S14_bEUlT_E_NS1_11comp_targetILNS1_3genE0ELNS1_11target_archE4294967295ELNS1_3gpuE0ELNS1_3repE0EEENS1_30default_config_static_selectorELNS0_4arch9wavefront6targetE0EEEvSY_
		.amdhsa_group_segment_fixed_size 0
		.amdhsa_private_segment_fixed_size 0
		.amdhsa_kernarg_size 56
		.amdhsa_user_sgpr_count 6
		.amdhsa_user_sgpr_private_segment_buffer 1
		.amdhsa_user_sgpr_dispatch_ptr 0
		.amdhsa_user_sgpr_queue_ptr 0
		.amdhsa_user_sgpr_kernarg_segment_ptr 1
		.amdhsa_user_sgpr_dispatch_id 0
		.amdhsa_user_sgpr_flat_scratch_init 0
		.amdhsa_user_sgpr_private_segment_size 0
		.amdhsa_wavefront_size32 1
		.amdhsa_uses_dynamic_stack 0
		.amdhsa_system_sgpr_private_segment_wavefront_offset 0
		.amdhsa_system_sgpr_workgroup_id_x 1
		.amdhsa_system_sgpr_workgroup_id_y 0
		.amdhsa_system_sgpr_workgroup_id_z 0
		.amdhsa_system_sgpr_workgroup_info 0
		.amdhsa_system_vgpr_workitem_id 0
		.amdhsa_next_free_vgpr 1
		.amdhsa_next_free_sgpr 1
		.amdhsa_reserve_vcc 0
		.amdhsa_reserve_flat_scratch 0
		.amdhsa_float_round_mode_32 0
		.amdhsa_float_round_mode_16_64 0
		.amdhsa_float_denorm_mode_32 3
		.amdhsa_float_denorm_mode_16_64 3
		.amdhsa_dx10_clamp 1
		.amdhsa_ieee_mode 1
		.amdhsa_fp16_overflow 0
		.amdhsa_workgroup_processor_mode 1
		.amdhsa_memory_ordered 1
		.amdhsa_forward_progress 1
		.amdhsa_shared_vgpr_count 0
		.amdhsa_exception_fp_ieee_invalid_op 0
		.amdhsa_exception_fp_denorm_src 0
		.amdhsa_exception_fp_ieee_div_zero 0
		.amdhsa_exception_fp_ieee_overflow 0
		.amdhsa_exception_fp_ieee_underflow 0
		.amdhsa_exception_fp_ieee_inexact 0
		.amdhsa_exception_int_div_zero 0
	.end_amdhsa_kernel
	.section	.text._ZN7rocprim17ROCPRIM_400000_NS6detail17trampoline_kernelINS0_14default_configENS1_27lower_bound_config_selectorIylEEZNS1_14transform_implILb0ES3_S5_N6thrust23THRUST_200600_302600_NS6detail15normal_iteratorINS8_7pointerIyNS8_11hip_rocprim5par_tENS8_11use_defaultESE_EEEENSA_INSB_IlSD_SE_SE_EEEEZNS1_13binary_searchIS3_S5_NSA_INS8_10device_ptrIyEEEESG_SI_NS1_21lower_bound_search_opENS9_16wrapped_functionINS8_6system6detail7generic6detail18binary_search_lessEbEEEE10hipError_tPvRmT1_T2_T3_mmT4_T5_P12ihipStream_tbEUlRKyE_EESV_SZ_S10_mS11_S14_bEUlT_E_NS1_11comp_targetILNS1_3genE0ELNS1_11target_archE4294967295ELNS1_3gpuE0ELNS1_3repE0EEENS1_30default_config_static_selectorELNS0_4arch9wavefront6targetE0EEEvSY_,"axG",@progbits,_ZN7rocprim17ROCPRIM_400000_NS6detail17trampoline_kernelINS0_14default_configENS1_27lower_bound_config_selectorIylEEZNS1_14transform_implILb0ES3_S5_N6thrust23THRUST_200600_302600_NS6detail15normal_iteratorINS8_7pointerIyNS8_11hip_rocprim5par_tENS8_11use_defaultESE_EEEENSA_INSB_IlSD_SE_SE_EEEEZNS1_13binary_searchIS3_S5_NSA_INS8_10device_ptrIyEEEESG_SI_NS1_21lower_bound_search_opENS9_16wrapped_functionINS8_6system6detail7generic6detail18binary_search_lessEbEEEE10hipError_tPvRmT1_T2_T3_mmT4_T5_P12ihipStream_tbEUlRKyE_EESV_SZ_S10_mS11_S14_bEUlT_E_NS1_11comp_targetILNS1_3genE0ELNS1_11target_archE4294967295ELNS1_3gpuE0ELNS1_3repE0EEENS1_30default_config_static_selectorELNS0_4arch9wavefront6targetE0EEEvSY_,comdat
.Lfunc_end358:
	.size	_ZN7rocprim17ROCPRIM_400000_NS6detail17trampoline_kernelINS0_14default_configENS1_27lower_bound_config_selectorIylEEZNS1_14transform_implILb0ES3_S5_N6thrust23THRUST_200600_302600_NS6detail15normal_iteratorINS8_7pointerIyNS8_11hip_rocprim5par_tENS8_11use_defaultESE_EEEENSA_INSB_IlSD_SE_SE_EEEEZNS1_13binary_searchIS3_S5_NSA_INS8_10device_ptrIyEEEESG_SI_NS1_21lower_bound_search_opENS9_16wrapped_functionINS8_6system6detail7generic6detail18binary_search_lessEbEEEE10hipError_tPvRmT1_T2_T3_mmT4_T5_P12ihipStream_tbEUlRKyE_EESV_SZ_S10_mS11_S14_bEUlT_E_NS1_11comp_targetILNS1_3genE0ELNS1_11target_archE4294967295ELNS1_3gpuE0ELNS1_3repE0EEENS1_30default_config_static_selectorELNS0_4arch9wavefront6targetE0EEEvSY_, .Lfunc_end358-_ZN7rocprim17ROCPRIM_400000_NS6detail17trampoline_kernelINS0_14default_configENS1_27lower_bound_config_selectorIylEEZNS1_14transform_implILb0ES3_S5_N6thrust23THRUST_200600_302600_NS6detail15normal_iteratorINS8_7pointerIyNS8_11hip_rocprim5par_tENS8_11use_defaultESE_EEEENSA_INSB_IlSD_SE_SE_EEEEZNS1_13binary_searchIS3_S5_NSA_INS8_10device_ptrIyEEEESG_SI_NS1_21lower_bound_search_opENS9_16wrapped_functionINS8_6system6detail7generic6detail18binary_search_lessEbEEEE10hipError_tPvRmT1_T2_T3_mmT4_T5_P12ihipStream_tbEUlRKyE_EESV_SZ_S10_mS11_S14_bEUlT_E_NS1_11comp_targetILNS1_3genE0ELNS1_11target_archE4294967295ELNS1_3gpuE0ELNS1_3repE0EEENS1_30default_config_static_selectorELNS0_4arch9wavefront6targetE0EEEvSY_
                                        ; -- End function
	.set _ZN7rocprim17ROCPRIM_400000_NS6detail17trampoline_kernelINS0_14default_configENS1_27lower_bound_config_selectorIylEEZNS1_14transform_implILb0ES3_S5_N6thrust23THRUST_200600_302600_NS6detail15normal_iteratorINS8_7pointerIyNS8_11hip_rocprim5par_tENS8_11use_defaultESE_EEEENSA_INSB_IlSD_SE_SE_EEEEZNS1_13binary_searchIS3_S5_NSA_INS8_10device_ptrIyEEEESG_SI_NS1_21lower_bound_search_opENS9_16wrapped_functionINS8_6system6detail7generic6detail18binary_search_lessEbEEEE10hipError_tPvRmT1_T2_T3_mmT4_T5_P12ihipStream_tbEUlRKyE_EESV_SZ_S10_mS11_S14_bEUlT_E_NS1_11comp_targetILNS1_3genE0ELNS1_11target_archE4294967295ELNS1_3gpuE0ELNS1_3repE0EEENS1_30default_config_static_selectorELNS0_4arch9wavefront6targetE0EEEvSY_.num_vgpr, 0
	.set _ZN7rocprim17ROCPRIM_400000_NS6detail17trampoline_kernelINS0_14default_configENS1_27lower_bound_config_selectorIylEEZNS1_14transform_implILb0ES3_S5_N6thrust23THRUST_200600_302600_NS6detail15normal_iteratorINS8_7pointerIyNS8_11hip_rocprim5par_tENS8_11use_defaultESE_EEEENSA_INSB_IlSD_SE_SE_EEEEZNS1_13binary_searchIS3_S5_NSA_INS8_10device_ptrIyEEEESG_SI_NS1_21lower_bound_search_opENS9_16wrapped_functionINS8_6system6detail7generic6detail18binary_search_lessEbEEEE10hipError_tPvRmT1_T2_T3_mmT4_T5_P12ihipStream_tbEUlRKyE_EESV_SZ_S10_mS11_S14_bEUlT_E_NS1_11comp_targetILNS1_3genE0ELNS1_11target_archE4294967295ELNS1_3gpuE0ELNS1_3repE0EEENS1_30default_config_static_selectorELNS0_4arch9wavefront6targetE0EEEvSY_.num_agpr, 0
	.set _ZN7rocprim17ROCPRIM_400000_NS6detail17trampoline_kernelINS0_14default_configENS1_27lower_bound_config_selectorIylEEZNS1_14transform_implILb0ES3_S5_N6thrust23THRUST_200600_302600_NS6detail15normal_iteratorINS8_7pointerIyNS8_11hip_rocprim5par_tENS8_11use_defaultESE_EEEENSA_INSB_IlSD_SE_SE_EEEEZNS1_13binary_searchIS3_S5_NSA_INS8_10device_ptrIyEEEESG_SI_NS1_21lower_bound_search_opENS9_16wrapped_functionINS8_6system6detail7generic6detail18binary_search_lessEbEEEE10hipError_tPvRmT1_T2_T3_mmT4_T5_P12ihipStream_tbEUlRKyE_EESV_SZ_S10_mS11_S14_bEUlT_E_NS1_11comp_targetILNS1_3genE0ELNS1_11target_archE4294967295ELNS1_3gpuE0ELNS1_3repE0EEENS1_30default_config_static_selectorELNS0_4arch9wavefront6targetE0EEEvSY_.numbered_sgpr, 0
	.set _ZN7rocprim17ROCPRIM_400000_NS6detail17trampoline_kernelINS0_14default_configENS1_27lower_bound_config_selectorIylEEZNS1_14transform_implILb0ES3_S5_N6thrust23THRUST_200600_302600_NS6detail15normal_iteratorINS8_7pointerIyNS8_11hip_rocprim5par_tENS8_11use_defaultESE_EEEENSA_INSB_IlSD_SE_SE_EEEEZNS1_13binary_searchIS3_S5_NSA_INS8_10device_ptrIyEEEESG_SI_NS1_21lower_bound_search_opENS9_16wrapped_functionINS8_6system6detail7generic6detail18binary_search_lessEbEEEE10hipError_tPvRmT1_T2_T3_mmT4_T5_P12ihipStream_tbEUlRKyE_EESV_SZ_S10_mS11_S14_bEUlT_E_NS1_11comp_targetILNS1_3genE0ELNS1_11target_archE4294967295ELNS1_3gpuE0ELNS1_3repE0EEENS1_30default_config_static_selectorELNS0_4arch9wavefront6targetE0EEEvSY_.num_named_barrier, 0
	.set _ZN7rocprim17ROCPRIM_400000_NS6detail17trampoline_kernelINS0_14default_configENS1_27lower_bound_config_selectorIylEEZNS1_14transform_implILb0ES3_S5_N6thrust23THRUST_200600_302600_NS6detail15normal_iteratorINS8_7pointerIyNS8_11hip_rocprim5par_tENS8_11use_defaultESE_EEEENSA_INSB_IlSD_SE_SE_EEEEZNS1_13binary_searchIS3_S5_NSA_INS8_10device_ptrIyEEEESG_SI_NS1_21lower_bound_search_opENS9_16wrapped_functionINS8_6system6detail7generic6detail18binary_search_lessEbEEEE10hipError_tPvRmT1_T2_T3_mmT4_T5_P12ihipStream_tbEUlRKyE_EESV_SZ_S10_mS11_S14_bEUlT_E_NS1_11comp_targetILNS1_3genE0ELNS1_11target_archE4294967295ELNS1_3gpuE0ELNS1_3repE0EEENS1_30default_config_static_selectorELNS0_4arch9wavefront6targetE0EEEvSY_.private_seg_size, 0
	.set _ZN7rocprim17ROCPRIM_400000_NS6detail17trampoline_kernelINS0_14default_configENS1_27lower_bound_config_selectorIylEEZNS1_14transform_implILb0ES3_S5_N6thrust23THRUST_200600_302600_NS6detail15normal_iteratorINS8_7pointerIyNS8_11hip_rocprim5par_tENS8_11use_defaultESE_EEEENSA_INSB_IlSD_SE_SE_EEEEZNS1_13binary_searchIS3_S5_NSA_INS8_10device_ptrIyEEEESG_SI_NS1_21lower_bound_search_opENS9_16wrapped_functionINS8_6system6detail7generic6detail18binary_search_lessEbEEEE10hipError_tPvRmT1_T2_T3_mmT4_T5_P12ihipStream_tbEUlRKyE_EESV_SZ_S10_mS11_S14_bEUlT_E_NS1_11comp_targetILNS1_3genE0ELNS1_11target_archE4294967295ELNS1_3gpuE0ELNS1_3repE0EEENS1_30default_config_static_selectorELNS0_4arch9wavefront6targetE0EEEvSY_.uses_vcc, 0
	.set _ZN7rocprim17ROCPRIM_400000_NS6detail17trampoline_kernelINS0_14default_configENS1_27lower_bound_config_selectorIylEEZNS1_14transform_implILb0ES3_S5_N6thrust23THRUST_200600_302600_NS6detail15normal_iteratorINS8_7pointerIyNS8_11hip_rocprim5par_tENS8_11use_defaultESE_EEEENSA_INSB_IlSD_SE_SE_EEEEZNS1_13binary_searchIS3_S5_NSA_INS8_10device_ptrIyEEEESG_SI_NS1_21lower_bound_search_opENS9_16wrapped_functionINS8_6system6detail7generic6detail18binary_search_lessEbEEEE10hipError_tPvRmT1_T2_T3_mmT4_T5_P12ihipStream_tbEUlRKyE_EESV_SZ_S10_mS11_S14_bEUlT_E_NS1_11comp_targetILNS1_3genE0ELNS1_11target_archE4294967295ELNS1_3gpuE0ELNS1_3repE0EEENS1_30default_config_static_selectorELNS0_4arch9wavefront6targetE0EEEvSY_.uses_flat_scratch, 0
	.set _ZN7rocprim17ROCPRIM_400000_NS6detail17trampoline_kernelINS0_14default_configENS1_27lower_bound_config_selectorIylEEZNS1_14transform_implILb0ES3_S5_N6thrust23THRUST_200600_302600_NS6detail15normal_iteratorINS8_7pointerIyNS8_11hip_rocprim5par_tENS8_11use_defaultESE_EEEENSA_INSB_IlSD_SE_SE_EEEEZNS1_13binary_searchIS3_S5_NSA_INS8_10device_ptrIyEEEESG_SI_NS1_21lower_bound_search_opENS9_16wrapped_functionINS8_6system6detail7generic6detail18binary_search_lessEbEEEE10hipError_tPvRmT1_T2_T3_mmT4_T5_P12ihipStream_tbEUlRKyE_EESV_SZ_S10_mS11_S14_bEUlT_E_NS1_11comp_targetILNS1_3genE0ELNS1_11target_archE4294967295ELNS1_3gpuE0ELNS1_3repE0EEENS1_30default_config_static_selectorELNS0_4arch9wavefront6targetE0EEEvSY_.has_dyn_sized_stack, 0
	.set _ZN7rocprim17ROCPRIM_400000_NS6detail17trampoline_kernelINS0_14default_configENS1_27lower_bound_config_selectorIylEEZNS1_14transform_implILb0ES3_S5_N6thrust23THRUST_200600_302600_NS6detail15normal_iteratorINS8_7pointerIyNS8_11hip_rocprim5par_tENS8_11use_defaultESE_EEEENSA_INSB_IlSD_SE_SE_EEEEZNS1_13binary_searchIS3_S5_NSA_INS8_10device_ptrIyEEEESG_SI_NS1_21lower_bound_search_opENS9_16wrapped_functionINS8_6system6detail7generic6detail18binary_search_lessEbEEEE10hipError_tPvRmT1_T2_T3_mmT4_T5_P12ihipStream_tbEUlRKyE_EESV_SZ_S10_mS11_S14_bEUlT_E_NS1_11comp_targetILNS1_3genE0ELNS1_11target_archE4294967295ELNS1_3gpuE0ELNS1_3repE0EEENS1_30default_config_static_selectorELNS0_4arch9wavefront6targetE0EEEvSY_.has_recursion, 0
	.set _ZN7rocprim17ROCPRIM_400000_NS6detail17trampoline_kernelINS0_14default_configENS1_27lower_bound_config_selectorIylEEZNS1_14transform_implILb0ES3_S5_N6thrust23THRUST_200600_302600_NS6detail15normal_iteratorINS8_7pointerIyNS8_11hip_rocprim5par_tENS8_11use_defaultESE_EEEENSA_INSB_IlSD_SE_SE_EEEEZNS1_13binary_searchIS3_S5_NSA_INS8_10device_ptrIyEEEESG_SI_NS1_21lower_bound_search_opENS9_16wrapped_functionINS8_6system6detail7generic6detail18binary_search_lessEbEEEE10hipError_tPvRmT1_T2_T3_mmT4_T5_P12ihipStream_tbEUlRKyE_EESV_SZ_S10_mS11_S14_bEUlT_E_NS1_11comp_targetILNS1_3genE0ELNS1_11target_archE4294967295ELNS1_3gpuE0ELNS1_3repE0EEENS1_30default_config_static_selectorELNS0_4arch9wavefront6targetE0EEEvSY_.has_indirect_call, 0
	.section	.AMDGPU.csdata,"",@progbits
; Kernel info:
; codeLenInByte = 0
; TotalNumSgprs: 0
; NumVgprs: 0
; ScratchSize: 0
; MemoryBound: 0
; FloatMode: 240
; IeeeMode: 1
; LDSByteSize: 0 bytes/workgroup (compile time only)
; SGPRBlocks: 0
; VGPRBlocks: 0
; NumSGPRsForWavesPerEU: 1
; NumVGPRsForWavesPerEU: 1
; Occupancy: 16
; WaveLimiterHint : 0
; COMPUTE_PGM_RSRC2:SCRATCH_EN: 0
; COMPUTE_PGM_RSRC2:USER_SGPR: 6
; COMPUTE_PGM_RSRC2:TRAP_HANDLER: 0
; COMPUTE_PGM_RSRC2:TGID_X_EN: 1
; COMPUTE_PGM_RSRC2:TGID_Y_EN: 0
; COMPUTE_PGM_RSRC2:TGID_Z_EN: 0
; COMPUTE_PGM_RSRC2:TIDIG_COMP_CNT: 0
	.section	.text._ZN7rocprim17ROCPRIM_400000_NS6detail17trampoline_kernelINS0_14default_configENS1_27lower_bound_config_selectorIylEEZNS1_14transform_implILb0ES3_S5_N6thrust23THRUST_200600_302600_NS6detail15normal_iteratorINS8_7pointerIyNS8_11hip_rocprim5par_tENS8_11use_defaultESE_EEEENSA_INSB_IlSD_SE_SE_EEEEZNS1_13binary_searchIS3_S5_NSA_INS8_10device_ptrIyEEEESG_SI_NS1_21lower_bound_search_opENS9_16wrapped_functionINS8_6system6detail7generic6detail18binary_search_lessEbEEEE10hipError_tPvRmT1_T2_T3_mmT4_T5_P12ihipStream_tbEUlRKyE_EESV_SZ_S10_mS11_S14_bEUlT_E_NS1_11comp_targetILNS1_3genE5ELNS1_11target_archE942ELNS1_3gpuE9ELNS1_3repE0EEENS1_30default_config_static_selectorELNS0_4arch9wavefront6targetE0EEEvSY_,"axG",@progbits,_ZN7rocprim17ROCPRIM_400000_NS6detail17trampoline_kernelINS0_14default_configENS1_27lower_bound_config_selectorIylEEZNS1_14transform_implILb0ES3_S5_N6thrust23THRUST_200600_302600_NS6detail15normal_iteratorINS8_7pointerIyNS8_11hip_rocprim5par_tENS8_11use_defaultESE_EEEENSA_INSB_IlSD_SE_SE_EEEEZNS1_13binary_searchIS3_S5_NSA_INS8_10device_ptrIyEEEESG_SI_NS1_21lower_bound_search_opENS9_16wrapped_functionINS8_6system6detail7generic6detail18binary_search_lessEbEEEE10hipError_tPvRmT1_T2_T3_mmT4_T5_P12ihipStream_tbEUlRKyE_EESV_SZ_S10_mS11_S14_bEUlT_E_NS1_11comp_targetILNS1_3genE5ELNS1_11target_archE942ELNS1_3gpuE9ELNS1_3repE0EEENS1_30default_config_static_selectorELNS0_4arch9wavefront6targetE0EEEvSY_,comdat
	.protected	_ZN7rocprim17ROCPRIM_400000_NS6detail17trampoline_kernelINS0_14default_configENS1_27lower_bound_config_selectorIylEEZNS1_14transform_implILb0ES3_S5_N6thrust23THRUST_200600_302600_NS6detail15normal_iteratorINS8_7pointerIyNS8_11hip_rocprim5par_tENS8_11use_defaultESE_EEEENSA_INSB_IlSD_SE_SE_EEEEZNS1_13binary_searchIS3_S5_NSA_INS8_10device_ptrIyEEEESG_SI_NS1_21lower_bound_search_opENS9_16wrapped_functionINS8_6system6detail7generic6detail18binary_search_lessEbEEEE10hipError_tPvRmT1_T2_T3_mmT4_T5_P12ihipStream_tbEUlRKyE_EESV_SZ_S10_mS11_S14_bEUlT_E_NS1_11comp_targetILNS1_3genE5ELNS1_11target_archE942ELNS1_3gpuE9ELNS1_3repE0EEENS1_30default_config_static_selectorELNS0_4arch9wavefront6targetE0EEEvSY_ ; -- Begin function _ZN7rocprim17ROCPRIM_400000_NS6detail17trampoline_kernelINS0_14default_configENS1_27lower_bound_config_selectorIylEEZNS1_14transform_implILb0ES3_S5_N6thrust23THRUST_200600_302600_NS6detail15normal_iteratorINS8_7pointerIyNS8_11hip_rocprim5par_tENS8_11use_defaultESE_EEEENSA_INSB_IlSD_SE_SE_EEEEZNS1_13binary_searchIS3_S5_NSA_INS8_10device_ptrIyEEEESG_SI_NS1_21lower_bound_search_opENS9_16wrapped_functionINS8_6system6detail7generic6detail18binary_search_lessEbEEEE10hipError_tPvRmT1_T2_T3_mmT4_T5_P12ihipStream_tbEUlRKyE_EESV_SZ_S10_mS11_S14_bEUlT_E_NS1_11comp_targetILNS1_3genE5ELNS1_11target_archE942ELNS1_3gpuE9ELNS1_3repE0EEENS1_30default_config_static_selectorELNS0_4arch9wavefront6targetE0EEEvSY_
	.globl	_ZN7rocprim17ROCPRIM_400000_NS6detail17trampoline_kernelINS0_14default_configENS1_27lower_bound_config_selectorIylEEZNS1_14transform_implILb0ES3_S5_N6thrust23THRUST_200600_302600_NS6detail15normal_iteratorINS8_7pointerIyNS8_11hip_rocprim5par_tENS8_11use_defaultESE_EEEENSA_INSB_IlSD_SE_SE_EEEEZNS1_13binary_searchIS3_S5_NSA_INS8_10device_ptrIyEEEESG_SI_NS1_21lower_bound_search_opENS9_16wrapped_functionINS8_6system6detail7generic6detail18binary_search_lessEbEEEE10hipError_tPvRmT1_T2_T3_mmT4_T5_P12ihipStream_tbEUlRKyE_EESV_SZ_S10_mS11_S14_bEUlT_E_NS1_11comp_targetILNS1_3genE5ELNS1_11target_archE942ELNS1_3gpuE9ELNS1_3repE0EEENS1_30default_config_static_selectorELNS0_4arch9wavefront6targetE0EEEvSY_
	.p2align	8
	.type	_ZN7rocprim17ROCPRIM_400000_NS6detail17trampoline_kernelINS0_14default_configENS1_27lower_bound_config_selectorIylEEZNS1_14transform_implILb0ES3_S5_N6thrust23THRUST_200600_302600_NS6detail15normal_iteratorINS8_7pointerIyNS8_11hip_rocprim5par_tENS8_11use_defaultESE_EEEENSA_INSB_IlSD_SE_SE_EEEEZNS1_13binary_searchIS3_S5_NSA_INS8_10device_ptrIyEEEESG_SI_NS1_21lower_bound_search_opENS9_16wrapped_functionINS8_6system6detail7generic6detail18binary_search_lessEbEEEE10hipError_tPvRmT1_T2_T3_mmT4_T5_P12ihipStream_tbEUlRKyE_EESV_SZ_S10_mS11_S14_bEUlT_E_NS1_11comp_targetILNS1_3genE5ELNS1_11target_archE942ELNS1_3gpuE9ELNS1_3repE0EEENS1_30default_config_static_selectorELNS0_4arch9wavefront6targetE0EEEvSY_,@function
_ZN7rocprim17ROCPRIM_400000_NS6detail17trampoline_kernelINS0_14default_configENS1_27lower_bound_config_selectorIylEEZNS1_14transform_implILb0ES3_S5_N6thrust23THRUST_200600_302600_NS6detail15normal_iteratorINS8_7pointerIyNS8_11hip_rocprim5par_tENS8_11use_defaultESE_EEEENSA_INSB_IlSD_SE_SE_EEEEZNS1_13binary_searchIS3_S5_NSA_INS8_10device_ptrIyEEEESG_SI_NS1_21lower_bound_search_opENS9_16wrapped_functionINS8_6system6detail7generic6detail18binary_search_lessEbEEEE10hipError_tPvRmT1_T2_T3_mmT4_T5_P12ihipStream_tbEUlRKyE_EESV_SZ_S10_mS11_S14_bEUlT_E_NS1_11comp_targetILNS1_3genE5ELNS1_11target_archE942ELNS1_3gpuE9ELNS1_3repE0EEENS1_30default_config_static_selectorELNS0_4arch9wavefront6targetE0EEEvSY_: ; @_ZN7rocprim17ROCPRIM_400000_NS6detail17trampoline_kernelINS0_14default_configENS1_27lower_bound_config_selectorIylEEZNS1_14transform_implILb0ES3_S5_N6thrust23THRUST_200600_302600_NS6detail15normal_iteratorINS8_7pointerIyNS8_11hip_rocprim5par_tENS8_11use_defaultESE_EEEENSA_INSB_IlSD_SE_SE_EEEEZNS1_13binary_searchIS3_S5_NSA_INS8_10device_ptrIyEEEESG_SI_NS1_21lower_bound_search_opENS9_16wrapped_functionINS8_6system6detail7generic6detail18binary_search_lessEbEEEE10hipError_tPvRmT1_T2_T3_mmT4_T5_P12ihipStream_tbEUlRKyE_EESV_SZ_S10_mS11_S14_bEUlT_E_NS1_11comp_targetILNS1_3genE5ELNS1_11target_archE942ELNS1_3gpuE9ELNS1_3repE0EEENS1_30default_config_static_selectorELNS0_4arch9wavefront6targetE0EEEvSY_
; %bb.0:
	.section	.rodata,"a",@progbits
	.p2align	6, 0x0
	.amdhsa_kernel _ZN7rocprim17ROCPRIM_400000_NS6detail17trampoline_kernelINS0_14default_configENS1_27lower_bound_config_selectorIylEEZNS1_14transform_implILb0ES3_S5_N6thrust23THRUST_200600_302600_NS6detail15normal_iteratorINS8_7pointerIyNS8_11hip_rocprim5par_tENS8_11use_defaultESE_EEEENSA_INSB_IlSD_SE_SE_EEEEZNS1_13binary_searchIS3_S5_NSA_INS8_10device_ptrIyEEEESG_SI_NS1_21lower_bound_search_opENS9_16wrapped_functionINS8_6system6detail7generic6detail18binary_search_lessEbEEEE10hipError_tPvRmT1_T2_T3_mmT4_T5_P12ihipStream_tbEUlRKyE_EESV_SZ_S10_mS11_S14_bEUlT_E_NS1_11comp_targetILNS1_3genE5ELNS1_11target_archE942ELNS1_3gpuE9ELNS1_3repE0EEENS1_30default_config_static_selectorELNS0_4arch9wavefront6targetE0EEEvSY_
		.amdhsa_group_segment_fixed_size 0
		.amdhsa_private_segment_fixed_size 0
		.amdhsa_kernarg_size 56
		.amdhsa_user_sgpr_count 6
		.amdhsa_user_sgpr_private_segment_buffer 1
		.amdhsa_user_sgpr_dispatch_ptr 0
		.amdhsa_user_sgpr_queue_ptr 0
		.amdhsa_user_sgpr_kernarg_segment_ptr 1
		.amdhsa_user_sgpr_dispatch_id 0
		.amdhsa_user_sgpr_flat_scratch_init 0
		.amdhsa_user_sgpr_private_segment_size 0
		.amdhsa_wavefront_size32 1
		.amdhsa_uses_dynamic_stack 0
		.amdhsa_system_sgpr_private_segment_wavefront_offset 0
		.amdhsa_system_sgpr_workgroup_id_x 1
		.amdhsa_system_sgpr_workgroup_id_y 0
		.amdhsa_system_sgpr_workgroup_id_z 0
		.amdhsa_system_sgpr_workgroup_info 0
		.amdhsa_system_vgpr_workitem_id 0
		.amdhsa_next_free_vgpr 1
		.amdhsa_next_free_sgpr 1
		.amdhsa_reserve_vcc 0
		.amdhsa_reserve_flat_scratch 0
		.amdhsa_float_round_mode_32 0
		.amdhsa_float_round_mode_16_64 0
		.amdhsa_float_denorm_mode_32 3
		.amdhsa_float_denorm_mode_16_64 3
		.amdhsa_dx10_clamp 1
		.amdhsa_ieee_mode 1
		.amdhsa_fp16_overflow 0
		.amdhsa_workgroup_processor_mode 1
		.amdhsa_memory_ordered 1
		.amdhsa_forward_progress 1
		.amdhsa_shared_vgpr_count 0
		.amdhsa_exception_fp_ieee_invalid_op 0
		.amdhsa_exception_fp_denorm_src 0
		.amdhsa_exception_fp_ieee_div_zero 0
		.amdhsa_exception_fp_ieee_overflow 0
		.amdhsa_exception_fp_ieee_underflow 0
		.amdhsa_exception_fp_ieee_inexact 0
		.amdhsa_exception_int_div_zero 0
	.end_amdhsa_kernel
	.section	.text._ZN7rocprim17ROCPRIM_400000_NS6detail17trampoline_kernelINS0_14default_configENS1_27lower_bound_config_selectorIylEEZNS1_14transform_implILb0ES3_S5_N6thrust23THRUST_200600_302600_NS6detail15normal_iteratorINS8_7pointerIyNS8_11hip_rocprim5par_tENS8_11use_defaultESE_EEEENSA_INSB_IlSD_SE_SE_EEEEZNS1_13binary_searchIS3_S5_NSA_INS8_10device_ptrIyEEEESG_SI_NS1_21lower_bound_search_opENS9_16wrapped_functionINS8_6system6detail7generic6detail18binary_search_lessEbEEEE10hipError_tPvRmT1_T2_T3_mmT4_T5_P12ihipStream_tbEUlRKyE_EESV_SZ_S10_mS11_S14_bEUlT_E_NS1_11comp_targetILNS1_3genE5ELNS1_11target_archE942ELNS1_3gpuE9ELNS1_3repE0EEENS1_30default_config_static_selectorELNS0_4arch9wavefront6targetE0EEEvSY_,"axG",@progbits,_ZN7rocprim17ROCPRIM_400000_NS6detail17trampoline_kernelINS0_14default_configENS1_27lower_bound_config_selectorIylEEZNS1_14transform_implILb0ES3_S5_N6thrust23THRUST_200600_302600_NS6detail15normal_iteratorINS8_7pointerIyNS8_11hip_rocprim5par_tENS8_11use_defaultESE_EEEENSA_INSB_IlSD_SE_SE_EEEEZNS1_13binary_searchIS3_S5_NSA_INS8_10device_ptrIyEEEESG_SI_NS1_21lower_bound_search_opENS9_16wrapped_functionINS8_6system6detail7generic6detail18binary_search_lessEbEEEE10hipError_tPvRmT1_T2_T3_mmT4_T5_P12ihipStream_tbEUlRKyE_EESV_SZ_S10_mS11_S14_bEUlT_E_NS1_11comp_targetILNS1_3genE5ELNS1_11target_archE942ELNS1_3gpuE9ELNS1_3repE0EEENS1_30default_config_static_selectorELNS0_4arch9wavefront6targetE0EEEvSY_,comdat
.Lfunc_end359:
	.size	_ZN7rocprim17ROCPRIM_400000_NS6detail17trampoline_kernelINS0_14default_configENS1_27lower_bound_config_selectorIylEEZNS1_14transform_implILb0ES3_S5_N6thrust23THRUST_200600_302600_NS6detail15normal_iteratorINS8_7pointerIyNS8_11hip_rocprim5par_tENS8_11use_defaultESE_EEEENSA_INSB_IlSD_SE_SE_EEEEZNS1_13binary_searchIS3_S5_NSA_INS8_10device_ptrIyEEEESG_SI_NS1_21lower_bound_search_opENS9_16wrapped_functionINS8_6system6detail7generic6detail18binary_search_lessEbEEEE10hipError_tPvRmT1_T2_T3_mmT4_T5_P12ihipStream_tbEUlRKyE_EESV_SZ_S10_mS11_S14_bEUlT_E_NS1_11comp_targetILNS1_3genE5ELNS1_11target_archE942ELNS1_3gpuE9ELNS1_3repE0EEENS1_30default_config_static_selectorELNS0_4arch9wavefront6targetE0EEEvSY_, .Lfunc_end359-_ZN7rocprim17ROCPRIM_400000_NS6detail17trampoline_kernelINS0_14default_configENS1_27lower_bound_config_selectorIylEEZNS1_14transform_implILb0ES3_S5_N6thrust23THRUST_200600_302600_NS6detail15normal_iteratorINS8_7pointerIyNS8_11hip_rocprim5par_tENS8_11use_defaultESE_EEEENSA_INSB_IlSD_SE_SE_EEEEZNS1_13binary_searchIS3_S5_NSA_INS8_10device_ptrIyEEEESG_SI_NS1_21lower_bound_search_opENS9_16wrapped_functionINS8_6system6detail7generic6detail18binary_search_lessEbEEEE10hipError_tPvRmT1_T2_T3_mmT4_T5_P12ihipStream_tbEUlRKyE_EESV_SZ_S10_mS11_S14_bEUlT_E_NS1_11comp_targetILNS1_3genE5ELNS1_11target_archE942ELNS1_3gpuE9ELNS1_3repE0EEENS1_30default_config_static_selectorELNS0_4arch9wavefront6targetE0EEEvSY_
                                        ; -- End function
	.set _ZN7rocprim17ROCPRIM_400000_NS6detail17trampoline_kernelINS0_14default_configENS1_27lower_bound_config_selectorIylEEZNS1_14transform_implILb0ES3_S5_N6thrust23THRUST_200600_302600_NS6detail15normal_iteratorINS8_7pointerIyNS8_11hip_rocprim5par_tENS8_11use_defaultESE_EEEENSA_INSB_IlSD_SE_SE_EEEEZNS1_13binary_searchIS3_S5_NSA_INS8_10device_ptrIyEEEESG_SI_NS1_21lower_bound_search_opENS9_16wrapped_functionINS8_6system6detail7generic6detail18binary_search_lessEbEEEE10hipError_tPvRmT1_T2_T3_mmT4_T5_P12ihipStream_tbEUlRKyE_EESV_SZ_S10_mS11_S14_bEUlT_E_NS1_11comp_targetILNS1_3genE5ELNS1_11target_archE942ELNS1_3gpuE9ELNS1_3repE0EEENS1_30default_config_static_selectorELNS0_4arch9wavefront6targetE0EEEvSY_.num_vgpr, 0
	.set _ZN7rocprim17ROCPRIM_400000_NS6detail17trampoline_kernelINS0_14default_configENS1_27lower_bound_config_selectorIylEEZNS1_14transform_implILb0ES3_S5_N6thrust23THRUST_200600_302600_NS6detail15normal_iteratorINS8_7pointerIyNS8_11hip_rocprim5par_tENS8_11use_defaultESE_EEEENSA_INSB_IlSD_SE_SE_EEEEZNS1_13binary_searchIS3_S5_NSA_INS8_10device_ptrIyEEEESG_SI_NS1_21lower_bound_search_opENS9_16wrapped_functionINS8_6system6detail7generic6detail18binary_search_lessEbEEEE10hipError_tPvRmT1_T2_T3_mmT4_T5_P12ihipStream_tbEUlRKyE_EESV_SZ_S10_mS11_S14_bEUlT_E_NS1_11comp_targetILNS1_3genE5ELNS1_11target_archE942ELNS1_3gpuE9ELNS1_3repE0EEENS1_30default_config_static_selectorELNS0_4arch9wavefront6targetE0EEEvSY_.num_agpr, 0
	.set _ZN7rocprim17ROCPRIM_400000_NS6detail17trampoline_kernelINS0_14default_configENS1_27lower_bound_config_selectorIylEEZNS1_14transform_implILb0ES3_S5_N6thrust23THRUST_200600_302600_NS6detail15normal_iteratorINS8_7pointerIyNS8_11hip_rocprim5par_tENS8_11use_defaultESE_EEEENSA_INSB_IlSD_SE_SE_EEEEZNS1_13binary_searchIS3_S5_NSA_INS8_10device_ptrIyEEEESG_SI_NS1_21lower_bound_search_opENS9_16wrapped_functionINS8_6system6detail7generic6detail18binary_search_lessEbEEEE10hipError_tPvRmT1_T2_T3_mmT4_T5_P12ihipStream_tbEUlRKyE_EESV_SZ_S10_mS11_S14_bEUlT_E_NS1_11comp_targetILNS1_3genE5ELNS1_11target_archE942ELNS1_3gpuE9ELNS1_3repE0EEENS1_30default_config_static_selectorELNS0_4arch9wavefront6targetE0EEEvSY_.numbered_sgpr, 0
	.set _ZN7rocprim17ROCPRIM_400000_NS6detail17trampoline_kernelINS0_14default_configENS1_27lower_bound_config_selectorIylEEZNS1_14transform_implILb0ES3_S5_N6thrust23THRUST_200600_302600_NS6detail15normal_iteratorINS8_7pointerIyNS8_11hip_rocprim5par_tENS8_11use_defaultESE_EEEENSA_INSB_IlSD_SE_SE_EEEEZNS1_13binary_searchIS3_S5_NSA_INS8_10device_ptrIyEEEESG_SI_NS1_21lower_bound_search_opENS9_16wrapped_functionINS8_6system6detail7generic6detail18binary_search_lessEbEEEE10hipError_tPvRmT1_T2_T3_mmT4_T5_P12ihipStream_tbEUlRKyE_EESV_SZ_S10_mS11_S14_bEUlT_E_NS1_11comp_targetILNS1_3genE5ELNS1_11target_archE942ELNS1_3gpuE9ELNS1_3repE0EEENS1_30default_config_static_selectorELNS0_4arch9wavefront6targetE0EEEvSY_.num_named_barrier, 0
	.set _ZN7rocprim17ROCPRIM_400000_NS6detail17trampoline_kernelINS0_14default_configENS1_27lower_bound_config_selectorIylEEZNS1_14transform_implILb0ES3_S5_N6thrust23THRUST_200600_302600_NS6detail15normal_iteratorINS8_7pointerIyNS8_11hip_rocprim5par_tENS8_11use_defaultESE_EEEENSA_INSB_IlSD_SE_SE_EEEEZNS1_13binary_searchIS3_S5_NSA_INS8_10device_ptrIyEEEESG_SI_NS1_21lower_bound_search_opENS9_16wrapped_functionINS8_6system6detail7generic6detail18binary_search_lessEbEEEE10hipError_tPvRmT1_T2_T3_mmT4_T5_P12ihipStream_tbEUlRKyE_EESV_SZ_S10_mS11_S14_bEUlT_E_NS1_11comp_targetILNS1_3genE5ELNS1_11target_archE942ELNS1_3gpuE9ELNS1_3repE0EEENS1_30default_config_static_selectorELNS0_4arch9wavefront6targetE0EEEvSY_.private_seg_size, 0
	.set _ZN7rocprim17ROCPRIM_400000_NS6detail17trampoline_kernelINS0_14default_configENS1_27lower_bound_config_selectorIylEEZNS1_14transform_implILb0ES3_S5_N6thrust23THRUST_200600_302600_NS6detail15normal_iteratorINS8_7pointerIyNS8_11hip_rocprim5par_tENS8_11use_defaultESE_EEEENSA_INSB_IlSD_SE_SE_EEEEZNS1_13binary_searchIS3_S5_NSA_INS8_10device_ptrIyEEEESG_SI_NS1_21lower_bound_search_opENS9_16wrapped_functionINS8_6system6detail7generic6detail18binary_search_lessEbEEEE10hipError_tPvRmT1_T2_T3_mmT4_T5_P12ihipStream_tbEUlRKyE_EESV_SZ_S10_mS11_S14_bEUlT_E_NS1_11comp_targetILNS1_3genE5ELNS1_11target_archE942ELNS1_3gpuE9ELNS1_3repE0EEENS1_30default_config_static_selectorELNS0_4arch9wavefront6targetE0EEEvSY_.uses_vcc, 0
	.set _ZN7rocprim17ROCPRIM_400000_NS6detail17trampoline_kernelINS0_14default_configENS1_27lower_bound_config_selectorIylEEZNS1_14transform_implILb0ES3_S5_N6thrust23THRUST_200600_302600_NS6detail15normal_iteratorINS8_7pointerIyNS8_11hip_rocprim5par_tENS8_11use_defaultESE_EEEENSA_INSB_IlSD_SE_SE_EEEEZNS1_13binary_searchIS3_S5_NSA_INS8_10device_ptrIyEEEESG_SI_NS1_21lower_bound_search_opENS9_16wrapped_functionINS8_6system6detail7generic6detail18binary_search_lessEbEEEE10hipError_tPvRmT1_T2_T3_mmT4_T5_P12ihipStream_tbEUlRKyE_EESV_SZ_S10_mS11_S14_bEUlT_E_NS1_11comp_targetILNS1_3genE5ELNS1_11target_archE942ELNS1_3gpuE9ELNS1_3repE0EEENS1_30default_config_static_selectorELNS0_4arch9wavefront6targetE0EEEvSY_.uses_flat_scratch, 0
	.set _ZN7rocprim17ROCPRIM_400000_NS6detail17trampoline_kernelINS0_14default_configENS1_27lower_bound_config_selectorIylEEZNS1_14transform_implILb0ES3_S5_N6thrust23THRUST_200600_302600_NS6detail15normal_iteratorINS8_7pointerIyNS8_11hip_rocprim5par_tENS8_11use_defaultESE_EEEENSA_INSB_IlSD_SE_SE_EEEEZNS1_13binary_searchIS3_S5_NSA_INS8_10device_ptrIyEEEESG_SI_NS1_21lower_bound_search_opENS9_16wrapped_functionINS8_6system6detail7generic6detail18binary_search_lessEbEEEE10hipError_tPvRmT1_T2_T3_mmT4_T5_P12ihipStream_tbEUlRKyE_EESV_SZ_S10_mS11_S14_bEUlT_E_NS1_11comp_targetILNS1_3genE5ELNS1_11target_archE942ELNS1_3gpuE9ELNS1_3repE0EEENS1_30default_config_static_selectorELNS0_4arch9wavefront6targetE0EEEvSY_.has_dyn_sized_stack, 0
	.set _ZN7rocprim17ROCPRIM_400000_NS6detail17trampoline_kernelINS0_14default_configENS1_27lower_bound_config_selectorIylEEZNS1_14transform_implILb0ES3_S5_N6thrust23THRUST_200600_302600_NS6detail15normal_iteratorINS8_7pointerIyNS8_11hip_rocprim5par_tENS8_11use_defaultESE_EEEENSA_INSB_IlSD_SE_SE_EEEEZNS1_13binary_searchIS3_S5_NSA_INS8_10device_ptrIyEEEESG_SI_NS1_21lower_bound_search_opENS9_16wrapped_functionINS8_6system6detail7generic6detail18binary_search_lessEbEEEE10hipError_tPvRmT1_T2_T3_mmT4_T5_P12ihipStream_tbEUlRKyE_EESV_SZ_S10_mS11_S14_bEUlT_E_NS1_11comp_targetILNS1_3genE5ELNS1_11target_archE942ELNS1_3gpuE9ELNS1_3repE0EEENS1_30default_config_static_selectorELNS0_4arch9wavefront6targetE0EEEvSY_.has_recursion, 0
	.set _ZN7rocprim17ROCPRIM_400000_NS6detail17trampoline_kernelINS0_14default_configENS1_27lower_bound_config_selectorIylEEZNS1_14transform_implILb0ES3_S5_N6thrust23THRUST_200600_302600_NS6detail15normal_iteratorINS8_7pointerIyNS8_11hip_rocprim5par_tENS8_11use_defaultESE_EEEENSA_INSB_IlSD_SE_SE_EEEEZNS1_13binary_searchIS3_S5_NSA_INS8_10device_ptrIyEEEESG_SI_NS1_21lower_bound_search_opENS9_16wrapped_functionINS8_6system6detail7generic6detail18binary_search_lessEbEEEE10hipError_tPvRmT1_T2_T3_mmT4_T5_P12ihipStream_tbEUlRKyE_EESV_SZ_S10_mS11_S14_bEUlT_E_NS1_11comp_targetILNS1_3genE5ELNS1_11target_archE942ELNS1_3gpuE9ELNS1_3repE0EEENS1_30default_config_static_selectorELNS0_4arch9wavefront6targetE0EEEvSY_.has_indirect_call, 0
	.section	.AMDGPU.csdata,"",@progbits
; Kernel info:
; codeLenInByte = 0
; TotalNumSgprs: 0
; NumVgprs: 0
; ScratchSize: 0
; MemoryBound: 0
; FloatMode: 240
; IeeeMode: 1
; LDSByteSize: 0 bytes/workgroup (compile time only)
; SGPRBlocks: 0
; VGPRBlocks: 0
; NumSGPRsForWavesPerEU: 1
; NumVGPRsForWavesPerEU: 1
; Occupancy: 16
; WaveLimiterHint : 0
; COMPUTE_PGM_RSRC2:SCRATCH_EN: 0
; COMPUTE_PGM_RSRC2:USER_SGPR: 6
; COMPUTE_PGM_RSRC2:TRAP_HANDLER: 0
; COMPUTE_PGM_RSRC2:TGID_X_EN: 1
; COMPUTE_PGM_RSRC2:TGID_Y_EN: 0
; COMPUTE_PGM_RSRC2:TGID_Z_EN: 0
; COMPUTE_PGM_RSRC2:TIDIG_COMP_CNT: 0
	.section	.text._ZN7rocprim17ROCPRIM_400000_NS6detail17trampoline_kernelINS0_14default_configENS1_27lower_bound_config_selectorIylEEZNS1_14transform_implILb0ES3_S5_N6thrust23THRUST_200600_302600_NS6detail15normal_iteratorINS8_7pointerIyNS8_11hip_rocprim5par_tENS8_11use_defaultESE_EEEENSA_INSB_IlSD_SE_SE_EEEEZNS1_13binary_searchIS3_S5_NSA_INS8_10device_ptrIyEEEESG_SI_NS1_21lower_bound_search_opENS9_16wrapped_functionINS8_6system6detail7generic6detail18binary_search_lessEbEEEE10hipError_tPvRmT1_T2_T3_mmT4_T5_P12ihipStream_tbEUlRKyE_EESV_SZ_S10_mS11_S14_bEUlT_E_NS1_11comp_targetILNS1_3genE4ELNS1_11target_archE910ELNS1_3gpuE8ELNS1_3repE0EEENS1_30default_config_static_selectorELNS0_4arch9wavefront6targetE0EEEvSY_,"axG",@progbits,_ZN7rocprim17ROCPRIM_400000_NS6detail17trampoline_kernelINS0_14default_configENS1_27lower_bound_config_selectorIylEEZNS1_14transform_implILb0ES3_S5_N6thrust23THRUST_200600_302600_NS6detail15normal_iteratorINS8_7pointerIyNS8_11hip_rocprim5par_tENS8_11use_defaultESE_EEEENSA_INSB_IlSD_SE_SE_EEEEZNS1_13binary_searchIS3_S5_NSA_INS8_10device_ptrIyEEEESG_SI_NS1_21lower_bound_search_opENS9_16wrapped_functionINS8_6system6detail7generic6detail18binary_search_lessEbEEEE10hipError_tPvRmT1_T2_T3_mmT4_T5_P12ihipStream_tbEUlRKyE_EESV_SZ_S10_mS11_S14_bEUlT_E_NS1_11comp_targetILNS1_3genE4ELNS1_11target_archE910ELNS1_3gpuE8ELNS1_3repE0EEENS1_30default_config_static_selectorELNS0_4arch9wavefront6targetE0EEEvSY_,comdat
	.protected	_ZN7rocprim17ROCPRIM_400000_NS6detail17trampoline_kernelINS0_14default_configENS1_27lower_bound_config_selectorIylEEZNS1_14transform_implILb0ES3_S5_N6thrust23THRUST_200600_302600_NS6detail15normal_iteratorINS8_7pointerIyNS8_11hip_rocprim5par_tENS8_11use_defaultESE_EEEENSA_INSB_IlSD_SE_SE_EEEEZNS1_13binary_searchIS3_S5_NSA_INS8_10device_ptrIyEEEESG_SI_NS1_21lower_bound_search_opENS9_16wrapped_functionINS8_6system6detail7generic6detail18binary_search_lessEbEEEE10hipError_tPvRmT1_T2_T3_mmT4_T5_P12ihipStream_tbEUlRKyE_EESV_SZ_S10_mS11_S14_bEUlT_E_NS1_11comp_targetILNS1_3genE4ELNS1_11target_archE910ELNS1_3gpuE8ELNS1_3repE0EEENS1_30default_config_static_selectorELNS0_4arch9wavefront6targetE0EEEvSY_ ; -- Begin function _ZN7rocprim17ROCPRIM_400000_NS6detail17trampoline_kernelINS0_14default_configENS1_27lower_bound_config_selectorIylEEZNS1_14transform_implILb0ES3_S5_N6thrust23THRUST_200600_302600_NS6detail15normal_iteratorINS8_7pointerIyNS8_11hip_rocprim5par_tENS8_11use_defaultESE_EEEENSA_INSB_IlSD_SE_SE_EEEEZNS1_13binary_searchIS3_S5_NSA_INS8_10device_ptrIyEEEESG_SI_NS1_21lower_bound_search_opENS9_16wrapped_functionINS8_6system6detail7generic6detail18binary_search_lessEbEEEE10hipError_tPvRmT1_T2_T3_mmT4_T5_P12ihipStream_tbEUlRKyE_EESV_SZ_S10_mS11_S14_bEUlT_E_NS1_11comp_targetILNS1_3genE4ELNS1_11target_archE910ELNS1_3gpuE8ELNS1_3repE0EEENS1_30default_config_static_selectorELNS0_4arch9wavefront6targetE0EEEvSY_
	.globl	_ZN7rocprim17ROCPRIM_400000_NS6detail17trampoline_kernelINS0_14default_configENS1_27lower_bound_config_selectorIylEEZNS1_14transform_implILb0ES3_S5_N6thrust23THRUST_200600_302600_NS6detail15normal_iteratorINS8_7pointerIyNS8_11hip_rocprim5par_tENS8_11use_defaultESE_EEEENSA_INSB_IlSD_SE_SE_EEEEZNS1_13binary_searchIS3_S5_NSA_INS8_10device_ptrIyEEEESG_SI_NS1_21lower_bound_search_opENS9_16wrapped_functionINS8_6system6detail7generic6detail18binary_search_lessEbEEEE10hipError_tPvRmT1_T2_T3_mmT4_T5_P12ihipStream_tbEUlRKyE_EESV_SZ_S10_mS11_S14_bEUlT_E_NS1_11comp_targetILNS1_3genE4ELNS1_11target_archE910ELNS1_3gpuE8ELNS1_3repE0EEENS1_30default_config_static_selectorELNS0_4arch9wavefront6targetE0EEEvSY_
	.p2align	8
	.type	_ZN7rocprim17ROCPRIM_400000_NS6detail17trampoline_kernelINS0_14default_configENS1_27lower_bound_config_selectorIylEEZNS1_14transform_implILb0ES3_S5_N6thrust23THRUST_200600_302600_NS6detail15normal_iteratorINS8_7pointerIyNS8_11hip_rocprim5par_tENS8_11use_defaultESE_EEEENSA_INSB_IlSD_SE_SE_EEEEZNS1_13binary_searchIS3_S5_NSA_INS8_10device_ptrIyEEEESG_SI_NS1_21lower_bound_search_opENS9_16wrapped_functionINS8_6system6detail7generic6detail18binary_search_lessEbEEEE10hipError_tPvRmT1_T2_T3_mmT4_T5_P12ihipStream_tbEUlRKyE_EESV_SZ_S10_mS11_S14_bEUlT_E_NS1_11comp_targetILNS1_3genE4ELNS1_11target_archE910ELNS1_3gpuE8ELNS1_3repE0EEENS1_30default_config_static_selectorELNS0_4arch9wavefront6targetE0EEEvSY_,@function
_ZN7rocprim17ROCPRIM_400000_NS6detail17trampoline_kernelINS0_14default_configENS1_27lower_bound_config_selectorIylEEZNS1_14transform_implILb0ES3_S5_N6thrust23THRUST_200600_302600_NS6detail15normal_iteratorINS8_7pointerIyNS8_11hip_rocprim5par_tENS8_11use_defaultESE_EEEENSA_INSB_IlSD_SE_SE_EEEEZNS1_13binary_searchIS3_S5_NSA_INS8_10device_ptrIyEEEESG_SI_NS1_21lower_bound_search_opENS9_16wrapped_functionINS8_6system6detail7generic6detail18binary_search_lessEbEEEE10hipError_tPvRmT1_T2_T3_mmT4_T5_P12ihipStream_tbEUlRKyE_EESV_SZ_S10_mS11_S14_bEUlT_E_NS1_11comp_targetILNS1_3genE4ELNS1_11target_archE910ELNS1_3gpuE8ELNS1_3repE0EEENS1_30default_config_static_selectorELNS0_4arch9wavefront6targetE0EEEvSY_: ; @_ZN7rocprim17ROCPRIM_400000_NS6detail17trampoline_kernelINS0_14default_configENS1_27lower_bound_config_selectorIylEEZNS1_14transform_implILb0ES3_S5_N6thrust23THRUST_200600_302600_NS6detail15normal_iteratorINS8_7pointerIyNS8_11hip_rocprim5par_tENS8_11use_defaultESE_EEEENSA_INSB_IlSD_SE_SE_EEEEZNS1_13binary_searchIS3_S5_NSA_INS8_10device_ptrIyEEEESG_SI_NS1_21lower_bound_search_opENS9_16wrapped_functionINS8_6system6detail7generic6detail18binary_search_lessEbEEEE10hipError_tPvRmT1_T2_T3_mmT4_T5_P12ihipStream_tbEUlRKyE_EESV_SZ_S10_mS11_S14_bEUlT_E_NS1_11comp_targetILNS1_3genE4ELNS1_11target_archE910ELNS1_3gpuE8ELNS1_3repE0EEENS1_30default_config_static_selectorELNS0_4arch9wavefront6targetE0EEEvSY_
; %bb.0:
	.section	.rodata,"a",@progbits
	.p2align	6, 0x0
	.amdhsa_kernel _ZN7rocprim17ROCPRIM_400000_NS6detail17trampoline_kernelINS0_14default_configENS1_27lower_bound_config_selectorIylEEZNS1_14transform_implILb0ES3_S5_N6thrust23THRUST_200600_302600_NS6detail15normal_iteratorINS8_7pointerIyNS8_11hip_rocprim5par_tENS8_11use_defaultESE_EEEENSA_INSB_IlSD_SE_SE_EEEEZNS1_13binary_searchIS3_S5_NSA_INS8_10device_ptrIyEEEESG_SI_NS1_21lower_bound_search_opENS9_16wrapped_functionINS8_6system6detail7generic6detail18binary_search_lessEbEEEE10hipError_tPvRmT1_T2_T3_mmT4_T5_P12ihipStream_tbEUlRKyE_EESV_SZ_S10_mS11_S14_bEUlT_E_NS1_11comp_targetILNS1_3genE4ELNS1_11target_archE910ELNS1_3gpuE8ELNS1_3repE0EEENS1_30default_config_static_selectorELNS0_4arch9wavefront6targetE0EEEvSY_
		.amdhsa_group_segment_fixed_size 0
		.amdhsa_private_segment_fixed_size 0
		.amdhsa_kernarg_size 56
		.amdhsa_user_sgpr_count 6
		.amdhsa_user_sgpr_private_segment_buffer 1
		.amdhsa_user_sgpr_dispatch_ptr 0
		.amdhsa_user_sgpr_queue_ptr 0
		.amdhsa_user_sgpr_kernarg_segment_ptr 1
		.amdhsa_user_sgpr_dispatch_id 0
		.amdhsa_user_sgpr_flat_scratch_init 0
		.amdhsa_user_sgpr_private_segment_size 0
		.amdhsa_wavefront_size32 1
		.amdhsa_uses_dynamic_stack 0
		.amdhsa_system_sgpr_private_segment_wavefront_offset 0
		.amdhsa_system_sgpr_workgroup_id_x 1
		.amdhsa_system_sgpr_workgroup_id_y 0
		.amdhsa_system_sgpr_workgroup_id_z 0
		.amdhsa_system_sgpr_workgroup_info 0
		.amdhsa_system_vgpr_workitem_id 0
		.amdhsa_next_free_vgpr 1
		.amdhsa_next_free_sgpr 1
		.amdhsa_reserve_vcc 0
		.amdhsa_reserve_flat_scratch 0
		.amdhsa_float_round_mode_32 0
		.amdhsa_float_round_mode_16_64 0
		.amdhsa_float_denorm_mode_32 3
		.amdhsa_float_denorm_mode_16_64 3
		.amdhsa_dx10_clamp 1
		.amdhsa_ieee_mode 1
		.amdhsa_fp16_overflow 0
		.amdhsa_workgroup_processor_mode 1
		.amdhsa_memory_ordered 1
		.amdhsa_forward_progress 1
		.amdhsa_shared_vgpr_count 0
		.amdhsa_exception_fp_ieee_invalid_op 0
		.amdhsa_exception_fp_denorm_src 0
		.amdhsa_exception_fp_ieee_div_zero 0
		.amdhsa_exception_fp_ieee_overflow 0
		.amdhsa_exception_fp_ieee_underflow 0
		.amdhsa_exception_fp_ieee_inexact 0
		.amdhsa_exception_int_div_zero 0
	.end_amdhsa_kernel
	.section	.text._ZN7rocprim17ROCPRIM_400000_NS6detail17trampoline_kernelINS0_14default_configENS1_27lower_bound_config_selectorIylEEZNS1_14transform_implILb0ES3_S5_N6thrust23THRUST_200600_302600_NS6detail15normal_iteratorINS8_7pointerIyNS8_11hip_rocprim5par_tENS8_11use_defaultESE_EEEENSA_INSB_IlSD_SE_SE_EEEEZNS1_13binary_searchIS3_S5_NSA_INS8_10device_ptrIyEEEESG_SI_NS1_21lower_bound_search_opENS9_16wrapped_functionINS8_6system6detail7generic6detail18binary_search_lessEbEEEE10hipError_tPvRmT1_T2_T3_mmT4_T5_P12ihipStream_tbEUlRKyE_EESV_SZ_S10_mS11_S14_bEUlT_E_NS1_11comp_targetILNS1_3genE4ELNS1_11target_archE910ELNS1_3gpuE8ELNS1_3repE0EEENS1_30default_config_static_selectorELNS0_4arch9wavefront6targetE0EEEvSY_,"axG",@progbits,_ZN7rocprim17ROCPRIM_400000_NS6detail17trampoline_kernelINS0_14default_configENS1_27lower_bound_config_selectorIylEEZNS1_14transform_implILb0ES3_S5_N6thrust23THRUST_200600_302600_NS6detail15normal_iteratorINS8_7pointerIyNS8_11hip_rocprim5par_tENS8_11use_defaultESE_EEEENSA_INSB_IlSD_SE_SE_EEEEZNS1_13binary_searchIS3_S5_NSA_INS8_10device_ptrIyEEEESG_SI_NS1_21lower_bound_search_opENS9_16wrapped_functionINS8_6system6detail7generic6detail18binary_search_lessEbEEEE10hipError_tPvRmT1_T2_T3_mmT4_T5_P12ihipStream_tbEUlRKyE_EESV_SZ_S10_mS11_S14_bEUlT_E_NS1_11comp_targetILNS1_3genE4ELNS1_11target_archE910ELNS1_3gpuE8ELNS1_3repE0EEENS1_30default_config_static_selectorELNS0_4arch9wavefront6targetE0EEEvSY_,comdat
.Lfunc_end360:
	.size	_ZN7rocprim17ROCPRIM_400000_NS6detail17trampoline_kernelINS0_14default_configENS1_27lower_bound_config_selectorIylEEZNS1_14transform_implILb0ES3_S5_N6thrust23THRUST_200600_302600_NS6detail15normal_iteratorINS8_7pointerIyNS8_11hip_rocprim5par_tENS8_11use_defaultESE_EEEENSA_INSB_IlSD_SE_SE_EEEEZNS1_13binary_searchIS3_S5_NSA_INS8_10device_ptrIyEEEESG_SI_NS1_21lower_bound_search_opENS9_16wrapped_functionINS8_6system6detail7generic6detail18binary_search_lessEbEEEE10hipError_tPvRmT1_T2_T3_mmT4_T5_P12ihipStream_tbEUlRKyE_EESV_SZ_S10_mS11_S14_bEUlT_E_NS1_11comp_targetILNS1_3genE4ELNS1_11target_archE910ELNS1_3gpuE8ELNS1_3repE0EEENS1_30default_config_static_selectorELNS0_4arch9wavefront6targetE0EEEvSY_, .Lfunc_end360-_ZN7rocprim17ROCPRIM_400000_NS6detail17trampoline_kernelINS0_14default_configENS1_27lower_bound_config_selectorIylEEZNS1_14transform_implILb0ES3_S5_N6thrust23THRUST_200600_302600_NS6detail15normal_iteratorINS8_7pointerIyNS8_11hip_rocprim5par_tENS8_11use_defaultESE_EEEENSA_INSB_IlSD_SE_SE_EEEEZNS1_13binary_searchIS3_S5_NSA_INS8_10device_ptrIyEEEESG_SI_NS1_21lower_bound_search_opENS9_16wrapped_functionINS8_6system6detail7generic6detail18binary_search_lessEbEEEE10hipError_tPvRmT1_T2_T3_mmT4_T5_P12ihipStream_tbEUlRKyE_EESV_SZ_S10_mS11_S14_bEUlT_E_NS1_11comp_targetILNS1_3genE4ELNS1_11target_archE910ELNS1_3gpuE8ELNS1_3repE0EEENS1_30default_config_static_selectorELNS0_4arch9wavefront6targetE0EEEvSY_
                                        ; -- End function
	.set _ZN7rocprim17ROCPRIM_400000_NS6detail17trampoline_kernelINS0_14default_configENS1_27lower_bound_config_selectorIylEEZNS1_14transform_implILb0ES3_S5_N6thrust23THRUST_200600_302600_NS6detail15normal_iteratorINS8_7pointerIyNS8_11hip_rocprim5par_tENS8_11use_defaultESE_EEEENSA_INSB_IlSD_SE_SE_EEEEZNS1_13binary_searchIS3_S5_NSA_INS8_10device_ptrIyEEEESG_SI_NS1_21lower_bound_search_opENS9_16wrapped_functionINS8_6system6detail7generic6detail18binary_search_lessEbEEEE10hipError_tPvRmT1_T2_T3_mmT4_T5_P12ihipStream_tbEUlRKyE_EESV_SZ_S10_mS11_S14_bEUlT_E_NS1_11comp_targetILNS1_3genE4ELNS1_11target_archE910ELNS1_3gpuE8ELNS1_3repE0EEENS1_30default_config_static_selectorELNS0_4arch9wavefront6targetE0EEEvSY_.num_vgpr, 0
	.set _ZN7rocprim17ROCPRIM_400000_NS6detail17trampoline_kernelINS0_14default_configENS1_27lower_bound_config_selectorIylEEZNS1_14transform_implILb0ES3_S5_N6thrust23THRUST_200600_302600_NS6detail15normal_iteratorINS8_7pointerIyNS8_11hip_rocprim5par_tENS8_11use_defaultESE_EEEENSA_INSB_IlSD_SE_SE_EEEEZNS1_13binary_searchIS3_S5_NSA_INS8_10device_ptrIyEEEESG_SI_NS1_21lower_bound_search_opENS9_16wrapped_functionINS8_6system6detail7generic6detail18binary_search_lessEbEEEE10hipError_tPvRmT1_T2_T3_mmT4_T5_P12ihipStream_tbEUlRKyE_EESV_SZ_S10_mS11_S14_bEUlT_E_NS1_11comp_targetILNS1_3genE4ELNS1_11target_archE910ELNS1_3gpuE8ELNS1_3repE0EEENS1_30default_config_static_selectorELNS0_4arch9wavefront6targetE0EEEvSY_.num_agpr, 0
	.set _ZN7rocprim17ROCPRIM_400000_NS6detail17trampoline_kernelINS0_14default_configENS1_27lower_bound_config_selectorIylEEZNS1_14transform_implILb0ES3_S5_N6thrust23THRUST_200600_302600_NS6detail15normal_iteratorINS8_7pointerIyNS8_11hip_rocprim5par_tENS8_11use_defaultESE_EEEENSA_INSB_IlSD_SE_SE_EEEEZNS1_13binary_searchIS3_S5_NSA_INS8_10device_ptrIyEEEESG_SI_NS1_21lower_bound_search_opENS9_16wrapped_functionINS8_6system6detail7generic6detail18binary_search_lessEbEEEE10hipError_tPvRmT1_T2_T3_mmT4_T5_P12ihipStream_tbEUlRKyE_EESV_SZ_S10_mS11_S14_bEUlT_E_NS1_11comp_targetILNS1_3genE4ELNS1_11target_archE910ELNS1_3gpuE8ELNS1_3repE0EEENS1_30default_config_static_selectorELNS0_4arch9wavefront6targetE0EEEvSY_.numbered_sgpr, 0
	.set _ZN7rocprim17ROCPRIM_400000_NS6detail17trampoline_kernelINS0_14default_configENS1_27lower_bound_config_selectorIylEEZNS1_14transform_implILb0ES3_S5_N6thrust23THRUST_200600_302600_NS6detail15normal_iteratorINS8_7pointerIyNS8_11hip_rocprim5par_tENS8_11use_defaultESE_EEEENSA_INSB_IlSD_SE_SE_EEEEZNS1_13binary_searchIS3_S5_NSA_INS8_10device_ptrIyEEEESG_SI_NS1_21lower_bound_search_opENS9_16wrapped_functionINS8_6system6detail7generic6detail18binary_search_lessEbEEEE10hipError_tPvRmT1_T2_T3_mmT4_T5_P12ihipStream_tbEUlRKyE_EESV_SZ_S10_mS11_S14_bEUlT_E_NS1_11comp_targetILNS1_3genE4ELNS1_11target_archE910ELNS1_3gpuE8ELNS1_3repE0EEENS1_30default_config_static_selectorELNS0_4arch9wavefront6targetE0EEEvSY_.num_named_barrier, 0
	.set _ZN7rocprim17ROCPRIM_400000_NS6detail17trampoline_kernelINS0_14default_configENS1_27lower_bound_config_selectorIylEEZNS1_14transform_implILb0ES3_S5_N6thrust23THRUST_200600_302600_NS6detail15normal_iteratorINS8_7pointerIyNS8_11hip_rocprim5par_tENS8_11use_defaultESE_EEEENSA_INSB_IlSD_SE_SE_EEEEZNS1_13binary_searchIS3_S5_NSA_INS8_10device_ptrIyEEEESG_SI_NS1_21lower_bound_search_opENS9_16wrapped_functionINS8_6system6detail7generic6detail18binary_search_lessEbEEEE10hipError_tPvRmT1_T2_T3_mmT4_T5_P12ihipStream_tbEUlRKyE_EESV_SZ_S10_mS11_S14_bEUlT_E_NS1_11comp_targetILNS1_3genE4ELNS1_11target_archE910ELNS1_3gpuE8ELNS1_3repE0EEENS1_30default_config_static_selectorELNS0_4arch9wavefront6targetE0EEEvSY_.private_seg_size, 0
	.set _ZN7rocprim17ROCPRIM_400000_NS6detail17trampoline_kernelINS0_14default_configENS1_27lower_bound_config_selectorIylEEZNS1_14transform_implILb0ES3_S5_N6thrust23THRUST_200600_302600_NS6detail15normal_iteratorINS8_7pointerIyNS8_11hip_rocprim5par_tENS8_11use_defaultESE_EEEENSA_INSB_IlSD_SE_SE_EEEEZNS1_13binary_searchIS3_S5_NSA_INS8_10device_ptrIyEEEESG_SI_NS1_21lower_bound_search_opENS9_16wrapped_functionINS8_6system6detail7generic6detail18binary_search_lessEbEEEE10hipError_tPvRmT1_T2_T3_mmT4_T5_P12ihipStream_tbEUlRKyE_EESV_SZ_S10_mS11_S14_bEUlT_E_NS1_11comp_targetILNS1_3genE4ELNS1_11target_archE910ELNS1_3gpuE8ELNS1_3repE0EEENS1_30default_config_static_selectorELNS0_4arch9wavefront6targetE0EEEvSY_.uses_vcc, 0
	.set _ZN7rocprim17ROCPRIM_400000_NS6detail17trampoline_kernelINS0_14default_configENS1_27lower_bound_config_selectorIylEEZNS1_14transform_implILb0ES3_S5_N6thrust23THRUST_200600_302600_NS6detail15normal_iteratorINS8_7pointerIyNS8_11hip_rocprim5par_tENS8_11use_defaultESE_EEEENSA_INSB_IlSD_SE_SE_EEEEZNS1_13binary_searchIS3_S5_NSA_INS8_10device_ptrIyEEEESG_SI_NS1_21lower_bound_search_opENS9_16wrapped_functionINS8_6system6detail7generic6detail18binary_search_lessEbEEEE10hipError_tPvRmT1_T2_T3_mmT4_T5_P12ihipStream_tbEUlRKyE_EESV_SZ_S10_mS11_S14_bEUlT_E_NS1_11comp_targetILNS1_3genE4ELNS1_11target_archE910ELNS1_3gpuE8ELNS1_3repE0EEENS1_30default_config_static_selectorELNS0_4arch9wavefront6targetE0EEEvSY_.uses_flat_scratch, 0
	.set _ZN7rocprim17ROCPRIM_400000_NS6detail17trampoline_kernelINS0_14default_configENS1_27lower_bound_config_selectorIylEEZNS1_14transform_implILb0ES3_S5_N6thrust23THRUST_200600_302600_NS6detail15normal_iteratorINS8_7pointerIyNS8_11hip_rocprim5par_tENS8_11use_defaultESE_EEEENSA_INSB_IlSD_SE_SE_EEEEZNS1_13binary_searchIS3_S5_NSA_INS8_10device_ptrIyEEEESG_SI_NS1_21lower_bound_search_opENS9_16wrapped_functionINS8_6system6detail7generic6detail18binary_search_lessEbEEEE10hipError_tPvRmT1_T2_T3_mmT4_T5_P12ihipStream_tbEUlRKyE_EESV_SZ_S10_mS11_S14_bEUlT_E_NS1_11comp_targetILNS1_3genE4ELNS1_11target_archE910ELNS1_3gpuE8ELNS1_3repE0EEENS1_30default_config_static_selectorELNS0_4arch9wavefront6targetE0EEEvSY_.has_dyn_sized_stack, 0
	.set _ZN7rocprim17ROCPRIM_400000_NS6detail17trampoline_kernelINS0_14default_configENS1_27lower_bound_config_selectorIylEEZNS1_14transform_implILb0ES3_S5_N6thrust23THRUST_200600_302600_NS6detail15normal_iteratorINS8_7pointerIyNS8_11hip_rocprim5par_tENS8_11use_defaultESE_EEEENSA_INSB_IlSD_SE_SE_EEEEZNS1_13binary_searchIS3_S5_NSA_INS8_10device_ptrIyEEEESG_SI_NS1_21lower_bound_search_opENS9_16wrapped_functionINS8_6system6detail7generic6detail18binary_search_lessEbEEEE10hipError_tPvRmT1_T2_T3_mmT4_T5_P12ihipStream_tbEUlRKyE_EESV_SZ_S10_mS11_S14_bEUlT_E_NS1_11comp_targetILNS1_3genE4ELNS1_11target_archE910ELNS1_3gpuE8ELNS1_3repE0EEENS1_30default_config_static_selectorELNS0_4arch9wavefront6targetE0EEEvSY_.has_recursion, 0
	.set _ZN7rocprim17ROCPRIM_400000_NS6detail17trampoline_kernelINS0_14default_configENS1_27lower_bound_config_selectorIylEEZNS1_14transform_implILb0ES3_S5_N6thrust23THRUST_200600_302600_NS6detail15normal_iteratorINS8_7pointerIyNS8_11hip_rocprim5par_tENS8_11use_defaultESE_EEEENSA_INSB_IlSD_SE_SE_EEEEZNS1_13binary_searchIS3_S5_NSA_INS8_10device_ptrIyEEEESG_SI_NS1_21lower_bound_search_opENS9_16wrapped_functionINS8_6system6detail7generic6detail18binary_search_lessEbEEEE10hipError_tPvRmT1_T2_T3_mmT4_T5_P12ihipStream_tbEUlRKyE_EESV_SZ_S10_mS11_S14_bEUlT_E_NS1_11comp_targetILNS1_3genE4ELNS1_11target_archE910ELNS1_3gpuE8ELNS1_3repE0EEENS1_30default_config_static_selectorELNS0_4arch9wavefront6targetE0EEEvSY_.has_indirect_call, 0
	.section	.AMDGPU.csdata,"",@progbits
; Kernel info:
; codeLenInByte = 0
; TotalNumSgprs: 0
; NumVgprs: 0
; ScratchSize: 0
; MemoryBound: 0
; FloatMode: 240
; IeeeMode: 1
; LDSByteSize: 0 bytes/workgroup (compile time only)
; SGPRBlocks: 0
; VGPRBlocks: 0
; NumSGPRsForWavesPerEU: 1
; NumVGPRsForWavesPerEU: 1
; Occupancy: 16
; WaveLimiterHint : 0
; COMPUTE_PGM_RSRC2:SCRATCH_EN: 0
; COMPUTE_PGM_RSRC2:USER_SGPR: 6
; COMPUTE_PGM_RSRC2:TRAP_HANDLER: 0
; COMPUTE_PGM_RSRC2:TGID_X_EN: 1
; COMPUTE_PGM_RSRC2:TGID_Y_EN: 0
; COMPUTE_PGM_RSRC2:TGID_Z_EN: 0
; COMPUTE_PGM_RSRC2:TIDIG_COMP_CNT: 0
	.section	.text._ZN7rocprim17ROCPRIM_400000_NS6detail17trampoline_kernelINS0_14default_configENS1_27lower_bound_config_selectorIylEEZNS1_14transform_implILb0ES3_S5_N6thrust23THRUST_200600_302600_NS6detail15normal_iteratorINS8_7pointerIyNS8_11hip_rocprim5par_tENS8_11use_defaultESE_EEEENSA_INSB_IlSD_SE_SE_EEEEZNS1_13binary_searchIS3_S5_NSA_INS8_10device_ptrIyEEEESG_SI_NS1_21lower_bound_search_opENS9_16wrapped_functionINS8_6system6detail7generic6detail18binary_search_lessEbEEEE10hipError_tPvRmT1_T2_T3_mmT4_T5_P12ihipStream_tbEUlRKyE_EESV_SZ_S10_mS11_S14_bEUlT_E_NS1_11comp_targetILNS1_3genE3ELNS1_11target_archE908ELNS1_3gpuE7ELNS1_3repE0EEENS1_30default_config_static_selectorELNS0_4arch9wavefront6targetE0EEEvSY_,"axG",@progbits,_ZN7rocprim17ROCPRIM_400000_NS6detail17trampoline_kernelINS0_14default_configENS1_27lower_bound_config_selectorIylEEZNS1_14transform_implILb0ES3_S5_N6thrust23THRUST_200600_302600_NS6detail15normal_iteratorINS8_7pointerIyNS8_11hip_rocprim5par_tENS8_11use_defaultESE_EEEENSA_INSB_IlSD_SE_SE_EEEEZNS1_13binary_searchIS3_S5_NSA_INS8_10device_ptrIyEEEESG_SI_NS1_21lower_bound_search_opENS9_16wrapped_functionINS8_6system6detail7generic6detail18binary_search_lessEbEEEE10hipError_tPvRmT1_T2_T3_mmT4_T5_P12ihipStream_tbEUlRKyE_EESV_SZ_S10_mS11_S14_bEUlT_E_NS1_11comp_targetILNS1_3genE3ELNS1_11target_archE908ELNS1_3gpuE7ELNS1_3repE0EEENS1_30default_config_static_selectorELNS0_4arch9wavefront6targetE0EEEvSY_,comdat
	.protected	_ZN7rocprim17ROCPRIM_400000_NS6detail17trampoline_kernelINS0_14default_configENS1_27lower_bound_config_selectorIylEEZNS1_14transform_implILb0ES3_S5_N6thrust23THRUST_200600_302600_NS6detail15normal_iteratorINS8_7pointerIyNS8_11hip_rocprim5par_tENS8_11use_defaultESE_EEEENSA_INSB_IlSD_SE_SE_EEEEZNS1_13binary_searchIS3_S5_NSA_INS8_10device_ptrIyEEEESG_SI_NS1_21lower_bound_search_opENS9_16wrapped_functionINS8_6system6detail7generic6detail18binary_search_lessEbEEEE10hipError_tPvRmT1_T2_T3_mmT4_T5_P12ihipStream_tbEUlRKyE_EESV_SZ_S10_mS11_S14_bEUlT_E_NS1_11comp_targetILNS1_3genE3ELNS1_11target_archE908ELNS1_3gpuE7ELNS1_3repE0EEENS1_30default_config_static_selectorELNS0_4arch9wavefront6targetE0EEEvSY_ ; -- Begin function _ZN7rocprim17ROCPRIM_400000_NS6detail17trampoline_kernelINS0_14default_configENS1_27lower_bound_config_selectorIylEEZNS1_14transform_implILb0ES3_S5_N6thrust23THRUST_200600_302600_NS6detail15normal_iteratorINS8_7pointerIyNS8_11hip_rocprim5par_tENS8_11use_defaultESE_EEEENSA_INSB_IlSD_SE_SE_EEEEZNS1_13binary_searchIS3_S5_NSA_INS8_10device_ptrIyEEEESG_SI_NS1_21lower_bound_search_opENS9_16wrapped_functionINS8_6system6detail7generic6detail18binary_search_lessEbEEEE10hipError_tPvRmT1_T2_T3_mmT4_T5_P12ihipStream_tbEUlRKyE_EESV_SZ_S10_mS11_S14_bEUlT_E_NS1_11comp_targetILNS1_3genE3ELNS1_11target_archE908ELNS1_3gpuE7ELNS1_3repE0EEENS1_30default_config_static_selectorELNS0_4arch9wavefront6targetE0EEEvSY_
	.globl	_ZN7rocprim17ROCPRIM_400000_NS6detail17trampoline_kernelINS0_14default_configENS1_27lower_bound_config_selectorIylEEZNS1_14transform_implILb0ES3_S5_N6thrust23THRUST_200600_302600_NS6detail15normal_iteratorINS8_7pointerIyNS8_11hip_rocprim5par_tENS8_11use_defaultESE_EEEENSA_INSB_IlSD_SE_SE_EEEEZNS1_13binary_searchIS3_S5_NSA_INS8_10device_ptrIyEEEESG_SI_NS1_21lower_bound_search_opENS9_16wrapped_functionINS8_6system6detail7generic6detail18binary_search_lessEbEEEE10hipError_tPvRmT1_T2_T3_mmT4_T5_P12ihipStream_tbEUlRKyE_EESV_SZ_S10_mS11_S14_bEUlT_E_NS1_11comp_targetILNS1_3genE3ELNS1_11target_archE908ELNS1_3gpuE7ELNS1_3repE0EEENS1_30default_config_static_selectorELNS0_4arch9wavefront6targetE0EEEvSY_
	.p2align	8
	.type	_ZN7rocprim17ROCPRIM_400000_NS6detail17trampoline_kernelINS0_14default_configENS1_27lower_bound_config_selectorIylEEZNS1_14transform_implILb0ES3_S5_N6thrust23THRUST_200600_302600_NS6detail15normal_iteratorINS8_7pointerIyNS8_11hip_rocprim5par_tENS8_11use_defaultESE_EEEENSA_INSB_IlSD_SE_SE_EEEEZNS1_13binary_searchIS3_S5_NSA_INS8_10device_ptrIyEEEESG_SI_NS1_21lower_bound_search_opENS9_16wrapped_functionINS8_6system6detail7generic6detail18binary_search_lessEbEEEE10hipError_tPvRmT1_T2_T3_mmT4_T5_P12ihipStream_tbEUlRKyE_EESV_SZ_S10_mS11_S14_bEUlT_E_NS1_11comp_targetILNS1_3genE3ELNS1_11target_archE908ELNS1_3gpuE7ELNS1_3repE0EEENS1_30default_config_static_selectorELNS0_4arch9wavefront6targetE0EEEvSY_,@function
_ZN7rocprim17ROCPRIM_400000_NS6detail17trampoline_kernelINS0_14default_configENS1_27lower_bound_config_selectorIylEEZNS1_14transform_implILb0ES3_S5_N6thrust23THRUST_200600_302600_NS6detail15normal_iteratorINS8_7pointerIyNS8_11hip_rocprim5par_tENS8_11use_defaultESE_EEEENSA_INSB_IlSD_SE_SE_EEEEZNS1_13binary_searchIS3_S5_NSA_INS8_10device_ptrIyEEEESG_SI_NS1_21lower_bound_search_opENS9_16wrapped_functionINS8_6system6detail7generic6detail18binary_search_lessEbEEEE10hipError_tPvRmT1_T2_T3_mmT4_T5_P12ihipStream_tbEUlRKyE_EESV_SZ_S10_mS11_S14_bEUlT_E_NS1_11comp_targetILNS1_3genE3ELNS1_11target_archE908ELNS1_3gpuE7ELNS1_3repE0EEENS1_30default_config_static_selectorELNS0_4arch9wavefront6targetE0EEEvSY_: ; @_ZN7rocprim17ROCPRIM_400000_NS6detail17trampoline_kernelINS0_14default_configENS1_27lower_bound_config_selectorIylEEZNS1_14transform_implILb0ES3_S5_N6thrust23THRUST_200600_302600_NS6detail15normal_iteratorINS8_7pointerIyNS8_11hip_rocprim5par_tENS8_11use_defaultESE_EEEENSA_INSB_IlSD_SE_SE_EEEEZNS1_13binary_searchIS3_S5_NSA_INS8_10device_ptrIyEEEESG_SI_NS1_21lower_bound_search_opENS9_16wrapped_functionINS8_6system6detail7generic6detail18binary_search_lessEbEEEE10hipError_tPvRmT1_T2_T3_mmT4_T5_P12ihipStream_tbEUlRKyE_EESV_SZ_S10_mS11_S14_bEUlT_E_NS1_11comp_targetILNS1_3genE3ELNS1_11target_archE908ELNS1_3gpuE7ELNS1_3repE0EEENS1_30default_config_static_selectorELNS0_4arch9wavefront6targetE0EEEvSY_
; %bb.0:
	.section	.rodata,"a",@progbits
	.p2align	6, 0x0
	.amdhsa_kernel _ZN7rocprim17ROCPRIM_400000_NS6detail17trampoline_kernelINS0_14default_configENS1_27lower_bound_config_selectorIylEEZNS1_14transform_implILb0ES3_S5_N6thrust23THRUST_200600_302600_NS6detail15normal_iteratorINS8_7pointerIyNS8_11hip_rocprim5par_tENS8_11use_defaultESE_EEEENSA_INSB_IlSD_SE_SE_EEEEZNS1_13binary_searchIS3_S5_NSA_INS8_10device_ptrIyEEEESG_SI_NS1_21lower_bound_search_opENS9_16wrapped_functionINS8_6system6detail7generic6detail18binary_search_lessEbEEEE10hipError_tPvRmT1_T2_T3_mmT4_T5_P12ihipStream_tbEUlRKyE_EESV_SZ_S10_mS11_S14_bEUlT_E_NS1_11comp_targetILNS1_3genE3ELNS1_11target_archE908ELNS1_3gpuE7ELNS1_3repE0EEENS1_30default_config_static_selectorELNS0_4arch9wavefront6targetE0EEEvSY_
		.amdhsa_group_segment_fixed_size 0
		.amdhsa_private_segment_fixed_size 0
		.amdhsa_kernarg_size 56
		.amdhsa_user_sgpr_count 6
		.amdhsa_user_sgpr_private_segment_buffer 1
		.amdhsa_user_sgpr_dispatch_ptr 0
		.amdhsa_user_sgpr_queue_ptr 0
		.amdhsa_user_sgpr_kernarg_segment_ptr 1
		.amdhsa_user_sgpr_dispatch_id 0
		.amdhsa_user_sgpr_flat_scratch_init 0
		.amdhsa_user_sgpr_private_segment_size 0
		.amdhsa_wavefront_size32 1
		.amdhsa_uses_dynamic_stack 0
		.amdhsa_system_sgpr_private_segment_wavefront_offset 0
		.amdhsa_system_sgpr_workgroup_id_x 1
		.amdhsa_system_sgpr_workgroup_id_y 0
		.amdhsa_system_sgpr_workgroup_id_z 0
		.amdhsa_system_sgpr_workgroup_info 0
		.amdhsa_system_vgpr_workitem_id 0
		.amdhsa_next_free_vgpr 1
		.amdhsa_next_free_sgpr 1
		.amdhsa_reserve_vcc 0
		.amdhsa_reserve_flat_scratch 0
		.amdhsa_float_round_mode_32 0
		.amdhsa_float_round_mode_16_64 0
		.amdhsa_float_denorm_mode_32 3
		.amdhsa_float_denorm_mode_16_64 3
		.amdhsa_dx10_clamp 1
		.amdhsa_ieee_mode 1
		.amdhsa_fp16_overflow 0
		.amdhsa_workgroup_processor_mode 1
		.amdhsa_memory_ordered 1
		.amdhsa_forward_progress 1
		.amdhsa_shared_vgpr_count 0
		.amdhsa_exception_fp_ieee_invalid_op 0
		.amdhsa_exception_fp_denorm_src 0
		.amdhsa_exception_fp_ieee_div_zero 0
		.amdhsa_exception_fp_ieee_overflow 0
		.amdhsa_exception_fp_ieee_underflow 0
		.amdhsa_exception_fp_ieee_inexact 0
		.amdhsa_exception_int_div_zero 0
	.end_amdhsa_kernel
	.section	.text._ZN7rocprim17ROCPRIM_400000_NS6detail17trampoline_kernelINS0_14default_configENS1_27lower_bound_config_selectorIylEEZNS1_14transform_implILb0ES3_S5_N6thrust23THRUST_200600_302600_NS6detail15normal_iteratorINS8_7pointerIyNS8_11hip_rocprim5par_tENS8_11use_defaultESE_EEEENSA_INSB_IlSD_SE_SE_EEEEZNS1_13binary_searchIS3_S5_NSA_INS8_10device_ptrIyEEEESG_SI_NS1_21lower_bound_search_opENS9_16wrapped_functionINS8_6system6detail7generic6detail18binary_search_lessEbEEEE10hipError_tPvRmT1_T2_T3_mmT4_T5_P12ihipStream_tbEUlRKyE_EESV_SZ_S10_mS11_S14_bEUlT_E_NS1_11comp_targetILNS1_3genE3ELNS1_11target_archE908ELNS1_3gpuE7ELNS1_3repE0EEENS1_30default_config_static_selectorELNS0_4arch9wavefront6targetE0EEEvSY_,"axG",@progbits,_ZN7rocprim17ROCPRIM_400000_NS6detail17trampoline_kernelINS0_14default_configENS1_27lower_bound_config_selectorIylEEZNS1_14transform_implILb0ES3_S5_N6thrust23THRUST_200600_302600_NS6detail15normal_iteratorINS8_7pointerIyNS8_11hip_rocprim5par_tENS8_11use_defaultESE_EEEENSA_INSB_IlSD_SE_SE_EEEEZNS1_13binary_searchIS3_S5_NSA_INS8_10device_ptrIyEEEESG_SI_NS1_21lower_bound_search_opENS9_16wrapped_functionINS8_6system6detail7generic6detail18binary_search_lessEbEEEE10hipError_tPvRmT1_T2_T3_mmT4_T5_P12ihipStream_tbEUlRKyE_EESV_SZ_S10_mS11_S14_bEUlT_E_NS1_11comp_targetILNS1_3genE3ELNS1_11target_archE908ELNS1_3gpuE7ELNS1_3repE0EEENS1_30default_config_static_selectorELNS0_4arch9wavefront6targetE0EEEvSY_,comdat
.Lfunc_end361:
	.size	_ZN7rocprim17ROCPRIM_400000_NS6detail17trampoline_kernelINS0_14default_configENS1_27lower_bound_config_selectorIylEEZNS1_14transform_implILb0ES3_S5_N6thrust23THRUST_200600_302600_NS6detail15normal_iteratorINS8_7pointerIyNS8_11hip_rocprim5par_tENS8_11use_defaultESE_EEEENSA_INSB_IlSD_SE_SE_EEEEZNS1_13binary_searchIS3_S5_NSA_INS8_10device_ptrIyEEEESG_SI_NS1_21lower_bound_search_opENS9_16wrapped_functionINS8_6system6detail7generic6detail18binary_search_lessEbEEEE10hipError_tPvRmT1_T2_T3_mmT4_T5_P12ihipStream_tbEUlRKyE_EESV_SZ_S10_mS11_S14_bEUlT_E_NS1_11comp_targetILNS1_3genE3ELNS1_11target_archE908ELNS1_3gpuE7ELNS1_3repE0EEENS1_30default_config_static_selectorELNS0_4arch9wavefront6targetE0EEEvSY_, .Lfunc_end361-_ZN7rocprim17ROCPRIM_400000_NS6detail17trampoline_kernelINS0_14default_configENS1_27lower_bound_config_selectorIylEEZNS1_14transform_implILb0ES3_S5_N6thrust23THRUST_200600_302600_NS6detail15normal_iteratorINS8_7pointerIyNS8_11hip_rocprim5par_tENS8_11use_defaultESE_EEEENSA_INSB_IlSD_SE_SE_EEEEZNS1_13binary_searchIS3_S5_NSA_INS8_10device_ptrIyEEEESG_SI_NS1_21lower_bound_search_opENS9_16wrapped_functionINS8_6system6detail7generic6detail18binary_search_lessEbEEEE10hipError_tPvRmT1_T2_T3_mmT4_T5_P12ihipStream_tbEUlRKyE_EESV_SZ_S10_mS11_S14_bEUlT_E_NS1_11comp_targetILNS1_3genE3ELNS1_11target_archE908ELNS1_3gpuE7ELNS1_3repE0EEENS1_30default_config_static_selectorELNS0_4arch9wavefront6targetE0EEEvSY_
                                        ; -- End function
	.set _ZN7rocprim17ROCPRIM_400000_NS6detail17trampoline_kernelINS0_14default_configENS1_27lower_bound_config_selectorIylEEZNS1_14transform_implILb0ES3_S5_N6thrust23THRUST_200600_302600_NS6detail15normal_iteratorINS8_7pointerIyNS8_11hip_rocprim5par_tENS8_11use_defaultESE_EEEENSA_INSB_IlSD_SE_SE_EEEEZNS1_13binary_searchIS3_S5_NSA_INS8_10device_ptrIyEEEESG_SI_NS1_21lower_bound_search_opENS9_16wrapped_functionINS8_6system6detail7generic6detail18binary_search_lessEbEEEE10hipError_tPvRmT1_T2_T3_mmT4_T5_P12ihipStream_tbEUlRKyE_EESV_SZ_S10_mS11_S14_bEUlT_E_NS1_11comp_targetILNS1_3genE3ELNS1_11target_archE908ELNS1_3gpuE7ELNS1_3repE0EEENS1_30default_config_static_selectorELNS0_4arch9wavefront6targetE0EEEvSY_.num_vgpr, 0
	.set _ZN7rocprim17ROCPRIM_400000_NS6detail17trampoline_kernelINS0_14default_configENS1_27lower_bound_config_selectorIylEEZNS1_14transform_implILb0ES3_S5_N6thrust23THRUST_200600_302600_NS6detail15normal_iteratorINS8_7pointerIyNS8_11hip_rocprim5par_tENS8_11use_defaultESE_EEEENSA_INSB_IlSD_SE_SE_EEEEZNS1_13binary_searchIS3_S5_NSA_INS8_10device_ptrIyEEEESG_SI_NS1_21lower_bound_search_opENS9_16wrapped_functionINS8_6system6detail7generic6detail18binary_search_lessEbEEEE10hipError_tPvRmT1_T2_T3_mmT4_T5_P12ihipStream_tbEUlRKyE_EESV_SZ_S10_mS11_S14_bEUlT_E_NS1_11comp_targetILNS1_3genE3ELNS1_11target_archE908ELNS1_3gpuE7ELNS1_3repE0EEENS1_30default_config_static_selectorELNS0_4arch9wavefront6targetE0EEEvSY_.num_agpr, 0
	.set _ZN7rocprim17ROCPRIM_400000_NS6detail17trampoline_kernelINS0_14default_configENS1_27lower_bound_config_selectorIylEEZNS1_14transform_implILb0ES3_S5_N6thrust23THRUST_200600_302600_NS6detail15normal_iteratorINS8_7pointerIyNS8_11hip_rocprim5par_tENS8_11use_defaultESE_EEEENSA_INSB_IlSD_SE_SE_EEEEZNS1_13binary_searchIS3_S5_NSA_INS8_10device_ptrIyEEEESG_SI_NS1_21lower_bound_search_opENS9_16wrapped_functionINS8_6system6detail7generic6detail18binary_search_lessEbEEEE10hipError_tPvRmT1_T2_T3_mmT4_T5_P12ihipStream_tbEUlRKyE_EESV_SZ_S10_mS11_S14_bEUlT_E_NS1_11comp_targetILNS1_3genE3ELNS1_11target_archE908ELNS1_3gpuE7ELNS1_3repE0EEENS1_30default_config_static_selectorELNS0_4arch9wavefront6targetE0EEEvSY_.numbered_sgpr, 0
	.set _ZN7rocprim17ROCPRIM_400000_NS6detail17trampoline_kernelINS0_14default_configENS1_27lower_bound_config_selectorIylEEZNS1_14transform_implILb0ES3_S5_N6thrust23THRUST_200600_302600_NS6detail15normal_iteratorINS8_7pointerIyNS8_11hip_rocprim5par_tENS8_11use_defaultESE_EEEENSA_INSB_IlSD_SE_SE_EEEEZNS1_13binary_searchIS3_S5_NSA_INS8_10device_ptrIyEEEESG_SI_NS1_21lower_bound_search_opENS9_16wrapped_functionINS8_6system6detail7generic6detail18binary_search_lessEbEEEE10hipError_tPvRmT1_T2_T3_mmT4_T5_P12ihipStream_tbEUlRKyE_EESV_SZ_S10_mS11_S14_bEUlT_E_NS1_11comp_targetILNS1_3genE3ELNS1_11target_archE908ELNS1_3gpuE7ELNS1_3repE0EEENS1_30default_config_static_selectorELNS0_4arch9wavefront6targetE0EEEvSY_.num_named_barrier, 0
	.set _ZN7rocprim17ROCPRIM_400000_NS6detail17trampoline_kernelINS0_14default_configENS1_27lower_bound_config_selectorIylEEZNS1_14transform_implILb0ES3_S5_N6thrust23THRUST_200600_302600_NS6detail15normal_iteratorINS8_7pointerIyNS8_11hip_rocprim5par_tENS8_11use_defaultESE_EEEENSA_INSB_IlSD_SE_SE_EEEEZNS1_13binary_searchIS3_S5_NSA_INS8_10device_ptrIyEEEESG_SI_NS1_21lower_bound_search_opENS9_16wrapped_functionINS8_6system6detail7generic6detail18binary_search_lessEbEEEE10hipError_tPvRmT1_T2_T3_mmT4_T5_P12ihipStream_tbEUlRKyE_EESV_SZ_S10_mS11_S14_bEUlT_E_NS1_11comp_targetILNS1_3genE3ELNS1_11target_archE908ELNS1_3gpuE7ELNS1_3repE0EEENS1_30default_config_static_selectorELNS0_4arch9wavefront6targetE0EEEvSY_.private_seg_size, 0
	.set _ZN7rocprim17ROCPRIM_400000_NS6detail17trampoline_kernelINS0_14default_configENS1_27lower_bound_config_selectorIylEEZNS1_14transform_implILb0ES3_S5_N6thrust23THRUST_200600_302600_NS6detail15normal_iteratorINS8_7pointerIyNS8_11hip_rocprim5par_tENS8_11use_defaultESE_EEEENSA_INSB_IlSD_SE_SE_EEEEZNS1_13binary_searchIS3_S5_NSA_INS8_10device_ptrIyEEEESG_SI_NS1_21lower_bound_search_opENS9_16wrapped_functionINS8_6system6detail7generic6detail18binary_search_lessEbEEEE10hipError_tPvRmT1_T2_T3_mmT4_T5_P12ihipStream_tbEUlRKyE_EESV_SZ_S10_mS11_S14_bEUlT_E_NS1_11comp_targetILNS1_3genE3ELNS1_11target_archE908ELNS1_3gpuE7ELNS1_3repE0EEENS1_30default_config_static_selectorELNS0_4arch9wavefront6targetE0EEEvSY_.uses_vcc, 0
	.set _ZN7rocprim17ROCPRIM_400000_NS6detail17trampoline_kernelINS0_14default_configENS1_27lower_bound_config_selectorIylEEZNS1_14transform_implILb0ES3_S5_N6thrust23THRUST_200600_302600_NS6detail15normal_iteratorINS8_7pointerIyNS8_11hip_rocprim5par_tENS8_11use_defaultESE_EEEENSA_INSB_IlSD_SE_SE_EEEEZNS1_13binary_searchIS3_S5_NSA_INS8_10device_ptrIyEEEESG_SI_NS1_21lower_bound_search_opENS9_16wrapped_functionINS8_6system6detail7generic6detail18binary_search_lessEbEEEE10hipError_tPvRmT1_T2_T3_mmT4_T5_P12ihipStream_tbEUlRKyE_EESV_SZ_S10_mS11_S14_bEUlT_E_NS1_11comp_targetILNS1_3genE3ELNS1_11target_archE908ELNS1_3gpuE7ELNS1_3repE0EEENS1_30default_config_static_selectorELNS0_4arch9wavefront6targetE0EEEvSY_.uses_flat_scratch, 0
	.set _ZN7rocprim17ROCPRIM_400000_NS6detail17trampoline_kernelINS0_14default_configENS1_27lower_bound_config_selectorIylEEZNS1_14transform_implILb0ES3_S5_N6thrust23THRUST_200600_302600_NS6detail15normal_iteratorINS8_7pointerIyNS8_11hip_rocprim5par_tENS8_11use_defaultESE_EEEENSA_INSB_IlSD_SE_SE_EEEEZNS1_13binary_searchIS3_S5_NSA_INS8_10device_ptrIyEEEESG_SI_NS1_21lower_bound_search_opENS9_16wrapped_functionINS8_6system6detail7generic6detail18binary_search_lessEbEEEE10hipError_tPvRmT1_T2_T3_mmT4_T5_P12ihipStream_tbEUlRKyE_EESV_SZ_S10_mS11_S14_bEUlT_E_NS1_11comp_targetILNS1_3genE3ELNS1_11target_archE908ELNS1_3gpuE7ELNS1_3repE0EEENS1_30default_config_static_selectorELNS0_4arch9wavefront6targetE0EEEvSY_.has_dyn_sized_stack, 0
	.set _ZN7rocprim17ROCPRIM_400000_NS6detail17trampoline_kernelINS0_14default_configENS1_27lower_bound_config_selectorIylEEZNS1_14transform_implILb0ES3_S5_N6thrust23THRUST_200600_302600_NS6detail15normal_iteratorINS8_7pointerIyNS8_11hip_rocprim5par_tENS8_11use_defaultESE_EEEENSA_INSB_IlSD_SE_SE_EEEEZNS1_13binary_searchIS3_S5_NSA_INS8_10device_ptrIyEEEESG_SI_NS1_21lower_bound_search_opENS9_16wrapped_functionINS8_6system6detail7generic6detail18binary_search_lessEbEEEE10hipError_tPvRmT1_T2_T3_mmT4_T5_P12ihipStream_tbEUlRKyE_EESV_SZ_S10_mS11_S14_bEUlT_E_NS1_11comp_targetILNS1_3genE3ELNS1_11target_archE908ELNS1_3gpuE7ELNS1_3repE0EEENS1_30default_config_static_selectorELNS0_4arch9wavefront6targetE0EEEvSY_.has_recursion, 0
	.set _ZN7rocprim17ROCPRIM_400000_NS6detail17trampoline_kernelINS0_14default_configENS1_27lower_bound_config_selectorIylEEZNS1_14transform_implILb0ES3_S5_N6thrust23THRUST_200600_302600_NS6detail15normal_iteratorINS8_7pointerIyNS8_11hip_rocprim5par_tENS8_11use_defaultESE_EEEENSA_INSB_IlSD_SE_SE_EEEEZNS1_13binary_searchIS3_S5_NSA_INS8_10device_ptrIyEEEESG_SI_NS1_21lower_bound_search_opENS9_16wrapped_functionINS8_6system6detail7generic6detail18binary_search_lessEbEEEE10hipError_tPvRmT1_T2_T3_mmT4_T5_P12ihipStream_tbEUlRKyE_EESV_SZ_S10_mS11_S14_bEUlT_E_NS1_11comp_targetILNS1_3genE3ELNS1_11target_archE908ELNS1_3gpuE7ELNS1_3repE0EEENS1_30default_config_static_selectorELNS0_4arch9wavefront6targetE0EEEvSY_.has_indirect_call, 0
	.section	.AMDGPU.csdata,"",@progbits
; Kernel info:
; codeLenInByte = 0
; TotalNumSgprs: 0
; NumVgprs: 0
; ScratchSize: 0
; MemoryBound: 0
; FloatMode: 240
; IeeeMode: 1
; LDSByteSize: 0 bytes/workgroup (compile time only)
; SGPRBlocks: 0
; VGPRBlocks: 0
; NumSGPRsForWavesPerEU: 1
; NumVGPRsForWavesPerEU: 1
; Occupancy: 16
; WaveLimiterHint : 0
; COMPUTE_PGM_RSRC2:SCRATCH_EN: 0
; COMPUTE_PGM_RSRC2:USER_SGPR: 6
; COMPUTE_PGM_RSRC2:TRAP_HANDLER: 0
; COMPUTE_PGM_RSRC2:TGID_X_EN: 1
; COMPUTE_PGM_RSRC2:TGID_Y_EN: 0
; COMPUTE_PGM_RSRC2:TGID_Z_EN: 0
; COMPUTE_PGM_RSRC2:TIDIG_COMP_CNT: 0
	.section	.text._ZN7rocprim17ROCPRIM_400000_NS6detail17trampoline_kernelINS0_14default_configENS1_27lower_bound_config_selectorIylEEZNS1_14transform_implILb0ES3_S5_N6thrust23THRUST_200600_302600_NS6detail15normal_iteratorINS8_7pointerIyNS8_11hip_rocprim5par_tENS8_11use_defaultESE_EEEENSA_INSB_IlSD_SE_SE_EEEEZNS1_13binary_searchIS3_S5_NSA_INS8_10device_ptrIyEEEESG_SI_NS1_21lower_bound_search_opENS9_16wrapped_functionINS8_6system6detail7generic6detail18binary_search_lessEbEEEE10hipError_tPvRmT1_T2_T3_mmT4_T5_P12ihipStream_tbEUlRKyE_EESV_SZ_S10_mS11_S14_bEUlT_E_NS1_11comp_targetILNS1_3genE2ELNS1_11target_archE906ELNS1_3gpuE6ELNS1_3repE0EEENS1_30default_config_static_selectorELNS0_4arch9wavefront6targetE0EEEvSY_,"axG",@progbits,_ZN7rocprim17ROCPRIM_400000_NS6detail17trampoline_kernelINS0_14default_configENS1_27lower_bound_config_selectorIylEEZNS1_14transform_implILb0ES3_S5_N6thrust23THRUST_200600_302600_NS6detail15normal_iteratorINS8_7pointerIyNS8_11hip_rocprim5par_tENS8_11use_defaultESE_EEEENSA_INSB_IlSD_SE_SE_EEEEZNS1_13binary_searchIS3_S5_NSA_INS8_10device_ptrIyEEEESG_SI_NS1_21lower_bound_search_opENS9_16wrapped_functionINS8_6system6detail7generic6detail18binary_search_lessEbEEEE10hipError_tPvRmT1_T2_T3_mmT4_T5_P12ihipStream_tbEUlRKyE_EESV_SZ_S10_mS11_S14_bEUlT_E_NS1_11comp_targetILNS1_3genE2ELNS1_11target_archE906ELNS1_3gpuE6ELNS1_3repE0EEENS1_30default_config_static_selectorELNS0_4arch9wavefront6targetE0EEEvSY_,comdat
	.protected	_ZN7rocprim17ROCPRIM_400000_NS6detail17trampoline_kernelINS0_14default_configENS1_27lower_bound_config_selectorIylEEZNS1_14transform_implILb0ES3_S5_N6thrust23THRUST_200600_302600_NS6detail15normal_iteratorINS8_7pointerIyNS8_11hip_rocprim5par_tENS8_11use_defaultESE_EEEENSA_INSB_IlSD_SE_SE_EEEEZNS1_13binary_searchIS3_S5_NSA_INS8_10device_ptrIyEEEESG_SI_NS1_21lower_bound_search_opENS9_16wrapped_functionINS8_6system6detail7generic6detail18binary_search_lessEbEEEE10hipError_tPvRmT1_T2_T3_mmT4_T5_P12ihipStream_tbEUlRKyE_EESV_SZ_S10_mS11_S14_bEUlT_E_NS1_11comp_targetILNS1_3genE2ELNS1_11target_archE906ELNS1_3gpuE6ELNS1_3repE0EEENS1_30default_config_static_selectorELNS0_4arch9wavefront6targetE0EEEvSY_ ; -- Begin function _ZN7rocprim17ROCPRIM_400000_NS6detail17trampoline_kernelINS0_14default_configENS1_27lower_bound_config_selectorIylEEZNS1_14transform_implILb0ES3_S5_N6thrust23THRUST_200600_302600_NS6detail15normal_iteratorINS8_7pointerIyNS8_11hip_rocprim5par_tENS8_11use_defaultESE_EEEENSA_INSB_IlSD_SE_SE_EEEEZNS1_13binary_searchIS3_S5_NSA_INS8_10device_ptrIyEEEESG_SI_NS1_21lower_bound_search_opENS9_16wrapped_functionINS8_6system6detail7generic6detail18binary_search_lessEbEEEE10hipError_tPvRmT1_T2_T3_mmT4_T5_P12ihipStream_tbEUlRKyE_EESV_SZ_S10_mS11_S14_bEUlT_E_NS1_11comp_targetILNS1_3genE2ELNS1_11target_archE906ELNS1_3gpuE6ELNS1_3repE0EEENS1_30default_config_static_selectorELNS0_4arch9wavefront6targetE0EEEvSY_
	.globl	_ZN7rocprim17ROCPRIM_400000_NS6detail17trampoline_kernelINS0_14default_configENS1_27lower_bound_config_selectorIylEEZNS1_14transform_implILb0ES3_S5_N6thrust23THRUST_200600_302600_NS6detail15normal_iteratorINS8_7pointerIyNS8_11hip_rocprim5par_tENS8_11use_defaultESE_EEEENSA_INSB_IlSD_SE_SE_EEEEZNS1_13binary_searchIS3_S5_NSA_INS8_10device_ptrIyEEEESG_SI_NS1_21lower_bound_search_opENS9_16wrapped_functionINS8_6system6detail7generic6detail18binary_search_lessEbEEEE10hipError_tPvRmT1_T2_T3_mmT4_T5_P12ihipStream_tbEUlRKyE_EESV_SZ_S10_mS11_S14_bEUlT_E_NS1_11comp_targetILNS1_3genE2ELNS1_11target_archE906ELNS1_3gpuE6ELNS1_3repE0EEENS1_30default_config_static_selectorELNS0_4arch9wavefront6targetE0EEEvSY_
	.p2align	8
	.type	_ZN7rocprim17ROCPRIM_400000_NS6detail17trampoline_kernelINS0_14default_configENS1_27lower_bound_config_selectorIylEEZNS1_14transform_implILb0ES3_S5_N6thrust23THRUST_200600_302600_NS6detail15normal_iteratorINS8_7pointerIyNS8_11hip_rocprim5par_tENS8_11use_defaultESE_EEEENSA_INSB_IlSD_SE_SE_EEEEZNS1_13binary_searchIS3_S5_NSA_INS8_10device_ptrIyEEEESG_SI_NS1_21lower_bound_search_opENS9_16wrapped_functionINS8_6system6detail7generic6detail18binary_search_lessEbEEEE10hipError_tPvRmT1_T2_T3_mmT4_T5_P12ihipStream_tbEUlRKyE_EESV_SZ_S10_mS11_S14_bEUlT_E_NS1_11comp_targetILNS1_3genE2ELNS1_11target_archE906ELNS1_3gpuE6ELNS1_3repE0EEENS1_30default_config_static_selectorELNS0_4arch9wavefront6targetE0EEEvSY_,@function
_ZN7rocprim17ROCPRIM_400000_NS6detail17trampoline_kernelINS0_14default_configENS1_27lower_bound_config_selectorIylEEZNS1_14transform_implILb0ES3_S5_N6thrust23THRUST_200600_302600_NS6detail15normal_iteratorINS8_7pointerIyNS8_11hip_rocprim5par_tENS8_11use_defaultESE_EEEENSA_INSB_IlSD_SE_SE_EEEEZNS1_13binary_searchIS3_S5_NSA_INS8_10device_ptrIyEEEESG_SI_NS1_21lower_bound_search_opENS9_16wrapped_functionINS8_6system6detail7generic6detail18binary_search_lessEbEEEE10hipError_tPvRmT1_T2_T3_mmT4_T5_P12ihipStream_tbEUlRKyE_EESV_SZ_S10_mS11_S14_bEUlT_E_NS1_11comp_targetILNS1_3genE2ELNS1_11target_archE906ELNS1_3gpuE6ELNS1_3repE0EEENS1_30default_config_static_selectorELNS0_4arch9wavefront6targetE0EEEvSY_: ; @_ZN7rocprim17ROCPRIM_400000_NS6detail17trampoline_kernelINS0_14default_configENS1_27lower_bound_config_selectorIylEEZNS1_14transform_implILb0ES3_S5_N6thrust23THRUST_200600_302600_NS6detail15normal_iteratorINS8_7pointerIyNS8_11hip_rocprim5par_tENS8_11use_defaultESE_EEEENSA_INSB_IlSD_SE_SE_EEEEZNS1_13binary_searchIS3_S5_NSA_INS8_10device_ptrIyEEEESG_SI_NS1_21lower_bound_search_opENS9_16wrapped_functionINS8_6system6detail7generic6detail18binary_search_lessEbEEEE10hipError_tPvRmT1_T2_T3_mmT4_T5_P12ihipStream_tbEUlRKyE_EESV_SZ_S10_mS11_S14_bEUlT_E_NS1_11comp_targetILNS1_3genE2ELNS1_11target_archE906ELNS1_3gpuE6ELNS1_3repE0EEENS1_30default_config_static_selectorELNS0_4arch9wavefront6targetE0EEEvSY_
; %bb.0:
	.section	.rodata,"a",@progbits
	.p2align	6, 0x0
	.amdhsa_kernel _ZN7rocprim17ROCPRIM_400000_NS6detail17trampoline_kernelINS0_14default_configENS1_27lower_bound_config_selectorIylEEZNS1_14transform_implILb0ES3_S5_N6thrust23THRUST_200600_302600_NS6detail15normal_iteratorINS8_7pointerIyNS8_11hip_rocprim5par_tENS8_11use_defaultESE_EEEENSA_INSB_IlSD_SE_SE_EEEEZNS1_13binary_searchIS3_S5_NSA_INS8_10device_ptrIyEEEESG_SI_NS1_21lower_bound_search_opENS9_16wrapped_functionINS8_6system6detail7generic6detail18binary_search_lessEbEEEE10hipError_tPvRmT1_T2_T3_mmT4_T5_P12ihipStream_tbEUlRKyE_EESV_SZ_S10_mS11_S14_bEUlT_E_NS1_11comp_targetILNS1_3genE2ELNS1_11target_archE906ELNS1_3gpuE6ELNS1_3repE0EEENS1_30default_config_static_selectorELNS0_4arch9wavefront6targetE0EEEvSY_
		.amdhsa_group_segment_fixed_size 0
		.amdhsa_private_segment_fixed_size 0
		.amdhsa_kernarg_size 56
		.amdhsa_user_sgpr_count 6
		.amdhsa_user_sgpr_private_segment_buffer 1
		.amdhsa_user_sgpr_dispatch_ptr 0
		.amdhsa_user_sgpr_queue_ptr 0
		.amdhsa_user_sgpr_kernarg_segment_ptr 1
		.amdhsa_user_sgpr_dispatch_id 0
		.amdhsa_user_sgpr_flat_scratch_init 0
		.amdhsa_user_sgpr_private_segment_size 0
		.amdhsa_wavefront_size32 1
		.amdhsa_uses_dynamic_stack 0
		.amdhsa_system_sgpr_private_segment_wavefront_offset 0
		.amdhsa_system_sgpr_workgroup_id_x 1
		.amdhsa_system_sgpr_workgroup_id_y 0
		.amdhsa_system_sgpr_workgroup_id_z 0
		.amdhsa_system_sgpr_workgroup_info 0
		.amdhsa_system_vgpr_workitem_id 0
		.amdhsa_next_free_vgpr 1
		.amdhsa_next_free_sgpr 1
		.amdhsa_reserve_vcc 0
		.amdhsa_reserve_flat_scratch 0
		.amdhsa_float_round_mode_32 0
		.amdhsa_float_round_mode_16_64 0
		.amdhsa_float_denorm_mode_32 3
		.amdhsa_float_denorm_mode_16_64 3
		.amdhsa_dx10_clamp 1
		.amdhsa_ieee_mode 1
		.amdhsa_fp16_overflow 0
		.amdhsa_workgroup_processor_mode 1
		.amdhsa_memory_ordered 1
		.amdhsa_forward_progress 1
		.amdhsa_shared_vgpr_count 0
		.amdhsa_exception_fp_ieee_invalid_op 0
		.amdhsa_exception_fp_denorm_src 0
		.amdhsa_exception_fp_ieee_div_zero 0
		.amdhsa_exception_fp_ieee_overflow 0
		.amdhsa_exception_fp_ieee_underflow 0
		.amdhsa_exception_fp_ieee_inexact 0
		.amdhsa_exception_int_div_zero 0
	.end_amdhsa_kernel
	.section	.text._ZN7rocprim17ROCPRIM_400000_NS6detail17trampoline_kernelINS0_14default_configENS1_27lower_bound_config_selectorIylEEZNS1_14transform_implILb0ES3_S5_N6thrust23THRUST_200600_302600_NS6detail15normal_iteratorINS8_7pointerIyNS8_11hip_rocprim5par_tENS8_11use_defaultESE_EEEENSA_INSB_IlSD_SE_SE_EEEEZNS1_13binary_searchIS3_S5_NSA_INS8_10device_ptrIyEEEESG_SI_NS1_21lower_bound_search_opENS9_16wrapped_functionINS8_6system6detail7generic6detail18binary_search_lessEbEEEE10hipError_tPvRmT1_T2_T3_mmT4_T5_P12ihipStream_tbEUlRKyE_EESV_SZ_S10_mS11_S14_bEUlT_E_NS1_11comp_targetILNS1_3genE2ELNS1_11target_archE906ELNS1_3gpuE6ELNS1_3repE0EEENS1_30default_config_static_selectorELNS0_4arch9wavefront6targetE0EEEvSY_,"axG",@progbits,_ZN7rocprim17ROCPRIM_400000_NS6detail17trampoline_kernelINS0_14default_configENS1_27lower_bound_config_selectorIylEEZNS1_14transform_implILb0ES3_S5_N6thrust23THRUST_200600_302600_NS6detail15normal_iteratorINS8_7pointerIyNS8_11hip_rocprim5par_tENS8_11use_defaultESE_EEEENSA_INSB_IlSD_SE_SE_EEEEZNS1_13binary_searchIS3_S5_NSA_INS8_10device_ptrIyEEEESG_SI_NS1_21lower_bound_search_opENS9_16wrapped_functionINS8_6system6detail7generic6detail18binary_search_lessEbEEEE10hipError_tPvRmT1_T2_T3_mmT4_T5_P12ihipStream_tbEUlRKyE_EESV_SZ_S10_mS11_S14_bEUlT_E_NS1_11comp_targetILNS1_3genE2ELNS1_11target_archE906ELNS1_3gpuE6ELNS1_3repE0EEENS1_30default_config_static_selectorELNS0_4arch9wavefront6targetE0EEEvSY_,comdat
.Lfunc_end362:
	.size	_ZN7rocprim17ROCPRIM_400000_NS6detail17trampoline_kernelINS0_14default_configENS1_27lower_bound_config_selectorIylEEZNS1_14transform_implILb0ES3_S5_N6thrust23THRUST_200600_302600_NS6detail15normal_iteratorINS8_7pointerIyNS8_11hip_rocprim5par_tENS8_11use_defaultESE_EEEENSA_INSB_IlSD_SE_SE_EEEEZNS1_13binary_searchIS3_S5_NSA_INS8_10device_ptrIyEEEESG_SI_NS1_21lower_bound_search_opENS9_16wrapped_functionINS8_6system6detail7generic6detail18binary_search_lessEbEEEE10hipError_tPvRmT1_T2_T3_mmT4_T5_P12ihipStream_tbEUlRKyE_EESV_SZ_S10_mS11_S14_bEUlT_E_NS1_11comp_targetILNS1_3genE2ELNS1_11target_archE906ELNS1_3gpuE6ELNS1_3repE0EEENS1_30default_config_static_selectorELNS0_4arch9wavefront6targetE0EEEvSY_, .Lfunc_end362-_ZN7rocprim17ROCPRIM_400000_NS6detail17trampoline_kernelINS0_14default_configENS1_27lower_bound_config_selectorIylEEZNS1_14transform_implILb0ES3_S5_N6thrust23THRUST_200600_302600_NS6detail15normal_iteratorINS8_7pointerIyNS8_11hip_rocprim5par_tENS8_11use_defaultESE_EEEENSA_INSB_IlSD_SE_SE_EEEEZNS1_13binary_searchIS3_S5_NSA_INS8_10device_ptrIyEEEESG_SI_NS1_21lower_bound_search_opENS9_16wrapped_functionINS8_6system6detail7generic6detail18binary_search_lessEbEEEE10hipError_tPvRmT1_T2_T3_mmT4_T5_P12ihipStream_tbEUlRKyE_EESV_SZ_S10_mS11_S14_bEUlT_E_NS1_11comp_targetILNS1_3genE2ELNS1_11target_archE906ELNS1_3gpuE6ELNS1_3repE0EEENS1_30default_config_static_selectorELNS0_4arch9wavefront6targetE0EEEvSY_
                                        ; -- End function
	.set _ZN7rocprim17ROCPRIM_400000_NS6detail17trampoline_kernelINS0_14default_configENS1_27lower_bound_config_selectorIylEEZNS1_14transform_implILb0ES3_S5_N6thrust23THRUST_200600_302600_NS6detail15normal_iteratorINS8_7pointerIyNS8_11hip_rocprim5par_tENS8_11use_defaultESE_EEEENSA_INSB_IlSD_SE_SE_EEEEZNS1_13binary_searchIS3_S5_NSA_INS8_10device_ptrIyEEEESG_SI_NS1_21lower_bound_search_opENS9_16wrapped_functionINS8_6system6detail7generic6detail18binary_search_lessEbEEEE10hipError_tPvRmT1_T2_T3_mmT4_T5_P12ihipStream_tbEUlRKyE_EESV_SZ_S10_mS11_S14_bEUlT_E_NS1_11comp_targetILNS1_3genE2ELNS1_11target_archE906ELNS1_3gpuE6ELNS1_3repE0EEENS1_30default_config_static_selectorELNS0_4arch9wavefront6targetE0EEEvSY_.num_vgpr, 0
	.set _ZN7rocprim17ROCPRIM_400000_NS6detail17trampoline_kernelINS0_14default_configENS1_27lower_bound_config_selectorIylEEZNS1_14transform_implILb0ES3_S5_N6thrust23THRUST_200600_302600_NS6detail15normal_iteratorINS8_7pointerIyNS8_11hip_rocprim5par_tENS8_11use_defaultESE_EEEENSA_INSB_IlSD_SE_SE_EEEEZNS1_13binary_searchIS3_S5_NSA_INS8_10device_ptrIyEEEESG_SI_NS1_21lower_bound_search_opENS9_16wrapped_functionINS8_6system6detail7generic6detail18binary_search_lessEbEEEE10hipError_tPvRmT1_T2_T3_mmT4_T5_P12ihipStream_tbEUlRKyE_EESV_SZ_S10_mS11_S14_bEUlT_E_NS1_11comp_targetILNS1_3genE2ELNS1_11target_archE906ELNS1_3gpuE6ELNS1_3repE0EEENS1_30default_config_static_selectorELNS0_4arch9wavefront6targetE0EEEvSY_.num_agpr, 0
	.set _ZN7rocprim17ROCPRIM_400000_NS6detail17trampoline_kernelINS0_14default_configENS1_27lower_bound_config_selectorIylEEZNS1_14transform_implILb0ES3_S5_N6thrust23THRUST_200600_302600_NS6detail15normal_iteratorINS8_7pointerIyNS8_11hip_rocprim5par_tENS8_11use_defaultESE_EEEENSA_INSB_IlSD_SE_SE_EEEEZNS1_13binary_searchIS3_S5_NSA_INS8_10device_ptrIyEEEESG_SI_NS1_21lower_bound_search_opENS9_16wrapped_functionINS8_6system6detail7generic6detail18binary_search_lessEbEEEE10hipError_tPvRmT1_T2_T3_mmT4_T5_P12ihipStream_tbEUlRKyE_EESV_SZ_S10_mS11_S14_bEUlT_E_NS1_11comp_targetILNS1_3genE2ELNS1_11target_archE906ELNS1_3gpuE6ELNS1_3repE0EEENS1_30default_config_static_selectorELNS0_4arch9wavefront6targetE0EEEvSY_.numbered_sgpr, 0
	.set _ZN7rocprim17ROCPRIM_400000_NS6detail17trampoline_kernelINS0_14default_configENS1_27lower_bound_config_selectorIylEEZNS1_14transform_implILb0ES3_S5_N6thrust23THRUST_200600_302600_NS6detail15normal_iteratorINS8_7pointerIyNS8_11hip_rocprim5par_tENS8_11use_defaultESE_EEEENSA_INSB_IlSD_SE_SE_EEEEZNS1_13binary_searchIS3_S5_NSA_INS8_10device_ptrIyEEEESG_SI_NS1_21lower_bound_search_opENS9_16wrapped_functionINS8_6system6detail7generic6detail18binary_search_lessEbEEEE10hipError_tPvRmT1_T2_T3_mmT4_T5_P12ihipStream_tbEUlRKyE_EESV_SZ_S10_mS11_S14_bEUlT_E_NS1_11comp_targetILNS1_3genE2ELNS1_11target_archE906ELNS1_3gpuE6ELNS1_3repE0EEENS1_30default_config_static_selectorELNS0_4arch9wavefront6targetE0EEEvSY_.num_named_barrier, 0
	.set _ZN7rocprim17ROCPRIM_400000_NS6detail17trampoline_kernelINS0_14default_configENS1_27lower_bound_config_selectorIylEEZNS1_14transform_implILb0ES3_S5_N6thrust23THRUST_200600_302600_NS6detail15normal_iteratorINS8_7pointerIyNS8_11hip_rocprim5par_tENS8_11use_defaultESE_EEEENSA_INSB_IlSD_SE_SE_EEEEZNS1_13binary_searchIS3_S5_NSA_INS8_10device_ptrIyEEEESG_SI_NS1_21lower_bound_search_opENS9_16wrapped_functionINS8_6system6detail7generic6detail18binary_search_lessEbEEEE10hipError_tPvRmT1_T2_T3_mmT4_T5_P12ihipStream_tbEUlRKyE_EESV_SZ_S10_mS11_S14_bEUlT_E_NS1_11comp_targetILNS1_3genE2ELNS1_11target_archE906ELNS1_3gpuE6ELNS1_3repE0EEENS1_30default_config_static_selectorELNS0_4arch9wavefront6targetE0EEEvSY_.private_seg_size, 0
	.set _ZN7rocprim17ROCPRIM_400000_NS6detail17trampoline_kernelINS0_14default_configENS1_27lower_bound_config_selectorIylEEZNS1_14transform_implILb0ES3_S5_N6thrust23THRUST_200600_302600_NS6detail15normal_iteratorINS8_7pointerIyNS8_11hip_rocprim5par_tENS8_11use_defaultESE_EEEENSA_INSB_IlSD_SE_SE_EEEEZNS1_13binary_searchIS3_S5_NSA_INS8_10device_ptrIyEEEESG_SI_NS1_21lower_bound_search_opENS9_16wrapped_functionINS8_6system6detail7generic6detail18binary_search_lessEbEEEE10hipError_tPvRmT1_T2_T3_mmT4_T5_P12ihipStream_tbEUlRKyE_EESV_SZ_S10_mS11_S14_bEUlT_E_NS1_11comp_targetILNS1_3genE2ELNS1_11target_archE906ELNS1_3gpuE6ELNS1_3repE0EEENS1_30default_config_static_selectorELNS0_4arch9wavefront6targetE0EEEvSY_.uses_vcc, 0
	.set _ZN7rocprim17ROCPRIM_400000_NS6detail17trampoline_kernelINS0_14default_configENS1_27lower_bound_config_selectorIylEEZNS1_14transform_implILb0ES3_S5_N6thrust23THRUST_200600_302600_NS6detail15normal_iteratorINS8_7pointerIyNS8_11hip_rocprim5par_tENS8_11use_defaultESE_EEEENSA_INSB_IlSD_SE_SE_EEEEZNS1_13binary_searchIS3_S5_NSA_INS8_10device_ptrIyEEEESG_SI_NS1_21lower_bound_search_opENS9_16wrapped_functionINS8_6system6detail7generic6detail18binary_search_lessEbEEEE10hipError_tPvRmT1_T2_T3_mmT4_T5_P12ihipStream_tbEUlRKyE_EESV_SZ_S10_mS11_S14_bEUlT_E_NS1_11comp_targetILNS1_3genE2ELNS1_11target_archE906ELNS1_3gpuE6ELNS1_3repE0EEENS1_30default_config_static_selectorELNS0_4arch9wavefront6targetE0EEEvSY_.uses_flat_scratch, 0
	.set _ZN7rocprim17ROCPRIM_400000_NS6detail17trampoline_kernelINS0_14default_configENS1_27lower_bound_config_selectorIylEEZNS1_14transform_implILb0ES3_S5_N6thrust23THRUST_200600_302600_NS6detail15normal_iteratorINS8_7pointerIyNS8_11hip_rocprim5par_tENS8_11use_defaultESE_EEEENSA_INSB_IlSD_SE_SE_EEEEZNS1_13binary_searchIS3_S5_NSA_INS8_10device_ptrIyEEEESG_SI_NS1_21lower_bound_search_opENS9_16wrapped_functionINS8_6system6detail7generic6detail18binary_search_lessEbEEEE10hipError_tPvRmT1_T2_T3_mmT4_T5_P12ihipStream_tbEUlRKyE_EESV_SZ_S10_mS11_S14_bEUlT_E_NS1_11comp_targetILNS1_3genE2ELNS1_11target_archE906ELNS1_3gpuE6ELNS1_3repE0EEENS1_30default_config_static_selectorELNS0_4arch9wavefront6targetE0EEEvSY_.has_dyn_sized_stack, 0
	.set _ZN7rocprim17ROCPRIM_400000_NS6detail17trampoline_kernelINS0_14default_configENS1_27lower_bound_config_selectorIylEEZNS1_14transform_implILb0ES3_S5_N6thrust23THRUST_200600_302600_NS6detail15normal_iteratorINS8_7pointerIyNS8_11hip_rocprim5par_tENS8_11use_defaultESE_EEEENSA_INSB_IlSD_SE_SE_EEEEZNS1_13binary_searchIS3_S5_NSA_INS8_10device_ptrIyEEEESG_SI_NS1_21lower_bound_search_opENS9_16wrapped_functionINS8_6system6detail7generic6detail18binary_search_lessEbEEEE10hipError_tPvRmT1_T2_T3_mmT4_T5_P12ihipStream_tbEUlRKyE_EESV_SZ_S10_mS11_S14_bEUlT_E_NS1_11comp_targetILNS1_3genE2ELNS1_11target_archE906ELNS1_3gpuE6ELNS1_3repE0EEENS1_30default_config_static_selectorELNS0_4arch9wavefront6targetE0EEEvSY_.has_recursion, 0
	.set _ZN7rocprim17ROCPRIM_400000_NS6detail17trampoline_kernelINS0_14default_configENS1_27lower_bound_config_selectorIylEEZNS1_14transform_implILb0ES3_S5_N6thrust23THRUST_200600_302600_NS6detail15normal_iteratorINS8_7pointerIyNS8_11hip_rocprim5par_tENS8_11use_defaultESE_EEEENSA_INSB_IlSD_SE_SE_EEEEZNS1_13binary_searchIS3_S5_NSA_INS8_10device_ptrIyEEEESG_SI_NS1_21lower_bound_search_opENS9_16wrapped_functionINS8_6system6detail7generic6detail18binary_search_lessEbEEEE10hipError_tPvRmT1_T2_T3_mmT4_T5_P12ihipStream_tbEUlRKyE_EESV_SZ_S10_mS11_S14_bEUlT_E_NS1_11comp_targetILNS1_3genE2ELNS1_11target_archE906ELNS1_3gpuE6ELNS1_3repE0EEENS1_30default_config_static_selectorELNS0_4arch9wavefront6targetE0EEEvSY_.has_indirect_call, 0
	.section	.AMDGPU.csdata,"",@progbits
; Kernel info:
; codeLenInByte = 0
; TotalNumSgprs: 0
; NumVgprs: 0
; ScratchSize: 0
; MemoryBound: 0
; FloatMode: 240
; IeeeMode: 1
; LDSByteSize: 0 bytes/workgroup (compile time only)
; SGPRBlocks: 0
; VGPRBlocks: 0
; NumSGPRsForWavesPerEU: 1
; NumVGPRsForWavesPerEU: 1
; Occupancy: 16
; WaveLimiterHint : 0
; COMPUTE_PGM_RSRC2:SCRATCH_EN: 0
; COMPUTE_PGM_RSRC2:USER_SGPR: 6
; COMPUTE_PGM_RSRC2:TRAP_HANDLER: 0
; COMPUTE_PGM_RSRC2:TGID_X_EN: 1
; COMPUTE_PGM_RSRC2:TGID_Y_EN: 0
; COMPUTE_PGM_RSRC2:TGID_Z_EN: 0
; COMPUTE_PGM_RSRC2:TIDIG_COMP_CNT: 0
	.section	.text._ZN7rocprim17ROCPRIM_400000_NS6detail17trampoline_kernelINS0_14default_configENS1_27lower_bound_config_selectorIylEEZNS1_14transform_implILb0ES3_S5_N6thrust23THRUST_200600_302600_NS6detail15normal_iteratorINS8_7pointerIyNS8_11hip_rocprim5par_tENS8_11use_defaultESE_EEEENSA_INSB_IlSD_SE_SE_EEEEZNS1_13binary_searchIS3_S5_NSA_INS8_10device_ptrIyEEEESG_SI_NS1_21lower_bound_search_opENS9_16wrapped_functionINS8_6system6detail7generic6detail18binary_search_lessEbEEEE10hipError_tPvRmT1_T2_T3_mmT4_T5_P12ihipStream_tbEUlRKyE_EESV_SZ_S10_mS11_S14_bEUlT_E_NS1_11comp_targetILNS1_3genE10ELNS1_11target_archE1201ELNS1_3gpuE5ELNS1_3repE0EEENS1_30default_config_static_selectorELNS0_4arch9wavefront6targetE0EEEvSY_,"axG",@progbits,_ZN7rocprim17ROCPRIM_400000_NS6detail17trampoline_kernelINS0_14default_configENS1_27lower_bound_config_selectorIylEEZNS1_14transform_implILb0ES3_S5_N6thrust23THRUST_200600_302600_NS6detail15normal_iteratorINS8_7pointerIyNS8_11hip_rocprim5par_tENS8_11use_defaultESE_EEEENSA_INSB_IlSD_SE_SE_EEEEZNS1_13binary_searchIS3_S5_NSA_INS8_10device_ptrIyEEEESG_SI_NS1_21lower_bound_search_opENS9_16wrapped_functionINS8_6system6detail7generic6detail18binary_search_lessEbEEEE10hipError_tPvRmT1_T2_T3_mmT4_T5_P12ihipStream_tbEUlRKyE_EESV_SZ_S10_mS11_S14_bEUlT_E_NS1_11comp_targetILNS1_3genE10ELNS1_11target_archE1201ELNS1_3gpuE5ELNS1_3repE0EEENS1_30default_config_static_selectorELNS0_4arch9wavefront6targetE0EEEvSY_,comdat
	.protected	_ZN7rocprim17ROCPRIM_400000_NS6detail17trampoline_kernelINS0_14default_configENS1_27lower_bound_config_selectorIylEEZNS1_14transform_implILb0ES3_S5_N6thrust23THRUST_200600_302600_NS6detail15normal_iteratorINS8_7pointerIyNS8_11hip_rocprim5par_tENS8_11use_defaultESE_EEEENSA_INSB_IlSD_SE_SE_EEEEZNS1_13binary_searchIS3_S5_NSA_INS8_10device_ptrIyEEEESG_SI_NS1_21lower_bound_search_opENS9_16wrapped_functionINS8_6system6detail7generic6detail18binary_search_lessEbEEEE10hipError_tPvRmT1_T2_T3_mmT4_T5_P12ihipStream_tbEUlRKyE_EESV_SZ_S10_mS11_S14_bEUlT_E_NS1_11comp_targetILNS1_3genE10ELNS1_11target_archE1201ELNS1_3gpuE5ELNS1_3repE0EEENS1_30default_config_static_selectorELNS0_4arch9wavefront6targetE0EEEvSY_ ; -- Begin function _ZN7rocprim17ROCPRIM_400000_NS6detail17trampoline_kernelINS0_14default_configENS1_27lower_bound_config_selectorIylEEZNS1_14transform_implILb0ES3_S5_N6thrust23THRUST_200600_302600_NS6detail15normal_iteratorINS8_7pointerIyNS8_11hip_rocprim5par_tENS8_11use_defaultESE_EEEENSA_INSB_IlSD_SE_SE_EEEEZNS1_13binary_searchIS3_S5_NSA_INS8_10device_ptrIyEEEESG_SI_NS1_21lower_bound_search_opENS9_16wrapped_functionINS8_6system6detail7generic6detail18binary_search_lessEbEEEE10hipError_tPvRmT1_T2_T3_mmT4_T5_P12ihipStream_tbEUlRKyE_EESV_SZ_S10_mS11_S14_bEUlT_E_NS1_11comp_targetILNS1_3genE10ELNS1_11target_archE1201ELNS1_3gpuE5ELNS1_3repE0EEENS1_30default_config_static_selectorELNS0_4arch9wavefront6targetE0EEEvSY_
	.globl	_ZN7rocprim17ROCPRIM_400000_NS6detail17trampoline_kernelINS0_14default_configENS1_27lower_bound_config_selectorIylEEZNS1_14transform_implILb0ES3_S5_N6thrust23THRUST_200600_302600_NS6detail15normal_iteratorINS8_7pointerIyNS8_11hip_rocprim5par_tENS8_11use_defaultESE_EEEENSA_INSB_IlSD_SE_SE_EEEEZNS1_13binary_searchIS3_S5_NSA_INS8_10device_ptrIyEEEESG_SI_NS1_21lower_bound_search_opENS9_16wrapped_functionINS8_6system6detail7generic6detail18binary_search_lessEbEEEE10hipError_tPvRmT1_T2_T3_mmT4_T5_P12ihipStream_tbEUlRKyE_EESV_SZ_S10_mS11_S14_bEUlT_E_NS1_11comp_targetILNS1_3genE10ELNS1_11target_archE1201ELNS1_3gpuE5ELNS1_3repE0EEENS1_30default_config_static_selectorELNS0_4arch9wavefront6targetE0EEEvSY_
	.p2align	8
	.type	_ZN7rocprim17ROCPRIM_400000_NS6detail17trampoline_kernelINS0_14default_configENS1_27lower_bound_config_selectorIylEEZNS1_14transform_implILb0ES3_S5_N6thrust23THRUST_200600_302600_NS6detail15normal_iteratorINS8_7pointerIyNS8_11hip_rocprim5par_tENS8_11use_defaultESE_EEEENSA_INSB_IlSD_SE_SE_EEEEZNS1_13binary_searchIS3_S5_NSA_INS8_10device_ptrIyEEEESG_SI_NS1_21lower_bound_search_opENS9_16wrapped_functionINS8_6system6detail7generic6detail18binary_search_lessEbEEEE10hipError_tPvRmT1_T2_T3_mmT4_T5_P12ihipStream_tbEUlRKyE_EESV_SZ_S10_mS11_S14_bEUlT_E_NS1_11comp_targetILNS1_3genE10ELNS1_11target_archE1201ELNS1_3gpuE5ELNS1_3repE0EEENS1_30default_config_static_selectorELNS0_4arch9wavefront6targetE0EEEvSY_,@function
_ZN7rocprim17ROCPRIM_400000_NS6detail17trampoline_kernelINS0_14default_configENS1_27lower_bound_config_selectorIylEEZNS1_14transform_implILb0ES3_S5_N6thrust23THRUST_200600_302600_NS6detail15normal_iteratorINS8_7pointerIyNS8_11hip_rocprim5par_tENS8_11use_defaultESE_EEEENSA_INSB_IlSD_SE_SE_EEEEZNS1_13binary_searchIS3_S5_NSA_INS8_10device_ptrIyEEEESG_SI_NS1_21lower_bound_search_opENS9_16wrapped_functionINS8_6system6detail7generic6detail18binary_search_lessEbEEEE10hipError_tPvRmT1_T2_T3_mmT4_T5_P12ihipStream_tbEUlRKyE_EESV_SZ_S10_mS11_S14_bEUlT_E_NS1_11comp_targetILNS1_3genE10ELNS1_11target_archE1201ELNS1_3gpuE5ELNS1_3repE0EEENS1_30default_config_static_selectorELNS0_4arch9wavefront6targetE0EEEvSY_: ; @_ZN7rocprim17ROCPRIM_400000_NS6detail17trampoline_kernelINS0_14default_configENS1_27lower_bound_config_selectorIylEEZNS1_14transform_implILb0ES3_S5_N6thrust23THRUST_200600_302600_NS6detail15normal_iteratorINS8_7pointerIyNS8_11hip_rocprim5par_tENS8_11use_defaultESE_EEEENSA_INSB_IlSD_SE_SE_EEEEZNS1_13binary_searchIS3_S5_NSA_INS8_10device_ptrIyEEEESG_SI_NS1_21lower_bound_search_opENS9_16wrapped_functionINS8_6system6detail7generic6detail18binary_search_lessEbEEEE10hipError_tPvRmT1_T2_T3_mmT4_T5_P12ihipStream_tbEUlRKyE_EESV_SZ_S10_mS11_S14_bEUlT_E_NS1_11comp_targetILNS1_3genE10ELNS1_11target_archE1201ELNS1_3gpuE5ELNS1_3repE0EEENS1_30default_config_static_selectorELNS0_4arch9wavefront6targetE0EEEvSY_
; %bb.0:
	.section	.rodata,"a",@progbits
	.p2align	6, 0x0
	.amdhsa_kernel _ZN7rocprim17ROCPRIM_400000_NS6detail17trampoline_kernelINS0_14default_configENS1_27lower_bound_config_selectorIylEEZNS1_14transform_implILb0ES3_S5_N6thrust23THRUST_200600_302600_NS6detail15normal_iteratorINS8_7pointerIyNS8_11hip_rocprim5par_tENS8_11use_defaultESE_EEEENSA_INSB_IlSD_SE_SE_EEEEZNS1_13binary_searchIS3_S5_NSA_INS8_10device_ptrIyEEEESG_SI_NS1_21lower_bound_search_opENS9_16wrapped_functionINS8_6system6detail7generic6detail18binary_search_lessEbEEEE10hipError_tPvRmT1_T2_T3_mmT4_T5_P12ihipStream_tbEUlRKyE_EESV_SZ_S10_mS11_S14_bEUlT_E_NS1_11comp_targetILNS1_3genE10ELNS1_11target_archE1201ELNS1_3gpuE5ELNS1_3repE0EEENS1_30default_config_static_selectorELNS0_4arch9wavefront6targetE0EEEvSY_
		.amdhsa_group_segment_fixed_size 0
		.amdhsa_private_segment_fixed_size 0
		.amdhsa_kernarg_size 56
		.amdhsa_user_sgpr_count 6
		.amdhsa_user_sgpr_private_segment_buffer 1
		.amdhsa_user_sgpr_dispatch_ptr 0
		.amdhsa_user_sgpr_queue_ptr 0
		.amdhsa_user_sgpr_kernarg_segment_ptr 1
		.amdhsa_user_sgpr_dispatch_id 0
		.amdhsa_user_sgpr_flat_scratch_init 0
		.amdhsa_user_sgpr_private_segment_size 0
		.amdhsa_wavefront_size32 1
		.amdhsa_uses_dynamic_stack 0
		.amdhsa_system_sgpr_private_segment_wavefront_offset 0
		.amdhsa_system_sgpr_workgroup_id_x 1
		.amdhsa_system_sgpr_workgroup_id_y 0
		.amdhsa_system_sgpr_workgroup_id_z 0
		.amdhsa_system_sgpr_workgroup_info 0
		.amdhsa_system_vgpr_workitem_id 0
		.amdhsa_next_free_vgpr 1
		.amdhsa_next_free_sgpr 1
		.amdhsa_reserve_vcc 0
		.amdhsa_reserve_flat_scratch 0
		.amdhsa_float_round_mode_32 0
		.amdhsa_float_round_mode_16_64 0
		.amdhsa_float_denorm_mode_32 3
		.amdhsa_float_denorm_mode_16_64 3
		.amdhsa_dx10_clamp 1
		.amdhsa_ieee_mode 1
		.amdhsa_fp16_overflow 0
		.amdhsa_workgroup_processor_mode 1
		.amdhsa_memory_ordered 1
		.amdhsa_forward_progress 1
		.amdhsa_shared_vgpr_count 0
		.amdhsa_exception_fp_ieee_invalid_op 0
		.amdhsa_exception_fp_denorm_src 0
		.amdhsa_exception_fp_ieee_div_zero 0
		.amdhsa_exception_fp_ieee_overflow 0
		.amdhsa_exception_fp_ieee_underflow 0
		.amdhsa_exception_fp_ieee_inexact 0
		.amdhsa_exception_int_div_zero 0
	.end_amdhsa_kernel
	.section	.text._ZN7rocprim17ROCPRIM_400000_NS6detail17trampoline_kernelINS0_14default_configENS1_27lower_bound_config_selectorIylEEZNS1_14transform_implILb0ES3_S5_N6thrust23THRUST_200600_302600_NS6detail15normal_iteratorINS8_7pointerIyNS8_11hip_rocprim5par_tENS8_11use_defaultESE_EEEENSA_INSB_IlSD_SE_SE_EEEEZNS1_13binary_searchIS3_S5_NSA_INS8_10device_ptrIyEEEESG_SI_NS1_21lower_bound_search_opENS9_16wrapped_functionINS8_6system6detail7generic6detail18binary_search_lessEbEEEE10hipError_tPvRmT1_T2_T3_mmT4_T5_P12ihipStream_tbEUlRKyE_EESV_SZ_S10_mS11_S14_bEUlT_E_NS1_11comp_targetILNS1_3genE10ELNS1_11target_archE1201ELNS1_3gpuE5ELNS1_3repE0EEENS1_30default_config_static_selectorELNS0_4arch9wavefront6targetE0EEEvSY_,"axG",@progbits,_ZN7rocprim17ROCPRIM_400000_NS6detail17trampoline_kernelINS0_14default_configENS1_27lower_bound_config_selectorIylEEZNS1_14transform_implILb0ES3_S5_N6thrust23THRUST_200600_302600_NS6detail15normal_iteratorINS8_7pointerIyNS8_11hip_rocprim5par_tENS8_11use_defaultESE_EEEENSA_INSB_IlSD_SE_SE_EEEEZNS1_13binary_searchIS3_S5_NSA_INS8_10device_ptrIyEEEESG_SI_NS1_21lower_bound_search_opENS9_16wrapped_functionINS8_6system6detail7generic6detail18binary_search_lessEbEEEE10hipError_tPvRmT1_T2_T3_mmT4_T5_P12ihipStream_tbEUlRKyE_EESV_SZ_S10_mS11_S14_bEUlT_E_NS1_11comp_targetILNS1_3genE10ELNS1_11target_archE1201ELNS1_3gpuE5ELNS1_3repE0EEENS1_30default_config_static_selectorELNS0_4arch9wavefront6targetE0EEEvSY_,comdat
.Lfunc_end363:
	.size	_ZN7rocprim17ROCPRIM_400000_NS6detail17trampoline_kernelINS0_14default_configENS1_27lower_bound_config_selectorIylEEZNS1_14transform_implILb0ES3_S5_N6thrust23THRUST_200600_302600_NS6detail15normal_iteratorINS8_7pointerIyNS8_11hip_rocprim5par_tENS8_11use_defaultESE_EEEENSA_INSB_IlSD_SE_SE_EEEEZNS1_13binary_searchIS3_S5_NSA_INS8_10device_ptrIyEEEESG_SI_NS1_21lower_bound_search_opENS9_16wrapped_functionINS8_6system6detail7generic6detail18binary_search_lessEbEEEE10hipError_tPvRmT1_T2_T3_mmT4_T5_P12ihipStream_tbEUlRKyE_EESV_SZ_S10_mS11_S14_bEUlT_E_NS1_11comp_targetILNS1_3genE10ELNS1_11target_archE1201ELNS1_3gpuE5ELNS1_3repE0EEENS1_30default_config_static_selectorELNS0_4arch9wavefront6targetE0EEEvSY_, .Lfunc_end363-_ZN7rocprim17ROCPRIM_400000_NS6detail17trampoline_kernelINS0_14default_configENS1_27lower_bound_config_selectorIylEEZNS1_14transform_implILb0ES3_S5_N6thrust23THRUST_200600_302600_NS6detail15normal_iteratorINS8_7pointerIyNS8_11hip_rocprim5par_tENS8_11use_defaultESE_EEEENSA_INSB_IlSD_SE_SE_EEEEZNS1_13binary_searchIS3_S5_NSA_INS8_10device_ptrIyEEEESG_SI_NS1_21lower_bound_search_opENS9_16wrapped_functionINS8_6system6detail7generic6detail18binary_search_lessEbEEEE10hipError_tPvRmT1_T2_T3_mmT4_T5_P12ihipStream_tbEUlRKyE_EESV_SZ_S10_mS11_S14_bEUlT_E_NS1_11comp_targetILNS1_3genE10ELNS1_11target_archE1201ELNS1_3gpuE5ELNS1_3repE0EEENS1_30default_config_static_selectorELNS0_4arch9wavefront6targetE0EEEvSY_
                                        ; -- End function
	.set _ZN7rocprim17ROCPRIM_400000_NS6detail17trampoline_kernelINS0_14default_configENS1_27lower_bound_config_selectorIylEEZNS1_14transform_implILb0ES3_S5_N6thrust23THRUST_200600_302600_NS6detail15normal_iteratorINS8_7pointerIyNS8_11hip_rocprim5par_tENS8_11use_defaultESE_EEEENSA_INSB_IlSD_SE_SE_EEEEZNS1_13binary_searchIS3_S5_NSA_INS8_10device_ptrIyEEEESG_SI_NS1_21lower_bound_search_opENS9_16wrapped_functionINS8_6system6detail7generic6detail18binary_search_lessEbEEEE10hipError_tPvRmT1_T2_T3_mmT4_T5_P12ihipStream_tbEUlRKyE_EESV_SZ_S10_mS11_S14_bEUlT_E_NS1_11comp_targetILNS1_3genE10ELNS1_11target_archE1201ELNS1_3gpuE5ELNS1_3repE0EEENS1_30default_config_static_selectorELNS0_4arch9wavefront6targetE0EEEvSY_.num_vgpr, 0
	.set _ZN7rocprim17ROCPRIM_400000_NS6detail17trampoline_kernelINS0_14default_configENS1_27lower_bound_config_selectorIylEEZNS1_14transform_implILb0ES3_S5_N6thrust23THRUST_200600_302600_NS6detail15normal_iteratorINS8_7pointerIyNS8_11hip_rocprim5par_tENS8_11use_defaultESE_EEEENSA_INSB_IlSD_SE_SE_EEEEZNS1_13binary_searchIS3_S5_NSA_INS8_10device_ptrIyEEEESG_SI_NS1_21lower_bound_search_opENS9_16wrapped_functionINS8_6system6detail7generic6detail18binary_search_lessEbEEEE10hipError_tPvRmT1_T2_T3_mmT4_T5_P12ihipStream_tbEUlRKyE_EESV_SZ_S10_mS11_S14_bEUlT_E_NS1_11comp_targetILNS1_3genE10ELNS1_11target_archE1201ELNS1_3gpuE5ELNS1_3repE0EEENS1_30default_config_static_selectorELNS0_4arch9wavefront6targetE0EEEvSY_.num_agpr, 0
	.set _ZN7rocprim17ROCPRIM_400000_NS6detail17trampoline_kernelINS0_14default_configENS1_27lower_bound_config_selectorIylEEZNS1_14transform_implILb0ES3_S5_N6thrust23THRUST_200600_302600_NS6detail15normal_iteratorINS8_7pointerIyNS8_11hip_rocprim5par_tENS8_11use_defaultESE_EEEENSA_INSB_IlSD_SE_SE_EEEEZNS1_13binary_searchIS3_S5_NSA_INS8_10device_ptrIyEEEESG_SI_NS1_21lower_bound_search_opENS9_16wrapped_functionINS8_6system6detail7generic6detail18binary_search_lessEbEEEE10hipError_tPvRmT1_T2_T3_mmT4_T5_P12ihipStream_tbEUlRKyE_EESV_SZ_S10_mS11_S14_bEUlT_E_NS1_11comp_targetILNS1_3genE10ELNS1_11target_archE1201ELNS1_3gpuE5ELNS1_3repE0EEENS1_30default_config_static_selectorELNS0_4arch9wavefront6targetE0EEEvSY_.numbered_sgpr, 0
	.set _ZN7rocprim17ROCPRIM_400000_NS6detail17trampoline_kernelINS0_14default_configENS1_27lower_bound_config_selectorIylEEZNS1_14transform_implILb0ES3_S5_N6thrust23THRUST_200600_302600_NS6detail15normal_iteratorINS8_7pointerIyNS8_11hip_rocprim5par_tENS8_11use_defaultESE_EEEENSA_INSB_IlSD_SE_SE_EEEEZNS1_13binary_searchIS3_S5_NSA_INS8_10device_ptrIyEEEESG_SI_NS1_21lower_bound_search_opENS9_16wrapped_functionINS8_6system6detail7generic6detail18binary_search_lessEbEEEE10hipError_tPvRmT1_T2_T3_mmT4_T5_P12ihipStream_tbEUlRKyE_EESV_SZ_S10_mS11_S14_bEUlT_E_NS1_11comp_targetILNS1_3genE10ELNS1_11target_archE1201ELNS1_3gpuE5ELNS1_3repE0EEENS1_30default_config_static_selectorELNS0_4arch9wavefront6targetE0EEEvSY_.num_named_barrier, 0
	.set _ZN7rocprim17ROCPRIM_400000_NS6detail17trampoline_kernelINS0_14default_configENS1_27lower_bound_config_selectorIylEEZNS1_14transform_implILb0ES3_S5_N6thrust23THRUST_200600_302600_NS6detail15normal_iteratorINS8_7pointerIyNS8_11hip_rocprim5par_tENS8_11use_defaultESE_EEEENSA_INSB_IlSD_SE_SE_EEEEZNS1_13binary_searchIS3_S5_NSA_INS8_10device_ptrIyEEEESG_SI_NS1_21lower_bound_search_opENS9_16wrapped_functionINS8_6system6detail7generic6detail18binary_search_lessEbEEEE10hipError_tPvRmT1_T2_T3_mmT4_T5_P12ihipStream_tbEUlRKyE_EESV_SZ_S10_mS11_S14_bEUlT_E_NS1_11comp_targetILNS1_3genE10ELNS1_11target_archE1201ELNS1_3gpuE5ELNS1_3repE0EEENS1_30default_config_static_selectorELNS0_4arch9wavefront6targetE0EEEvSY_.private_seg_size, 0
	.set _ZN7rocprim17ROCPRIM_400000_NS6detail17trampoline_kernelINS0_14default_configENS1_27lower_bound_config_selectorIylEEZNS1_14transform_implILb0ES3_S5_N6thrust23THRUST_200600_302600_NS6detail15normal_iteratorINS8_7pointerIyNS8_11hip_rocprim5par_tENS8_11use_defaultESE_EEEENSA_INSB_IlSD_SE_SE_EEEEZNS1_13binary_searchIS3_S5_NSA_INS8_10device_ptrIyEEEESG_SI_NS1_21lower_bound_search_opENS9_16wrapped_functionINS8_6system6detail7generic6detail18binary_search_lessEbEEEE10hipError_tPvRmT1_T2_T3_mmT4_T5_P12ihipStream_tbEUlRKyE_EESV_SZ_S10_mS11_S14_bEUlT_E_NS1_11comp_targetILNS1_3genE10ELNS1_11target_archE1201ELNS1_3gpuE5ELNS1_3repE0EEENS1_30default_config_static_selectorELNS0_4arch9wavefront6targetE0EEEvSY_.uses_vcc, 0
	.set _ZN7rocprim17ROCPRIM_400000_NS6detail17trampoline_kernelINS0_14default_configENS1_27lower_bound_config_selectorIylEEZNS1_14transform_implILb0ES3_S5_N6thrust23THRUST_200600_302600_NS6detail15normal_iteratorINS8_7pointerIyNS8_11hip_rocprim5par_tENS8_11use_defaultESE_EEEENSA_INSB_IlSD_SE_SE_EEEEZNS1_13binary_searchIS3_S5_NSA_INS8_10device_ptrIyEEEESG_SI_NS1_21lower_bound_search_opENS9_16wrapped_functionINS8_6system6detail7generic6detail18binary_search_lessEbEEEE10hipError_tPvRmT1_T2_T3_mmT4_T5_P12ihipStream_tbEUlRKyE_EESV_SZ_S10_mS11_S14_bEUlT_E_NS1_11comp_targetILNS1_3genE10ELNS1_11target_archE1201ELNS1_3gpuE5ELNS1_3repE0EEENS1_30default_config_static_selectorELNS0_4arch9wavefront6targetE0EEEvSY_.uses_flat_scratch, 0
	.set _ZN7rocprim17ROCPRIM_400000_NS6detail17trampoline_kernelINS0_14default_configENS1_27lower_bound_config_selectorIylEEZNS1_14transform_implILb0ES3_S5_N6thrust23THRUST_200600_302600_NS6detail15normal_iteratorINS8_7pointerIyNS8_11hip_rocprim5par_tENS8_11use_defaultESE_EEEENSA_INSB_IlSD_SE_SE_EEEEZNS1_13binary_searchIS3_S5_NSA_INS8_10device_ptrIyEEEESG_SI_NS1_21lower_bound_search_opENS9_16wrapped_functionINS8_6system6detail7generic6detail18binary_search_lessEbEEEE10hipError_tPvRmT1_T2_T3_mmT4_T5_P12ihipStream_tbEUlRKyE_EESV_SZ_S10_mS11_S14_bEUlT_E_NS1_11comp_targetILNS1_3genE10ELNS1_11target_archE1201ELNS1_3gpuE5ELNS1_3repE0EEENS1_30default_config_static_selectorELNS0_4arch9wavefront6targetE0EEEvSY_.has_dyn_sized_stack, 0
	.set _ZN7rocprim17ROCPRIM_400000_NS6detail17trampoline_kernelINS0_14default_configENS1_27lower_bound_config_selectorIylEEZNS1_14transform_implILb0ES3_S5_N6thrust23THRUST_200600_302600_NS6detail15normal_iteratorINS8_7pointerIyNS8_11hip_rocprim5par_tENS8_11use_defaultESE_EEEENSA_INSB_IlSD_SE_SE_EEEEZNS1_13binary_searchIS3_S5_NSA_INS8_10device_ptrIyEEEESG_SI_NS1_21lower_bound_search_opENS9_16wrapped_functionINS8_6system6detail7generic6detail18binary_search_lessEbEEEE10hipError_tPvRmT1_T2_T3_mmT4_T5_P12ihipStream_tbEUlRKyE_EESV_SZ_S10_mS11_S14_bEUlT_E_NS1_11comp_targetILNS1_3genE10ELNS1_11target_archE1201ELNS1_3gpuE5ELNS1_3repE0EEENS1_30default_config_static_selectorELNS0_4arch9wavefront6targetE0EEEvSY_.has_recursion, 0
	.set _ZN7rocprim17ROCPRIM_400000_NS6detail17trampoline_kernelINS0_14default_configENS1_27lower_bound_config_selectorIylEEZNS1_14transform_implILb0ES3_S5_N6thrust23THRUST_200600_302600_NS6detail15normal_iteratorINS8_7pointerIyNS8_11hip_rocprim5par_tENS8_11use_defaultESE_EEEENSA_INSB_IlSD_SE_SE_EEEEZNS1_13binary_searchIS3_S5_NSA_INS8_10device_ptrIyEEEESG_SI_NS1_21lower_bound_search_opENS9_16wrapped_functionINS8_6system6detail7generic6detail18binary_search_lessEbEEEE10hipError_tPvRmT1_T2_T3_mmT4_T5_P12ihipStream_tbEUlRKyE_EESV_SZ_S10_mS11_S14_bEUlT_E_NS1_11comp_targetILNS1_3genE10ELNS1_11target_archE1201ELNS1_3gpuE5ELNS1_3repE0EEENS1_30default_config_static_selectorELNS0_4arch9wavefront6targetE0EEEvSY_.has_indirect_call, 0
	.section	.AMDGPU.csdata,"",@progbits
; Kernel info:
; codeLenInByte = 0
; TotalNumSgprs: 0
; NumVgprs: 0
; ScratchSize: 0
; MemoryBound: 0
; FloatMode: 240
; IeeeMode: 1
; LDSByteSize: 0 bytes/workgroup (compile time only)
; SGPRBlocks: 0
; VGPRBlocks: 0
; NumSGPRsForWavesPerEU: 1
; NumVGPRsForWavesPerEU: 1
; Occupancy: 16
; WaveLimiterHint : 0
; COMPUTE_PGM_RSRC2:SCRATCH_EN: 0
; COMPUTE_PGM_RSRC2:USER_SGPR: 6
; COMPUTE_PGM_RSRC2:TRAP_HANDLER: 0
; COMPUTE_PGM_RSRC2:TGID_X_EN: 1
; COMPUTE_PGM_RSRC2:TGID_Y_EN: 0
; COMPUTE_PGM_RSRC2:TGID_Z_EN: 0
; COMPUTE_PGM_RSRC2:TIDIG_COMP_CNT: 0
	.section	.text._ZN7rocprim17ROCPRIM_400000_NS6detail17trampoline_kernelINS0_14default_configENS1_27lower_bound_config_selectorIylEEZNS1_14transform_implILb0ES3_S5_N6thrust23THRUST_200600_302600_NS6detail15normal_iteratorINS8_7pointerIyNS8_11hip_rocprim5par_tENS8_11use_defaultESE_EEEENSA_INSB_IlSD_SE_SE_EEEEZNS1_13binary_searchIS3_S5_NSA_INS8_10device_ptrIyEEEESG_SI_NS1_21lower_bound_search_opENS9_16wrapped_functionINS8_6system6detail7generic6detail18binary_search_lessEbEEEE10hipError_tPvRmT1_T2_T3_mmT4_T5_P12ihipStream_tbEUlRKyE_EESV_SZ_S10_mS11_S14_bEUlT_E_NS1_11comp_targetILNS1_3genE10ELNS1_11target_archE1200ELNS1_3gpuE4ELNS1_3repE0EEENS1_30default_config_static_selectorELNS0_4arch9wavefront6targetE0EEEvSY_,"axG",@progbits,_ZN7rocprim17ROCPRIM_400000_NS6detail17trampoline_kernelINS0_14default_configENS1_27lower_bound_config_selectorIylEEZNS1_14transform_implILb0ES3_S5_N6thrust23THRUST_200600_302600_NS6detail15normal_iteratorINS8_7pointerIyNS8_11hip_rocprim5par_tENS8_11use_defaultESE_EEEENSA_INSB_IlSD_SE_SE_EEEEZNS1_13binary_searchIS3_S5_NSA_INS8_10device_ptrIyEEEESG_SI_NS1_21lower_bound_search_opENS9_16wrapped_functionINS8_6system6detail7generic6detail18binary_search_lessEbEEEE10hipError_tPvRmT1_T2_T3_mmT4_T5_P12ihipStream_tbEUlRKyE_EESV_SZ_S10_mS11_S14_bEUlT_E_NS1_11comp_targetILNS1_3genE10ELNS1_11target_archE1200ELNS1_3gpuE4ELNS1_3repE0EEENS1_30default_config_static_selectorELNS0_4arch9wavefront6targetE0EEEvSY_,comdat
	.protected	_ZN7rocprim17ROCPRIM_400000_NS6detail17trampoline_kernelINS0_14default_configENS1_27lower_bound_config_selectorIylEEZNS1_14transform_implILb0ES3_S5_N6thrust23THRUST_200600_302600_NS6detail15normal_iteratorINS8_7pointerIyNS8_11hip_rocprim5par_tENS8_11use_defaultESE_EEEENSA_INSB_IlSD_SE_SE_EEEEZNS1_13binary_searchIS3_S5_NSA_INS8_10device_ptrIyEEEESG_SI_NS1_21lower_bound_search_opENS9_16wrapped_functionINS8_6system6detail7generic6detail18binary_search_lessEbEEEE10hipError_tPvRmT1_T2_T3_mmT4_T5_P12ihipStream_tbEUlRKyE_EESV_SZ_S10_mS11_S14_bEUlT_E_NS1_11comp_targetILNS1_3genE10ELNS1_11target_archE1200ELNS1_3gpuE4ELNS1_3repE0EEENS1_30default_config_static_selectorELNS0_4arch9wavefront6targetE0EEEvSY_ ; -- Begin function _ZN7rocprim17ROCPRIM_400000_NS6detail17trampoline_kernelINS0_14default_configENS1_27lower_bound_config_selectorIylEEZNS1_14transform_implILb0ES3_S5_N6thrust23THRUST_200600_302600_NS6detail15normal_iteratorINS8_7pointerIyNS8_11hip_rocprim5par_tENS8_11use_defaultESE_EEEENSA_INSB_IlSD_SE_SE_EEEEZNS1_13binary_searchIS3_S5_NSA_INS8_10device_ptrIyEEEESG_SI_NS1_21lower_bound_search_opENS9_16wrapped_functionINS8_6system6detail7generic6detail18binary_search_lessEbEEEE10hipError_tPvRmT1_T2_T3_mmT4_T5_P12ihipStream_tbEUlRKyE_EESV_SZ_S10_mS11_S14_bEUlT_E_NS1_11comp_targetILNS1_3genE10ELNS1_11target_archE1200ELNS1_3gpuE4ELNS1_3repE0EEENS1_30default_config_static_selectorELNS0_4arch9wavefront6targetE0EEEvSY_
	.globl	_ZN7rocprim17ROCPRIM_400000_NS6detail17trampoline_kernelINS0_14default_configENS1_27lower_bound_config_selectorIylEEZNS1_14transform_implILb0ES3_S5_N6thrust23THRUST_200600_302600_NS6detail15normal_iteratorINS8_7pointerIyNS8_11hip_rocprim5par_tENS8_11use_defaultESE_EEEENSA_INSB_IlSD_SE_SE_EEEEZNS1_13binary_searchIS3_S5_NSA_INS8_10device_ptrIyEEEESG_SI_NS1_21lower_bound_search_opENS9_16wrapped_functionINS8_6system6detail7generic6detail18binary_search_lessEbEEEE10hipError_tPvRmT1_T2_T3_mmT4_T5_P12ihipStream_tbEUlRKyE_EESV_SZ_S10_mS11_S14_bEUlT_E_NS1_11comp_targetILNS1_3genE10ELNS1_11target_archE1200ELNS1_3gpuE4ELNS1_3repE0EEENS1_30default_config_static_selectorELNS0_4arch9wavefront6targetE0EEEvSY_
	.p2align	8
	.type	_ZN7rocprim17ROCPRIM_400000_NS6detail17trampoline_kernelINS0_14default_configENS1_27lower_bound_config_selectorIylEEZNS1_14transform_implILb0ES3_S5_N6thrust23THRUST_200600_302600_NS6detail15normal_iteratorINS8_7pointerIyNS8_11hip_rocprim5par_tENS8_11use_defaultESE_EEEENSA_INSB_IlSD_SE_SE_EEEEZNS1_13binary_searchIS3_S5_NSA_INS8_10device_ptrIyEEEESG_SI_NS1_21lower_bound_search_opENS9_16wrapped_functionINS8_6system6detail7generic6detail18binary_search_lessEbEEEE10hipError_tPvRmT1_T2_T3_mmT4_T5_P12ihipStream_tbEUlRKyE_EESV_SZ_S10_mS11_S14_bEUlT_E_NS1_11comp_targetILNS1_3genE10ELNS1_11target_archE1200ELNS1_3gpuE4ELNS1_3repE0EEENS1_30default_config_static_selectorELNS0_4arch9wavefront6targetE0EEEvSY_,@function
_ZN7rocprim17ROCPRIM_400000_NS6detail17trampoline_kernelINS0_14default_configENS1_27lower_bound_config_selectorIylEEZNS1_14transform_implILb0ES3_S5_N6thrust23THRUST_200600_302600_NS6detail15normal_iteratorINS8_7pointerIyNS8_11hip_rocprim5par_tENS8_11use_defaultESE_EEEENSA_INSB_IlSD_SE_SE_EEEEZNS1_13binary_searchIS3_S5_NSA_INS8_10device_ptrIyEEEESG_SI_NS1_21lower_bound_search_opENS9_16wrapped_functionINS8_6system6detail7generic6detail18binary_search_lessEbEEEE10hipError_tPvRmT1_T2_T3_mmT4_T5_P12ihipStream_tbEUlRKyE_EESV_SZ_S10_mS11_S14_bEUlT_E_NS1_11comp_targetILNS1_3genE10ELNS1_11target_archE1200ELNS1_3gpuE4ELNS1_3repE0EEENS1_30default_config_static_selectorELNS0_4arch9wavefront6targetE0EEEvSY_: ; @_ZN7rocprim17ROCPRIM_400000_NS6detail17trampoline_kernelINS0_14default_configENS1_27lower_bound_config_selectorIylEEZNS1_14transform_implILb0ES3_S5_N6thrust23THRUST_200600_302600_NS6detail15normal_iteratorINS8_7pointerIyNS8_11hip_rocprim5par_tENS8_11use_defaultESE_EEEENSA_INSB_IlSD_SE_SE_EEEEZNS1_13binary_searchIS3_S5_NSA_INS8_10device_ptrIyEEEESG_SI_NS1_21lower_bound_search_opENS9_16wrapped_functionINS8_6system6detail7generic6detail18binary_search_lessEbEEEE10hipError_tPvRmT1_T2_T3_mmT4_T5_P12ihipStream_tbEUlRKyE_EESV_SZ_S10_mS11_S14_bEUlT_E_NS1_11comp_targetILNS1_3genE10ELNS1_11target_archE1200ELNS1_3gpuE4ELNS1_3repE0EEENS1_30default_config_static_selectorELNS0_4arch9wavefront6targetE0EEEvSY_
; %bb.0:
	.section	.rodata,"a",@progbits
	.p2align	6, 0x0
	.amdhsa_kernel _ZN7rocprim17ROCPRIM_400000_NS6detail17trampoline_kernelINS0_14default_configENS1_27lower_bound_config_selectorIylEEZNS1_14transform_implILb0ES3_S5_N6thrust23THRUST_200600_302600_NS6detail15normal_iteratorINS8_7pointerIyNS8_11hip_rocprim5par_tENS8_11use_defaultESE_EEEENSA_INSB_IlSD_SE_SE_EEEEZNS1_13binary_searchIS3_S5_NSA_INS8_10device_ptrIyEEEESG_SI_NS1_21lower_bound_search_opENS9_16wrapped_functionINS8_6system6detail7generic6detail18binary_search_lessEbEEEE10hipError_tPvRmT1_T2_T3_mmT4_T5_P12ihipStream_tbEUlRKyE_EESV_SZ_S10_mS11_S14_bEUlT_E_NS1_11comp_targetILNS1_3genE10ELNS1_11target_archE1200ELNS1_3gpuE4ELNS1_3repE0EEENS1_30default_config_static_selectorELNS0_4arch9wavefront6targetE0EEEvSY_
		.amdhsa_group_segment_fixed_size 0
		.amdhsa_private_segment_fixed_size 0
		.amdhsa_kernarg_size 56
		.amdhsa_user_sgpr_count 6
		.amdhsa_user_sgpr_private_segment_buffer 1
		.amdhsa_user_sgpr_dispatch_ptr 0
		.amdhsa_user_sgpr_queue_ptr 0
		.amdhsa_user_sgpr_kernarg_segment_ptr 1
		.amdhsa_user_sgpr_dispatch_id 0
		.amdhsa_user_sgpr_flat_scratch_init 0
		.amdhsa_user_sgpr_private_segment_size 0
		.amdhsa_wavefront_size32 1
		.amdhsa_uses_dynamic_stack 0
		.amdhsa_system_sgpr_private_segment_wavefront_offset 0
		.amdhsa_system_sgpr_workgroup_id_x 1
		.amdhsa_system_sgpr_workgroup_id_y 0
		.amdhsa_system_sgpr_workgroup_id_z 0
		.amdhsa_system_sgpr_workgroup_info 0
		.amdhsa_system_vgpr_workitem_id 0
		.amdhsa_next_free_vgpr 1
		.amdhsa_next_free_sgpr 1
		.amdhsa_reserve_vcc 0
		.amdhsa_reserve_flat_scratch 0
		.amdhsa_float_round_mode_32 0
		.amdhsa_float_round_mode_16_64 0
		.amdhsa_float_denorm_mode_32 3
		.amdhsa_float_denorm_mode_16_64 3
		.amdhsa_dx10_clamp 1
		.amdhsa_ieee_mode 1
		.amdhsa_fp16_overflow 0
		.amdhsa_workgroup_processor_mode 1
		.amdhsa_memory_ordered 1
		.amdhsa_forward_progress 1
		.amdhsa_shared_vgpr_count 0
		.amdhsa_exception_fp_ieee_invalid_op 0
		.amdhsa_exception_fp_denorm_src 0
		.amdhsa_exception_fp_ieee_div_zero 0
		.amdhsa_exception_fp_ieee_overflow 0
		.amdhsa_exception_fp_ieee_underflow 0
		.amdhsa_exception_fp_ieee_inexact 0
		.amdhsa_exception_int_div_zero 0
	.end_amdhsa_kernel
	.section	.text._ZN7rocprim17ROCPRIM_400000_NS6detail17trampoline_kernelINS0_14default_configENS1_27lower_bound_config_selectorIylEEZNS1_14transform_implILb0ES3_S5_N6thrust23THRUST_200600_302600_NS6detail15normal_iteratorINS8_7pointerIyNS8_11hip_rocprim5par_tENS8_11use_defaultESE_EEEENSA_INSB_IlSD_SE_SE_EEEEZNS1_13binary_searchIS3_S5_NSA_INS8_10device_ptrIyEEEESG_SI_NS1_21lower_bound_search_opENS9_16wrapped_functionINS8_6system6detail7generic6detail18binary_search_lessEbEEEE10hipError_tPvRmT1_T2_T3_mmT4_T5_P12ihipStream_tbEUlRKyE_EESV_SZ_S10_mS11_S14_bEUlT_E_NS1_11comp_targetILNS1_3genE10ELNS1_11target_archE1200ELNS1_3gpuE4ELNS1_3repE0EEENS1_30default_config_static_selectorELNS0_4arch9wavefront6targetE0EEEvSY_,"axG",@progbits,_ZN7rocprim17ROCPRIM_400000_NS6detail17trampoline_kernelINS0_14default_configENS1_27lower_bound_config_selectorIylEEZNS1_14transform_implILb0ES3_S5_N6thrust23THRUST_200600_302600_NS6detail15normal_iteratorINS8_7pointerIyNS8_11hip_rocprim5par_tENS8_11use_defaultESE_EEEENSA_INSB_IlSD_SE_SE_EEEEZNS1_13binary_searchIS3_S5_NSA_INS8_10device_ptrIyEEEESG_SI_NS1_21lower_bound_search_opENS9_16wrapped_functionINS8_6system6detail7generic6detail18binary_search_lessEbEEEE10hipError_tPvRmT1_T2_T3_mmT4_T5_P12ihipStream_tbEUlRKyE_EESV_SZ_S10_mS11_S14_bEUlT_E_NS1_11comp_targetILNS1_3genE10ELNS1_11target_archE1200ELNS1_3gpuE4ELNS1_3repE0EEENS1_30default_config_static_selectorELNS0_4arch9wavefront6targetE0EEEvSY_,comdat
.Lfunc_end364:
	.size	_ZN7rocprim17ROCPRIM_400000_NS6detail17trampoline_kernelINS0_14default_configENS1_27lower_bound_config_selectorIylEEZNS1_14transform_implILb0ES3_S5_N6thrust23THRUST_200600_302600_NS6detail15normal_iteratorINS8_7pointerIyNS8_11hip_rocprim5par_tENS8_11use_defaultESE_EEEENSA_INSB_IlSD_SE_SE_EEEEZNS1_13binary_searchIS3_S5_NSA_INS8_10device_ptrIyEEEESG_SI_NS1_21lower_bound_search_opENS9_16wrapped_functionINS8_6system6detail7generic6detail18binary_search_lessEbEEEE10hipError_tPvRmT1_T2_T3_mmT4_T5_P12ihipStream_tbEUlRKyE_EESV_SZ_S10_mS11_S14_bEUlT_E_NS1_11comp_targetILNS1_3genE10ELNS1_11target_archE1200ELNS1_3gpuE4ELNS1_3repE0EEENS1_30default_config_static_selectorELNS0_4arch9wavefront6targetE0EEEvSY_, .Lfunc_end364-_ZN7rocprim17ROCPRIM_400000_NS6detail17trampoline_kernelINS0_14default_configENS1_27lower_bound_config_selectorIylEEZNS1_14transform_implILb0ES3_S5_N6thrust23THRUST_200600_302600_NS6detail15normal_iteratorINS8_7pointerIyNS8_11hip_rocprim5par_tENS8_11use_defaultESE_EEEENSA_INSB_IlSD_SE_SE_EEEEZNS1_13binary_searchIS3_S5_NSA_INS8_10device_ptrIyEEEESG_SI_NS1_21lower_bound_search_opENS9_16wrapped_functionINS8_6system6detail7generic6detail18binary_search_lessEbEEEE10hipError_tPvRmT1_T2_T3_mmT4_T5_P12ihipStream_tbEUlRKyE_EESV_SZ_S10_mS11_S14_bEUlT_E_NS1_11comp_targetILNS1_3genE10ELNS1_11target_archE1200ELNS1_3gpuE4ELNS1_3repE0EEENS1_30default_config_static_selectorELNS0_4arch9wavefront6targetE0EEEvSY_
                                        ; -- End function
	.set _ZN7rocprim17ROCPRIM_400000_NS6detail17trampoline_kernelINS0_14default_configENS1_27lower_bound_config_selectorIylEEZNS1_14transform_implILb0ES3_S5_N6thrust23THRUST_200600_302600_NS6detail15normal_iteratorINS8_7pointerIyNS8_11hip_rocprim5par_tENS8_11use_defaultESE_EEEENSA_INSB_IlSD_SE_SE_EEEEZNS1_13binary_searchIS3_S5_NSA_INS8_10device_ptrIyEEEESG_SI_NS1_21lower_bound_search_opENS9_16wrapped_functionINS8_6system6detail7generic6detail18binary_search_lessEbEEEE10hipError_tPvRmT1_T2_T3_mmT4_T5_P12ihipStream_tbEUlRKyE_EESV_SZ_S10_mS11_S14_bEUlT_E_NS1_11comp_targetILNS1_3genE10ELNS1_11target_archE1200ELNS1_3gpuE4ELNS1_3repE0EEENS1_30default_config_static_selectorELNS0_4arch9wavefront6targetE0EEEvSY_.num_vgpr, 0
	.set _ZN7rocprim17ROCPRIM_400000_NS6detail17trampoline_kernelINS0_14default_configENS1_27lower_bound_config_selectorIylEEZNS1_14transform_implILb0ES3_S5_N6thrust23THRUST_200600_302600_NS6detail15normal_iteratorINS8_7pointerIyNS8_11hip_rocprim5par_tENS8_11use_defaultESE_EEEENSA_INSB_IlSD_SE_SE_EEEEZNS1_13binary_searchIS3_S5_NSA_INS8_10device_ptrIyEEEESG_SI_NS1_21lower_bound_search_opENS9_16wrapped_functionINS8_6system6detail7generic6detail18binary_search_lessEbEEEE10hipError_tPvRmT1_T2_T3_mmT4_T5_P12ihipStream_tbEUlRKyE_EESV_SZ_S10_mS11_S14_bEUlT_E_NS1_11comp_targetILNS1_3genE10ELNS1_11target_archE1200ELNS1_3gpuE4ELNS1_3repE0EEENS1_30default_config_static_selectorELNS0_4arch9wavefront6targetE0EEEvSY_.num_agpr, 0
	.set _ZN7rocprim17ROCPRIM_400000_NS6detail17trampoline_kernelINS0_14default_configENS1_27lower_bound_config_selectorIylEEZNS1_14transform_implILb0ES3_S5_N6thrust23THRUST_200600_302600_NS6detail15normal_iteratorINS8_7pointerIyNS8_11hip_rocprim5par_tENS8_11use_defaultESE_EEEENSA_INSB_IlSD_SE_SE_EEEEZNS1_13binary_searchIS3_S5_NSA_INS8_10device_ptrIyEEEESG_SI_NS1_21lower_bound_search_opENS9_16wrapped_functionINS8_6system6detail7generic6detail18binary_search_lessEbEEEE10hipError_tPvRmT1_T2_T3_mmT4_T5_P12ihipStream_tbEUlRKyE_EESV_SZ_S10_mS11_S14_bEUlT_E_NS1_11comp_targetILNS1_3genE10ELNS1_11target_archE1200ELNS1_3gpuE4ELNS1_3repE0EEENS1_30default_config_static_selectorELNS0_4arch9wavefront6targetE0EEEvSY_.numbered_sgpr, 0
	.set _ZN7rocprim17ROCPRIM_400000_NS6detail17trampoline_kernelINS0_14default_configENS1_27lower_bound_config_selectorIylEEZNS1_14transform_implILb0ES3_S5_N6thrust23THRUST_200600_302600_NS6detail15normal_iteratorINS8_7pointerIyNS8_11hip_rocprim5par_tENS8_11use_defaultESE_EEEENSA_INSB_IlSD_SE_SE_EEEEZNS1_13binary_searchIS3_S5_NSA_INS8_10device_ptrIyEEEESG_SI_NS1_21lower_bound_search_opENS9_16wrapped_functionINS8_6system6detail7generic6detail18binary_search_lessEbEEEE10hipError_tPvRmT1_T2_T3_mmT4_T5_P12ihipStream_tbEUlRKyE_EESV_SZ_S10_mS11_S14_bEUlT_E_NS1_11comp_targetILNS1_3genE10ELNS1_11target_archE1200ELNS1_3gpuE4ELNS1_3repE0EEENS1_30default_config_static_selectorELNS0_4arch9wavefront6targetE0EEEvSY_.num_named_barrier, 0
	.set _ZN7rocprim17ROCPRIM_400000_NS6detail17trampoline_kernelINS0_14default_configENS1_27lower_bound_config_selectorIylEEZNS1_14transform_implILb0ES3_S5_N6thrust23THRUST_200600_302600_NS6detail15normal_iteratorINS8_7pointerIyNS8_11hip_rocprim5par_tENS8_11use_defaultESE_EEEENSA_INSB_IlSD_SE_SE_EEEEZNS1_13binary_searchIS3_S5_NSA_INS8_10device_ptrIyEEEESG_SI_NS1_21lower_bound_search_opENS9_16wrapped_functionINS8_6system6detail7generic6detail18binary_search_lessEbEEEE10hipError_tPvRmT1_T2_T3_mmT4_T5_P12ihipStream_tbEUlRKyE_EESV_SZ_S10_mS11_S14_bEUlT_E_NS1_11comp_targetILNS1_3genE10ELNS1_11target_archE1200ELNS1_3gpuE4ELNS1_3repE0EEENS1_30default_config_static_selectorELNS0_4arch9wavefront6targetE0EEEvSY_.private_seg_size, 0
	.set _ZN7rocprim17ROCPRIM_400000_NS6detail17trampoline_kernelINS0_14default_configENS1_27lower_bound_config_selectorIylEEZNS1_14transform_implILb0ES3_S5_N6thrust23THRUST_200600_302600_NS6detail15normal_iteratorINS8_7pointerIyNS8_11hip_rocprim5par_tENS8_11use_defaultESE_EEEENSA_INSB_IlSD_SE_SE_EEEEZNS1_13binary_searchIS3_S5_NSA_INS8_10device_ptrIyEEEESG_SI_NS1_21lower_bound_search_opENS9_16wrapped_functionINS8_6system6detail7generic6detail18binary_search_lessEbEEEE10hipError_tPvRmT1_T2_T3_mmT4_T5_P12ihipStream_tbEUlRKyE_EESV_SZ_S10_mS11_S14_bEUlT_E_NS1_11comp_targetILNS1_3genE10ELNS1_11target_archE1200ELNS1_3gpuE4ELNS1_3repE0EEENS1_30default_config_static_selectorELNS0_4arch9wavefront6targetE0EEEvSY_.uses_vcc, 0
	.set _ZN7rocprim17ROCPRIM_400000_NS6detail17trampoline_kernelINS0_14default_configENS1_27lower_bound_config_selectorIylEEZNS1_14transform_implILb0ES3_S5_N6thrust23THRUST_200600_302600_NS6detail15normal_iteratorINS8_7pointerIyNS8_11hip_rocprim5par_tENS8_11use_defaultESE_EEEENSA_INSB_IlSD_SE_SE_EEEEZNS1_13binary_searchIS3_S5_NSA_INS8_10device_ptrIyEEEESG_SI_NS1_21lower_bound_search_opENS9_16wrapped_functionINS8_6system6detail7generic6detail18binary_search_lessEbEEEE10hipError_tPvRmT1_T2_T3_mmT4_T5_P12ihipStream_tbEUlRKyE_EESV_SZ_S10_mS11_S14_bEUlT_E_NS1_11comp_targetILNS1_3genE10ELNS1_11target_archE1200ELNS1_3gpuE4ELNS1_3repE0EEENS1_30default_config_static_selectorELNS0_4arch9wavefront6targetE0EEEvSY_.uses_flat_scratch, 0
	.set _ZN7rocprim17ROCPRIM_400000_NS6detail17trampoline_kernelINS0_14default_configENS1_27lower_bound_config_selectorIylEEZNS1_14transform_implILb0ES3_S5_N6thrust23THRUST_200600_302600_NS6detail15normal_iteratorINS8_7pointerIyNS8_11hip_rocprim5par_tENS8_11use_defaultESE_EEEENSA_INSB_IlSD_SE_SE_EEEEZNS1_13binary_searchIS3_S5_NSA_INS8_10device_ptrIyEEEESG_SI_NS1_21lower_bound_search_opENS9_16wrapped_functionINS8_6system6detail7generic6detail18binary_search_lessEbEEEE10hipError_tPvRmT1_T2_T3_mmT4_T5_P12ihipStream_tbEUlRKyE_EESV_SZ_S10_mS11_S14_bEUlT_E_NS1_11comp_targetILNS1_3genE10ELNS1_11target_archE1200ELNS1_3gpuE4ELNS1_3repE0EEENS1_30default_config_static_selectorELNS0_4arch9wavefront6targetE0EEEvSY_.has_dyn_sized_stack, 0
	.set _ZN7rocprim17ROCPRIM_400000_NS6detail17trampoline_kernelINS0_14default_configENS1_27lower_bound_config_selectorIylEEZNS1_14transform_implILb0ES3_S5_N6thrust23THRUST_200600_302600_NS6detail15normal_iteratorINS8_7pointerIyNS8_11hip_rocprim5par_tENS8_11use_defaultESE_EEEENSA_INSB_IlSD_SE_SE_EEEEZNS1_13binary_searchIS3_S5_NSA_INS8_10device_ptrIyEEEESG_SI_NS1_21lower_bound_search_opENS9_16wrapped_functionINS8_6system6detail7generic6detail18binary_search_lessEbEEEE10hipError_tPvRmT1_T2_T3_mmT4_T5_P12ihipStream_tbEUlRKyE_EESV_SZ_S10_mS11_S14_bEUlT_E_NS1_11comp_targetILNS1_3genE10ELNS1_11target_archE1200ELNS1_3gpuE4ELNS1_3repE0EEENS1_30default_config_static_selectorELNS0_4arch9wavefront6targetE0EEEvSY_.has_recursion, 0
	.set _ZN7rocprim17ROCPRIM_400000_NS6detail17trampoline_kernelINS0_14default_configENS1_27lower_bound_config_selectorIylEEZNS1_14transform_implILb0ES3_S5_N6thrust23THRUST_200600_302600_NS6detail15normal_iteratorINS8_7pointerIyNS8_11hip_rocprim5par_tENS8_11use_defaultESE_EEEENSA_INSB_IlSD_SE_SE_EEEEZNS1_13binary_searchIS3_S5_NSA_INS8_10device_ptrIyEEEESG_SI_NS1_21lower_bound_search_opENS9_16wrapped_functionINS8_6system6detail7generic6detail18binary_search_lessEbEEEE10hipError_tPvRmT1_T2_T3_mmT4_T5_P12ihipStream_tbEUlRKyE_EESV_SZ_S10_mS11_S14_bEUlT_E_NS1_11comp_targetILNS1_3genE10ELNS1_11target_archE1200ELNS1_3gpuE4ELNS1_3repE0EEENS1_30default_config_static_selectorELNS0_4arch9wavefront6targetE0EEEvSY_.has_indirect_call, 0
	.section	.AMDGPU.csdata,"",@progbits
; Kernel info:
; codeLenInByte = 0
; TotalNumSgprs: 0
; NumVgprs: 0
; ScratchSize: 0
; MemoryBound: 0
; FloatMode: 240
; IeeeMode: 1
; LDSByteSize: 0 bytes/workgroup (compile time only)
; SGPRBlocks: 0
; VGPRBlocks: 0
; NumSGPRsForWavesPerEU: 1
; NumVGPRsForWavesPerEU: 1
; Occupancy: 16
; WaveLimiterHint : 0
; COMPUTE_PGM_RSRC2:SCRATCH_EN: 0
; COMPUTE_PGM_RSRC2:USER_SGPR: 6
; COMPUTE_PGM_RSRC2:TRAP_HANDLER: 0
; COMPUTE_PGM_RSRC2:TGID_X_EN: 1
; COMPUTE_PGM_RSRC2:TGID_Y_EN: 0
; COMPUTE_PGM_RSRC2:TGID_Z_EN: 0
; COMPUTE_PGM_RSRC2:TIDIG_COMP_CNT: 0
	.section	.text._ZN7rocprim17ROCPRIM_400000_NS6detail17trampoline_kernelINS0_14default_configENS1_27lower_bound_config_selectorIylEEZNS1_14transform_implILb0ES3_S5_N6thrust23THRUST_200600_302600_NS6detail15normal_iteratorINS8_7pointerIyNS8_11hip_rocprim5par_tENS8_11use_defaultESE_EEEENSA_INSB_IlSD_SE_SE_EEEEZNS1_13binary_searchIS3_S5_NSA_INS8_10device_ptrIyEEEESG_SI_NS1_21lower_bound_search_opENS9_16wrapped_functionINS8_6system6detail7generic6detail18binary_search_lessEbEEEE10hipError_tPvRmT1_T2_T3_mmT4_T5_P12ihipStream_tbEUlRKyE_EESV_SZ_S10_mS11_S14_bEUlT_E_NS1_11comp_targetILNS1_3genE9ELNS1_11target_archE1100ELNS1_3gpuE3ELNS1_3repE0EEENS1_30default_config_static_selectorELNS0_4arch9wavefront6targetE0EEEvSY_,"axG",@progbits,_ZN7rocprim17ROCPRIM_400000_NS6detail17trampoline_kernelINS0_14default_configENS1_27lower_bound_config_selectorIylEEZNS1_14transform_implILb0ES3_S5_N6thrust23THRUST_200600_302600_NS6detail15normal_iteratorINS8_7pointerIyNS8_11hip_rocprim5par_tENS8_11use_defaultESE_EEEENSA_INSB_IlSD_SE_SE_EEEEZNS1_13binary_searchIS3_S5_NSA_INS8_10device_ptrIyEEEESG_SI_NS1_21lower_bound_search_opENS9_16wrapped_functionINS8_6system6detail7generic6detail18binary_search_lessEbEEEE10hipError_tPvRmT1_T2_T3_mmT4_T5_P12ihipStream_tbEUlRKyE_EESV_SZ_S10_mS11_S14_bEUlT_E_NS1_11comp_targetILNS1_3genE9ELNS1_11target_archE1100ELNS1_3gpuE3ELNS1_3repE0EEENS1_30default_config_static_selectorELNS0_4arch9wavefront6targetE0EEEvSY_,comdat
	.protected	_ZN7rocprim17ROCPRIM_400000_NS6detail17trampoline_kernelINS0_14default_configENS1_27lower_bound_config_selectorIylEEZNS1_14transform_implILb0ES3_S5_N6thrust23THRUST_200600_302600_NS6detail15normal_iteratorINS8_7pointerIyNS8_11hip_rocprim5par_tENS8_11use_defaultESE_EEEENSA_INSB_IlSD_SE_SE_EEEEZNS1_13binary_searchIS3_S5_NSA_INS8_10device_ptrIyEEEESG_SI_NS1_21lower_bound_search_opENS9_16wrapped_functionINS8_6system6detail7generic6detail18binary_search_lessEbEEEE10hipError_tPvRmT1_T2_T3_mmT4_T5_P12ihipStream_tbEUlRKyE_EESV_SZ_S10_mS11_S14_bEUlT_E_NS1_11comp_targetILNS1_3genE9ELNS1_11target_archE1100ELNS1_3gpuE3ELNS1_3repE0EEENS1_30default_config_static_selectorELNS0_4arch9wavefront6targetE0EEEvSY_ ; -- Begin function _ZN7rocprim17ROCPRIM_400000_NS6detail17trampoline_kernelINS0_14default_configENS1_27lower_bound_config_selectorIylEEZNS1_14transform_implILb0ES3_S5_N6thrust23THRUST_200600_302600_NS6detail15normal_iteratorINS8_7pointerIyNS8_11hip_rocprim5par_tENS8_11use_defaultESE_EEEENSA_INSB_IlSD_SE_SE_EEEEZNS1_13binary_searchIS3_S5_NSA_INS8_10device_ptrIyEEEESG_SI_NS1_21lower_bound_search_opENS9_16wrapped_functionINS8_6system6detail7generic6detail18binary_search_lessEbEEEE10hipError_tPvRmT1_T2_T3_mmT4_T5_P12ihipStream_tbEUlRKyE_EESV_SZ_S10_mS11_S14_bEUlT_E_NS1_11comp_targetILNS1_3genE9ELNS1_11target_archE1100ELNS1_3gpuE3ELNS1_3repE0EEENS1_30default_config_static_selectorELNS0_4arch9wavefront6targetE0EEEvSY_
	.globl	_ZN7rocprim17ROCPRIM_400000_NS6detail17trampoline_kernelINS0_14default_configENS1_27lower_bound_config_selectorIylEEZNS1_14transform_implILb0ES3_S5_N6thrust23THRUST_200600_302600_NS6detail15normal_iteratorINS8_7pointerIyNS8_11hip_rocprim5par_tENS8_11use_defaultESE_EEEENSA_INSB_IlSD_SE_SE_EEEEZNS1_13binary_searchIS3_S5_NSA_INS8_10device_ptrIyEEEESG_SI_NS1_21lower_bound_search_opENS9_16wrapped_functionINS8_6system6detail7generic6detail18binary_search_lessEbEEEE10hipError_tPvRmT1_T2_T3_mmT4_T5_P12ihipStream_tbEUlRKyE_EESV_SZ_S10_mS11_S14_bEUlT_E_NS1_11comp_targetILNS1_3genE9ELNS1_11target_archE1100ELNS1_3gpuE3ELNS1_3repE0EEENS1_30default_config_static_selectorELNS0_4arch9wavefront6targetE0EEEvSY_
	.p2align	8
	.type	_ZN7rocprim17ROCPRIM_400000_NS6detail17trampoline_kernelINS0_14default_configENS1_27lower_bound_config_selectorIylEEZNS1_14transform_implILb0ES3_S5_N6thrust23THRUST_200600_302600_NS6detail15normal_iteratorINS8_7pointerIyNS8_11hip_rocprim5par_tENS8_11use_defaultESE_EEEENSA_INSB_IlSD_SE_SE_EEEEZNS1_13binary_searchIS3_S5_NSA_INS8_10device_ptrIyEEEESG_SI_NS1_21lower_bound_search_opENS9_16wrapped_functionINS8_6system6detail7generic6detail18binary_search_lessEbEEEE10hipError_tPvRmT1_T2_T3_mmT4_T5_P12ihipStream_tbEUlRKyE_EESV_SZ_S10_mS11_S14_bEUlT_E_NS1_11comp_targetILNS1_3genE9ELNS1_11target_archE1100ELNS1_3gpuE3ELNS1_3repE0EEENS1_30default_config_static_selectorELNS0_4arch9wavefront6targetE0EEEvSY_,@function
_ZN7rocprim17ROCPRIM_400000_NS6detail17trampoline_kernelINS0_14default_configENS1_27lower_bound_config_selectorIylEEZNS1_14transform_implILb0ES3_S5_N6thrust23THRUST_200600_302600_NS6detail15normal_iteratorINS8_7pointerIyNS8_11hip_rocprim5par_tENS8_11use_defaultESE_EEEENSA_INSB_IlSD_SE_SE_EEEEZNS1_13binary_searchIS3_S5_NSA_INS8_10device_ptrIyEEEESG_SI_NS1_21lower_bound_search_opENS9_16wrapped_functionINS8_6system6detail7generic6detail18binary_search_lessEbEEEE10hipError_tPvRmT1_T2_T3_mmT4_T5_P12ihipStream_tbEUlRKyE_EESV_SZ_S10_mS11_S14_bEUlT_E_NS1_11comp_targetILNS1_3genE9ELNS1_11target_archE1100ELNS1_3gpuE3ELNS1_3repE0EEENS1_30default_config_static_selectorELNS0_4arch9wavefront6targetE0EEEvSY_: ; @_ZN7rocprim17ROCPRIM_400000_NS6detail17trampoline_kernelINS0_14default_configENS1_27lower_bound_config_selectorIylEEZNS1_14transform_implILb0ES3_S5_N6thrust23THRUST_200600_302600_NS6detail15normal_iteratorINS8_7pointerIyNS8_11hip_rocprim5par_tENS8_11use_defaultESE_EEEENSA_INSB_IlSD_SE_SE_EEEEZNS1_13binary_searchIS3_S5_NSA_INS8_10device_ptrIyEEEESG_SI_NS1_21lower_bound_search_opENS9_16wrapped_functionINS8_6system6detail7generic6detail18binary_search_lessEbEEEE10hipError_tPvRmT1_T2_T3_mmT4_T5_P12ihipStream_tbEUlRKyE_EESV_SZ_S10_mS11_S14_bEUlT_E_NS1_11comp_targetILNS1_3genE9ELNS1_11target_archE1100ELNS1_3gpuE3ELNS1_3repE0EEENS1_30default_config_static_selectorELNS0_4arch9wavefront6targetE0EEEvSY_
; %bb.0:
	.section	.rodata,"a",@progbits
	.p2align	6, 0x0
	.amdhsa_kernel _ZN7rocprim17ROCPRIM_400000_NS6detail17trampoline_kernelINS0_14default_configENS1_27lower_bound_config_selectorIylEEZNS1_14transform_implILb0ES3_S5_N6thrust23THRUST_200600_302600_NS6detail15normal_iteratorINS8_7pointerIyNS8_11hip_rocprim5par_tENS8_11use_defaultESE_EEEENSA_INSB_IlSD_SE_SE_EEEEZNS1_13binary_searchIS3_S5_NSA_INS8_10device_ptrIyEEEESG_SI_NS1_21lower_bound_search_opENS9_16wrapped_functionINS8_6system6detail7generic6detail18binary_search_lessEbEEEE10hipError_tPvRmT1_T2_T3_mmT4_T5_P12ihipStream_tbEUlRKyE_EESV_SZ_S10_mS11_S14_bEUlT_E_NS1_11comp_targetILNS1_3genE9ELNS1_11target_archE1100ELNS1_3gpuE3ELNS1_3repE0EEENS1_30default_config_static_selectorELNS0_4arch9wavefront6targetE0EEEvSY_
		.amdhsa_group_segment_fixed_size 0
		.amdhsa_private_segment_fixed_size 0
		.amdhsa_kernarg_size 56
		.amdhsa_user_sgpr_count 6
		.amdhsa_user_sgpr_private_segment_buffer 1
		.amdhsa_user_sgpr_dispatch_ptr 0
		.amdhsa_user_sgpr_queue_ptr 0
		.amdhsa_user_sgpr_kernarg_segment_ptr 1
		.amdhsa_user_sgpr_dispatch_id 0
		.amdhsa_user_sgpr_flat_scratch_init 0
		.amdhsa_user_sgpr_private_segment_size 0
		.amdhsa_wavefront_size32 1
		.amdhsa_uses_dynamic_stack 0
		.amdhsa_system_sgpr_private_segment_wavefront_offset 0
		.amdhsa_system_sgpr_workgroup_id_x 1
		.amdhsa_system_sgpr_workgroup_id_y 0
		.amdhsa_system_sgpr_workgroup_id_z 0
		.amdhsa_system_sgpr_workgroup_info 0
		.amdhsa_system_vgpr_workitem_id 0
		.amdhsa_next_free_vgpr 1
		.amdhsa_next_free_sgpr 1
		.amdhsa_reserve_vcc 0
		.amdhsa_reserve_flat_scratch 0
		.amdhsa_float_round_mode_32 0
		.amdhsa_float_round_mode_16_64 0
		.amdhsa_float_denorm_mode_32 3
		.amdhsa_float_denorm_mode_16_64 3
		.amdhsa_dx10_clamp 1
		.amdhsa_ieee_mode 1
		.amdhsa_fp16_overflow 0
		.amdhsa_workgroup_processor_mode 1
		.amdhsa_memory_ordered 1
		.amdhsa_forward_progress 1
		.amdhsa_shared_vgpr_count 0
		.amdhsa_exception_fp_ieee_invalid_op 0
		.amdhsa_exception_fp_denorm_src 0
		.amdhsa_exception_fp_ieee_div_zero 0
		.amdhsa_exception_fp_ieee_overflow 0
		.amdhsa_exception_fp_ieee_underflow 0
		.amdhsa_exception_fp_ieee_inexact 0
		.amdhsa_exception_int_div_zero 0
	.end_amdhsa_kernel
	.section	.text._ZN7rocprim17ROCPRIM_400000_NS6detail17trampoline_kernelINS0_14default_configENS1_27lower_bound_config_selectorIylEEZNS1_14transform_implILb0ES3_S5_N6thrust23THRUST_200600_302600_NS6detail15normal_iteratorINS8_7pointerIyNS8_11hip_rocprim5par_tENS8_11use_defaultESE_EEEENSA_INSB_IlSD_SE_SE_EEEEZNS1_13binary_searchIS3_S5_NSA_INS8_10device_ptrIyEEEESG_SI_NS1_21lower_bound_search_opENS9_16wrapped_functionINS8_6system6detail7generic6detail18binary_search_lessEbEEEE10hipError_tPvRmT1_T2_T3_mmT4_T5_P12ihipStream_tbEUlRKyE_EESV_SZ_S10_mS11_S14_bEUlT_E_NS1_11comp_targetILNS1_3genE9ELNS1_11target_archE1100ELNS1_3gpuE3ELNS1_3repE0EEENS1_30default_config_static_selectorELNS0_4arch9wavefront6targetE0EEEvSY_,"axG",@progbits,_ZN7rocprim17ROCPRIM_400000_NS6detail17trampoline_kernelINS0_14default_configENS1_27lower_bound_config_selectorIylEEZNS1_14transform_implILb0ES3_S5_N6thrust23THRUST_200600_302600_NS6detail15normal_iteratorINS8_7pointerIyNS8_11hip_rocprim5par_tENS8_11use_defaultESE_EEEENSA_INSB_IlSD_SE_SE_EEEEZNS1_13binary_searchIS3_S5_NSA_INS8_10device_ptrIyEEEESG_SI_NS1_21lower_bound_search_opENS9_16wrapped_functionINS8_6system6detail7generic6detail18binary_search_lessEbEEEE10hipError_tPvRmT1_T2_T3_mmT4_T5_P12ihipStream_tbEUlRKyE_EESV_SZ_S10_mS11_S14_bEUlT_E_NS1_11comp_targetILNS1_3genE9ELNS1_11target_archE1100ELNS1_3gpuE3ELNS1_3repE0EEENS1_30default_config_static_selectorELNS0_4arch9wavefront6targetE0EEEvSY_,comdat
.Lfunc_end365:
	.size	_ZN7rocprim17ROCPRIM_400000_NS6detail17trampoline_kernelINS0_14default_configENS1_27lower_bound_config_selectorIylEEZNS1_14transform_implILb0ES3_S5_N6thrust23THRUST_200600_302600_NS6detail15normal_iteratorINS8_7pointerIyNS8_11hip_rocprim5par_tENS8_11use_defaultESE_EEEENSA_INSB_IlSD_SE_SE_EEEEZNS1_13binary_searchIS3_S5_NSA_INS8_10device_ptrIyEEEESG_SI_NS1_21lower_bound_search_opENS9_16wrapped_functionINS8_6system6detail7generic6detail18binary_search_lessEbEEEE10hipError_tPvRmT1_T2_T3_mmT4_T5_P12ihipStream_tbEUlRKyE_EESV_SZ_S10_mS11_S14_bEUlT_E_NS1_11comp_targetILNS1_3genE9ELNS1_11target_archE1100ELNS1_3gpuE3ELNS1_3repE0EEENS1_30default_config_static_selectorELNS0_4arch9wavefront6targetE0EEEvSY_, .Lfunc_end365-_ZN7rocprim17ROCPRIM_400000_NS6detail17trampoline_kernelINS0_14default_configENS1_27lower_bound_config_selectorIylEEZNS1_14transform_implILb0ES3_S5_N6thrust23THRUST_200600_302600_NS6detail15normal_iteratorINS8_7pointerIyNS8_11hip_rocprim5par_tENS8_11use_defaultESE_EEEENSA_INSB_IlSD_SE_SE_EEEEZNS1_13binary_searchIS3_S5_NSA_INS8_10device_ptrIyEEEESG_SI_NS1_21lower_bound_search_opENS9_16wrapped_functionINS8_6system6detail7generic6detail18binary_search_lessEbEEEE10hipError_tPvRmT1_T2_T3_mmT4_T5_P12ihipStream_tbEUlRKyE_EESV_SZ_S10_mS11_S14_bEUlT_E_NS1_11comp_targetILNS1_3genE9ELNS1_11target_archE1100ELNS1_3gpuE3ELNS1_3repE0EEENS1_30default_config_static_selectorELNS0_4arch9wavefront6targetE0EEEvSY_
                                        ; -- End function
	.set _ZN7rocprim17ROCPRIM_400000_NS6detail17trampoline_kernelINS0_14default_configENS1_27lower_bound_config_selectorIylEEZNS1_14transform_implILb0ES3_S5_N6thrust23THRUST_200600_302600_NS6detail15normal_iteratorINS8_7pointerIyNS8_11hip_rocprim5par_tENS8_11use_defaultESE_EEEENSA_INSB_IlSD_SE_SE_EEEEZNS1_13binary_searchIS3_S5_NSA_INS8_10device_ptrIyEEEESG_SI_NS1_21lower_bound_search_opENS9_16wrapped_functionINS8_6system6detail7generic6detail18binary_search_lessEbEEEE10hipError_tPvRmT1_T2_T3_mmT4_T5_P12ihipStream_tbEUlRKyE_EESV_SZ_S10_mS11_S14_bEUlT_E_NS1_11comp_targetILNS1_3genE9ELNS1_11target_archE1100ELNS1_3gpuE3ELNS1_3repE0EEENS1_30default_config_static_selectorELNS0_4arch9wavefront6targetE0EEEvSY_.num_vgpr, 0
	.set _ZN7rocprim17ROCPRIM_400000_NS6detail17trampoline_kernelINS0_14default_configENS1_27lower_bound_config_selectorIylEEZNS1_14transform_implILb0ES3_S5_N6thrust23THRUST_200600_302600_NS6detail15normal_iteratorINS8_7pointerIyNS8_11hip_rocprim5par_tENS8_11use_defaultESE_EEEENSA_INSB_IlSD_SE_SE_EEEEZNS1_13binary_searchIS3_S5_NSA_INS8_10device_ptrIyEEEESG_SI_NS1_21lower_bound_search_opENS9_16wrapped_functionINS8_6system6detail7generic6detail18binary_search_lessEbEEEE10hipError_tPvRmT1_T2_T3_mmT4_T5_P12ihipStream_tbEUlRKyE_EESV_SZ_S10_mS11_S14_bEUlT_E_NS1_11comp_targetILNS1_3genE9ELNS1_11target_archE1100ELNS1_3gpuE3ELNS1_3repE0EEENS1_30default_config_static_selectorELNS0_4arch9wavefront6targetE0EEEvSY_.num_agpr, 0
	.set _ZN7rocprim17ROCPRIM_400000_NS6detail17trampoline_kernelINS0_14default_configENS1_27lower_bound_config_selectorIylEEZNS1_14transform_implILb0ES3_S5_N6thrust23THRUST_200600_302600_NS6detail15normal_iteratorINS8_7pointerIyNS8_11hip_rocprim5par_tENS8_11use_defaultESE_EEEENSA_INSB_IlSD_SE_SE_EEEEZNS1_13binary_searchIS3_S5_NSA_INS8_10device_ptrIyEEEESG_SI_NS1_21lower_bound_search_opENS9_16wrapped_functionINS8_6system6detail7generic6detail18binary_search_lessEbEEEE10hipError_tPvRmT1_T2_T3_mmT4_T5_P12ihipStream_tbEUlRKyE_EESV_SZ_S10_mS11_S14_bEUlT_E_NS1_11comp_targetILNS1_3genE9ELNS1_11target_archE1100ELNS1_3gpuE3ELNS1_3repE0EEENS1_30default_config_static_selectorELNS0_4arch9wavefront6targetE0EEEvSY_.numbered_sgpr, 0
	.set _ZN7rocprim17ROCPRIM_400000_NS6detail17trampoline_kernelINS0_14default_configENS1_27lower_bound_config_selectorIylEEZNS1_14transform_implILb0ES3_S5_N6thrust23THRUST_200600_302600_NS6detail15normal_iteratorINS8_7pointerIyNS8_11hip_rocprim5par_tENS8_11use_defaultESE_EEEENSA_INSB_IlSD_SE_SE_EEEEZNS1_13binary_searchIS3_S5_NSA_INS8_10device_ptrIyEEEESG_SI_NS1_21lower_bound_search_opENS9_16wrapped_functionINS8_6system6detail7generic6detail18binary_search_lessEbEEEE10hipError_tPvRmT1_T2_T3_mmT4_T5_P12ihipStream_tbEUlRKyE_EESV_SZ_S10_mS11_S14_bEUlT_E_NS1_11comp_targetILNS1_3genE9ELNS1_11target_archE1100ELNS1_3gpuE3ELNS1_3repE0EEENS1_30default_config_static_selectorELNS0_4arch9wavefront6targetE0EEEvSY_.num_named_barrier, 0
	.set _ZN7rocprim17ROCPRIM_400000_NS6detail17trampoline_kernelINS0_14default_configENS1_27lower_bound_config_selectorIylEEZNS1_14transform_implILb0ES3_S5_N6thrust23THRUST_200600_302600_NS6detail15normal_iteratorINS8_7pointerIyNS8_11hip_rocprim5par_tENS8_11use_defaultESE_EEEENSA_INSB_IlSD_SE_SE_EEEEZNS1_13binary_searchIS3_S5_NSA_INS8_10device_ptrIyEEEESG_SI_NS1_21lower_bound_search_opENS9_16wrapped_functionINS8_6system6detail7generic6detail18binary_search_lessEbEEEE10hipError_tPvRmT1_T2_T3_mmT4_T5_P12ihipStream_tbEUlRKyE_EESV_SZ_S10_mS11_S14_bEUlT_E_NS1_11comp_targetILNS1_3genE9ELNS1_11target_archE1100ELNS1_3gpuE3ELNS1_3repE0EEENS1_30default_config_static_selectorELNS0_4arch9wavefront6targetE0EEEvSY_.private_seg_size, 0
	.set _ZN7rocprim17ROCPRIM_400000_NS6detail17trampoline_kernelINS0_14default_configENS1_27lower_bound_config_selectorIylEEZNS1_14transform_implILb0ES3_S5_N6thrust23THRUST_200600_302600_NS6detail15normal_iteratorINS8_7pointerIyNS8_11hip_rocprim5par_tENS8_11use_defaultESE_EEEENSA_INSB_IlSD_SE_SE_EEEEZNS1_13binary_searchIS3_S5_NSA_INS8_10device_ptrIyEEEESG_SI_NS1_21lower_bound_search_opENS9_16wrapped_functionINS8_6system6detail7generic6detail18binary_search_lessEbEEEE10hipError_tPvRmT1_T2_T3_mmT4_T5_P12ihipStream_tbEUlRKyE_EESV_SZ_S10_mS11_S14_bEUlT_E_NS1_11comp_targetILNS1_3genE9ELNS1_11target_archE1100ELNS1_3gpuE3ELNS1_3repE0EEENS1_30default_config_static_selectorELNS0_4arch9wavefront6targetE0EEEvSY_.uses_vcc, 0
	.set _ZN7rocprim17ROCPRIM_400000_NS6detail17trampoline_kernelINS0_14default_configENS1_27lower_bound_config_selectorIylEEZNS1_14transform_implILb0ES3_S5_N6thrust23THRUST_200600_302600_NS6detail15normal_iteratorINS8_7pointerIyNS8_11hip_rocprim5par_tENS8_11use_defaultESE_EEEENSA_INSB_IlSD_SE_SE_EEEEZNS1_13binary_searchIS3_S5_NSA_INS8_10device_ptrIyEEEESG_SI_NS1_21lower_bound_search_opENS9_16wrapped_functionINS8_6system6detail7generic6detail18binary_search_lessEbEEEE10hipError_tPvRmT1_T2_T3_mmT4_T5_P12ihipStream_tbEUlRKyE_EESV_SZ_S10_mS11_S14_bEUlT_E_NS1_11comp_targetILNS1_3genE9ELNS1_11target_archE1100ELNS1_3gpuE3ELNS1_3repE0EEENS1_30default_config_static_selectorELNS0_4arch9wavefront6targetE0EEEvSY_.uses_flat_scratch, 0
	.set _ZN7rocprim17ROCPRIM_400000_NS6detail17trampoline_kernelINS0_14default_configENS1_27lower_bound_config_selectorIylEEZNS1_14transform_implILb0ES3_S5_N6thrust23THRUST_200600_302600_NS6detail15normal_iteratorINS8_7pointerIyNS8_11hip_rocprim5par_tENS8_11use_defaultESE_EEEENSA_INSB_IlSD_SE_SE_EEEEZNS1_13binary_searchIS3_S5_NSA_INS8_10device_ptrIyEEEESG_SI_NS1_21lower_bound_search_opENS9_16wrapped_functionINS8_6system6detail7generic6detail18binary_search_lessEbEEEE10hipError_tPvRmT1_T2_T3_mmT4_T5_P12ihipStream_tbEUlRKyE_EESV_SZ_S10_mS11_S14_bEUlT_E_NS1_11comp_targetILNS1_3genE9ELNS1_11target_archE1100ELNS1_3gpuE3ELNS1_3repE0EEENS1_30default_config_static_selectorELNS0_4arch9wavefront6targetE0EEEvSY_.has_dyn_sized_stack, 0
	.set _ZN7rocprim17ROCPRIM_400000_NS6detail17trampoline_kernelINS0_14default_configENS1_27lower_bound_config_selectorIylEEZNS1_14transform_implILb0ES3_S5_N6thrust23THRUST_200600_302600_NS6detail15normal_iteratorINS8_7pointerIyNS8_11hip_rocprim5par_tENS8_11use_defaultESE_EEEENSA_INSB_IlSD_SE_SE_EEEEZNS1_13binary_searchIS3_S5_NSA_INS8_10device_ptrIyEEEESG_SI_NS1_21lower_bound_search_opENS9_16wrapped_functionINS8_6system6detail7generic6detail18binary_search_lessEbEEEE10hipError_tPvRmT1_T2_T3_mmT4_T5_P12ihipStream_tbEUlRKyE_EESV_SZ_S10_mS11_S14_bEUlT_E_NS1_11comp_targetILNS1_3genE9ELNS1_11target_archE1100ELNS1_3gpuE3ELNS1_3repE0EEENS1_30default_config_static_selectorELNS0_4arch9wavefront6targetE0EEEvSY_.has_recursion, 0
	.set _ZN7rocprim17ROCPRIM_400000_NS6detail17trampoline_kernelINS0_14default_configENS1_27lower_bound_config_selectorIylEEZNS1_14transform_implILb0ES3_S5_N6thrust23THRUST_200600_302600_NS6detail15normal_iteratorINS8_7pointerIyNS8_11hip_rocprim5par_tENS8_11use_defaultESE_EEEENSA_INSB_IlSD_SE_SE_EEEEZNS1_13binary_searchIS3_S5_NSA_INS8_10device_ptrIyEEEESG_SI_NS1_21lower_bound_search_opENS9_16wrapped_functionINS8_6system6detail7generic6detail18binary_search_lessEbEEEE10hipError_tPvRmT1_T2_T3_mmT4_T5_P12ihipStream_tbEUlRKyE_EESV_SZ_S10_mS11_S14_bEUlT_E_NS1_11comp_targetILNS1_3genE9ELNS1_11target_archE1100ELNS1_3gpuE3ELNS1_3repE0EEENS1_30default_config_static_selectorELNS0_4arch9wavefront6targetE0EEEvSY_.has_indirect_call, 0
	.section	.AMDGPU.csdata,"",@progbits
; Kernel info:
; codeLenInByte = 0
; TotalNumSgprs: 0
; NumVgprs: 0
; ScratchSize: 0
; MemoryBound: 0
; FloatMode: 240
; IeeeMode: 1
; LDSByteSize: 0 bytes/workgroup (compile time only)
; SGPRBlocks: 0
; VGPRBlocks: 0
; NumSGPRsForWavesPerEU: 1
; NumVGPRsForWavesPerEU: 1
; Occupancy: 16
; WaveLimiterHint : 0
; COMPUTE_PGM_RSRC2:SCRATCH_EN: 0
; COMPUTE_PGM_RSRC2:USER_SGPR: 6
; COMPUTE_PGM_RSRC2:TRAP_HANDLER: 0
; COMPUTE_PGM_RSRC2:TGID_X_EN: 1
; COMPUTE_PGM_RSRC2:TGID_Y_EN: 0
; COMPUTE_PGM_RSRC2:TGID_Z_EN: 0
; COMPUTE_PGM_RSRC2:TIDIG_COMP_CNT: 0
	.section	.text._ZN7rocprim17ROCPRIM_400000_NS6detail17trampoline_kernelINS0_14default_configENS1_27lower_bound_config_selectorIylEEZNS1_14transform_implILb0ES3_S5_N6thrust23THRUST_200600_302600_NS6detail15normal_iteratorINS8_7pointerIyNS8_11hip_rocprim5par_tENS8_11use_defaultESE_EEEENSA_INSB_IlSD_SE_SE_EEEEZNS1_13binary_searchIS3_S5_NSA_INS8_10device_ptrIyEEEESG_SI_NS1_21lower_bound_search_opENS9_16wrapped_functionINS8_6system6detail7generic6detail18binary_search_lessEbEEEE10hipError_tPvRmT1_T2_T3_mmT4_T5_P12ihipStream_tbEUlRKyE_EESV_SZ_S10_mS11_S14_bEUlT_E_NS1_11comp_targetILNS1_3genE8ELNS1_11target_archE1030ELNS1_3gpuE2ELNS1_3repE0EEENS1_30default_config_static_selectorELNS0_4arch9wavefront6targetE0EEEvSY_,"axG",@progbits,_ZN7rocprim17ROCPRIM_400000_NS6detail17trampoline_kernelINS0_14default_configENS1_27lower_bound_config_selectorIylEEZNS1_14transform_implILb0ES3_S5_N6thrust23THRUST_200600_302600_NS6detail15normal_iteratorINS8_7pointerIyNS8_11hip_rocprim5par_tENS8_11use_defaultESE_EEEENSA_INSB_IlSD_SE_SE_EEEEZNS1_13binary_searchIS3_S5_NSA_INS8_10device_ptrIyEEEESG_SI_NS1_21lower_bound_search_opENS9_16wrapped_functionINS8_6system6detail7generic6detail18binary_search_lessEbEEEE10hipError_tPvRmT1_T2_T3_mmT4_T5_P12ihipStream_tbEUlRKyE_EESV_SZ_S10_mS11_S14_bEUlT_E_NS1_11comp_targetILNS1_3genE8ELNS1_11target_archE1030ELNS1_3gpuE2ELNS1_3repE0EEENS1_30default_config_static_selectorELNS0_4arch9wavefront6targetE0EEEvSY_,comdat
	.protected	_ZN7rocprim17ROCPRIM_400000_NS6detail17trampoline_kernelINS0_14default_configENS1_27lower_bound_config_selectorIylEEZNS1_14transform_implILb0ES3_S5_N6thrust23THRUST_200600_302600_NS6detail15normal_iteratorINS8_7pointerIyNS8_11hip_rocprim5par_tENS8_11use_defaultESE_EEEENSA_INSB_IlSD_SE_SE_EEEEZNS1_13binary_searchIS3_S5_NSA_INS8_10device_ptrIyEEEESG_SI_NS1_21lower_bound_search_opENS9_16wrapped_functionINS8_6system6detail7generic6detail18binary_search_lessEbEEEE10hipError_tPvRmT1_T2_T3_mmT4_T5_P12ihipStream_tbEUlRKyE_EESV_SZ_S10_mS11_S14_bEUlT_E_NS1_11comp_targetILNS1_3genE8ELNS1_11target_archE1030ELNS1_3gpuE2ELNS1_3repE0EEENS1_30default_config_static_selectorELNS0_4arch9wavefront6targetE0EEEvSY_ ; -- Begin function _ZN7rocprim17ROCPRIM_400000_NS6detail17trampoline_kernelINS0_14default_configENS1_27lower_bound_config_selectorIylEEZNS1_14transform_implILb0ES3_S5_N6thrust23THRUST_200600_302600_NS6detail15normal_iteratorINS8_7pointerIyNS8_11hip_rocprim5par_tENS8_11use_defaultESE_EEEENSA_INSB_IlSD_SE_SE_EEEEZNS1_13binary_searchIS3_S5_NSA_INS8_10device_ptrIyEEEESG_SI_NS1_21lower_bound_search_opENS9_16wrapped_functionINS8_6system6detail7generic6detail18binary_search_lessEbEEEE10hipError_tPvRmT1_T2_T3_mmT4_T5_P12ihipStream_tbEUlRKyE_EESV_SZ_S10_mS11_S14_bEUlT_E_NS1_11comp_targetILNS1_3genE8ELNS1_11target_archE1030ELNS1_3gpuE2ELNS1_3repE0EEENS1_30default_config_static_selectorELNS0_4arch9wavefront6targetE0EEEvSY_
	.globl	_ZN7rocprim17ROCPRIM_400000_NS6detail17trampoline_kernelINS0_14default_configENS1_27lower_bound_config_selectorIylEEZNS1_14transform_implILb0ES3_S5_N6thrust23THRUST_200600_302600_NS6detail15normal_iteratorINS8_7pointerIyNS8_11hip_rocprim5par_tENS8_11use_defaultESE_EEEENSA_INSB_IlSD_SE_SE_EEEEZNS1_13binary_searchIS3_S5_NSA_INS8_10device_ptrIyEEEESG_SI_NS1_21lower_bound_search_opENS9_16wrapped_functionINS8_6system6detail7generic6detail18binary_search_lessEbEEEE10hipError_tPvRmT1_T2_T3_mmT4_T5_P12ihipStream_tbEUlRKyE_EESV_SZ_S10_mS11_S14_bEUlT_E_NS1_11comp_targetILNS1_3genE8ELNS1_11target_archE1030ELNS1_3gpuE2ELNS1_3repE0EEENS1_30default_config_static_selectorELNS0_4arch9wavefront6targetE0EEEvSY_
	.p2align	8
	.type	_ZN7rocprim17ROCPRIM_400000_NS6detail17trampoline_kernelINS0_14default_configENS1_27lower_bound_config_selectorIylEEZNS1_14transform_implILb0ES3_S5_N6thrust23THRUST_200600_302600_NS6detail15normal_iteratorINS8_7pointerIyNS8_11hip_rocprim5par_tENS8_11use_defaultESE_EEEENSA_INSB_IlSD_SE_SE_EEEEZNS1_13binary_searchIS3_S5_NSA_INS8_10device_ptrIyEEEESG_SI_NS1_21lower_bound_search_opENS9_16wrapped_functionINS8_6system6detail7generic6detail18binary_search_lessEbEEEE10hipError_tPvRmT1_T2_T3_mmT4_T5_P12ihipStream_tbEUlRKyE_EESV_SZ_S10_mS11_S14_bEUlT_E_NS1_11comp_targetILNS1_3genE8ELNS1_11target_archE1030ELNS1_3gpuE2ELNS1_3repE0EEENS1_30default_config_static_selectorELNS0_4arch9wavefront6targetE0EEEvSY_,@function
_ZN7rocprim17ROCPRIM_400000_NS6detail17trampoline_kernelINS0_14default_configENS1_27lower_bound_config_selectorIylEEZNS1_14transform_implILb0ES3_S5_N6thrust23THRUST_200600_302600_NS6detail15normal_iteratorINS8_7pointerIyNS8_11hip_rocprim5par_tENS8_11use_defaultESE_EEEENSA_INSB_IlSD_SE_SE_EEEEZNS1_13binary_searchIS3_S5_NSA_INS8_10device_ptrIyEEEESG_SI_NS1_21lower_bound_search_opENS9_16wrapped_functionINS8_6system6detail7generic6detail18binary_search_lessEbEEEE10hipError_tPvRmT1_T2_T3_mmT4_T5_P12ihipStream_tbEUlRKyE_EESV_SZ_S10_mS11_S14_bEUlT_E_NS1_11comp_targetILNS1_3genE8ELNS1_11target_archE1030ELNS1_3gpuE2ELNS1_3repE0EEENS1_30default_config_static_selectorELNS0_4arch9wavefront6targetE0EEEvSY_: ; @_ZN7rocprim17ROCPRIM_400000_NS6detail17trampoline_kernelINS0_14default_configENS1_27lower_bound_config_selectorIylEEZNS1_14transform_implILb0ES3_S5_N6thrust23THRUST_200600_302600_NS6detail15normal_iteratorINS8_7pointerIyNS8_11hip_rocprim5par_tENS8_11use_defaultESE_EEEENSA_INSB_IlSD_SE_SE_EEEEZNS1_13binary_searchIS3_S5_NSA_INS8_10device_ptrIyEEEESG_SI_NS1_21lower_bound_search_opENS9_16wrapped_functionINS8_6system6detail7generic6detail18binary_search_lessEbEEEE10hipError_tPvRmT1_T2_T3_mmT4_T5_P12ihipStream_tbEUlRKyE_EESV_SZ_S10_mS11_S14_bEUlT_E_NS1_11comp_targetILNS1_3genE8ELNS1_11target_archE1030ELNS1_3gpuE2ELNS1_3repE0EEENS1_30default_config_static_selectorELNS0_4arch9wavefront6targetE0EEEvSY_
; %bb.0:
	s_clause 0x3
	s_load_dwordx4 s[16:19], s[4:5], 0x0
	s_load_dwordx4 s[0:3], s[4:5], 0x18
	s_load_dword s15, s[4:5], 0x38
	s_load_dwordx2 s[10:11], s[4:5], 0x28
	s_waitcnt lgkmcnt(0)
	s_lshl_b64 s[8:9], s[18:19], 3
	s_add_u32 s13, s16, s8
	s_addc_u32 s14, s17, s9
	s_add_u32 s7, s0, s8
	s_addc_u32 s12, s1, s9
	s_add_i32 s15, s15, -1
	s_lshl_b32 s8, s6, 8
	s_mov_b32 s9, 0
	s_cmp_lg_u32 s6, s15
	s_mov_b32 s0, -1
	s_cbranch_scc0 .LBB366_7
; %bb.1:
	s_cmp_eq_u64 s[10:11], 0
	s_cbranch_scc1 .LBB366_5
; %bb.2:
	v_lshlrev_b32_e32 v1, 3, v0
	s_lshl_b64 s[0:1], s[8:9], 3
	v_mov_b32_e32 v5, s10
	s_add_u32 s0, s13, s0
	s_addc_u32 s1, s14, s1
	v_add_co_u32 v1, s0, s0, v1
	v_add_co_ci_u32_e64 v2, null, s1, 0, s0
	v_mov_b32_e32 v6, s11
	s_mov_b32 s1, 0
	flat_load_dwordx2 v[3:4], v[1:2]
	v_mov_b32_e32 v1, 0
	v_mov_b32_e32 v2, 0
	s_inst_prefetch 0x1
	.p2align	6
.LBB366_3:                              ; =>This Inner Loop Header: Depth=1
	v_sub_co_u32 v7, vcc_lo, v5, v1
	v_sub_co_ci_u32_e64 v8, null, v6, v2, vcc_lo
	v_lshrrev_b64 v[9:10], 1, v[7:8]
	v_lshrrev_b64 v[7:8], 6, v[7:8]
	v_add_co_u32 v9, vcc_lo, v9, v1
	v_add_co_ci_u32_e64 v10, null, v10, v2, vcc_lo
	v_add_co_u32 v7, vcc_lo, v9, v7
	v_add_co_ci_u32_e64 v8, null, v10, v8, vcc_lo
	v_lshlrev_b64 v[9:10], 3, v[7:8]
	v_add_co_u32 v9, vcc_lo, s2, v9
	v_add_co_ci_u32_e64 v10, null, s3, v10, vcc_lo
	v_add_co_u32 v11, vcc_lo, v7, 1
	global_load_dwordx2 v[9:10], v[9:10], off
	s_waitcnt vmcnt(0) lgkmcnt(0)
	v_cmp_lt_u64_e64 s0, v[9:10], v[3:4]
	v_add_co_ci_u32_e64 v9, null, 0, v8, vcc_lo
	v_cndmask_b32_e64 v6, v8, v6, s0
	v_cndmask_b32_e64 v5, v7, v5, s0
	;; [unrolled: 1-line block ×4, first 2 shown]
	v_cmp_ge_u64_e32 vcc_lo, v[1:2], v[5:6]
	s_or_b32 s1, vcc_lo, s1
	s_andn2_b32 exec_lo, exec_lo, s1
	s_cbranch_execnz .LBB366_3
; %bb.4:
	s_inst_prefetch 0x2
	s_or_b32 exec_lo, exec_lo, s1
	s_branch .LBB366_6
.LBB366_5:
	v_mov_b32_e32 v1, 0
	v_mov_b32_e32 v2, 0
.LBB366_6:
	v_lshlrev_b32_e32 v3, 3, v0
	s_lshl_b64 s[0:1], s[8:9], 3
	s_add_u32 s0, s7, s0
	s_addc_u32 s1, s12, s1
	v_add_co_u32 v3, s0, s0, v3
	v_add_co_ci_u32_e64 v4, null, s1, 0, s0
	s_mov_b32 s0, 0
	flat_store_dwordx2 v[3:4], v[1:2]
.LBB366_7:
	s_and_b32 vcc_lo, exec_lo, s0
	s_cbranch_vccz .LBB366_16
; %bb.8:
	s_load_dword s0, s[4:5], 0x10
                                        ; implicit-def: $vgpr3_vgpr4
	s_waitcnt lgkmcnt(0)
	s_sub_i32 s1, s0, s8
	v_cmp_le_u32_e64 s0, s1, v0
	v_cmp_gt_u32_e32 vcc_lo, s1, v0
	s_and_saveexec_b32 s1, vcc_lo
	s_cbranch_execz .LBB366_10
; %bb.9:
	v_lshlrev_b32_e32 v1, 3, v0
	s_lshl_b64 s[4:5], s[8:9], 3
	s_add_u32 s4, s13, s4
	s_addc_u32 s5, s14, s5
	v_add_co_u32 v1, s4, s4, v1
	v_add_co_ci_u32_e64 v2, null, s5, 0, s4
	flat_load_dwordx2 v[3:4], v[1:2]
.LBB366_10:
	s_or_b32 exec_lo, exec_lo, s1
	s_cmp_lg_u64 s[10:11], 0
	v_mov_b32_e32 v1, 0
	v_mov_b32_e32 v2, 0
	s_cselect_b32 s1, -1, 0
	s_xor_b32 s0, s0, -1
	s_and_b32 s0, s0, s1
	s_and_saveexec_b32 s4, s0
	s_cbranch_execz .LBB366_14
; %bb.11:
	v_mov_b32_e32 v1, 0
	v_mov_b32_e32 v5, s10
	;; [unrolled: 1-line block ×4, first 2 shown]
	s_mov_b32 s5, 0
	s_inst_prefetch 0x1
	.p2align	6
.LBB366_12:                             ; =>This Inner Loop Header: Depth=1
	v_sub_co_u32 v7, s0, v5, v1
	v_sub_co_ci_u32_e64 v8, null, v6, v2, s0
	v_lshrrev_b64 v[9:10], 1, v[7:8]
	v_lshrrev_b64 v[7:8], 6, v[7:8]
	v_add_co_u32 v9, s0, v9, v1
	v_add_co_ci_u32_e64 v10, null, v10, v2, s0
	v_add_co_u32 v7, s0, v9, v7
	v_add_co_ci_u32_e64 v8, null, v10, v8, s0
	v_lshlrev_b64 v[9:10], 3, v[7:8]
	v_add_co_u32 v9, s0, s2, v9
	v_add_co_ci_u32_e64 v10, null, s3, v10, s0
	v_add_co_u32 v11, s0, v7, 1
	global_load_dwordx2 v[9:10], v[9:10], off
	s_waitcnt vmcnt(0) lgkmcnt(0)
	v_cmp_lt_u64_e64 s1, v[9:10], v[3:4]
	v_add_co_ci_u32_e64 v9, null, 0, v8, s0
	v_cndmask_b32_e64 v6, v8, v6, s1
	v_cndmask_b32_e64 v5, v7, v5, s1
	;; [unrolled: 1-line block ×4, first 2 shown]
	v_cmp_ge_u64_e64 s0, v[1:2], v[5:6]
	s_or_b32 s5, s0, s5
	s_andn2_b32 exec_lo, exec_lo, s5
	s_cbranch_execnz .LBB366_12
; %bb.13:
	s_inst_prefetch 0x2
	s_or_b32 exec_lo, exec_lo, s5
.LBB366_14:
	s_or_b32 exec_lo, exec_lo, s4
	s_and_saveexec_b32 s0, vcc_lo
	s_cbranch_execz .LBB366_16
; %bb.15:
	v_lshlrev_b32_e32 v0, 3, v0
	s_lshl_b64 s[0:1], s[8:9], 3
	s_add_u32 s0, s7, s0
	s_addc_u32 s1, s12, s1
	s_waitcnt vmcnt(0) lgkmcnt(0)
	v_add_co_u32 v3, s0, s0, v0
	v_add_co_ci_u32_e64 v4, null, s1, 0, s0
	flat_store_dwordx2 v[3:4], v[1:2]
.LBB366_16:
	s_endpgm
	.section	.rodata,"a",@progbits
	.p2align	6, 0x0
	.amdhsa_kernel _ZN7rocprim17ROCPRIM_400000_NS6detail17trampoline_kernelINS0_14default_configENS1_27lower_bound_config_selectorIylEEZNS1_14transform_implILb0ES3_S5_N6thrust23THRUST_200600_302600_NS6detail15normal_iteratorINS8_7pointerIyNS8_11hip_rocprim5par_tENS8_11use_defaultESE_EEEENSA_INSB_IlSD_SE_SE_EEEEZNS1_13binary_searchIS3_S5_NSA_INS8_10device_ptrIyEEEESG_SI_NS1_21lower_bound_search_opENS9_16wrapped_functionINS8_6system6detail7generic6detail18binary_search_lessEbEEEE10hipError_tPvRmT1_T2_T3_mmT4_T5_P12ihipStream_tbEUlRKyE_EESV_SZ_S10_mS11_S14_bEUlT_E_NS1_11comp_targetILNS1_3genE8ELNS1_11target_archE1030ELNS1_3gpuE2ELNS1_3repE0EEENS1_30default_config_static_selectorELNS0_4arch9wavefront6targetE0EEEvSY_
		.amdhsa_group_segment_fixed_size 0
		.amdhsa_private_segment_fixed_size 0
		.amdhsa_kernarg_size 312
		.amdhsa_user_sgpr_count 6
		.amdhsa_user_sgpr_private_segment_buffer 1
		.amdhsa_user_sgpr_dispatch_ptr 0
		.amdhsa_user_sgpr_queue_ptr 0
		.amdhsa_user_sgpr_kernarg_segment_ptr 1
		.amdhsa_user_sgpr_dispatch_id 0
		.amdhsa_user_sgpr_flat_scratch_init 0
		.amdhsa_user_sgpr_private_segment_size 0
		.amdhsa_wavefront_size32 1
		.amdhsa_uses_dynamic_stack 0
		.amdhsa_system_sgpr_private_segment_wavefront_offset 0
		.amdhsa_system_sgpr_workgroup_id_x 1
		.amdhsa_system_sgpr_workgroup_id_y 0
		.amdhsa_system_sgpr_workgroup_id_z 0
		.amdhsa_system_sgpr_workgroup_info 0
		.amdhsa_system_vgpr_workitem_id 0
		.amdhsa_next_free_vgpr 12
		.amdhsa_next_free_sgpr 20
		.amdhsa_reserve_vcc 1
		.amdhsa_reserve_flat_scratch 0
		.amdhsa_float_round_mode_32 0
		.amdhsa_float_round_mode_16_64 0
		.amdhsa_float_denorm_mode_32 3
		.amdhsa_float_denorm_mode_16_64 3
		.amdhsa_dx10_clamp 1
		.amdhsa_ieee_mode 1
		.amdhsa_fp16_overflow 0
		.amdhsa_workgroup_processor_mode 1
		.amdhsa_memory_ordered 1
		.amdhsa_forward_progress 1
		.amdhsa_shared_vgpr_count 0
		.amdhsa_exception_fp_ieee_invalid_op 0
		.amdhsa_exception_fp_denorm_src 0
		.amdhsa_exception_fp_ieee_div_zero 0
		.amdhsa_exception_fp_ieee_overflow 0
		.amdhsa_exception_fp_ieee_underflow 0
		.amdhsa_exception_fp_ieee_inexact 0
		.amdhsa_exception_int_div_zero 0
	.end_amdhsa_kernel
	.section	.text._ZN7rocprim17ROCPRIM_400000_NS6detail17trampoline_kernelINS0_14default_configENS1_27lower_bound_config_selectorIylEEZNS1_14transform_implILb0ES3_S5_N6thrust23THRUST_200600_302600_NS6detail15normal_iteratorINS8_7pointerIyNS8_11hip_rocprim5par_tENS8_11use_defaultESE_EEEENSA_INSB_IlSD_SE_SE_EEEEZNS1_13binary_searchIS3_S5_NSA_INS8_10device_ptrIyEEEESG_SI_NS1_21lower_bound_search_opENS9_16wrapped_functionINS8_6system6detail7generic6detail18binary_search_lessEbEEEE10hipError_tPvRmT1_T2_T3_mmT4_T5_P12ihipStream_tbEUlRKyE_EESV_SZ_S10_mS11_S14_bEUlT_E_NS1_11comp_targetILNS1_3genE8ELNS1_11target_archE1030ELNS1_3gpuE2ELNS1_3repE0EEENS1_30default_config_static_selectorELNS0_4arch9wavefront6targetE0EEEvSY_,"axG",@progbits,_ZN7rocprim17ROCPRIM_400000_NS6detail17trampoline_kernelINS0_14default_configENS1_27lower_bound_config_selectorIylEEZNS1_14transform_implILb0ES3_S5_N6thrust23THRUST_200600_302600_NS6detail15normal_iteratorINS8_7pointerIyNS8_11hip_rocprim5par_tENS8_11use_defaultESE_EEEENSA_INSB_IlSD_SE_SE_EEEEZNS1_13binary_searchIS3_S5_NSA_INS8_10device_ptrIyEEEESG_SI_NS1_21lower_bound_search_opENS9_16wrapped_functionINS8_6system6detail7generic6detail18binary_search_lessEbEEEE10hipError_tPvRmT1_T2_T3_mmT4_T5_P12ihipStream_tbEUlRKyE_EESV_SZ_S10_mS11_S14_bEUlT_E_NS1_11comp_targetILNS1_3genE8ELNS1_11target_archE1030ELNS1_3gpuE2ELNS1_3repE0EEENS1_30default_config_static_selectorELNS0_4arch9wavefront6targetE0EEEvSY_,comdat
.Lfunc_end366:
	.size	_ZN7rocprim17ROCPRIM_400000_NS6detail17trampoline_kernelINS0_14default_configENS1_27lower_bound_config_selectorIylEEZNS1_14transform_implILb0ES3_S5_N6thrust23THRUST_200600_302600_NS6detail15normal_iteratorINS8_7pointerIyNS8_11hip_rocprim5par_tENS8_11use_defaultESE_EEEENSA_INSB_IlSD_SE_SE_EEEEZNS1_13binary_searchIS3_S5_NSA_INS8_10device_ptrIyEEEESG_SI_NS1_21lower_bound_search_opENS9_16wrapped_functionINS8_6system6detail7generic6detail18binary_search_lessEbEEEE10hipError_tPvRmT1_T2_T3_mmT4_T5_P12ihipStream_tbEUlRKyE_EESV_SZ_S10_mS11_S14_bEUlT_E_NS1_11comp_targetILNS1_3genE8ELNS1_11target_archE1030ELNS1_3gpuE2ELNS1_3repE0EEENS1_30default_config_static_selectorELNS0_4arch9wavefront6targetE0EEEvSY_, .Lfunc_end366-_ZN7rocprim17ROCPRIM_400000_NS6detail17trampoline_kernelINS0_14default_configENS1_27lower_bound_config_selectorIylEEZNS1_14transform_implILb0ES3_S5_N6thrust23THRUST_200600_302600_NS6detail15normal_iteratorINS8_7pointerIyNS8_11hip_rocprim5par_tENS8_11use_defaultESE_EEEENSA_INSB_IlSD_SE_SE_EEEEZNS1_13binary_searchIS3_S5_NSA_INS8_10device_ptrIyEEEESG_SI_NS1_21lower_bound_search_opENS9_16wrapped_functionINS8_6system6detail7generic6detail18binary_search_lessEbEEEE10hipError_tPvRmT1_T2_T3_mmT4_T5_P12ihipStream_tbEUlRKyE_EESV_SZ_S10_mS11_S14_bEUlT_E_NS1_11comp_targetILNS1_3genE8ELNS1_11target_archE1030ELNS1_3gpuE2ELNS1_3repE0EEENS1_30default_config_static_selectorELNS0_4arch9wavefront6targetE0EEEvSY_
                                        ; -- End function
	.set _ZN7rocprim17ROCPRIM_400000_NS6detail17trampoline_kernelINS0_14default_configENS1_27lower_bound_config_selectorIylEEZNS1_14transform_implILb0ES3_S5_N6thrust23THRUST_200600_302600_NS6detail15normal_iteratorINS8_7pointerIyNS8_11hip_rocprim5par_tENS8_11use_defaultESE_EEEENSA_INSB_IlSD_SE_SE_EEEEZNS1_13binary_searchIS3_S5_NSA_INS8_10device_ptrIyEEEESG_SI_NS1_21lower_bound_search_opENS9_16wrapped_functionINS8_6system6detail7generic6detail18binary_search_lessEbEEEE10hipError_tPvRmT1_T2_T3_mmT4_T5_P12ihipStream_tbEUlRKyE_EESV_SZ_S10_mS11_S14_bEUlT_E_NS1_11comp_targetILNS1_3genE8ELNS1_11target_archE1030ELNS1_3gpuE2ELNS1_3repE0EEENS1_30default_config_static_selectorELNS0_4arch9wavefront6targetE0EEEvSY_.num_vgpr, 12
	.set _ZN7rocprim17ROCPRIM_400000_NS6detail17trampoline_kernelINS0_14default_configENS1_27lower_bound_config_selectorIylEEZNS1_14transform_implILb0ES3_S5_N6thrust23THRUST_200600_302600_NS6detail15normal_iteratorINS8_7pointerIyNS8_11hip_rocprim5par_tENS8_11use_defaultESE_EEEENSA_INSB_IlSD_SE_SE_EEEEZNS1_13binary_searchIS3_S5_NSA_INS8_10device_ptrIyEEEESG_SI_NS1_21lower_bound_search_opENS9_16wrapped_functionINS8_6system6detail7generic6detail18binary_search_lessEbEEEE10hipError_tPvRmT1_T2_T3_mmT4_T5_P12ihipStream_tbEUlRKyE_EESV_SZ_S10_mS11_S14_bEUlT_E_NS1_11comp_targetILNS1_3genE8ELNS1_11target_archE1030ELNS1_3gpuE2ELNS1_3repE0EEENS1_30default_config_static_selectorELNS0_4arch9wavefront6targetE0EEEvSY_.num_agpr, 0
	.set _ZN7rocprim17ROCPRIM_400000_NS6detail17trampoline_kernelINS0_14default_configENS1_27lower_bound_config_selectorIylEEZNS1_14transform_implILb0ES3_S5_N6thrust23THRUST_200600_302600_NS6detail15normal_iteratorINS8_7pointerIyNS8_11hip_rocprim5par_tENS8_11use_defaultESE_EEEENSA_INSB_IlSD_SE_SE_EEEEZNS1_13binary_searchIS3_S5_NSA_INS8_10device_ptrIyEEEESG_SI_NS1_21lower_bound_search_opENS9_16wrapped_functionINS8_6system6detail7generic6detail18binary_search_lessEbEEEE10hipError_tPvRmT1_T2_T3_mmT4_T5_P12ihipStream_tbEUlRKyE_EESV_SZ_S10_mS11_S14_bEUlT_E_NS1_11comp_targetILNS1_3genE8ELNS1_11target_archE1030ELNS1_3gpuE2ELNS1_3repE0EEENS1_30default_config_static_selectorELNS0_4arch9wavefront6targetE0EEEvSY_.numbered_sgpr, 20
	.set _ZN7rocprim17ROCPRIM_400000_NS6detail17trampoline_kernelINS0_14default_configENS1_27lower_bound_config_selectorIylEEZNS1_14transform_implILb0ES3_S5_N6thrust23THRUST_200600_302600_NS6detail15normal_iteratorINS8_7pointerIyNS8_11hip_rocprim5par_tENS8_11use_defaultESE_EEEENSA_INSB_IlSD_SE_SE_EEEEZNS1_13binary_searchIS3_S5_NSA_INS8_10device_ptrIyEEEESG_SI_NS1_21lower_bound_search_opENS9_16wrapped_functionINS8_6system6detail7generic6detail18binary_search_lessEbEEEE10hipError_tPvRmT1_T2_T3_mmT4_T5_P12ihipStream_tbEUlRKyE_EESV_SZ_S10_mS11_S14_bEUlT_E_NS1_11comp_targetILNS1_3genE8ELNS1_11target_archE1030ELNS1_3gpuE2ELNS1_3repE0EEENS1_30default_config_static_selectorELNS0_4arch9wavefront6targetE0EEEvSY_.num_named_barrier, 0
	.set _ZN7rocprim17ROCPRIM_400000_NS6detail17trampoline_kernelINS0_14default_configENS1_27lower_bound_config_selectorIylEEZNS1_14transform_implILb0ES3_S5_N6thrust23THRUST_200600_302600_NS6detail15normal_iteratorINS8_7pointerIyNS8_11hip_rocprim5par_tENS8_11use_defaultESE_EEEENSA_INSB_IlSD_SE_SE_EEEEZNS1_13binary_searchIS3_S5_NSA_INS8_10device_ptrIyEEEESG_SI_NS1_21lower_bound_search_opENS9_16wrapped_functionINS8_6system6detail7generic6detail18binary_search_lessEbEEEE10hipError_tPvRmT1_T2_T3_mmT4_T5_P12ihipStream_tbEUlRKyE_EESV_SZ_S10_mS11_S14_bEUlT_E_NS1_11comp_targetILNS1_3genE8ELNS1_11target_archE1030ELNS1_3gpuE2ELNS1_3repE0EEENS1_30default_config_static_selectorELNS0_4arch9wavefront6targetE0EEEvSY_.private_seg_size, 0
	.set _ZN7rocprim17ROCPRIM_400000_NS6detail17trampoline_kernelINS0_14default_configENS1_27lower_bound_config_selectorIylEEZNS1_14transform_implILb0ES3_S5_N6thrust23THRUST_200600_302600_NS6detail15normal_iteratorINS8_7pointerIyNS8_11hip_rocprim5par_tENS8_11use_defaultESE_EEEENSA_INSB_IlSD_SE_SE_EEEEZNS1_13binary_searchIS3_S5_NSA_INS8_10device_ptrIyEEEESG_SI_NS1_21lower_bound_search_opENS9_16wrapped_functionINS8_6system6detail7generic6detail18binary_search_lessEbEEEE10hipError_tPvRmT1_T2_T3_mmT4_T5_P12ihipStream_tbEUlRKyE_EESV_SZ_S10_mS11_S14_bEUlT_E_NS1_11comp_targetILNS1_3genE8ELNS1_11target_archE1030ELNS1_3gpuE2ELNS1_3repE0EEENS1_30default_config_static_selectorELNS0_4arch9wavefront6targetE0EEEvSY_.uses_vcc, 1
	.set _ZN7rocprim17ROCPRIM_400000_NS6detail17trampoline_kernelINS0_14default_configENS1_27lower_bound_config_selectorIylEEZNS1_14transform_implILb0ES3_S5_N6thrust23THRUST_200600_302600_NS6detail15normal_iteratorINS8_7pointerIyNS8_11hip_rocprim5par_tENS8_11use_defaultESE_EEEENSA_INSB_IlSD_SE_SE_EEEEZNS1_13binary_searchIS3_S5_NSA_INS8_10device_ptrIyEEEESG_SI_NS1_21lower_bound_search_opENS9_16wrapped_functionINS8_6system6detail7generic6detail18binary_search_lessEbEEEE10hipError_tPvRmT1_T2_T3_mmT4_T5_P12ihipStream_tbEUlRKyE_EESV_SZ_S10_mS11_S14_bEUlT_E_NS1_11comp_targetILNS1_3genE8ELNS1_11target_archE1030ELNS1_3gpuE2ELNS1_3repE0EEENS1_30default_config_static_selectorELNS0_4arch9wavefront6targetE0EEEvSY_.uses_flat_scratch, 0
	.set _ZN7rocprim17ROCPRIM_400000_NS6detail17trampoline_kernelINS0_14default_configENS1_27lower_bound_config_selectorIylEEZNS1_14transform_implILb0ES3_S5_N6thrust23THRUST_200600_302600_NS6detail15normal_iteratorINS8_7pointerIyNS8_11hip_rocprim5par_tENS8_11use_defaultESE_EEEENSA_INSB_IlSD_SE_SE_EEEEZNS1_13binary_searchIS3_S5_NSA_INS8_10device_ptrIyEEEESG_SI_NS1_21lower_bound_search_opENS9_16wrapped_functionINS8_6system6detail7generic6detail18binary_search_lessEbEEEE10hipError_tPvRmT1_T2_T3_mmT4_T5_P12ihipStream_tbEUlRKyE_EESV_SZ_S10_mS11_S14_bEUlT_E_NS1_11comp_targetILNS1_3genE8ELNS1_11target_archE1030ELNS1_3gpuE2ELNS1_3repE0EEENS1_30default_config_static_selectorELNS0_4arch9wavefront6targetE0EEEvSY_.has_dyn_sized_stack, 0
	.set _ZN7rocprim17ROCPRIM_400000_NS6detail17trampoline_kernelINS0_14default_configENS1_27lower_bound_config_selectorIylEEZNS1_14transform_implILb0ES3_S5_N6thrust23THRUST_200600_302600_NS6detail15normal_iteratorINS8_7pointerIyNS8_11hip_rocprim5par_tENS8_11use_defaultESE_EEEENSA_INSB_IlSD_SE_SE_EEEEZNS1_13binary_searchIS3_S5_NSA_INS8_10device_ptrIyEEEESG_SI_NS1_21lower_bound_search_opENS9_16wrapped_functionINS8_6system6detail7generic6detail18binary_search_lessEbEEEE10hipError_tPvRmT1_T2_T3_mmT4_T5_P12ihipStream_tbEUlRKyE_EESV_SZ_S10_mS11_S14_bEUlT_E_NS1_11comp_targetILNS1_3genE8ELNS1_11target_archE1030ELNS1_3gpuE2ELNS1_3repE0EEENS1_30default_config_static_selectorELNS0_4arch9wavefront6targetE0EEEvSY_.has_recursion, 0
	.set _ZN7rocprim17ROCPRIM_400000_NS6detail17trampoline_kernelINS0_14default_configENS1_27lower_bound_config_selectorIylEEZNS1_14transform_implILb0ES3_S5_N6thrust23THRUST_200600_302600_NS6detail15normal_iteratorINS8_7pointerIyNS8_11hip_rocprim5par_tENS8_11use_defaultESE_EEEENSA_INSB_IlSD_SE_SE_EEEEZNS1_13binary_searchIS3_S5_NSA_INS8_10device_ptrIyEEEESG_SI_NS1_21lower_bound_search_opENS9_16wrapped_functionINS8_6system6detail7generic6detail18binary_search_lessEbEEEE10hipError_tPvRmT1_T2_T3_mmT4_T5_P12ihipStream_tbEUlRKyE_EESV_SZ_S10_mS11_S14_bEUlT_E_NS1_11comp_targetILNS1_3genE8ELNS1_11target_archE1030ELNS1_3gpuE2ELNS1_3repE0EEENS1_30default_config_static_selectorELNS0_4arch9wavefront6targetE0EEEvSY_.has_indirect_call, 0
	.section	.AMDGPU.csdata,"",@progbits
; Kernel info:
; codeLenInByte = 820
; TotalNumSgprs: 22
; NumVgprs: 12
; ScratchSize: 0
; MemoryBound: 0
; FloatMode: 240
; IeeeMode: 1
; LDSByteSize: 0 bytes/workgroup (compile time only)
; SGPRBlocks: 0
; VGPRBlocks: 1
; NumSGPRsForWavesPerEU: 22
; NumVGPRsForWavesPerEU: 12
; Occupancy: 16
; WaveLimiterHint : 0
; COMPUTE_PGM_RSRC2:SCRATCH_EN: 0
; COMPUTE_PGM_RSRC2:USER_SGPR: 6
; COMPUTE_PGM_RSRC2:TRAP_HANDLER: 0
; COMPUTE_PGM_RSRC2:TGID_X_EN: 1
; COMPUTE_PGM_RSRC2:TGID_Y_EN: 0
; COMPUTE_PGM_RSRC2:TGID_Z_EN: 0
; COMPUTE_PGM_RSRC2:TIDIG_COMP_CNT: 0
	.section	.text._ZN7rocprim17ROCPRIM_400000_NS6detail17trampoline_kernelINS0_14default_configENS1_27lower_bound_config_selectorIjlEEZNS1_14transform_implILb0ES3_S5_N6thrust23THRUST_200600_302600_NS6detail15normal_iteratorINS8_7pointerIjNS8_11hip_rocprim5par_tENS8_11use_defaultESE_EEEENSA_INSB_IlSD_SE_SE_EEEEZNS1_13binary_searchIS3_S5_NSA_INS8_10device_ptrIjEEEESG_SI_NS1_21lower_bound_search_opENS9_16wrapped_functionINS8_6system6detail7generic6detail18binary_search_lessEbEEEE10hipError_tPvRmT1_T2_T3_mmT4_T5_P12ihipStream_tbEUlRKjE_EESV_SZ_S10_mS11_S14_bEUlT_E_NS1_11comp_targetILNS1_3genE0ELNS1_11target_archE4294967295ELNS1_3gpuE0ELNS1_3repE0EEENS1_30default_config_static_selectorELNS0_4arch9wavefront6targetE0EEEvSY_,"axG",@progbits,_ZN7rocprim17ROCPRIM_400000_NS6detail17trampoline_kernelINS0_14default_configENS1_27lower_bound_config_selectorIjlEEZNS1_14transform_implILb0ES3_S5_N6thrust23THRUST_200600_302600_NS6detail15normal_iteratorINS8_7pointerIjNS8_11hip_rocprim5par_tENS8_11use_defaultESE_EEEENSA_INSB_IlSD_SE_SE_EEEEZNS1_13binary_searchIS3_S5_NSA_INS8_10device_ptrIjEEEESG_SI_NS1_21lower_bound_search_opENS9_16wrapped_functionINS8_6system6detail7generic6detail18binary_search_lessEbEEEE10hipError_tPvRmT1_T2_T3_mmT4_T5_P12ihipStream_tbEUlRKjE_EESV_SZ_S10_mS11_S14_bEUlT_E_NS1_11comp_targetILNS1_3genE0ELNS1_11target_archE4294967295ELNS1_3gpuE0ELNS1_3repE0EEENS1_30default_config_static_selectorELNS0_4arch9wavefront6targetE0EEEvSY_,comdat
	.protected	_ZN7rocprim17ROCPRIM_400000_NS6detail17trampoline_kernelINS0_14default_configENS1_27lower_bound_config_selectorIjlEEZNS1_14transform_implILb0ES3_S5_N6thrust23THRUST_200600_302600_NS6detail15normal_iteratorINS8_7pointerIjNS8_11hip_rocprim5par_tENS8_11use_defaultESE_EEEENSA_INSB_IlSD_SE_SE_EEEEZNS1_13binary_searchIS3_S5_NSA_INS8_10device_ptrIjEEEESG_SI_NS1_21lower_bound_search_opENS9_16wrapped_functionINS8_6system6detail7generic6detail18binary_search_lessEbEEEE10hipError_tPvRmT1_T2_T3_mmT4_T5_P12ihipStream_tbEUlRKjE_EESV_SZ_S10_mS11_S14_bEUlT_E_NS1_11comp_targetILNS1_3genE0ELNS1_11target_archE4294967295ELNS1_3gpuE0ELNS1_3repE0EEENS1_30default_config_static_selectorELNS0_4arch9wavefront6targetE0EEEvSY_ ; -- Begin function _ZN7rocprim17ROCPRIM_400000_NS6detail17trampoline_kernelINS0_14default_configENS1_27lower_bound_config_selectorIjlEEZNS1_14transform_implILb0ES3_S5_N6thrust23THRUST_200600_302600_NS6detail15normal_iteratorINS8_7pointerIjNS8_11hip_rocprim5par_tENS8_11use_defaultESE_EEEENSA_INSB_IlSD_SE_SE_EEEEZNS1_13binary_searchIS3_S5_NSA_INS8_10device_ptrIjEEEESG_SI_NS1_21lower_bound_search_opENS9_16wrapped_functionINS8_6system6detail7generic6detail18binary_search_lessEbEEEE10hipError_tPvRmT1_T2_T3_mmT4_T5_P12ihipStream_tbEUlRKjE_EESV_SZ_S10_mS11_S14_bEUlT_E_NS1_11comp_targetILNS1_3genE0ELNS1_11target_archE4294967295ELNS1_3gpuE0ELNS1_3repE0EEENS1_30default_config_static_selectorELNS0_4arch9wavefront6targetE0EEEvSY_
	.globl	_ZN7rocprim17ROCPRIM_400000_NS6detail17trampoline_kernelINS0_14default_configENS1_27lower_bound_config_selectorIjlEEZNS1_14transform_implILb0ES3_S5_N6thrust23THRUST_200600_302600_NS6detail15normal_iteratorINS8_7pointerIjNS8_11hip_rocprim5par_tENS8_11use_defaultESE_EEEENSA_INSB_IlSD_SE_SE_EEEEZNS1_13binary_searchIS3_S5_NSA_INS8_10device_ptrIjEEEESG_SI_NS1_21lower_bound_search_opENS9_16wrapped_functionINS8_6system6detail7generic6detail18binary_search_lessEbEEEE10hipError_tPvRmT1_T2_T3_mmT4_T5_P12ihipStream_tbEUlRKjE_EESV_SZ_S10_mS11_S14_bEUlT_E_NS1_11comp_targetILNS1_3genE0ELNS1_11target_archE4294967295ELNS1_3gpuE0ELNS1_3repE0EEENS1_30default_config_static_selectorELNS0_4arch9wavefront6targetE0EEEvSY_
	.p2align	8
	.type	_ZN7rocprim17ROCPRIM_400000_NS6detail17trampoline_kernelINS0_14default_configENS1_27lower_bound_config_selectorIjlEEZNS1_14transform_implILb0ES3_S5_N6thrust23THRUST_200600_302600_NS6detail15normal_iteratorINS8_7pointerIjNS8_11hip_rocprim5par_tENS8_11use_defaultESE_EEEENSA_INSB_IlSD_SE_SE_EEEEZNS1_13binary_searchIS3_S5_NSA_INS8_10device_ptrIjEEEESG_SI_NS1_21lower_bound_search_opENS9_16wrapped_functionINS8_6system6detail7generic6detail18binary_search_lessEbEEEE10hipError_tPvRmT1_T2_T3_mmT4_T5_P12ihipStream_tbEUlRKjE_EESV_SZ_S10_mS11_S14_bEUlT_E_NS1_11comp_targetILNS1_3genE0ELNS1_11target_archE4294967295ELNS1_3gpuE0ELNS1_3repE0EEENS1_30default_config_static_selectorELNS0_4arch9wavefront6targetE0EEEvSY_,@function
_ZN7rocprim17ROCPRIM_400000_NS6detail17trampoline_kernelINS0_14default_configENS1_27lower_bound_config_selectorIjlEEZNS1_14transform_implILb0ES3_S5_N6thrust23THRUST_200600_302600_NS6detail15normal_iteratorINS8_7pointerIjNS8_11hip_rocprim5par_tENS8_11use_defaultESE_EEEENSA_INSB_IlSD_SE_SE_EEEEZNS1_13binary_searchIS3_S5_NSA_INS8_10device_ptrIjEEEESG_SI_NS1_21lower_bound_search_opENS9_16wrapped_functionINS8_6system6detail7generic6detail18binary_search_lessEbEEEE10hipError_tPvRmT1_T2_T3_mmT4_T5_P12ihipStream_tbEUlRKjE_EESV_SZ_S10_mS11_S14_bEUlT_E_NS1_11comp_targetILNS1_3genE0ELNS1_11target_archE4294967295ELNS1_3gpuE0ELNS1_3repE0EEENS1_30default_config_static_selectorELNS0_4arch9wavefront6targetE0EEEvSY_: ; @_ZN7rocprim17ROCPRIM_400000_NS6detail17trampoline_kernelINS0_14default_configENS1_27lower_bound_config_selectorIjlEEZNS1_14transform_implILb0ES3_S5_N6thrust23THRUST_200600_302600_NS6detail15normal_iteratorINS8_7pointerIjNS8_11hip_rocprim5par_tENS8_11use_defaultESE_EEEENSA_INSB_IlSD_SE_SE_EEEEZNS1_13binary_searchIS3_S5_NSA_INS8_10device_ptrIjEEEESG_SI_NS1_21lower_bound_search_opENS9_16wrapped_functionINS8_6system6detail7generic6detail18binary_search_lessEbEEEE10hipError_tPvRmT1_T2_T3_mmT4_T5_P12ihipStream_tbEUlRKjE_EESV_SZ_S10_mS11_S14_bEUlT_E_NS1_11comp_targetILNS1_3genE0ELNS1_11target_archE4294967295ELNS1_3gpuE0ELNS1_3repE0EEENS1_30default_config_static_selectorELNS0_4arch9wavefront6targetE0EEEvSY_
; %bb.0:
	.section	.rodata,"a",@progbits
	.p2align	6, 0x0
	.amdhsa_kernel _ZN7rocprim17ROCPRIM_400000_NS6detail17trampoline_kernelINS0_14default_configENS1_27lower_bound_config_selectorIjlEEZNS1_14transform_implILb0ES3_S5_N6thrust23THRUST_200600_302600_NS6detail15normal_iteratorINS8_7pointerIjNS8_11hip_rocprim5par_tENS8_11use_defaultESE_EEEENSA_INSB_IlSD_SE_SE_EEEEZNS1_13binary_searchIS3_S5_NSA_INS8_10device_ptrIjEEEESG_SI_NS1_21lower_bound_search_opENS9_16wrapped_functionINS8_6system6detail7generic6detail18binary_search_lessEbEEEE10hipError_tPvRmT1_T2_T3_mmT4_T5_P12ihipStream_tbEUlRKjE_EESV_SZ_S10_mS11_S14_bEUlT_E_NS1_11comp_targetILNS1_3genE0ELNS1_11target_archE4294967295ELNS1_3gpuE0ELNS1_3repE0EEENS1_30default_config_static_selectorELNS0_4arch9wavefront6targetE0EEEvSY_
		.amdhsa_group_segment_fixed_size 0
		.amdhsa_private_segment_fixed_size 0
		.amdhsa_kernarg_size 56
		.amdhsa_user_sgpr_count 6
		.amdhsa_user_sgpr_private_segment_buffer 1
		.amdhsa_user_sgpr_dispatch_ptr 0
		.amdhsa_user_sgpr_queue_ptr 0
		.amdhsa_user_sgpr_kernarg_segment_ptr 1
		.amdhsa_user_sgpr_dispatch_id 0
		.amdhsa_user_sgpr_flat_scratch_init 0
		.amdhsa_user_sgpr_private_segment_size 0
		.amdhsa_wavefront_size32 1
		.amdhsa_uses_dynamic_stack 0
		.amdhsa_system_sgpr_private_segment_wavefront_offset 0
		.amdhsa_system_sgpr_workgroup_id_x 1
		.amdhsa_system_sgpr_workgroup_id_y 0
		.amdhsa_system_sgpr_workgroup_id_z 0
		.amdhsa_system_sgpr_workgroup_info 0
		.amdhsa_system_vgpr_workitem_id 0
		.amdhsa_next_free_vgpr 1
		.amdhsa_next_free_sgpr 1
		.amdhsa_reserve_vcc 0
		.amdhsa_reserve_flat_scratch 0
		.amdhsa_float_round_mode_32 0
		.amdhsa_float_round_mode_16_64 0
		.amdhsa_float_denorm_mode_32 3
		.amdhsa_float_denorm_mode_16_64 3
		.amdhsa_dx10_clamp 1
		.amdhsa_ieee_mode 1
		.amdhsa_fp16_overflow 0
		.amdhsa_workgroup_processor_mode 1
		.amdhsa_memory_ordered 1
		.amdhsa_forward_progress 1
		.amdhsa_shared_vgpr_count 0
		.amdhsa_exception_fp_ieee_invalid_op 0
		.amdhsa_exception_fp_denorm_src 0
		.amdhsa_exception_fp_ieee_div_zero 0
		.amdhsa_exception_fp_ieee_overflow 0
		.amdhsa_exception_fp_ieee_underflow 0
		.amdhsa_exception_fp_ieee_inexact 0
		.amdhsa_exception_int_div_zero 0
	.end_amdhsa_kernel
	.section	.text._ZN7rocprim17ROCPRIM_400000_NS6detail17trampoline_kernelINS0_14default_configENS1_27lower_bound_config_selectorIjlEEZNS1_14transform_implILb0ES3_S5_N6thrust23THRUST_200600_302600_NS6detail15normal_iteratorINS8_7pointerIjNS8_11hip_rocprim5par_tENS8_11use_defaultESE_EEEENSA_INSB_IlSD_SE_SE_EEEEZNS1_13binary_searchIS3_S5_NSA_INS8_10device_ptrIjEEEESG_SI_NS1_21lower_bound_search_opENS9_16wrapped_functionINS8_6system6detail7generic6detail18binary_search_lessEbEEEE10hipError_tPvRmT1_T2_T3_mmT4_T5_P12ihipStream_tbEUlRKjE_EESV_SZ_S10_mS11_S14_bEUlT_E_NS1_11comp_targetILNS1_3genE0ELNS1_11target_archE4294967295ELNS1_3gpuE0ELNS1_3repE0EEENS1_30default_config_static_selectorELNS0_4arch9wavefront6targetE0EEEvSY_,"axG",@progbits,_ZN7rocprim17ROCPRIM_400000_NS6detail17trampoline_kernelINS0_14default_configENS1_27lower_bound_config_selectorIjlEEZNS1_14transform_implILb0ES3_S5_N6thrust23THRUST_200600_302600_NS6detail15normal_iteratorINS8_7pointerIjNS8_11hip_rocprim5par_tENS8_11use_defaultESE_EEEENSA_INSB_IlSD_SE_SE_EEEEZNS1_13binary_searchIS3_S5_NSA_INS8_10device_ptrIjEEEESG_SI_NS1_21lower_bound_search_opENS9_16wrapped_functionINS8_6system6detail7generic6detail18binary_search_lessEbEEEE10hipError_tPvRmT1_T2_T3_mmT4_T5_P12ihipStream_tbEUlRKjE_EESV_SZ_S10_mS11_S14_bEUlT_E_NS1_11comp_targetILNS1_3genE0ELNS1_11target_archE4294967295ELNS1_3gpuE0ELNS1_3repE0EEENS1_30default_config_static_selectorELNS0_4arch9wavefront6targetE0EEEvSY_,comdat
.Lfunc_end367:
	.size	_ZN7rocprim17ROCPRIM_400000_NS6detail17trampoline_kernelINS0_14default_configENS1_27lower_bound_config_selectorIjlEEZNS1_14transform_implILb0ES3_S5_N6thrust23THRUST_200600_302600_NS6detail15normal_iteratorINS8_7pointerIjNS8_11hip_rocprim5par_tENS8_11use_defaultESE_EEEENSA_INSB_IlSD_SE_SE_EEEEZNS1_13binary_searchIS3_S5_NSA_INS8_10device_ptrIjEEEESG_SI_NS1_21lower_bound_search_opENS9_16wrapped_functionINS8_6system6detail7generic6detail18binary_search_lessEbEEEE10hipError_tPvRmT1_T2_T3_mmT4_T5_P12ihipStream_tbEUlRKjE_EESV_SZ_S10_mS11_S14_bEUlT_E_NS1_11comp_targetILNS1_3genE0ELNS1_11target_archE4294967295ELNS1_3gpuE0ELNS1_3repE0EEENS1_30default_config_static_selectorELNS0_4arch9wavefront6targetE0EEEvSY_, .Lfunc_end367-_ZN7rocprim17ROCPRIM_400000_NS6detail17trampoline_kernelINS0_14default_configENS1_27lower_bound_config_selectorIjlEEZNS1_14transform_implILb0ES3_S5_N6thrust23THRUST_200600_302600_NS6detail15normal_iteratorINS8_7pointerIjNS8_11hip_rocprim5par_tENS8_11use_defaultESE_EEEENSA_INSB_IlSD_SE_SE_EEEEZNS1_13binary_searchIS3_S5_NSA_INS8_10device_ptrIjEEEESG_SI_NS1_21lower_bound_search_opENS9_16wrapped_functionINS8_6system6detail7generic6detail18binary_search_lessEbEEEE10hipError_tPvRmT1_T2_T3_mmT4_T5_P12ihipStream_tbEUlRKjE_EESV_SZ_S10_mS11_S14_bEUlT_E_NS1_11comp_targetILNS1_3genE0ELNS1_11target_archE4294967295ELNS1_3gpuE0ELNS1_3repE0EEENS1_30default_config_static_selectorELNS0_4arch9wavefront6targetE0EEEvSY_
                                        ; -- End function
	.set _ZN7rocprim17ROCPRIM_400000_NS6detail17trampoline_kernelINS0_14default_configENS1_27lower_bound_config_selectorIjlEEZNS1_14transform_implILb0ES3_S5_N6thrust23THRUST_200600_302600_NS6detail15normal_iteratorINS8_7pointerIjNS8_11hip_rocprim5par_tENS8_11use_defaultESE_EEEENSA_INSB_IlSD_SE_SE_EEEEZNS1_13binary_searchIS3_S5_NSA_INS8_10device_ptrIjEEEESG_SI_NS1_21lower_bound_search_opENS9_16wrapped_functionINS8_6system6detail7generic6detail18binary_search_lessEbEEEE10hipError_tPvRmT1_T2_T3_mmT4_T5_P12ihipStream_tbEUlRKjE_EESV_SZ_S10_mS11_S14_bEUlT_E_NS1_11comp_targetILNS1_3genE0ELNS1_11target_archE4294967295ELNS1_3gpuE0ELNS1_3repE0EEENS1_30default_config_static_selectorELNS0_4arch9wavefront6targetE0EEEvSY_.num_vgpr, 0
	.set _ZN7rocprim17ROCPRIM_400000_NS6detail17trampoline_kernelINS0_14default_configENS1_27lower_bound_config_selectorIjlEEZNS1_14transform_implILb0ES3_S5_N6thrust23THRUST_200600_302600_NS6detail15normal_iteratorINS8_7pointerIjNS8_11hip_rocprim5par_tENS8_11use_defaultESE_EEEENSA_INSB_IlSD_SE_SE_EEEEZNS1_13binary_searchIS3_S5_NSA_INS8_10device_ptrIjEEEESG_SI_NS1_21lower_bound_search_opENS9_16wrapped_functionINS8_6system6detail7generic6detail18binary_search_lessEbEEEE10hipError_tPvRmT1_T2_T3_mmT4_T5_P12ihipStream_tbEUlRKjE_EESV_SZ_S10_mS11_S14_bEUlT_E_NS1_11comp_targetILNS1_3genE0ELNS1_11target_archE4294967295ELNS1_3gpuE0ELNS1_3repE0EEENS1_30default_config_static_selectorELNS0_4arch9wavefront6targetE0EEEvSY_.num_agpr, 0
	.set _ZN7rocprim17ROCPRIM_400000_NS6detail17trampoline_kernelINS0_14default_configENS1_27lower_bound_config_selectorIjlEEZNS1_14transform_implILb0ES3_S5_N6thrust23THRUST_200600_302600_NS6detail15normal_iteratorINS8_7pointerIjNS8_11hip_rocprim5par_tENS8_11use_defaultESE_EEEENSA_INSB_IlSD_SE_SE_EEEEZNS1_13binary_searchIS3_S5_NSA_INS8_10device_ptrIjEEEESG_SI_NS1_21lower_bound_search_opENS9_16wrapped_functionINS8_6system6detail7generic6detail18binary_search_lessEbEEEE10hipError_tPvRmT1_T2_T3_mmT4_T5_P12ihipStream_tbEUlRKjE_EESV_SZ_S10_mS11_S14_bEUlT_E_NS1_11comp_targetILNS1_3genE0ELNS1_11target_archE4294967295ELNS1_3gpuE0ELNS1_3repE0EEENS1_30default_config_static_selectorELNS0_4arch9wavefront6targetE0EEEvSY_.numbered_sgpr, 0
	.set _ZN7rocprim17ROCPRIM_400000_NS6detail17trampoline_kernelINS0_14default_configENS1_27lower_bound_config_selectorIjlEEZNS1_14transform_implILb0ES3_S5_N6thrust23THRUST_200600_302600_NS6detail15normal_iteratorINS8_7pointerIjNS8_11hip_rocprim5par_tENS8_11use_defaultESE_EEEENSA_INSB_IlSD_SE_SE_EEEEZNS1_13binary_searchIS3_S5_NSA_INS8_10device_ptrIjEEEESG_SI_NS1_21lower_bound_search_opENS9_16wrapped_functionINS8_6system6detail7generic6detail18binary_search_lessEbEEEE10hipError_tPvRmT1_T2_T3_mmT4_T5_P12ihipStream_tbEUlRKjE_EESV_SZ_S10_mS11_S14_bEUlT_E_NS1_11comp_targetILNS1_3genE0ELNS1_11target_archE4294967295ELNS1_3gpuE0ELNS1_3repE0EEENS1_30default_config_static_selectorELNS0_4arch9wavefront6targetE0EEEvSY_.num_named_barrier, 0
	.set _ZN7rocprim17ROCPRIM_400000_NS6detail17trampoline_kernelINS0_14default_configENS1_27lower_bound_config_selectorIjlEEZNS1_14transform_implILb0ES3_S5_N6thrust23THRUST_200600_302600_NS6detail15normal_iteratorINS8_7pointerIjNS8_11hip_rocprim5par_tENS8_11use_defaultESE_EEEENSA_INSB_IlSD_SE_SE_EEEEZNS1_13binary_searchIS3_S5_NSA_INS8_10device_ptrIjEEEESG_SI_NS1_21lower_bound_search_opENS9_16wrapped_functionINS8_6system6detail7generic6detail18binary_search_lessEbEEEE10hipError_tPvRmT1_T2_T3_mmT4_T5_P12ihipStream_tbEUlRKjE_EESV_SZ_S10_mS11_S14_bEUlT_E_NS1_11comp_targetILNS1_3genE0ELNS1_11target_archE4294967295ELNS1_3gpuE0ELNS1_3repE0EEENS1_30default_config_static_selectorELNS0_4arch9wavefront6targetE0EEEvSY_.private_seg_size, 0
	.set _ZN7rocprim17ROCPRIM_400000_NS6detail17trampoline_kernelINS0_14default_configENS1_27lower_bound_config_selectorIjlEEZNS1_14transform_implILb0ES3_S5_N6thrust23THRUST_200600_302600_NS6detail15normal_iteratorINS8_7pointerIjNS8_11hip_rocprim5par_tENS8_11use_defaultESE_EEEENSA_INSB_IlSD_SE_SE_EEEEZNS1_13binary_searchIS3_S5_NSA_INS8_10device_ptrIjEEEESG_SI_NS1_21lower_bound_search_opENS9_16wrapped_functionINS8_6system6detail7generic6detail18binary_search_lessEbEEEE10hipError_tPvRmT1_T2_T3_mmT4_T5_P12ihipStream_tbEUlRKjE_EESV_SZ_S10_mS11_S14_bEUlT_E_NS1_11comp_targetILNS1_3genE0ELNS1_11target_archE4294967295ELNS1_3gpuE0ELNS1_3repE0EEENS1_30default_config_static_selectorELNS0_4arch9wavefront6targetE0EEEvSY_.uses_vcc, 0
	.set _ZN7rocprim17ROCPRIM_400000_NS6detail17trampoline_kernelINS0_14default_configENS1_27lower_bound_config_selectorIjlEEZNS1_14transform_implILb0ES3_S5_N6thrust23THRUST_200600_302600_NS6detail15normal_iteratorINS8_7pointerIjNS8_11hip_rocprim5par_tENS8_11use_defaultESE_EEEENSA_INSB_IlSD_SE_SE_EEEEZNS1_13binary_searchIS3_S5_NSA_INS8_10device_ptrIjEEEESG_SI_NS1_21lower_bound_search_opENS9_16wrapped_functionINS8_6system6detail7generic6detail18binary_search_lessEbEEEE10hipError_tPvRmT1_T2_T3_mmT4_T5_P12ihipStream_tbEUlRKjE_EESV_SZ_S10_mS11_S14_bEUlT_E_NS1_11comp_targetILNS1_3genE0ELNS1_11target_archE4294967295ELNS1_3gpuE0ELNS1_3repE0EEENS1_30default_config_static_selectorELNS0_4arch9wavefront6targetE0EEEvSY_.uses_flat_scratch, 0
	.set _ZN7rocprim17ROCPRIM_400000_NS6detail17trampoline_kernelINS0_14default_configENS1_27lower_bound_config_selectorIjlEEZNS1_14transform_implILb0ES3_S5_N6thrust23THRUST_200600_302600_NS6detail15normal_iteratorINS8_7pointerIjNS8_11hip_rocprim5par_tENS8_11use_defaultESE_EEEENSA_INSB_IlSD_SE_SE_EEEEZNS1_13binary_searchIS3_S5_NSA_INS8_10device_ptrIjEEEESG_SI_NS1_21lower_bound_search_opENS9_16wrapped_functionINS8_6system6detail7generic6detail18binary_search_lessEbEEEE10hipError_tPvRmT1_T2_T3_mmT4_T5_P12ihipStream_tbEUlRKjE_EESV_SZ_S10_mS11_S14_bEUlT_E_NS1_11comp_targetILNS1_3genE0ELNS1_11target_archE4294967295ELNS1_3gpuE0ELNS1_3repE0EEENS1_30default_config_static_selectorELNS0_4arch9wavefront6targetE0EEEvSY_.has_dyn_sized_stack, 0
	.set _ZN7rocprim17ROCPRIM_400000_NS6detail17trampoline_kernelINS0_14default_configENS1_27lower_bound_config_selectorIjlEEZNS1_14transform_implILb0ES3_S5_N6thrust23THRUST_200600_302600_NS6detail15normal_iteratorINS8_7pointerIjNS8_11hip_rocprim5par_tENS8_11use_defaultESE_EEEENSA_INSB_IlSD_SE_SE_EEEEZNS1_13binary_searchIS3_S5_NSA_INS8_10device_ptrIjEEEESG_SI_NS1_21lower_bound_search_opENS9_16wrapped_functionINS8_6system6detail7generic6detail18binary_search_lessEbEEEE10hipError_tPvRmT1_T2_T3_mmT4_T5_P12ihipStream_tbEUlRKjE_EESV_SZ_S10_mS11_S14_bEUlT_E_NS1_11comp_targetILNS1_3genE0ELNS1_11target_archE4294967295ELNS1_3gpuE0ELNS1_3repE0EEENS1_30default_config_static_selectorELNS0_4arch9wavefront6targetE0EEEvSY_.has_recursion, 0
	.set _ZN7rocprim17ROCPRIM_400000_NS6detail17trampoline_kernelINS0_14default_configENS1_27lower_bound_config_selectorIjlEEZNS1_14transform_implILb0ES3_S5_N6thrust23THRUST_200600_302600_NS6detail15normal_iteratorINS8_7pointerIjNS8_11hip_rocprim5par_tENS8_11use_defaultESE_EEEENSA_INSB_IlSD_SE_SE_EEEEZNS1_13binary_searchIS3_S5_NSA_INS8_10device_ptrIjEEEESG_SI_NS1_21lower_bound_search_opENS9_16wrapped_functionINS8_6system6detail7generic6detail18binary_search_lessEbEEEE10hipError_tPvRmT1_T2_T3_mmT4_T5_P12ihipStream_tbEUlRKjE_EESV_SZ_S10_mS11_S14_bEUlT_E_NS1_11comp_targetILNS1_3genE0ELNS1_11target_archE4294967295ELNS1_3gpuE0ELNS1_3repE0EEENS1_30default_config_static_selectorELNS0_4arch9wavefront6targetE0EEEvSY_.has_indirect_call, 0
	.section	.AMDGPU.csdata,"",@progbits
; Kernel info:
; codeLenInByte = 0
; TotalNumSgprs: 0
; NumVgprs: 0
; ScratchSize: 0
; MemoryBound: 0
; FloatMode: 240
; IeeeMode: 1
; LDSByteSize: 0 bytes/workgroup (compile time only)
; SGPRBlocks: 0
; VGPRBlocks: 0
; NumSGPRsForWavesPerEU: 1
; NumVGPRsForWavesPerEU: 1
; Occupancy: 16
; WaveLimiterHint : 0
; COMPUTE_PGM_RSRC2:SCRATCH_EN: 0
; COMPUTE_PGM_RSRC2:USER_SGPR: 6
; COMPUTE_PGM_RSRC2:TRAP_HANDLER: 0
; COMPUTE_PGM_RSRC2:TGID_X_EN: 1
; COMPUTE_PGM_RSRC2:TGID_Y_EN: 0
; COMPUTE_PGM_RSRC2:TGID_Z_EN: 0
; COMPUTE_PGM_RSRC2:TIDIG_COMP_CNT: 0
	.section	.text._ZN7rocprim17ROCPRIM_400000_NS6detail17trampoline_kernelINS0_14default_configENS1_27lower_bound_config_selectorIjlEEZNS1_14transform_implILb0ES3_S5_N6thrust23THRUST_200600_302600_NS6detail15normal_iteratorINS8_7pointerIjNS8_11hip_rocprim5par_tENS8_11use_defaultESE_EEEENSA_INSB_IlSD_SE_SE_EEEEZNS1_13binary_searchIS3_S5_NSA_INS8_10device_ptrIjEEEESG_SI_NS1_21lower_bound_search_opENS9_16wrapped_functionINS8_6system6detail7generic6detail18binary_search_lessEbEEEE10hipError_tPvRmT1_T2_T3_mmT4_T5_P12ihipStream_tbEUlRKjE_EESV_SZ_S10_mS11_S14_bEUlT_E_NS1_11comp_targetILNS1_3genE5ELNS1_11target_archE942ELNS1_3gpuE9ELNS1_3repE0EEENS1_30default_config_static_selectorELNS0_4arch9wavefront6targetE0EEEvSY_,"axG",@progbits,_ZN7rocprim17ROCPRIM_400000_NS6detail17trampoline_kernelINS0_14default_configENS1_27lower_bound_config_selectorIjlEEZNS1_14transform_implILb0ES3_S5_N6thrust23THRUST_200600_302600_NS6detail15normal_iteratorINS8_7pointerIjNS8_11hip_rocprim5par_tENS8_11use_defaultESE_EEEENSA_INSB_IlSD_SE_SE_EEEEZNS1_13binary_searchIS3_S5_NSA_INS8_10device_ptrIjEEEESG_SI_NS1_21lower_bound_search_opENS9_16wrapped_functionINS8_6system6detail7generic6detail18binary_search_lessEbEEEE10hipError_tPvRmT1_T2_T3_mmT4_T5_P12ihipStream_tbEUlRKjE_EESV_SZ_S10_mS11_S14_bEUlT_E_NS1_11comp_targetILNS1_3genE5ELNS1_11target_archE942ELNS1_3gpuE9ELNS1_3repE0EEENS1_30default_config_static_selectorELNS0_4arch9wavefront6targetE0EEEvSY_,comdat
	.protected	_ZN7rocprim17ROCPRIM_400000_NS6detail17trampoline_kernelINS0_14default_configENS1_27lower_bound_config_selectorIjlEEZNS1_14transform_implILb0ES3_S5_N6thrust23THRUST_200600_302600_NS6detail15normal_iteratorINS8_7pointerIjNS8_11hip_rocprim5par_tENS8_11use_defaultESE_EEEENSA_INSB_IlSD_SE_SE_EEEEZNS1_13binary_searchIS3_S5_NSA_INS8_10device_ptrIjEEEESG_SI_NS1_21lower_bound_search_opENS9_16wrapped_functionINS8_6system6detail7generic6detail18binary_search_lessEbEEEE10hipError_tPvRmT1_T2_T3_mmT4_T5_P12ihipStream_tbEUlRKjE_EESV_SZ_S10_mS11_S14_bEUlT_E_NS1_11comp_targetILNS1_3genE5ELNS1_11target_archE942ELNS1_3gpuE9ELNS1_3repE0EEENS1_30default_config_static_selectorELNS0_4arch9wavefront6targetE0EEEvSY_ ; -- Begin function _ZN7rocprim17ROCPRIM_400000_NS6detail17trampoline_kernelINS0_14default_configENS1_27lower_bound_config_selectorIjlEEZNS1_14transform_implILb0ES3_S5_N6thrust23THRUST_200600_302600_NS6detail15normal_iteratorINS8_7pointerIjNS8_11hip_rocprim5par_tENS8_11use_defaultESE_EEEENSA_INSB_IlSD_SE_SE_EEEEZNS1_13binary_searchIS3_S5_NSA_INS8_10device_ptrIjEEEESG_SI_NS1_21lower_bound_search_opENS9_16wrapped_functionINS8_6system6detail7generic6detail18binary_search_lessEbEEEE10hipError_tPvRmT1_T2_T3_mmT4_T5_P12ihipStream_tbEUlRKjE_EESV_SZ_S10_mS11_S14_bEUlT_E_NS1_11comp_targetILNS1_3genE5ELNS1_11target_archE942ELNS1_3gpuE9ELNS1_3repE0EEENS1_30default_config_static_selectorELNS0_4arch9wavefront6targetE0EEEvSY_
	.globl	_ZN7rocprim17ROCPRIM_400000_NS6detail17trampoline_kernelINS0_14default_configENS1_27lower_bound_config_selectorIjlEEZNS1_14transform_implILb0ES3_S5_N6thrust23THRUST_200600_302600_NS6detail15normal_iteratorINS8_7pointerIjNS8_11hip_rocprim5par_tENS8_11use_defaultESE_EEEENSA_INSB_IlSD_SE_SE_EEEEZNS1_13binary_searchIS3_S5_NSA_INS8_10device_ptrIjEEEESG_SI_NS1_21lower_bound_search_opENS9_16wrapped_functionINS8_6system6detail7generic6detail18binary_search_lessEbEEEE10hipError_tPvRmT1_T2_T3_mmT4_T5_P12ihipStream_tbEUlRKjE_EESV_SZ_S10_mS11_S14_bEUlT_E_NS1_11comp_targetILNS1_3genE5ELNS1_11target_archE942ELNS1_3gpuE9ELNS1_3repE0EEENS1_30default_config_static_selectorELNS0_4arch9wavefront6targetE0EEEvSY_
	.p2align	8
	.type	_ZN7rocprim17ROCPRIM_400000_NS6detail17trampoline_kernelINS0_14default_configENS1_27lower_bound_config_selectorIjlEEZNS1_14transform_implILb0ES3_S5_N6thrust23THRUST_200600_302600_NS6detail15normal_iteratorINS8_7pointerIjNS8_11hip_rocprim5par_tENS8_11use_defaultESE_EEEENSA_INSB_IlSD_SE_SE_EEEEZNS1_13binary_searchIS3_S5_NSA_INS8_10device_ptrIjEEEESG_SI_NS1_21lower_bound_search_opENS9_16wrapped_functionINS8_6system6detail7generic6detail18binary_search_lessEbEEEE10hipError_tPvRmT1_T2_T3_mmT4_T5_P12ihipStream_tbEUlRKjE_EESV_SZ_S10_mS11_S14_bEUlT_E_NS1_11comp_targetILNS1_3genE5ELNS1_11target_archE942ELNS1_3gpuE9ELNS1_3repE0EEENS1_30default_config_static_selectorELNS0_4arch9wavefront6targetE0EEEvSY_,@function
_ZN7rocprim17ROCPRIM_400000_NS6detail17trampoline_kernelINS0_14default_configENS1_27lower_bound_config_selectorIjlEEZNS1_14transform_implILb0ES3_S5_N6thrust23THRUST_200600_302600_NS6detail15normal_iteratorINS8_7pointerIjNS8_11hip_rocprim5par_tENS8_11use_defaultESE_EEEENSA_INSB_IlSD_SE_SE_EEEEZNS1_13binary_searchIS3_S5_NSA_INS8_10device_ptrIjEEEESG_SI_NS1_21lower_bound_search_opENS9_16wrapped_functionINS8_6system6detail7generic6detail18binary_search_lessEbEEEE10hipError_tPvRmT1_T2_T3_mmT4_T5_P12ihipStream_tbEUlRKjE_EESV_SZ_S10_mS11_S14_bEUlT_E_NS1_11comp_targetILNS1_3genE5ELNS1_11target_archE942ELNS1_3gpuE9ELNS1_3repE0EEENS1_30default_config_static_selectorELNS0_4arch9wavefront6targetE0EEEvSY_: ; @_ZN7rocprim17ROCPRIM_400000_NS6detail17trampoline_kernelINS0_14default_configENS1_27lower_bound_config_selectorIjlEEZNS1_14transform_implILb0ES3_S5_N6thrust23THRUST_200600_302600_NS6detail15normal_iteratorINS8_7pointerIjNS8_11hip_rocprim5par_tENS8_11use_defaultESE_EEEENSA_INSB_IlSD_SE_SE_EEEEZNS1_13binary_searchIS3_S5_NSA_INS8_10device_ptrIjEEEESG_SI_NS1_21lower_bound_search_opENS9_16wrapped_functionINS8_6system6detail7generic6detail18binary_search_lessEbEEEE10hipError_tPvRmT1_T2_T3_mmT4_T5_P12ihipStream_tbEUlRKjE_EESV_SZ_S10_mS11_S14_bEUlT_E_NS1_11comp_targetILNS1_3genE5ELNS1_11target_archE942ELNS1_3gpuE9ELNS1_3repE0EEENS1_30default_config_static_selectorELNS0_4arch9wavefront6targetE0EEEvSY_
; %bb.0:
	.section	.rodata,"a",@progbits
	.p2align	6, 0x0
	.amdhsa_kernel _ZN7rocprim17ROCPRIM_400000_NS6detail17trampoline_kernelINS0_14default_configENS1_27lower_bound_config_selectorIjlEEZNS1_14transform_implILb0ES3_S5_N6thrust23THRUST_200600_302600_NS6detail15normal_iteratorINS8_7pointerIjNS8_11hip_rocprim5par_tENS8_11use_defaultESE_EEEENSA_INSB_IlSD_SE_SE_EEEEZNS1_13binary_searchIS3_S5_NSA_INS8_10device_ptrIjEEEESG_SI_NS1_21lower_bound_search_opENS9_16wrapped_functionINS8_6system6detail7generic6detail18binary_search_lessEbEEEE10hipError_tPvRmT1_T2_T3_mmT4_T5_P12ihipStream_tbEUlRKjE_EESV_SZ_S10_mS11_S14_bEUlT_E_NS1_11comp_targetILNS1_3genE5ELNS1_11target_archE942ELNS1_3gpuE9ELNS1_3repE0EEENS1_30default_config_static_selectorELNS0_4arch9wavefront6targetE0EEEvSY_
		.amdhsa_group_segment_fixed_size 0
		.amdhsa_private_segment_fixed_size 0
		.amdhsa_kernarg_size 56
		.amdhsa_user_sgpr_count 6
		.amdhsa_user_sgpr_private_segment_buffer 1
		.amdhsa_user_sgpr_dispatch_ptr 0
		.amdhsa_user_sgpr_queue_ptr 0
		.amdhsa_user_sgpr_kernarg_segment_ptr 1
		.amdhsa_user_sgpr_dispatch_id 0
		.amdhsa_user_sgpr_flat_scratch_init 0
		.amdhsa_user_sgpr_private_segment_size 0
		.amdhsa_wavefront_size32 1
		.amdhsa_uses_dynamic_stack 0
		.amdhsa_system_sgpr_private_segment_wavefront_offset 0
		.amdhsa_system_sgpr_workgroup_id_x 1
		.amdhsa_system_sgpr_workgroup_id_y 0
		.amdhsa_system_sgpr_workgroup_id_z 0
		.amdhsa_system_sgpr_workgroup_info 0
		.amdhsa_system_vgpr_workitem_id 0
		.amdhsa_next_free_vgpr 1
		.amdhsa_next_free_sgpr 1
		.amdhsa_reserve_vcc 0
		.amdhsa_reserve_flat_scratch 0
		.amdhsa_float_round_mode_32 0
		.amdhsa_float_round_mode_16_64 0
		.amdhsa_float_denorm_mode_32 3
		.amdhsa_float_denorm_mode_16_64 3
		.amdhsa_dx10_clamp 1
		.amdhsa_ieee_mode 1
		.amdhsa_fp16_overflow 0
		.amdhsa_workgroup_processor_mode 1
		.amdhsa_memory_ordered 1
		.amdhsa_forward_progress 1
		.amdhsa_shared_vgpr_count 0
		.amdhsa_exception_fp_ieee_invalid_op 0
		.amdhsa_exception_fp_denorm_src 0
		.amdhsa_exception_fp_ieee_div_zero 0
		.amdhsa_exception_fp_ieee_overflow 0
		.amdhsa_exception_fp_ieee_underflow 0
		.amdhsa_exception_fp_ieee_inexact 0
		.amdhsa_exception_int_div_zero 0
	.end_amdhsa_kernel
	.section	.text._ZN7rocprim17ROCPRIM_400000_NS6detail17trampoline_kernelINS0_14default_configENS1_27lower_bound_config_selectorIjlEEZNS1_14transform_implILb0ES3_S5_N6thrust23THRUST_200600_302600_NS6detail15normal_iteratorINS8_7pointerIjNS8_11hip_rocprim5par_tENS8_11use_defaultESE_EEEENSA_INSB_IlSD_SE_SE_EEEEZNS1_13binary_searchIS3_S5_NSA_INS8_10device_ptrIjEEEESG_SI_NS1_21lower_bound_search_opENS9_16wrapped_functionINS8_6system6detail7generic6detail18binary_search_lessEbEEEE10hipError_tPvRmT1_T2_T3_mmT4_T5_P12ihipStream_tbEUlRKjE_EESV_SZ_S10_mS11_S14_bEUlT_E_NS1_11comp_targetILNS1_3genE5ELNS1_11target_archE942ELNS1_3gpuE9ELNS1_3repE0EEENS1_30default_config_static_selectorELNS0_4arch9wavefront6targetE0EEEvSY_,"axG",@progbits,_ZN7rocprim17ROCPRIM_400000_NS6detail17trampoline_kernelINS0_14default_configENS1_27lower_bound_config_selectorIjlEEZNS1_14transform_implILb0ES3_S5_N6thrust23THRUST_200600_302600_NS6detail15normal_iteratorINS8_7pointerIjNS8_11hip_rocprim5par_tENS8_11use_defaultESE_EEEENSA_INSB_IlSD_SE_SE_EEEEZNS1_13binary_searchIS3_S5_NSA_INS8_10device_ptrIjEEEESG_SI_NS1_21lower_bound_search_opENS9_16wrapped_functionINS8_6system6detail7generic6detail18binary_search_lessEbEEEE10hipError_tPvRmT1_T2_T3_mmT4_T5_P12ihipStream_tbEUlRKjE_EESV_SZ_S10_mS11_S14_bEUlT_E_NS1_11comp_targetILNS1_3genE5ELNS1_11target_archE942ELNS1_3gpuE9ELNS1_3repE0EEENS1_30default_config_static_selectorELNS0_4arch9wavefront6targetE0EEEvSY_,comdat
.Lfunc_end368:
	.size	_ZN7rocprim17ROCPRIM_400000_NS6detail17trampoline_kernelINS0_14default_configENS1_27lower_bound_config_selectorIjlEEZNS1_14transform_implILb0ES3_S5_N6thrust23THRUST_200600_302600_NS6detail15normal_iteratorINS8_7pointerIjNS8_11hip_rocprim5par_tENS8_11use_defaultESE_EEEENSA_INSB_IlSD_SE_SE_EEEEZNS1_13binary_searchIS3_S5_NSA_INS8_10device_ptrIjEEEESG_SI_NS1_21lower_bound_search_opENS9_16wrapped_functionINS8_6system6detail7generic6detail18binary_search_lessEbEEEE10hipError_tPvRmT1_T2_T3_mmT4_T5_P12ihipStream_tbEUlRKjE_EESV_SZ_S10_mS11_S14_bEUlT_E_NS1_11comp_targetILNS1_3genE5ELNS1_11target_archE942ELNS1_3gpuE9ELNS1_3repE0EEENS1_30default_config_static_selectorELNS0_4arch9wavefront6targetE0EEEvSY_, .Lfunc_end368-_ZN7rocprim17ROCPRIM_400000_NS6detail17trampoline_kernelINS0_14default_configENS1_27lower_bound_config_selectorIjlEEZNS1_14transform_implILb0ES3_S5_N6thrust23THRUST_200600_302600_NS6detail15normal_iteratorINS8_7pointerIjNS8_11hip_rocprim5par_tENS8_11use_defaultESE_EEEENSA_INSB_IlSD_SE_SE_EEEEZNS1_13binary_searchIS3_S5_NSA_INS8_10device_ptrIjEEEESG_SI_NS1_21lower_bound_search_opENS9_16wrapped_functionINS8_6system6detail7generic6detail18binary_search_lessEbEEEE10hipError_tPvRmT1_T2_T3_mmT4_T5_P12ihipStream_tbEUlRKjE_EESV_SZ_S10_mS11_S14_bEUlT_E_NS1_11comp_targetILNS1_3genE5ELNS1_11target_archE942ELNS1_3gpuE9ELNS1_3repE0EEENS1_30default_config_static_selectorELNS0_4arch9wavefront6targetE0EEEvSY_
                                        ; -- End function
	.set _ZN7rocprim17ROCPRIM_400000_NS6detail17trampoline_kernelINS0_14default_configENS1_27lower_bound_config_selectorIjlEEZNS1_14transform_implILb0ES3_S5_N6thrust23THRUST_200600_302600_NS6detail15normal_iteratorINS8_7pointerIjNS8_11hip_rocprim5par_tENS8_11use_defaultESE_EEEENSA_INSB_IlSD_SE_SE_EEEEZNS1_13binary_searchIS3_S5_NSA_INS8_10device_ptrIjEEEESG_SI_NS1_21lower_bound_search_opENS9_16wrapped_functionINS8_6system6detail7generic6detail18binary_search_lessEbEEEE10hipError_tPvRmT1_T2_T3_mmT4_T5_P12ihipStream_tbEUlRKjE_EESV_SZ_S10_mS11_S14_bEUlT_E_NS1_11comp_targetILNS1_3genE5ELNS1_11target_archE942ELNS1_3gpuE9ELNS1_3repE0EEENS1_30default_config_static_selectorELNS0_4arch9wavefront6targetE0EEEvSY_.num_vgpr, 0
	.set _ZN7rocprim17ROCPRIM_400000_NS6detail17trampoline_kernelINS0_14default_configENS1_27lower_bound_config_selectorIjlEEZNS1_14transform_implILb0ES3_S5_N6thrust23THRUST_200600_302600_NS6detail15normal_iteratorINS8_7pointerIjNS8_11hip_rocprim5par_tENS8_11use_defaultESE_EEEENSA_INSB_IlSD_SE_SE_EEEEZNS1_13binary_searchIS3_S5_NSA_INS8_10device_ptrIjEEEESG_SI_NS1_21lower_bound_search_opENS9_16wrapped_functionINS8_6system6detail7generic6detail18binary_search_lessEbEEEE10hipError_tPvRmT1_T2_T3_mmT4_T5_P12ihipStream_tbEUlRKjE_EESV_SZ_S10_mS11_S14_bEUlT_E_NS1_11comp_targetILNS1_3genE5ELNS1_11target_archE942ELNS1_3gpuE9ELNS1_3repE0EEENS1_30default_config_static_selectorELNS0_4arch9wavefront6targetE0EEEvSY_.num_agpr, 0
	.set _ZN7rocprim17ROCPRIM_400000_NS6detail17trampoline_kernelINS0_14default_configENS1_27lower_bound_config_selectorIjlEEZNS1_14transform_implILb0ES3_S5_N6thrust23THRUST_200600_302600_NS6detail15normal_iteratorINS8_7pointerIjNS8_11hip_rocprim5par_tENS8_11use_defaultESE_EEEENSA_INSB_IlSD_SE_SE_EEEEZNS1_13binary_searchIS3_S5_NSA_INS8_10device_ptrIjEEEESG_SI_NS1_21lower_bound_search_opENS9_16wrapped_functionINS8_6system6detail7generic6detail18binary_search_lessEbEEEE10hipError_tPvRmT1_T2_T3_mmT4_T5_P12ihipStream_tbEUlRKjE_EESV_SZ_S10_mS11_S14_bEUlT_E_NS1_11comp_targetILNS1_3genE5ELNS1_11target_archE942ELNS1_3gpuE9ELNS1_3repE0EEENS1_30default_config_static_selectorELNS0_4arch9wavefront6targetE0EEEvSY_.numbered_sgpr, 0
	.set _ZN7rocprim17ROCPRIM_400000_NS6detail17trampoline_kernelINS0_14default_configENS1_27lower_bound_config_selectorIjlEEZNS1_14transform_implILb0ES3_S5_N6thrust23THRUST_200600_302600_NS6detail15normal_iteratorINS8_7pointerIjNS8_11hip_rocprim5par_tENS8_11use_defaultESE_EEEENSA_INSB_IlSD_SE_SE_EEEEZNS1_13binary_searchIS3_S5_NSA_INS8_10device_ptrIjEEEESG_SI_NS1_21lower_bound_search_opENS9_16wrapped_functionINS8_6system6detail7generic6detail18binary_search_lessEbEEEE10hipError_tPvRmT1_T2_T3_mmT4_T5_P12ihipStream_tbEUlRKjE_EESV_SZ_S10_mS11_S14_bEUlT_E_NS1_11comp_targetILNS1_3genE5ELNS1_11target_archE942ELNS1_3gpuE9ELNS1_3repE0EEENS1_30default_config_static_selectorELNS0_4arch9wavefront6targetE0EEEvSY_.num_named_barrier, 0
	.set _ZN7rocprim17ROCPRIM_400000_NS6detail17trampoline_kernelINS0_14default_configENS1_27lower_bound_config_selectorIjlEEZNS1_14transform_implILb0ES3_S5_N6thrust23THRUST_200600_302600_NS6detail15normal_iteratorINS8_7pointerIjNS8_11hip_rocprim5par_tENS8_11use_defaultESE_EEEENSA_INSB_IlSD_SE_SE_EEEEZNS1_13binary_searchIS3_S5_NSA_INS8_10device_ptrIjEEEESG_SI_NS1_21lower_bound_search_opENS9_16wrapped_functionINS8_6system6detail7generic6detail18binary_search_lessEbEEEE10hipError_tPvRmT1_T2_T3_mmT4_T5_P12ihipStream_tbEUlRKjE_EESV_SZ_S10_mS11_S14_bEUlT_E_NS1_11comp_targetILNS1_3genE5ELNS1_11target_archE942ELNS1_3gpuE9ELNS1_3repE0EEENS1_30default_config_static_selectorELNS0_4arch9wavefront6targetE0EEEvSY_.private_seg_size, 0
	.set _ZN7rocprim17ROCPRIM_400000_NS6detail17trampoline_kernelINS0_14default_configENS1_27lower_bound_config_selectorIjlEEZNS1_14transform_implILb0ES3_S5_N6thrust23THRUST_200600_302600_NS6detail15normal_iteratorINS8_7pointerIjNS8_11hip_rocprim5par_tENS8_11use_defaultESE_EEEENSA_INSB_IlSD_SE_SE_EEEEZNS1_13binary_searchIS3_S5_NSA_INS8_10device_ptrIjEEEESG_SI_NS1_21lower_bound_search_opENS9_16wrapped_functionINS8_6system6detail7generic6detail18binary_search_lessEbEEEE10hipError_tPvRmT1_T2_T3_mmT4_T5_P12ihipStream_tbEUlRKjE_EESV_SZ_S10_mS11_S14_bEUlT_E_NS1_11comp_targetILNS1_3genE5ELNS1_11target_archE942ELNS1_3gpuE9ELNS1_3repE0EEENS1_30default_config_static_selectorELNS0_4arch9wavefront6targetE0EEEvSY_.uses_vcc, 0
	.set _ZN7rocprim17ROCPRIM_400000_NS6detail17trampoline_kernelINS0_14default_configENS1_27lower_bound_config_selectorIjlEEZNS1_14transform_implILb0ES3_S5_N6thrust23THRUST_200600_302600_NS6detail15normal_iteratorINS8_7pointerIjNS8_11hip_rocprim5par_tENS8_11use_defaultESE_EEEENSA_INSB_IlSD_SE_SE_EEEEZNS1_13binary_searchIS3_S5_NSA_INS8_10device_ptrIjEEEESG_SI_NS1_21lower_bound_search_opENS9_16wrapped_functionINS8_6system6detail7generic6detail18binary_search_lessEbEEEE10hipError_tPvRmT1_T2_T3_mmT4_T5_P12ihipStream_tbEUlRKjE_EESV_SZ_S10_mS11_S14_bEUlT_E_NS1_11comp_targetILNS1_3genE5ELNS1_11target_archE942ELNS1_3gpuE9ELNS1_3repE0EEENS1_30default_config_static_selectorELNS0_4arch9wavefront6targetE0EEEvSY_.uses_flat_scratch, 0
	.set _ZN7rocprim17ROCPRIM_400000_NS6detail17trampoline_kernelINS0_14default_configENS1_27lower_bound_config_selectorIjlEEZNS1_14transform_implILb0ES3_S5_N6thrust23THRUST_200600_302600_NS6detail15normal_iteratorINS8_7pointerIjNS8_11hip_rocprim5par_tENS8_11use_defaultESE_EEEENSA_INSB_IlSD_SE_SE_EEEEZNS1_13binary_searchIS3_S5_NSA_INS8_10device_ptrIjEEEESG_SI_NS1_21lower_bound_search_opENS9_16wrapped_functionINS8_6system6detail7generic6detail18binary_search_lessEbEEEE10hipError_tPvRmT1_T2_T3_mmT4_T5_P12ihipStream_tbEUlRKjE_EESV_SZ_S10_mS11_S14_bEUlT_E_NS1_11comp_targetILNS1_3genE5ELNS1_11target_archE942ELNS1_3gpuE9ELNS1_3repE0EEENS1_30default_config_static_selectorELNS0_4arch9wavefront6targetE0EEEvSY_.has_dyn_sized_stack, 0
	.set _ZN7rocprim17ROCPRIM_400000_NS6detail17trampoline_kernelINS0_14default_configENS1_27lower_bound_config_selectorIjlEEZNS1_14transform_implILb0ES3_S5_N6thrust23THRUST_200600_302600_NS6detail15normal_iteratorINS8_7pointerIjNS8_11hip_rocprim5par_tENS8_11use_defaultESE_EEEENSA_INSB_IlSD_SE_SE_EEEEZNS1_13binary_searchIS3_S5_NSA_INS8_10device_ptrIjEEEESG_SI_NS1_21lower_bound_search_opENS9_16wrapped_functionINS8_6system6detail7generic6detail18binary_search_lessEbEEEE10hipError_tPvRmT1_T2_T3_mmT4_T5_P12ihipStream_tbEUlRKjE_EESV_SZ_S10_mS11_S14_bEUlT_E_NS1_11comp_targetILNS1_3genE5ELNS1_11target_archE942ELNS1_3gpuE9ELNS1_3repE0EEENS1_30default_config_static_selectorELNS0_4arch9wavefront6targetE0EEEvSY_.has_recursion, 0
	.set _ZN7rocprim17ROCPRIM_400000_NS6detail17trampoline_kernelINS0_14default_configENS1_27lower_bound_config_selectorIjlEEZNS1_14transform_implILb0ES3_S5_N6thrust23THRUST_200600_302600_NS6detail15normal_iteratorINS8_7pointerIjNS8_11hip_rocprim5par_tENS8_11use_defaultESE_EEEENSA_INSB_IlSD_SE_SE_EEEEZNS1_13binary_searchIS3_S5_NSA_INS8_10device_ptrIjEEEESG_SI_NS1_21lower_bound_search_opENS9_16wrapped_functionINS8_6system6detail7generic6detail18binary_search_lessEbEEEE10hipError_tPvRmT1_T2_T3_mmT4_T5_P12ihipStream_tbEUlRKjE_EESV_SZ_S10_mS11_S14_bEUlT_E_NS1_11comp_targetILNS1_3genE5ELNS1_11target_archE942ELNS1_3gpuE9ELNS1_3repE0EEENS1_30default_config_static_selectorELNS0_4arch9wavefront6targetE0EEEvSY_.has_indirect_call, 0
	.section	.AMDGPU.csdata,"",@progbits
; Kernel info:
; codeLenInByte = 0
; TotalNumSgprs: 0
; NumVgprs: 0
; ScratchSize: 0
; MemoryBound: 0
; FloatMode: 240
; IeeeMode: 1
; LDSByteSize: 0 bytes/workgroup (compile time only)
; SGPRBlocks: 0
; VGPRBlocks: 0
; NumSGPRsForWavesPerEU: 1
; NumVGPRsForWavesPerEU: 1
; Occupancy: 16
; WaveLimiterHint : 0
; COMPUTE_PGM_RSRC2:SCRATCH_EN: 0
; COMPUTE_PGM_RSRC2:USER_SGPR: 6
; COMPUTE_PGM_RSRC2:TRAP_HANDLER: 0
; COMPUTE_PGM_RSRC2:TGID_X_EN: 1
; COMPUTE_PGM_RSRC2:TGID_Y_EN: 0
; COMPUTE_PGM_RSRC2:TGID_Z_EN: 0
; COMPUTE_PGM_RSRC2:TIDIG_COMP_CNT: 0
	.section	.text._ZN7rocprim17ROCPRIM_400000_NS6detail17trampoline_kernelINS0_14default_configENS1_27lower_bound_config_selectorIjlEEZNS1_14transform_implILb0ES3_S5_N6thrust23THRUST_200600_302600_NS6detail15normal_iteratorINS8_7pointerIjNS8_11hip_rocprim5par_tENS8_11use_defaultESE_EEEENSA_INSB_IlSD_SE_SE_EEEEZNS1_13binary_searchIS3_S5_NSA_INS8_10device_ptrIjEEEESG_SI_NS1_21lower_bound_search_opENS9_16wrapped_functionINS8_6system6detail7generic6detail18binary_search_lessEbEEEE10hipError_tPvRmT1_T2_T3_mmT4_T5_P12ihipStream_tbEUlRKjE_EESV_SZ_S10_mS11_S14_bEUlT_E_NS1_11comp_targetILNS1_3genE4ELNS1_11target_archE910ELNS1_3gpuE8ELNS1_3repE0EEENS1_30default_config_static_selectorELNS0_4arch9wavefront6targetE0EEEvSY_,"axG",@progbits,_ZN7rocprim17ROCPRIM_400000_NS6detail17trampoline_kernelINS0_14default_configENS1_27lower_bound_config_selectorIjlEEZNS1_14transform_implILb0ES3_S5_N6thrust23THRUST_200600_302600_NS6detail15normal_iteratorINS8_7pointerIjNS8_11hip_rocprim5par_tENS8_11use_defaultESE_EEEENSA_INSB_IlSD_SE_SE_EEEEZNS1_13binary_searchIS3_S5_NSA_INS8_10device_ptrIjEEEESG_SI_NS1_21lower_bound_search_opENS9_16wrapped_functionINS8_6system6detail7generic6detail18binary_search_lessEbEEEE10hipError_tPvRmT1_T2_T3_mmT4_T5_P12ihipStream_tbEUlRKjE_EESV_SZ_S10_mS11_S14_bEUlT_E_NS1_11comp_targetILNS1_3genE4ELNS1_11target_archE910ELNS1_3gpuE8ELNS1_3repE0EEENS1_30default_config_static_selectorELNS0_4arch9wavefront6targetE0EEEvSY_,comdat
	.protected	_ZN7rocprim17ROCPRIM_400000_NS6detail17trampoline_kernelINS0_14default_configENS1_27lower_bound_config_selectorIjlEEZNS1_14transform_implILb0ES3_S5_N6thrust23THRUST_200600_302600_NS6detail15normal_iteratorINS8_7pointerIjNS8_11hip_rocprim5par_tENS8_11use_defaultESE_EEEENSA_INSB_IlSD_SE_SE_EEEEZNS1_13binary_searchIS3_S5_NSA_INS8_10device_ptrIjEEEESG_SI_NS1_21lower_bound_search_opENS9_16wrapped_functionINS8_6system6detail7generic6detail18binary_search_lessEbEEEE10hipError_tPvRmT1_T2_T3_mmT4_T5_P12ihipStream_tbEUlRKjE_EESV_SZ_S10_mS11_S14_bEUlT_E_NS1_11comp_targetILNS1_3genE4ELNS1_11target_archE910ELNS1_3gpuE8ELNS1_3repE0EEENS1_30default_config_static_selectorELNS0_4arch9wavefront6targetE0EEEvSY_ ; -- Begin function _ZN7rocprim17ROCPRIM_400000_NS6detail17trampoline_kernelINS0_14default_configENS1_27lower_bound_config_selectorIjlEEZNS1_14transform_implILb0ES3_S5_N6thrust23THRUST_200600_302600_NS6detail15normal_iteratorINS8_7pointerIjNS8_11hip_rocprim5par_tENS8_11use_defaultESE_EEEENSA_INSB_IlSD_SE_SE_EEEEZNS1_13binary_searchIS3_S5_NSA_INS8_10device_ptrIjEEEESG_SI_NS1_21lower_bound_search_opENS9_16wrapped_functionINS8_6system6detail7generic6detail18binary_search_lessEbEEEE10hipError_tPvRmT1_T2_T3_mmT4_T5_P12ihipStream_tbEUlRKjE_EESV_SZ_S10_mS11_S14_bEUlT_E_NS1_11comp_targetILNS1_3genE4ELNS1_11target_archE910ELNS1_3gpuE8ELNS1_3repE0EEENS1_30default_config_static_selectorELNS0_4arch9wavefront6targetE0EEEvSY_
	.globl	_ZN7rocprim17ROCPRIM_400000_NS6detail17trampoline_kernelINS0_14default_configENS1_27lower_bound_config_selectorIjlEEZNS1_14transform_implILb0ES3_S5_N6thrust23THRUST_200600_302600_NS6detail15normal_iteratorINS8_7pointerIjNS8_11hip_rocprim5par_tENS8_11use_defaultESE_EEEENSA_INSB_IlSD_SE_SE_EEEEZNS1_13binary_searchIS3_S5_NSA_INS8_10device_ptrIjEEEESG_SI_NS1_21lower_bound_search_opENS9_16wrapped_functionINS8_6system6detail7generic6detail18binary_search_lessEbEEEE10hipError_tPvRmT1_T2_T3_mmT4_T5_P12ihipStream_tbEUlRKjE_EESV_SZ_S10_mS11_S14_bEUlT_E_NS1_11comp_targetILNS1_3genE4ELNS1_11target_archE910ELNS1_3gpuE8ELNS1_3repE0EEENS1_30default_config_static_selectorELNS0_4arch9wavefront6targetE0EEEvSY_
	.p2align	8
	.type	_ZN7rocprim17ROCPRIM_400000_NS6detail17trampoline_kernelINS0_14default_configENS1_27lower_bound_config_selectorIjlEEZNS1_14transform_implILb0ES3_S5_N6thrust23THRUST_200600_302600_NS6detail15normal_iteratorINS8_7pointerIjNS8_11hip_rocprim5par_tENS8_11use_defaultESE_EEEENSA_INSB_IlSD_SE_SE_EEEEZNS1_13binary_searchIS3_S5_NSA_INS8_10device_ptrIjEEEESG_SI_NS1_21lower_bound_search_opENS9_16wrapped_functionINS8_6system6detail7generic6detail18binary_search_lessEbEEEE10hipError_tPvRmT1_T2_T3_mmT4_T5_P12ihipStream_tbEUlRKjE_EESV_SZ_S10_mS11_S14_bEUlT_E_NS1_11comp_targetILNS1_3genE4ELNS1_11target_archE910ELNS1_3gpuE8ELNS1_3repE0EEENS1_30default_config_static_selectorELNS0_4arch9wavefront6targetE0EEEvSY_,@function
_ZN7rocprim17ROCPRIM_400000_NS6detail17trampoline_kernelINS0_14default_configENS1_27lower_bound_config_selectorIjlEEZNS1_14transform_implILb0ES3_S5_N6thrust23THRUST_200600_302600_NS6detail15normal_iteratorINS8_7pointerIjNS8_11hip_rocprim5par_tENS8_11use_defaultESE_EEEENSA_INSB_IlSD_SE_SE_EEEEZNS1_13binary_searchIS3_S5_NSA_INS8_10device_ptrIjEEEESG_SI_NS1_21lower_bound_search_opENS9_16wrapped_functionINS8_6system6detail7generic6detail18binary_search_lessEbEEEE10hipError_tPvRmT1_T2_T3_mmT4_T5_P12ihipStream_tbEUlRKjE_EESV_SZ_S10_mS11_S14_bEUlT_E_NS1_11comp_targetILNS1_3genE4ELNS1_11target_archE910ELNS1_3gpuE8ELNS1_3repE0EEENS1_30default_config_static_selectorELNS0_4arch9wavefront6targetE0EEEvSY_: ; @_ZN7rocprim17ROCPRIM_400000_NS6detail17trampoline_kernelINS0_14default_configENS1_27lower_bound_config_selectorIjlEEZNS1_14transform_implILb0ES3_S5_N6thrust23THRUST_200600_302600_NS6detail15normal_iteratorINS8_7pointerIjNS8_11hip_rocprim5par_tENS8_11use_defaultESE_EEEENSA_INSB_IlSD_SE_SE_EEEEZNS1_13binary_searchIS3_S5_NSA_INS8_10device_ptrIjEEEESG_SI_NS1_21lower_bound_search_opENS9_16wrapped_functionINS8_6system6detail7generic6detail18binary_search_lessEbEEEE10hipError_tPvRmT1_T2_T3_mmT4_T5_P12ihipStream_tbEUlRKjE_EESV_SZ_S10_mS11_S14_bEUlT_E_NS1_11comp_targetILNS1_3genE4ELNS1_11target_archE910ELNS1_3gpuE8ELNS1_3repE0EEENS1_30default_config_static_selectorELNS0_4arch9wavefront6targetE0EEEvSY_
; %bb.0:
	.section	.rodata,"a",@progbits
	.p2align	6, 0x0
	.amdhsa_kernel _ZN7rocprim17ROCPRIM_400000_NS6detail17trampoline_kernelINS0_14default_configENS1_27lower_bound_config_selectorIjlEEZNS1_14transform_implILb0ES3_S5_N6thrust23THRUST_200600_302600_NS6detail15normal_iteratorINS8_7pointerIjNS8_11hip_rocprim5par_tENS8_11use_defaultESE_EEEENSA_INSB_IlSD_SE_SE_EEEEZNS1_13binary_searchIS3_S5_NSA_INS8_10device_ptrIjEEEESG_SI_NS1_21lower_bound_search_opENS9_16wrapped_functionINS8_6system6detail7generic6detail18binary_search_lessEbEEEE10hipError_tPvRmT1_T2_T3_mmT4_T5_P12ihipStream_tbEUlRKjE_EESV_SZ_S10_mS11_S14_bEUlT_E_NS1_11comp_targetILNS1_3genE4ELNS1_11target_archE910ELNS1_3gpuE8ELNS1_3repE0EEENS1_30default_config_static_selectorELNS0_4arch9wavefront6targetE0EEEvSY_
		.amdhsa_group_segment_fixed_size 0
		.amdhsa_private_segment_fixed_size 0
		.amdhsa_kernarg_size 56
		.amdhsa_user_sgpr_count 6
		.amdhsa_user_sgpr_private_segment_buffer 1
		.amdhsa_user_sgpr_dispatch_ptr 0
		.amdhsa_user_sgpr_queue_ptr 0
		.amdhsa_user_sgpr_kernarg_segment_ptr 1
		.amdhsa_user_sgpr_dispatch_id 0
		.amdhsa_user_sgpr_flat_scratch_init 0
		.amdhsa_user_sgpr_private_segment_size 0
		.amdhsa_wavefront_size32 1
		.amdhsa_uses_dynamic_stack 0
		.amdhsa_system_sgpr_private_segment_wavefront_offset 0
		.amdhsa_system_sgpr_workgroup_id_x 1
		.amdhsa_system_sgpr_workgroup_id_y 0
		.amdhsa_system_sgpr_workgroup_id_z 0
		.amdhsa_system_sgpr_workgroup_info 0
		.amdhsa_system_vgpr_workitem_id 0
		.amdhsa_next_free_vgpr 1
		.amdhsa_next_free_sgpr 1
		.amdhsa_reserve_vcc 0
		.amdhsa_reserve_flat_scratch 0
		.amdhsa_float_round_mode_32 0
		.amdhsa_float_round_mode_16_64 0
		.amdhsa_float_denorm_mode_32 3
		.amdhsa_float_denorm_mode_16_64 3
		.amdhsa_dx10_clamp 1
		.amdhsa_ieee_mode 1
		.amdhsa_fp16_overflow 0
		.amdhsa_workgroup_processor_mode 1
		.amdhsa_memory_ordered 1
		.amdhsa_forward_progress 1
		.amdhsa_shared_vgpr_count 0
		.amdhsa_exception_fp_ieee_invalid_op 0
		.amdhsa_exception_fp_denorm_src 0
		.amdhsa_exception_fp_ieee_div_zero 0
		.amdhsa_exception_fp_ieee_overflow 0
		.amdhsa_exception_fp_ieee_underflow 0
		.amdhsa_exception_fp_ieee_inexact 0
		.amdhsa_exception_int_div_zero 0
	.end_amdhsa_kernel
	.section	.text._ZN7rocprim17ROCPRIM_400000_NS6detail17trampoline_kernelINS0_14default_configENS1_27lower_bound_config_selectorIjlEEZNS1_14transform_implILb0ES3_S5_N6thrust23THRUST_200600_302600_NS6detail15normal_iteratorINS8_7pointerIjNS8_11hip_rocprim5par_tENS8_11use_defaultESE_EEEENSA_INSB_IlSD_SE_SE_EEEEZNS1_13binary_searchIS3_S5_NSA_INS8_10device_ptrIjEEEESG_SI_NS1_21lower_bound_search_opENS9_16wrapped_functionINS8_6system6detail7generic6detail18binary_search_lessEbEEEE10hipError_tPvRmT1_T2_T3_mmT4_T5_P12ihipStream_tbEUlRKjE_EESV_SZ_S10_mS11_S14_bEUlT_E_NS1_11comp_targetILNS1_3genE4ELNS1_11target_archE910ELNS1_3gpuE8ELNS1_3repE0EEENS1_30default_config_static_selectorELNS0_4arch9wavefront6targetE0EEEvSY_,"axG",@progbits,_ZN7rocprim17ROCPRIM_400000_NS6detail17trampoline_kernelINS0_14default_configENS1_27lower_bound_config_selectorIjlEEZNS1_14transform_implILb0ES3_S5_N6thrust23THRUST_200600_302600_NS6detail15normal_iteratorINS8_7pointerIjNS8_11hip_rocprim5par_tENS8_11use_defaultESE_EEEENSA_INSB_IlSD_SE_SE_EEEEZNS1_13binary_searchIS3_S5_NSA_INS8_10device_ptrIjEEEESG_SI_NS1_21lower_bound_search_opENS9_16wrapped_functionINS8_6system6detail7generic6detail18binary_search_lessEbEEEE10hipError_tPvRmT1_T2_T3_mmT4_T5_P12ihipStream_tbEUlRKjE_EESV_SZ_S10_mS11_S14_bEUlT_E_NS1_11comp_targetILNS1_3genE4ELNS1_11target_archE910ELNS1_3gpuE8ELNS1_3repE0EEENS1_30default_config_static_selectorELNS0_4arch9wavefront6targetE0EEEvSY_,comdat
.Lfunc_end369:
	.size	_ZN7rocprim17ROCPRIM_400000_NS6detail17trampoline_kernelINS0_14default_configENS1_27lower_bound_config_selectorIjlEEZNS1_14transform_implILb0ES3_S5_N6thrust23THRUST_200600_302600_NS6detail15normal_iteratorINS8_7pointerIjNS8_11hip_rocprim5par_tENS8_11use_defaultESE_EEEENSA_INSB_IlSD_SE_SE_EEEEZNS1_13binary_searchIS3_S5_NSA_INS8_10device_ptrIjEEEESG_SI_NS1_21lower_bound_search_opENS9_16wrapped_functionINS8_6system6detail7generic6detail18binary_search_lessEbEEEE10hipError_tPvRmT1_T2_T3_mmT4_T5_P12ihipStream_tbEUlRKjE_EESV_SZ_S10_mS11_S14_bEUlT_E_NS1_11comp_targetILNS1_3genE4ELNS1_11target_archE910ELNS1_3gpuE8ELNS1_3repE0EEENS1_30default_config_static_selectorELNS0_4arch9wavefront6targetE0EEEvSY_, .Lfunc_end369-_ZN7rocprim17ROCPRIM_400000_NS6detail17trampoline_kernelINS0_14default_configENS1_27lower_bound_config_selectorIjlEEZNS1_14transform_implILb0ES3_S5_N6thrust23THRUST_200600_302600_NS6detail15normal_iteratorINS8_7pointerIjNS8_11hip_rocprim5par_tENS8_11use_defaultESE_EEEENSA_INSB_IlSD_SE_SE_EEEEZNS1_13binary_searchIS3_S5_NSA_INS8_10device_ptrIjEEEESG_SI_NS1_21lower_bound_search_opENS9_16wrapped_functionINS8_6system6detail7generic6detail18binary_search_lessEbEEEE10hipError_tPvRmT1_T2_T3_mmT4_T5_P12ihipStream_tbEUlRKjE_EESV_SZ_S10_mS11_S14_bEUlT_E_NS1_11comp_targetILNS1_3genE4ELNS1_11target_archE910ELNS1_3gpuE8ELNS1_3repE0EEENS1_30default_config_static_selectorELNS0_4arch9wavefront6targetE0EEEvSY_
                                        ; -- End function
	.set _ZN7rocprim17ROCPRIM_400000_NS6detail17trampoline_kernelINS0_14default_configENS1_27lower_bound_config_selectorIjlEEZNS1_14transform_implILb0ES3_S5_N6thrust23THRUST_200600_302600_NS6detail15normal_iteratorINS8_7pointerIjNS8_11hip_rocprim5par_tENS8_11use_defaultESE_EEEENSA_INSB_IlSD_SE_SE_EEEEZNS1_13binary_searchIS3_S5_NSA_INS8_10device_ptrIjEEEESG_SI_NS1_21lower_bound_search_opENS9_16wrapped_functionINS8_6system6detail7generic6detail18binary_search_lessEbEEEE10hipError_tPvRmT1_T2_T3_mmT4_T5_P12ihipStream_tbEUlRKjE_EESV_SZ_S10_mS11_S14_bEUlT_E_NS1_11comp_targetILNS1_3genE4ELNS1_11target_archE910ELNS1_3gpuE8ELNS1_3repE0EEENS1_30default_config_static_selectorELNS0_4arch9wavefront6targetE0EEEvSY_.num_vgpr, 0
	.set _ZN7rocprim17ROCPRIM_400000_NS6detail17trampoline_kernelINS0_14default_configENS1_27lower_bound_config_selectorIjlEEZNS1_14transform_implILb0ES3_S5_N6thrust23THRUST_200600_302600_NS6detail15normal_iteratorINS8_7pointerIjNS8_11hip_rocprim5par_tENS8_11use_defaultESE_EEEENSA_INSB_IlSD_SE_SE_EEEEZNS1_13binary_searchIS3_S5_NSA_INS8_10device_ptrIjEEEESG_SI_NS1_21lower_bound_search_opENS9_16wrapped_functionINS8_6system6detail7generic6detail18binary_search_lessEbEEEE10hipError_tPvRmT1_T2_T3_mmT4_T5_P12ihipStream_tbEUlRKjE_EESV_SZ_S10_mS11_S14_bEUlT_E_NS1_11comp_targetILNS1_3genE4ELNS1_11target_archE910ELNS1_3gpuE8ELNS1_3repE0EEENS1_30default_config_static_selectorELNS0_4arch9wavefront6targetE0EEEvSY_.num_agpr, 0
	.set _ZN7rocprim17ROCPRIM_400000_NS6detail17trampoline_kernelINS0_14default_configENS1_27lower_bound_config_selectorIjlEEZNS1_14transform_implILb0ES3_S5_N6thrust23THRUST_200600_302600_NS6detail15normal_iteratorINS8_7pointerIjNS8_11hip_rocprim5par_tENS8_11use_defaultESE_EEEENSA_INSB_IlSD_SE_SE_EEEEZNS1_13binary_searchIS3_S5_NSA_INS8_10device_ptrIjEEEESG_SI_NS1_21lower_bound_search_opENS9_16wrapped_functionINS8_6system6detail7generic6detail18binary_search_lessEbEEEE10hipError_tPvRmT1_T2_T3_mmT4_T5_P12ihipStream_tbEUlRKjE_EESV_SZ_S10_mS11_S14_bEUlT_E_NS1_11comp_targetILNS1_3genE4ELNS1_11target_archE910ELNS1_3gpuE8ELNS1_3repE0EEENS1_30default_config_static_selectorELNS0_4arch9wavefront6targetE0EEEvSY_.numbered_sgpr, 0
	.set _ZN7rocprim17ROCPRIM_400000_NS6detail17trampoline_kernelINS0_14default_configENS1_27lower_bound_config_selectorIjlEEZNS1_14transform_implILb0ES3_S5_N6thrust23THRUST_200600_302600_NS6detail15normal_iteratorINS8_7pointerIjNS8_11hip_rocprim5par_tENS8_11use_defaultESE_EEEENSA_INSB_IlSD_SE_SE_EEEEZNS1_13binary_searchIS3_S5_NSA_INS8_10device_ptrIjEEEESG_SI_NS1_21lower_bound_search_opENS9_16wrapped_functionINS8_6system6detail7generic6detail18binary_search_lessEbEEEE10hipError_tPvRmT1_T2_T3_mmT4_T5_P12ihipStream_tbEUlRKjE_EESV_SZ_S10_mS11_S14_bEUlT_E_NS1_11comp_targetILNS1_3genE4ELNS1_11target_archE910ELNS1_3gpuE8ELNS1_3repE0EEENS1_30default_config_static_selectorELNS0_4arch9wavefront6targetE0EEEvSY_.num_named_barrier, 0
	.set _ZN7rocprim17ROCPRIM_400000_NS6detail17trampoline_kernelINS0_14default_configENS1_27lower_bound_config_selectorIjlEEZNS1_14transform_implILb0ES3_S5_N6thrust23THRUST_200600_302600_NS6detail15normal_iteratorINS8_7pointerIjNS8_11hip_rocprim5par_tENS8_11use_defaultESE_EEEENSA_INSB_IlSD_SE_SE_EEEEZNS1_13binary_searchIS3_S5_NSA_INS8_10device_ptrIjEEEESG_SI_NS1_21lower_bound_search_opENS9_16wrapped_functionINS8_6system6detail7generic6detail18binary_search_lessEbEEEE10hipError_tPvRmT1_T2_T3_mmT4_T5_P12ihipStream_tbEUlRKjE_EESV_SZ_S10_mS11_S14_bEUlT_E_NS1_11comp_targetILNS1_3genE4ELNS1_11target_archE910ELNS1_3gpuE8ELNS1_3repE0EEENS1_30default_config_static_selectorELNS0_4arch9wavefront6targetE0EEEvSY_.private_seg_size, 0
	.set _ZN7rocprim17ROCPRIM_400000_NS6detail17trampoline_kernelINS0_14default_configENS1_27lower_bound_config_selectorIjlEEZNS1_14transform_implILb0ES3_S5_N6thrust23THRUST_200600_302600_NS6detail15normal_iteratorINS8_7pointerIjNS8_11hip_rocprim5par_tENS8_11use_defaultESE_EEEENSA_INSB_IlSD_SE_SE_EEEEZNS1_13binary_searchIS3_S5_NSA_INS8_10device_ptrIjEEEESG_SI_NS1_21lower_bound_search_opENS9_16wrapped_functionINS8_6system6detail7generic6detail18binary_search_lessEbEEEE10hipError_tPvRmT1_T2_T3_mmT4_T5_P12ihipStream_tbEUlRKjE_EESV_SZ_S10_mS11_S14_bEUlT_E_NS1_11comp_targetILNS1_3genE4ELNS1_11target_archE910ELNS1_3gpuE8ELNS1_3repE0EEENS1_30default_config_static_selectorELNS0_4arch9wavefront6targetE0EEEvSY_.uses_vcc, 0
	.set _ZN7rocprim17ROCPRIM_400000_NS6detail17trampoline_kernelINS0_14default_configENS1_27lower_bound_config_selectorIjlEEZNS1_14transform_implILb0ES3_S5_N6thrust23THRUST_200600_302600_NS6detail15normal_iteratorINS8_7pointerIjNS8_11hip_rocprim5par_tENS8_11use_defaultESE_EEEENSA_INSB_IlSD_SE_SE_EEEEZNS1_13binary_searchIS3_S5_NSA_INS8_10device_ptrIjEEEESG_SI_NS1_21lower_bound_search_opENS9_16wrapped_functionINS8_6system6detail7generic6detail18binary_search_lessEbEEEE10hipError_tPvRmT1_T2_T3_mmT4_T5_P12ihipStream_tbEUlRKjE_EESV_SZ_S10_mS11_S14_bEUlT_E_NS1_11comp_targetILNS1_3genE4ELNS1_11target_archE910ELNS1_3gpuE8ELNS1_3repE0EEENS1_30default_config_static_selectorELNS0_4arch9wavefront6targetE0EEEvSY_.uses_flat_scratch, 0
	.set _ZN7rocprim17ROCPRIM_400000_NS6detail17trampoline_kernelINS0_14default_configENS1_27lower_bound_config_selectorIjlEEZNS1_14transform_implILb0ES3_S5_N6thrust23THRUST_200600_302600_NS6detail15normal_iteratorINS8_7pointerIjNS8_11hip_rocprim5par_tENS8_11use_defaultESE_EEEENSA_INSB_IlSD_SE_SE_EEEEZNS1_13binary_searchIS3_S5_NSA_INS8_10device_ptrIjEEEESG_SI_NS1_21lower_bound_search_opENS9_16wrapped_functionINS8_6system6detail7generic6detail18binary_search_lessEbEEEE10hipError_tPvRmT1_T2_T3_mmT4_T5_P12ihipStream_tbEUlRKjE_EESV_SZ_S10_mS11_S14_bEUlT_E_NS1_11comp_targetILNS1_3genE4ELNS1_11target_archE910ELNS1_3gpuE8ELNS1_3repE0EEENS1_30default_config_static_selectorELNS0_4arch9wavefront6targetE0EEEvSY_.has_dyn_sized_stack, 0
	.set _ZN7rocprim17ROCPRIM_400000_NS6detail17trampoline_kernelINS0_14default_configENS1_27lower_bound_config_selectorIjlEEZNS1_14transform_implILb0ES3_S5_N6thrust23THRUST_200600_302600_NS6detail15normal_iteratorINS8_7pointerIjNS8_11hip_rocprim5par_tENS8_11use_defaultESE_EEEENSA_INSB_IlSD_SE_SE_EEEEZNS1_13binary_searchIS3_S5_NSA_INS8_10device_ptrIjEEEESG_SI_NS1_21lower_bound_search_opENS9_16wrapped_functionINS8_6system6detail7generic6detail18binary_search_lessEbEEEE10hipError_tPvRmT1_T2_T3_mmT4_T5_P12ihipStream_tbEUlRKjE_EESV_SZ_S10_mS11_S14_bEUlT_E_NS1_11comp_targetILNS1_3genE4ELNS1_11target_archE910ELNS1_3gpuE8ELNS1_3repE0EEENS1_30default_config_static_selectorELNS0_4arch9wavefront6targetE0EEEvSY_.has_recursion, 0
	.set _ZN7rocprim17ROCPRIM_400000_NS6detail17trampoline_kernelINS0_14default_configENS1_27lower_bound_config_selectorIjlEEZNS1_14transform_implILb0ES3_S5_N6thrust23THRUST_200600_302600_NS6detail15normal_iteratorINS8_7pointerIjNS8_11hip_rocprim5par_tENS8_11use_defaultESE_EEEENSA_INSB_IlSD_SE_SE_EEEEZNS1_13binary_searchIS3_S5_NSA_INS8_10device_ptrIjEEEESG_SI_NS1_21lower_bound_search_opENS9_16wrapped_functionINS8_6system6detail7generic6detail18binary_search_lessEbEEEE10hipError_tPvRmT1_T2_T3_mmT4_T5_P12ihipStream_tbEUlRKjE_EESV_SZ_S10_mS11_S14_bEUlT_E_NS1_11comp_targetILNS1_3genE4ELNS1_11target_archE910ELNS1_3gpuE8ELNS1_3repE0EEENS1_30default_config_static_selectorELNS0_4arch9wavefront6targetE0EEEvSY_.has_indirect_call, 0
	.section	.AMDGPU.csdata,"",@progbits
; Kernel info:
; codeLenInByte = 0
; TotalNumSgprs: 0
; NumVgprs: 0
; ScratchSize: 0
; MemoryBound: 0
; FloatMode: 240
; IeeeMode: 1
; LDSByteSize: 0 bytes/workgroup (compile time only)
; SGPRBlocks: 0
; VGPRBlocks: 0
; NumSGPRsForWavesPerEU: 1
; NumVGPRsForWavesPerEU: 1
; Occupancy: 16
; WaveLimiterHint : 0
; COMPUTE_PGM_RSRC2:SCRATCH_EN: 0
; COMPUTE_PGM_RSRC2:USER_SGPR: 6
; COMPUTE_PGM_RSRC2:TRAP_HANDLER: 0
; COMPUTE_PGM_RSRC2:TGID_X_EN: 1
; COMPUTE_PGM_RSRC2:TGID_Y_EN: 0
; COMPUTE_PGM_RSRC2:TGID_Z_EN: 0
; COMPUTE_PGM_RSRC2:TIDIG_COMP_CNT: 0
	.section	.text._ZN7rocprim17ROCPRIM_400000_NS6detail17trampoline_kernelINS0_14default_configENS1_27lower_bound_config_selectorIjlEEZNS1_14transform_implILb0ES3_S5_N6thrust23THRUST_200600_302600_NS6detail15normal_iteratorINS8_7pointerIjNS8_11hip_rocprim5par_tENS8_11use_defaultESE_EEEENSA_INSB_IlSD_SE_SE_EEEEZNS1_13binary_searchIS3_S5_NSA_INS8_10device_ptrIjEEEESG_SI_NS1_21lower_bound_search_opENS9_16wrapped_functionINS8_6system6detail7generic6detail18binary_search_lessEbEEEE10hipError_tPvRmT1_T2_T3_mmT4_T5_P12ihipStream_tbEUlRKjE_EESV_SZ_S10_mS11_S14_bEUlT_E_NS1_11comp_targetILNS1_3genE3ELNS1_11target_archE908ELNS1_3gpuE7ELNS1_3repE0EEENS1_30default_config_static_selectorELNS0_4arch9wavefront6targetE0EEEvSY_,"axG",@progbits,_ZN7rocprim17ROCPRIM_400000_NS6detail17trampoline_kernelINS0_14default_configENS1_27lower_bound_config_selectorIjlEEZNS1_14transform_implILb0ES3_S5_N6thrust23THRUST_200600_302600_NS6detail15normal_iteratorINS8_7pointerIjNS8_11hip_rocprim5par_tENS8_11use_defaultESE_EEEENSA_INSB_IlSD_SE_SE_EEEEZNS1_13binary_searchIS3_S5_NSA_INS8_10device_ptrIjEEEESG_SI_NS1_21lower_bound_search_opENS9_16wrapped_functionINS8_6system6detail7generic6detail18binary_search_lessEbEEEE10hipError_tPvRmT1_T2_T3_mmT4_T5_P12ihipStream_tbEUlRKjE_EESV_SZ_S10_mS11_S14_bEUlT_E_NS1_11comp_targetILNS1_3genE3ELNS1_11target_archE908ELNS1_3gpuE7ELNS1_3repE0EEENS1_30default_config_static_selectorELNS0_4arch9wavefront6targetE0EEEvSY_,comdat
	.protected	_ZN7rocprim17ROCPRIM_400000_NS6detail17trampoline_kernelINS0_14default_configENS1_27lower_bound_config_selectorIjlEEZNS1_14transform_implILb0ES3_S5_N6thrust23THRUST_200600_302600_NS6detail15normal_iteratorINS8_7pointerIjNS8_11hip_rocprim5par_tENS8_11use_defaultESE_EEEENSA_INSB_IlSD_SE_SE_EEEEZNS1_13binary_searchIS3_S5_NSA_INS8_10device_ptrIjEEEESG_SI_NS1_21lower_bound_search_opENS9_16wrapped_functionINS8_6system6detail7generic6detail18binary_search_lessEbEEEE10hipError_tPvRmT1_T2_T3_mmT4_T5_P12ihipStream_tbEUlRKjE_EESV_SZ_S10_mS11_S14_bEUlT_E_NS1_11comp_targetILNS1_3genE3ELNS1_11target_archE908ELNS1_3gpuE7ELNS1_3repE0EEENS1_30default_config_static_selectorELNS0_4arch9wavefront6targetE0EEEvSY_ ; -- Begin function _ZN7rocprim17ROCPRIM_400000_NS6detail17trampoline_kernelINS0_14default_configENS1_27lower_bound_config_selectorIjlEEZNS1_14transform_implILb0ES3_S5_N6thrust23THRUST_200600_302600_NS6detail15normal_iteratorINS8_7pointerIjNS8_11hip_rocprim5par_tENS8_11use_defaultESE_EEEENSA_INSB_IlSD_SE_SE_EEEEZNS1_13binary_searchIS3_S5_NSA_INS8_10device_ptrIjEEEESG_SI_NS1_21lower_bound_search_opENS9_16wrapped_functionINS8_6system6detail7generic6detail18binary_search_lessEbEEEE10hipError_tPvRmT1_T2_T3_mmT4_T5_P12ihipStream_tbEUlRKjE_EESV_SZ_S10_mS11_S14_bEUlT_E_NS1_11comp_targetILNS1_3genE3ELNS1_11target_archE908ELNS1_3gpuE7ELNS1_3repE0EEENS1_30default_config_static_selectorELNS0_4arch9wavefront6targetE0EEEvSY_
	.globl	_ZN7rocprim17ROCPRIM_400000_NS6detail17trampoline_kernelINS0_14default_configENS1_27lower_bound_config_selectorIjlEEZNS1_14transform_implILb0ES3_S5_N6thrust23THRUST_200600_302600_NS6detail15normal_iteratorINS8_7pointerIjNS8_11hip_rocprim5par_tENS8_11use_defaultESE_EEEENSA_INSB_IlSD_SE_SE_EEEEZNS1_13binary_searchIS3_S5_NSA_INS8_10device_ptrIjEEEESG_SI_NS1_21lower_bound_search_opENS9_16wrapped_functionINS8_6system6detail7generic6detail18binary_search_lessEbEEEE10hipError_tPvRmT1_T2_T3_mmT4_T5_P12ihipStream_tbEUlRKjE_EESV_SZ_S10_mS11_S14_bEUlT_E_NS1_11comp_targetILNS1_3genE3ELNS1_11target_archE908ELNS1_3gpuE7ELNS1_3repE0EEENS1_30default_config_static_selectorELNS0_4arch9wavefront6targetE0EEEvSY_
	.p2align	8
	.type	_ZN7rocprim17ROCPRIM_400000_NS6detail17trampoline_kernelINS0_14default_configENS1_27lower_bound_config_selectorIjlEEZNS1_14transform_implILb0ES3_S5_N6thrust23THRUST_200600_302600_NS6detail15normal_iteratorINS8_7pointerIjNS8_11hip_rocprim5par_tENS8_11use_defaultESE_EEEENSA_INSB_IlSD_SE_SE_EEEEZNS1_13binary_searchIS3_S5_NSA_INS8_10device_ptrIjEEEESG_SI_NS1_21lower_bound_search_opENS9_16wrapped_functionINS8_6system6detail7generic6detail18binary_search_lessEbEEEE10hipError_tPvRmT1_T2_T3_mmT4_T5_P12ihipStream_tbEUlRKjE_EESV_SZ_S10_mS11_S14_bEUlT_E_NS1_11comp_targetILNS1_3genE3ELNS1_11target_archE908ELNS1_3gpuE7ELNS1_3repE0EEENS1_30default_config_static_selectorELNS0_4arch9wavefront6targetE0EEEvSY_,@function
_ZN7rocprim17ROCPRIM_400000_NS6detail17trampoline_kernelINS0_14default_configENS1_27lower_bound_config_selectorIjlEEZNS1_14transform_implILb0ES3_S5_N6thrust23THRUST_200600_302600_NS6detail15normal_iteratorINS8_7pointerIjNS8_11hip_rocprim5par_tENS8_11use_defaultESE_EEEENSA_INSB_IlSD_SE_SE_EEEEZNS1_13binary_searchIS3_S5_NSA_INS8_10device_ptrIjEEEESG_SI_NS1_21lower_bound_search_opENS9_16wrapped_functionINS8_6system6detail7generic6detail18binary_search_lessEbEEEE10hipError_tPvRmT1_T2_T3_mmT4_T5_P12ihipStream_tbEUlRKjE_EESV_SZ_S10_mS11_S14_bEUlT_E_NS1_11comp_targetILNS1_3genE3ELNS1_11target_archE908ELNS1_3gpuE7ELNS1_3repE0EEENS1_30default_config_static_selectorELNS0_4arch9wavefront6targetE0EEEvSY_: ; @_ZN7rocprim17ROCPRIM_400000_NS6detail17trampoline_kernelINS0_14default_configENS1_27lower_bound_config_selectorIjlEEZNS1_14transform_implILb0ES3_S5_N6thrust23THRUST_200600_302600_NS6detail15normal_iteratorINS8_7pointerIjNS8_11hip_rocprim5par_tENS8_11use_defaultESE_EEEENSA_INSB_IlSD_SE_SE_EEEEZNS1_13binary_searchIS3_S5_NSA_INS8_10device_ptrIjEEEESG_SI_NS1_21lower_bound_search_opENS9_16wrapped_functionINS8_6system6detail7generic6detail18binary_search_lessEbEEEE10hipError_tPvRmT1_T2_T3_mmT4_T5_P12ihipStream_tbEUlRKjE_EESV_SZ_S10_mS11_S14_bEUlT_E_NS1_11comp_targetILNS1_3genE3ELNS1_11target_archE908ELNS1_3gpuE7ELNS1_3repE0EEENS1_30default_config_static_selectorELNS0_4arch9wavefront6targetE0EEEvSY_
; %bb.0:
	.section	.rodata,"a",@progbits
	.p2align	6, 0x0
	.amdhsa_kernel _ZN7rocprim17ROCPRIM_400000_NS6detail17trampoline_kernelINS0_14default_configENS1_27lower_bound_config_selectorIjlEEZNS1_14transform_implILb0ES3_S5_N6thrust23THRUST_200600_302600_NS6detail15normal_iteratorINS8_7pointerIjNS8_11hip_rocprim5par_tENS8_11use_defaultESE_EEEENSA_INSB_IlSD_SE_SE_EEEEZNS1_13binary_searchIS3_S5_NSA_INS8_10device_ptrIjEEEESG_SI_NS1_21lower_bound_search_opENS9_16wrapped_functionINS8_6system6detail7generic6detail18binary_search_lessEbEEEE10hipError_tPvRmT1_T2_T3_mmT4_T5_P12ihipStream_tbEUlRKjE_EESV_SZ_S10_mS11_S14_bEUlT_E_NS1_11comp_targetILNS1_3genE3ELNS1_11target_archE908ELNS1_3gpuE7ELNS1_3repE0EEENS1_30default_config_static_selectorELNS0_4arch9wavefront6targetE0EEEvSY_
		.amdhsa_group_segment_fixed_size 0
		.amdhsa_private_segment_fixed_size 0
		.amdhsa_kernarg_size 56
		.amdhsa_user_sgpr_count 6
		.amdhsa_user_sgpr_private_segment_buffer 1
		.amdhsa_user_sgpr_dispatch_ptr 0
		.amdhsa_user_sgpr_queue_ptr 0
		.amdhsa_user_sgpr_kernarg_segment_ptr 1
		.amdhsa_user_sgpr_dispatch_id 0
		.amdhsa_user_sgpr_flat_scratch_init 0
		.amdhsa_user_sgpr_private_segment_size 0
		.amdhsa_wavefront_size32 1
		.amdhsa_uses_dynamic_stack 0
		.amdhsa_system_sgpr_private_segment_wavefront_offset 0
		.amdhsa_system_sgpr_workgroup_id_x 1
		.amdhsa_system_sgpr_workgroup_id_y 0
		.amdhsa_system_sgpr_workgroup_id_z 0
		.amdhsa_system_sgpr_workgroup_info 0
		.amdhsa_system_vgpr_workitem_id 0
		.amdhsa_next_free_vgpr 1
		.amdhsa_next_free_sgpr 1
		.amdhsa_reserve_vcc 0
		.amdhsa_reserve_flat_scratch 0
		.amdhsa_float_round_mode_32 0
		.amdhsa_float_round_mode_16_64 0
		.amdhsa_float_denorm_mode_32 3
		.amdhsa_float_denorm_mode_16_64 3
		.amdhsa_dx10_clamp 1
		.amdhsa_ieee_mode 1
		.amdhsa_fp16_overflow 0
		.amdhsa_workgroup_processor_mode 1
		.amdhsa_memory_ordered 1
		.amdhsa_forward_progress 1
		.amdhsa_shared_vgpr_count 0
		.amdhsa_exception_fp_ieee_invalid_op 0
		.amdhsa_exception_fp_denorm_src 0
		.amdhsa_exception_fp_ieee_div_zero 0
		.amdhsa_exception_fp_ieee_overflow 0
		.amdhsa_exception_fp_ieee_underflow 0
		.amdhsa_exception_fp_ieee_inexact 0
		.amdhsa_exception_int_div_zero 0
	.end_amdhsa_kernel
	.section	.text._ZN7rocprim17ROCPRIM_400000_NS6detail17trampoline_kernelINS0_14default_configENS1_27lower_bound_config_selectorIjlEEZNS1_14transform_implILb0ES3_S5_N6thrust23THRUST_200600_302600_NS6detail15normal_iteratorINS8_7pointerIjNS8_11hip_rocprim5par_tENS8_11use_defaultESE_EEEENSA_INSB_IlSD_SE_SE_EEEEZNS1_13binary_searchIS3_S5_NSA_INS8_10device_ptrIjEEEESG_SI_NS1_21lower_bound_search_opENS9_16wrapped_functionINS8_6system6detail7generic6detail18binary_search_lessEbEEEE10hipError_tPvRmT1_T2_T3_mmT4_T5_P12ihipStream_tbEUlRKjE_EESV_SZ_S10_mS11_S14_bEUlT_E_NS1_11comp_targetILNS1_3genE3ELNS1_11target_archE908ELNS1_3gpuE7ELNS1_3repE0EEENS1_30default_config_static_selectorELNS0_4arch9wavefront6targetE0EEEvSY_,"axG",@progbits,_ZN7rocprim17ROCPRIM_400000_NS6detail17trampoline_kernelINS0_14default_configENS1_27lower_bound_config_selectorIjlEEZNS1_14transform_implILb0ES3_S5_N6thrust23THRUST_200600_302600_NS6detail15normal_iteratorINS8_7pointerIjNS8_11hip_rocprim5par_tENS8_11use_defaultESE_EEEENSA_INSB_IlSD_SE_SE_EEEEZNS1_13binary_searchIS3_S5_NSA_INS8_10device_ptrIjEEEESG_SI_NS1_21lower_bound_search_opENS9_16wrapped_functionINS8_6system6detail7generic6detail18binary_search_lessEbEEEE10hipError_tPvRmT1_T2_T3_mmT4_T5_P12ihipStream_tbEUlRKjE_EESV_SZ_S10_mS11_S14_bEUlT_E_NS1_11comp_targetILNS1_3genE3ELNS1_11target_archE908ELNS1_3gpuE7ELNS1_3repE0EEENS1_30default_config_static_selectorELNS0_4arch9wavefront6targetE0EEEvSY_,comdat
.Lfunc_end370:
	.size	_ZN7rocprim17ROCPRIM_400000_NS6detail17trampoline_kernelINS0_14default_configENS1_27lower_bound_config_selectorIjlEEZNS1_14transform_implILb0ES3_S5_N6thrust23THRUST_200600_302600_NS6detail15normal_iteratorINS8_7pointerIjNS8_11hip_rocprim5par_tENS8_11use_defaultESE_EEEENSA_INSB_IlSD_SE_SE_EEEEZNS1_13binary_searchIS3_S5_NSA_INS8_10device_ptrIjEEEESG_SI_NS1_21lower_bound_search_opENS9_16wrapped_functionINS8_6system6detail7generic6detail18binary_search_lessEbEEEE10hipError_tPvRmT1_T2_T3_mmT4_T5_P12ihipStream_tbEUlRKjE_EESV_SZ_S10_mS11_S14_bEUlT_E_NS1_11comp_targetILNS1_3genE3ELNS1_11target_archE908ELNS1_3gpuE7ELNS1_3repE0EEENS1_30default_config_static_selectorELNS0_4arch9wavefront6targetE0EEEvSY_, .Lfunc_end370-_ZN7rocprim17ROCPRIM_400000_NS6detail17trampoline_kernelINS0_14default_configENS1_27lower_bound_config_selectorIjlEEZNS1_14transform_implILb0ES3_S5_N6thrust23THRUST_200600_302600_NS6detail15normal_iteratorINS8_7pointerIjNS8_11hip_rocprim5par_tENS8_11use_defaultESE_EEEENSA_INSB_IlSD_SE_SE_EEEEZNS1_13binary_searchIS3_S5_NSA_INS8_10device_ptrIjEEEESG_SI_NS1_21lower_bound_search_opENS9_16wrapped_functionINS8_6system6detail7generic6detail18binary_search_lessEbEEEE10hipError_tPvRmT1_T2_T3_mmT4_T5_P12ihipStream_tbEUlRKjE_EESV_SZ_S10_mS11_S14_bEUlT_E_NS1_11comp_targetILNS1_3genE3ELNS1_11target_archE908ELNS1_3gpuE7ELNS1_3repE0EEENS1_30default_config_static_selectorELNS0_4arch9wavefront6targetE0EEEvSY_
                                        ; -- End function
	.set _ZN7rocprim17ROCPRIM_400000_NS6detail17trampoline_kernelINS0_14default_configENS1_27lower_bound_config_selectorIjlEEZNS1_14transform_implILb0ES3_S5_N6thrust23THRUST_200600_302600_NS6detail15normal_iteratorINS8_7pointerIjNS8_11hip_rocprim5par_tENS8_11use_defaultESE_EEEENSA_INSB_IlSD_SE_SE_EEEEZNS1_13binary_searchIS3_S5_NSA_INS8_10device_ptrIjEEEESG_SI_NS1_21lower_bound_search_opENS9_16wrapped_functionINS8_6system6detail7generic6detail18binary_search_lessEbEEEE10hipError_tPvRmT1_T2_T3_mmT4_T5_P12ihipStream_tbEUlRKjE_EESV_SZ_S10_mS11_S14_bEUlT_E_NS1_11comp_targetILNS1_3genE3ELNS1_11target_archE908ELNS1_3gpuE7ELNS1_3repE0EEENS1_30default_config_static_selectorELNS0_4arch9wavefront6targetE0EEEvSY_.num_vgpr, 0
	.set _ZN7rocprim17ROCPRIM_400000_NS6detail17trampoline_kernelINS0_14default_configENS1_27lower_bound_config_selectorIjlEEZNS1_14transform_implILb0ES3_S5_N6thrust23THRUST_200600_302600_NS6detail15normal_iteratorINS8_7pointerIjNS8_11hip_rocprim5par_tENS8_11use_defaultESE_EEEENSA_INSB_IlSD_SE_SE_EEEEZNS1_13binary_searchIS3_S5_NSA_INS8_10device_ptrIjEEEESG_SI_NS1_21lower_bound_search_opENS9_16wrapped_functionINS8_6system6detail7generic6detail18binary_search_lessEbEEEE10hipError_tPvRmT1_T2_T3_mmT4_T5_P12ihipStream_tbEUlRKjE_EESV_SZ_S10_mS11_S14_bEUlT_E_NS1_11comp_targetILNS1_3genE3ELNS1_11target_archE908ELNS1_3gpuE7ELNS1_3repE0EEENS1_30default_config_static_selectorELNS0_4arch9wavefront6targetE0EEEvSY_.num_agpr, 0
	.set _ZN7rocprim17ROCPRIM_400000_NS6detail17trampoline_kernelINS0_14default_configENS1_27lower_bound_config_selectorIjlEEZNS1_14transform_implILb0ES3_S5_N6thrust23THRUST_200600_302600_NS6detail15normal_iteratorINS8_7pointerIjNS8_11hip_rocprim5par_tENS8_11use_defaultESE_EEEENSA_INSB_IlSD_SE_SE_EEEEZNS1_13binary_searchIS3_S5_NSA_INS8_10device_ptrIjEEEESG_SI_NS1_21lower_bound_search_opENS9_16wrapped_functionINS8_6system6detail7generic6detail18binary_search_lessEbEEEE10hipError_tPvRmT1_T2_T3_mmT4_T5_P12ihipStream_tbEUlRKjE_EESV_SZ_S10_mS11_S14_bEUlT_E_NS1_11comp_targetILNS1_3genE3ELNS1_11target_archE908ELNS1_3gpuE7ELNS1_3repE0EEENS1_30default_config_static_selectorELNS0_4arch9wavefront6targetE0EEEvSY_.numbered_sgpr, 0
	.set _ZN7rocprim17ROCPRIM_400000_NS6detail17trampoline_kernelINS0_14default_configENS1_27lower_bound_config_selectorIjlEEZNS1_14transform_implILb0ES3_S5_N6thrust23THRUST_200600_302600_NS6detail15normal_iteratorINS8_7pointerIjNS8_11hip_rocprim5par_tENS8_11use_defaultESE_EEEENSA_INSB_IlSD_SE_SE_EEEEZNS1_13binary_searchIS3_S5_NSA_INS8_10device_ptrIjEEEESG_SI_NS1_21lower_bound_search_opENS9_16wrapped_functionINS8_6system6detail7generic6detail18binary_search_lessEbEEEE10hipError_tPvRmT1_T2_T3_mmT4_T5_P12ihipStream_tbEUlRKjE_EESV_SZ_S10_mS11_S14_bEUlT_E_NS1_11comp_targetILNS1_3genE3ELNS1_11target_archE908ELNS1_3gpuE7ELNS1_3repE0EEENS1_30default_config_static_selectorELNS0_4arch9wavefront6targetE0EEEvSY_.num_named_barrier, 0
	.set _ZN7rocprim17ROCPRIM_400000_NS6detail17trampoline_kernelINS0_14default_configENS1_27lower_bound_config_selectorIjlEEZNS1_14transform_implILb0ES3_S5_N6thrust23THRUST_200600_302600_NS6detail15normal_iteratorINS8_7pointerIjNS8_11hip_rocprim5par_tENS8_11use_defaultESE_EEEENSA_INSB_IlSD_SE_SE_EEEEZNS1_13binary_searchIS3_S5_NSA_INS8_10device_ptrIjEEEESG_SI_NS1_21lower_bound_search_opENS9_16wrapped_functionINS8_6system6detail7generic6detail18binary_search_lessEbEEEE10hipError_tPvRmT1_T2_T3_mmT4_T5_P12ihipStream_tbEUlRKjE_EESV_SZ_S10_mS11_S14_bEUlT_E_NS1_11comp_targetILNS1_3genE3ELNS1_11target_archE908ELNS1_3gpuE7ELNS1_3repE0EEENS1_30default_config_static_selectorELNS0_4arch9wavefront6targetE0EEEvSY_.private_seg_size, 0
	.set _ZN7rocprim17ROCPRIM_400000_NS6detail17trampoline_kernelINS0_14default_configENS1_27lower_bound_config_selectorIjlEEZNS1_14transform_implILb0ES3_S5_N6thrust23THRUST_200600_302600_NS6detail15normal_iteratorINS8_7pointerIjNS8_11hip_rocprim5par_tENS8_11use_defaultESE_EEEENSA_INSB_IlSD_SE_SE_EEEEZNS1_13binary_searchIS3_S5_NSA_INS8_10device_ptrIjEEEESG_SI_NS1_21lower_bound_search_opENS9_16wrapped_functionINS8_6system6detail7generic6detail18binary_search_lessEbEEEE10hipError_tPvRmT1_T2_T3_mmT4_T5_P12ihipStream_tbEUlRKjE_EESV_SZ_S10_mS11_S14_bEUlT_E_NS1_11comp_targetILNS1_3genE3ELNS1_11target_archE908ELNS1_3gpuE7ELNS1_3repE0EEENS1_30default_config_static_selectorELNS0_4arch9wavefront6targetE0EEEvSY_.uses_vcc, 0
	.set _ZN7rocprim17ROCPRIM_400000_NS6detail17trampoline_kernelINS0_14default_configENS1_27lower_bound_config_selectorIjlEEZNS1_14transform_implILb0ES3_S5_N6thrust23THRUST_200600_302600_NS6detail15normal_iteratorINS8_7pointerIjNS8_11hip_rocprim5par_tENS8_11use_defaultESE_EEEENSA_INSB_IlSD_SE_SE_EEEEZNS1_13binary_searchIS3_S5_NSA_INS8_10device_ptrIjEEEESG_SI_NS1_21lower_bound_search_opENS9_16wrapped_functionINS8_6system6detail7generic6detail18binary_search_lessEbEEEE10hipError_tPvRmT1_T2_T3_mmT4_T5_P12ihipStream_tbEUlRKjE_EESV_SZ_S10_mS11_S14_bEUlT_E_NS1_11comp_targetILNS1_3genE3ELNS1_11target_archE908ELNS1_3gpuE7ELNS1_3repE0EEENS1_30default_config_static_selectorELNS0_4arch9wavefront6targetE0EEEvSY_.uses_flat_scratch, 0
	.set _ZN7rocprim17ROCPRIM_400000_NS6detail17trampoline_kernelINS0_14default_configENS1_27lower_bound_config_selectorIjlEEZNS1_14transform_implILb0ES3_S5_N6thrust23THRUST_200600_302600_NS6detail15normal_iteratorINS8_7pointerIjNS8_11hip_rocprim5par_tENS8_11use_defaultESE_EEEENSA_INSB_IlSD_SE_SE_EEEEZNS1_13binary_searchIS3_S5_NSA_INS8_10device_ptrIjEEEESG_SI_NS1_21lower_bound_search_opENS9_16wrapped_functionINS8_6system6detail7generic6detail18binary_search_lessEbEEEE10hipError_tPvRmT1_T2_T3_mmT4_T5_P12ihipStream_tbEUlRKjE_EESV_SZ_S10_mS11_S14_bEUlT_E_NS1_11comp_targetILNS1_3genE3ELNS1_11target_archE908ELNS1_3gpuE7ELNS1_3repE0EEENS1_30default_config_static_selectorELNS0_4arch9wavefront6targetE0EEEvSY_.has_dyn_sized_stack, 0
	.set _ZN7rocprim17ROCPRIM_400000_NS6detail17trampoline_kernelINS0_14default_configENS1_27lower_bound_config_selectorIjlEEZNS1_14transform_implILb0ES3_S5_N6thrust23THRUST_200600_302600_NS6detail15normal_iteratorINS8_7pointerIjNS8_11hip_rocprim5par_tENS8_11use_defaultESE_EEEENSA_INSB_IlSD_SE_SE_EEEEZNS1_13binary_searchIS3_S5_NSA_INS8_10device_ptrIjEEEESG_SI_NS1_21lower_bound_search_opENS9_16wrapped_functionINS8_6system6detail7generic6detail18binary_search_lessEbEEEE10hipError_tPvRmT1_T2_T3_mmT4_T5_P12ihipStream_tbEUlRKjE_EESV_SZ_S10_mS11_S14_bEUlT_E_NS1_11comp_targetILNS1_3genE3ELNS1_11target_archE908ELNS1_3gpuE7ELNS1_3repE0EEENS1_30default_config_static_selectorELNS0_4arch9wavefront6targetE0EEEvSY_.has_recursion, 0
	.set _ZN7rocprim17ROCPRIM_400000_NS6detail17trampoline_kernelINS0_14default_configENS1_27lower_bound_config_selectorIjlEEZNS1_14transform_implILb0ES3_S5_N6thrust23THRUST_200600_302600_NS6detail15normal_iteratorINS8_7pointerIjNS8_11hip_rocprim5par_tENS8_11use_defaultESE_EEEENSA_INSB_IlSD_SE_SE_EEEEZNS1_13binary_searchIS3_S5_NSA_INS8_10device_ptrIjEEEESG_SI_NS1_21lower_bound_search_opENS9_16wrapped_functionINS8_6system6detail7generic6detail18binary_search_lessEbEEEE10hipError_tPvRmT1_T2_T3_mmT4_T5_P12ihipStream_tbEUlRKjE_EESV_SZ_S10_mS11_S14_bEUlT_E_NS1_11comp_targetILNS1_3genE3ELNS1_11target_archE908ELNS1_3gpuE7ELNS1_3repE0EEENS1_30default_config_static_selectorELNS0_4arch9wavefront6targetE0EEEvSY_.has_indirect_call, 0
	.section	.AMDGPU.csdata,"",@progbits
; Kernel info:
; codeLenInByte = 0
; TotalNumSgprs: 0
; NumVgprs: 0
; ScratchSize: 0
; MemoryBound: 0
; FloatMode: 240
; IeeeMode: 1
; LDSByteSize: 0 bytes/workgroup (compile time only)
; SGPRBlocks: 0
; VGPRBlocks: 0
; NumSGPRsForWavesPerEU: 1
; NumVGPRsForWavesPerEU: 1
; Occupancy: 16
; WaveLimiterHint : 0
; COMPUTE_PGM_RSRC2:SCRATCH_EN: 0
; COMPUTE_PGM_RSRC2:USER_SGPR: 6
; COMPUTE_PGM_RSRC2:TRAP_HANDLER: 0
; COMPUTE_PGM_RSRC2:TGID_X_EN: 1
; COMPUTE_PGM_RSRC2:TGID_Y_EN: 0
; COMPUTE_PGM_RSRC2:TGID_Z_EN: 0
; COMPUTE_PGM_RSRC2:TIDIG_COMP_CNT: 0
	.section	.text._ZN7rocprim17ROCPRIM_400000_NS6detail17trampoline_kernelINS0_14default_configENS1_27lower_bound_config_selectorIjlEEZNS1_14transform_implILb0ES3_S5_N6thrust23THRUST_200600_302600_NS6detail15normal_iteratorINS8_7pointerIjNS8_11hip_rocprim5par_tENS8_11use_defaultESE_EEEENSA_INSB_IlSD_SE_SE_EEEEZNS1_13binary_searchIS3_S5_NSA_INS8_10device_ptrIjEEEESG_SI_NS1_21lower_bound_search_opENS9_16wrapped_functionINS8_6system6detail7generic6detail18binary_search_lessEbEEEE10hipError_tPvRmT1_T2_T3_mmT4_T5_P12ihipStream_tbEUlRKjE_EESV_SZ_S10_mS11_S14_bEUlT_E_NS1_11comp_targetILNS1_3genE2ELNS1_11target_archE906ELNS1_3gpuE6ELNS1_3repE0EEENS1_30default_config_static_selectorELNS0_4arch9wavefront6targetE0EEEvSY_,"axG",@progbits,_ZN7rocprim17ROCPRIM_400000_NS6detail17trampoline_kernelINS0_14default_configENS1_27lower_bound_config_selectorIjlEEZNS1_14transform_implILb0ES3_S5_N6thrust23THRUST_200600_302600_NS6detail15normal_iteratorINS8_7pointerIjNS8_11hip_rocprim5par_tENS8_11use_defaultESE_EEEENSA_INSB_IlSD_SE_SE_EEEEZNS1_13binary_searchIS3_S5_NSA_INS8_10device_ptrIjEEEESG_SI_NS1_21lower_bound_search_opENS9_16wrapped_functionINS8_6system6detail7generic6detail18binary_search_lessEbEEEE10hipError_tPvRmT1_T2_T3_mmT4_T5_P12ihipStream_tbEUlRKjE_EESV_SZ_S10_mS11_S14_bEUlT_E_NS1_11comp_targetILNS1_3genE2ELNS1_11target_archE906ELNS1_3gpuE6ELNS1_3repE0EEENS1_30default_config_static_selectorELNS0_4arch9wavefront6targetE0EEEvSY_,comdat
	.protected	_ZN7rocprim17ROCPRIM_400000_NS6detail17trampoline_kernelINS0_14default_configENS1_27lower_bound_config_selectorIjlEEZNS1_14transform_implILb0ES3_S5_N6thrust23THRUST_200600_302600_NS6detail15normal_iteratorINS8_7pointerIjNS8_11hip_rocprim5par_tENS8_11use_defaultESE_EEEENSA_INSB_IlSD_SE_SE_EEEEZNS1_13binary_searchIS3_S5_NSA_INS8_10device_ptrIjEEEESG_SI_NS1_21lower_bound_search_opENS9_16wrapped_functionINS8_6system6detail7generic6detail18binary_search_lessEbEEEE10hipError_tPvRmT1_T2_T3_mmT4_T5_P12ihipStream_tbEUlRKjE_EESV_SZ_S10_mS11_S14_bEUlT_E_NS1_11comp_targetILNS1_3genE2ELNS1_11target_archE906ELNS1_3gpuE6ELNS1_3repE0EEENS1_30default_config_static_selectorELNS0_4arch9wavefront6targetE0EEEvSY_ ; -- Begin function _ZN7rocprim17ROCPRIM_400000_NS6detail17trampoline_kernelINS0_14default_configENS1_27lower_bound_config_selectorIjlEEZNS1_14transform_implILb0ES3_S5_N6thrust23THRUST_200600_302600_NS6detail15normal_iteratorINS8_7pointerIjNS8_11hip_rocprim5par_tENS8_11use_defaultESE_EEEENSA_INSB_IlSD_SE_SE_EEEEZNS1_13binary_searchIS3_S5_NSA_INS8_10device_ptrIjEEEESG_SI_NS1_21lower_bound_search_opENS9_16wrapped_functionINS8_6system6detail7generic6detail18binary_search_lessEbEEEE10hipError_tPvRmT1_T2_T3_mmT4_T5_P12ihipStream_tbEUlRKjE_EESV_SZ_S10_mS11_S14_bEUlT_E_NS1_11comp_targetILNS1_3genE2ELNS1_11target_archE906ELNS1_3gpuE6ELNS1_3repE0EEENS1_30default_config_static_selectorELNS0_4arch9wavefront6targetE0EEEvSY_
	.globl	_ZN7rocprim17ROCPRIM_400000_NS6detail17trampoline_kernelINS0_14default_configENS1_27lower_bound_config_selectorIjlEEZNS1_14transform_implILb0ES3_S5_N6thrust23THRUST_200600_302600_NS6detail15normal_iteratorINS8_7pointerIjNS8_11hip_rocprim5par_tENS8_11use_defaultESE_EEEENSA_INSB_IlSD_SE_SE_EEEEZNS1_13binary_searchIS3_S5_NSA_INS8_10device_ptrIjEEEESG_SI_NS1_21lower_bound_search_opENS9_16wrapped_functionINS8_6system6detail7generic6detail18binary_search_lessEbEEEE10hipError_tPvRmT1_T2_T3_mmT4_T5_P12ihipStream_tbEUlRKjE_EESV_SZ_S10_mS11_S14_bEUlT_E_NS1_11comp_targetILNS1_3genE2ELNS1_11target_archE906ELNS1_3gpuE6ELNS1_3repE0EEENS1_30default_config_static_selectorELNS0_4arch9wavefront6targetE0EEEvSY_
	.p2align	8
	.type	_ZN7rocprim17ROCPRIM_400000_NS6detail17trampoline_kernelINS0_14default_configENS1_27lower_bound_config_selectorIjlEEZNS1_14transform_implILb0ES3_S5_N6thrust23THRUST_200600_302600_NS6detail15normal_iteratorINS8_7pointerIjNS8_11hip_rocprim5par_tENS8_11use_defaultESE_EEEENSA_INSB_IlSD_SE_SE_EEEEZNS1_13binary_searchIS3_S5_NSA_INS8_10device_ptrIjEEEESG_SI_NS1_21lower_bound_search_opENS9_16wrapped_functionINS8_6system6detail7generic6detail18binary_search_lessEbEEEE10hipError_tPvRmT1_T2_T3_mmT4_T5_P12ihipStream_tbEUlRKjE_EESV_SZ_S10_mS11_S14_bEUlT_E_NS1_11comp_targetILNS1_3genE2ELNS1_11target_archE906ELNS1_3gpuE6ELNS1_3repE0EEENS1_30default_config_static_selectorELNS0_4arch9wavefront6targetE0EEEvSY_,@function
_ZN7rocprim17ROCPRIM_400000_NS6detail17trampoline_kernelINS0_14default_configENS1_27lower_bound_config_selectorIjlEEZNS1_14transform_implILb0ES3_S5_N6thrust23THRUST_200600_302600_NS6detail15normal_iteratorINS8_7pointerIjNS8_11hip_rocprim5par_tENS8_11use_defaultESE_EEEENSA_INSB_IlSD_SE_SE_EEEEZNS1_13binary_searchIS3_S5_NSA_INS8_10device_ptrIjEEEESG_SI_NS1_21lower_bound_search_opENS9_16wrapped_functionINS8_6system6detail7generic6detail18binary_search_lessEbEEEE10hipError_tPvRmT1_T2_T3_mmT4_T5_P12ihipStream_tbEUlRKjE_EESV_SZ_S10_mS11_S14_bEUlT_E_NS1_11comp_targetILNS1_3genE2ELNS1_11target_archE906ELNS1_3gpuE6ELNS1_3repE0EEENS1_30default_config_static_selectorELNS0_4arch9wavefront6targetE0EEEvSY_: ; @_ZN7rocprim17ROCPRIM_400000_NS6detail17trampoline_kernelINS0_14default_configENS1_27lower_bound_config_selectorIjlEEZNS1_14transform_implILb0ES3_S5_N6thrust23THRUST_200600_302600_NS6detail15normal_iteratorINS8_7pointerIjNS8_11hip_rocprim5par_tENS8_11use_defaultESE_EEEENSA_INSB_IlSD_SE_SE_EEEEZNS1_13binary_searchIS3_S5_NSA_INS8_10device_ptrIjEEEESG_SI_NS1_21lower_bound_search_opENS9_16wrapped_functionINS8_6system6detail7generic6detail18binary_search_lessEbEEEE10hipError_tPvRmT1_T2_T3_mmT4_T5_P12ihipStream_tbEUlRKjE_EESV_SZ_S10_mS11_S14_bEUlT_E_NS1_11comp_targetILNS1_3genE2ELNS1_11target_archE906ELNS1_3gpuE6ELNS1_3repE0EEENS1_30default_config_static_selectorELNS0_4arch9wavefront6targetE0EEEvSY_
; %bb.0:
	.section	.rodata,"a",@progbits
	.p2align	6, 0x0
	.amdhsa_kernel _ZN7rocprim17ROCPRIM_400000_NS6detail17trampoline_kernelINS0_14default_configENS1_27lower_bound_config_selectorIjlEEZNS1_14transform_implILb0ES3_S5_N6thrust23THRUST_200600_302600_NS6detail15normal_iteratorINS8_7pointerIjNS8_11hip_rocprim5par_tENS8_11use_defaultESE_EEEENSA_INSB_IlSD_SE_SE_EEEEZNS1_13binary_searchIS3_S5_NSA_INS8_10device_ptrIjEEEESG_SI_NS1_21lower_bound_search_opENS9_16wrapped_functionINS8_6system6detail7generic6detail18binary_search_lessEbEEEE10hipError_tPvRmT1_T2_T3_mmT4_T5_P12ihipStream_tbEUlRKjE_EESV_SZ_S10_mS11_S14_bEUlT_E_NS1_11comp_targetILNS1_3genE2ELNS1_11target_archE906ELNS1_3gpuE6ELNS1_3repE0EEENS1_30default_config_static_selectorELNS0_4arch9wavefront6targetE0EEEvSY_
		.amdhsa_group_segment_fixed_size 0
		.amdhsa_private_segment_fixed_size 0
		.amdhsa_kernarg_size 56
		.amdhsa_user_sgpr_count 6
		.amdhsa_user_sgpr_private_segment_buffer 1
		.amdhsa_user_sgpr_dispatch_ptr 0
		.amdhsa_user_sgpr_queue_ptr 0
		.amdhsa_user_sgpr_kernarg_segment_ptr 1
		.amdhsa_user_sgpr_dispatch_id 0
		.amdhsa_user_sgpr_flat_scratch_init 0
		.amdhsa_user_sgpr_private_segment_size 0
		.amdhsa_wavefront_size32 1
		.amdhsa_uses_dynamic_stack 0
		.amdhsa_system_sgpr_private_segment_wavefront_offset 0
		.amdhsa_system_sgpr_workgroup_id_x 1
		.amdhsa_system_sgpr_workgroup_id_y 0
		.amdhsa_system_sgpr_workgroup_id_z 0
		.amdhsa_system_sgpr_workgroup_info 0
		.amdhsa_system_vgpr_workitem_id 0
		.amdhsa_next_free_vgpr 1
		.amdhsa_next_free_sgpr 1
		.amdhsa_reserve_vcc 0
		.amdhsa_reserve_flat_scratch 0
		.amdhsa_float_round_mode_32 0
		.amdhsa_float_round_mode_16_64 0
		.amdhsa_float_denorm_mode_32 3
		.amdhsa_float_denorm_mode_16_64 3
		.amdhsa_dx10_clamp 1
		.amdhsa_ieee_mode 1
		.amdhsa_fp16_overflow 0
		.amdhsa_workgroup_processor_mode 1
		.amdhsa_memory_ordered 1
		.amdhsa_forward_progress 1
		.amdhsa_shared_vgpr_count 0
		.amdhsa_exception_fp_ieee_invalid_op 0
		.amdhsa_exception_fp_denorm_src 0
		.amdhsa_exception_fp_ieee_div_zero 0
		.amdhsa_exception_fp_ieee_overflow 0
		.amdhsa_exception_fp_ieee_underflow 0
		.amdhsa_exception_fp_ieee_inexact 0
		.amdhsa_exception_int_div_zero 0
	.end_amdhsa_kernel
	.section	.text._ZN7rocprim17ROCPRIM_400000_NS6detail17trampoline_kernelINS0_14default_configENS1_27lower_bound_config_selectorIjlEEZNS1_14transform_implILb0ES3_S5_N6thrust23THRUST_200600_302600_NS6detail15normal_iteratorINS8_7pointerIjNS8_11hip_rocprim5par_tENS8_11use_defaultESE_EEEENSA_INSB_IlSD_SE_SE_EEEEZNS1_13binary_searchIS3_S5_NSA_INS8_10device_ptrIjEEEESG_SI_NS1_21lower_bound_search_opENS9_16wrapped_functionINS8_6system6detail7generic6detail18binary_search_lessEbEEEE10hipError_tPvRmT1_T2_T3_mmT4_T5_P12ihipStream_tbEUlRKjE_EESV_SZ_S10_mS11_S14_bEUlT_E_NS1_11comp_targetILNS1_3genE2ELNS1_11target_archE906ELNS1_3gpuE6ELNS1_3repE0EEENS1_30default_config_static_selectorELNS0_4arch9wavefront6targetE0EEEvSY_,"axG",@progbits,_ZN7rocprim17ROCPRIM_400000_NS6detail17trampoline_kernelINS0_14default_configENS1_27lower_bound_config_selectorIjlEEZNS1_14transform_implILb0ES3_S5_N6thrust23THRUST_200600_302600_NS6detail15normal_iteratorINS8_7pointerIjNS8_11hip_rocprim5par_tENS8_11use_defaultESE_EEEENSA_INSB_IlSD_SE_SE_EEEEZNS1_13binary_searchIS3_S5_NSA_INS8_10device_ptrIjEEEESG_SI_NS1_21lower_bound_search_opENS9_16wrapped_functionINS8_6system6detail7generic6detail18binary_search_lessEbEEEE10hipError_tPvRmT1_T2_T3_mmT4_T5_P12ihipStream_tbEUlRKjE_EESV_SZ_S10_mS11_S14_bEUlT_E_NS1_11comp_targetILNS1_3genE2ELNS1_11target_archE906ELNS1_3gpuE6ELNS1_3repE0EEENS1_30default_config_static_selectorELNS0_4arch9wavefront6targetE0EEEvSY_,comdat
.Lfunc_end371:
	.size	_ZN7rocprim17ROCPRIM_400000_NS6detail17trampoline_kernelINS0_14default_configENS1_27lower_bound_config_selectorIjlEEZNS1_14transform_implILb0ES3_S5_N6thrust23THRUST_200600_302600_NS6detail15normal_iteratorINS8_7pointerIjNS8_11hip_rocprim5par_tENS8_11use_defaultESE_EEEENSA_INSB_IlSD_SE_SE_EEEEZNS1_13binary_searchIS3_S5_NSA_INS8_10device_ptrIjEEEESG_SI_NS1_21lower_bound_search_opENS9_16wrapped_functionINS8_6system6detail7generic6detail18binary_search_lessEbEEEE10hipError_tPvRmT1_T2_T3_mmT4_T5_P12ihipStream_tbEUlRKjE_EESV_SZ_S10_mS11_S14_bEUlT_E_NS1_11comp_targetILNS1_3genE2ELNS1_11target_archE906ELNS1_3gpuE6ELNS1_3repE0EEENS1_30default_config_static_selectorELNS0_4arch9wavefront6targetE0EEEvSY_, .Lfunc_end371-_ZN7rocprim17ROCPRIM_400000_NS6detail17trampoline_kernelINS0_14default_configENS1_27lower_bound_config_selectorIjlEEZNS1_14transform_implILb0ES3_S5_N6thrust23THRUST_200600_302600_NS6detail15normal_iteratorINS8_7pointerIjNS8_11hip_rocprim5par_tENS8_11use_defaultESE_EEEENSA_INSB_IlSD_SE_SE_EEEEZNS1_13binary_searchIS3_S5_NSA_INS8_10device_ptrIjEEEESG_SI_NS1_21lower_bound_search_opENS9_16wrapped_functionINS8_6system6detail7generic6detail18binary_search_lessEbEEEE10hipError_tPvRmT1_T2_T3_mmT4_T5_P12ihipStream_tbEUlRKjE_EESV_SZ_S10_mS11_S14_bEUlT_E_NS1_11comp_targetILNS1_3genE2ELNS1_11target_archE906ELNS1_3gpuE6ELNS1_3repE0EEENS1_30default_config_static_selectorELNS0_4arch9wavefront6targetE0EEEvSY_
                                        ; -- End function
	.set _ZN7rocprim17ROCPRIM_400000_NS6detail17trampoline_kernelINS0_14default_configENS1_27lower_bound_config_selectorIjlEEZNS1_14transform_implILb0ES3_S5_N6thrust23THRUST_200600_302600_NS6detail15normal_iteratorINS8_7pointerIjNS8_11hip_rocprim5par_tENS8_11use_defaultESE_EEEENSA_INSB_IlSD_SE_SE_EEEEZNS1_13binary_searchIS3_S5_NSA_INS8_10device_ptrIjEEEESG_SI_NS1_21lower_bound_search_opENS9_16wrapped_functionINS8_6system6detail7generic6detail18binary_search_lessEbEEEE10hipError_tPvRmT1_T2_T3_mmT4_T5_P12ihipStream_tbEUlRKjE_EESV_SZ_S10_mS11_S14_bEUlT_E_NS1_11comp_targetILNS1_3genE2ELNS1_11target_archE906ELNS1_3gpuE6ELNS1_3repE0EEENS1_30default_config_static_selectorELNS0_4arch9wavefront6targetE0EEEvSY_.num_vgpr, 0
	.set _ZN7rocprim17ROCPRIM_400000_NS6detail17trampoline_kernelINS0_14default_configENS1_27lower_bound_config_selectorIjlEEZNS1_14transform_implILb0ES3_S5_N6thrust23THRUST_200600_302600_NS6detail15normal_iteratorINS8_7pointerIjNS8_11hip_rocprim5par_tENS8_11use_defaultESE_EEEENSA_INSB_IlSD_SE_SE_EEEEZNS1_13binary_searchIS3_S5_NSA_INS8_10device_ptrIjEEEESG_SI_NS1_21lower_bound_search_opENS9_16wrapped_functionINS8_6system6detail7generic6detail18binary_search_lessEbEEEE10hipError_tPvRmT1_T2_T3_mmT4_T5_P12ihipStream_tbEUlRKjE_EESV_SZ_S10_mS11_S14_bEUlT_E_NS1_11comp_targetILNS1_3genE2ELNS1_11target_archE906ELNS1_3gpuE6ELNS1_3repE0EEENS1_30default_config_static_selectorELNS0_4arch9wavefront6targetE0EEEvSY_.num_agpr, 0
	.set _ZN7rocprim17ROCPRIM_400000_NS6detail17trampoline_kernelINS0_14default_configENS1_27lower_bound_config_selectorIjlEEZNS1_14transform_implILb0ES3_S5_N6thrust23THRUST_200600_302600_NS6detail15normal_iteratorINS8_7pointerIjNS8_11hip_rocprim5par_tENS8_11use_defaultESE_EEEENSA_INSB_IlSD_SE_SE_EEEEZNS1_13binary_searchIS3_S5_NSA_INS8_10device_ptrIjEEEESG_SI_NS1_21lower_bound_search_opENS9_16wrapped_functionINS8_6system6detail7generic6detail18binary_search_lessEbEEEE10hipError_tPvRmT1_T2_T3_mmT4_T5_P12ihipStream_tbEUlRKjE_EESV_SZ_S10_mS11_S14_bEUlT_E_NS1_11comp_targetILNS1_3genE2ELNS1_11target_archE906ELNS1_3gpuE6ELNS1_3repE0EEENS1_30default_config_static_selectorELNS0_4arch9wavefront6targetE0EEEvSY_.numbered_sgpr, 0
	.set _ZN7rocprim17ROCPRIM_400000_NS6detail17trampoline_kernelINS0_14default_configENS1_27lower_bound_config_selectorIjlEEZNS1_14transform_implILb0ES3_S5_N6thrust23THRUST_200600_302600_NS6detail15normal_iteratorINS8_7pointerIjNS8_11hip_rocprim5par_tENS8_11use_defaultESE_EEEENSA_INSB_IlSD_SE_SE_EEEEZNS1_13binary_searchIS3_S5_NSA_INS8_10device_ptrIjEEEESG_SI_NS1_21lower_bound_search_opENS9_16wrapped_functionINS8_6system6detail7generic6detail18binary_search_lessEbEEEE10hipError_tPvRmT1_T2_T3_mmT4_T5_P12ihipStream_tbEUlRKjE_EESV_SZ_S10_mS11_S14_bEUlT_E_NS1_11comp_targetILNS1_3genE2ELNS1_11target_archE906ELNS1_3gpuE6ELNS1_3repE0EEENS1_30default_config_static_selectorELNS0_4arch9wavefront6targetE0EEEvSY_.num_named_barrier, 0
	.set _ZN7rocprim17ROCPRIM_400000_NS6detail17trampoline_kernelINS0_14default_configENS1_27lower_bound_config_selectorIjlEEZNS1_14transform_implILb0ES3_S5_N6thrust23THRUST_200600_302600_NS6detail15normal_iteratorINS8_7pointerIjNS8_11hip_rocprim5par_tENS8_11use_defaultESE_EEEENSA_INSB_IlSD_SE_SE_EEEEZNS1_13binary_searchIS3_S5_NSA_INS8_10device_ptrIjEEEESG_SI_NS1_21lower_bound_search_opENS9_16wrapped_functionINS8_6system6detail7generic6detail18binary_search_lessEbEEEE10hipError_tPvRmT1_T2_T3_mmT4_T5_P12ihipStream_tbEUlRKjE_EESV_SZ_S10_mS11_S14_bEUlT_E_NS1_11comp_targetILNS1_3genE2ELNS1_11target_archE906ELNS1_3gpuE6ELNS1_3repE0EEENS1_30default_config_static_selectorELNS0_4arch9wavefront6targetE0EEEvSY_.private_seg_size, 0
	.set _ZN7rocprim17ROCPRIM_400000_NS6detail17trampoline_kernelINS0_14default_configENS1_27lower_bound_config_selectorIjlEEZNS1_14transform_implILb0ES3_S5_N6thrust23THRUST_200600_302600_NS6detail15normal_iteratorINS8_7pointerIjNS8_11hip_rocprim5par_tENS8_11use_defaultESE_EEEENSA_INSB_IlSD_SE_SE_EEEEZNS1_13binary_searchIS3_S5_NSA_INS8_10device_ptrIjEEEESG_SI_NS1_21lower_bound_search_opENS9_16wrapped_functionINS8_6system6detail7generic6detail18binary_search_lessEbEEEE10hipError_tPvRmT1_T2_T3_mmT4_T5_P12ihipStream_tbEUlRKjE_EESV_SZ_S10_mS11_S14_bEUlT_E_NS1_11comp_targetILNS1_3genE2ELNS1_11target_archE906ELNS1_3gpuE6ELNS1_3repE0EEENS1_30default_config_static_selectorELNS0_4arch9wavefront6targetE0EEEvSY_.uses_vcc, 0
	.set _ZN7rocprim17ROCPRIM_400000_NS6detail17trampoline_kernelINS0_14default_configENS1_27lower_bound_config_selectorIjlEEZNS1_14transform_implILb0ES3_S5_N6thrust23THRUST_200600_302600_NS6detail15normal_iteratorINS8_7pointerIjNS8_11hip_rocprim5par_tENS8_11use_defaultESE_EEEENSA_INSB_IlSD_SE_SE_EEEEZNS1_13binary_searchIS3_S5_NSA_INS8_10device_ptrIjEEEESG_SI_NS1_21lower_bound_search_opENS9_16wrapped_functionINS8_6system6detail7generic6detail18binary_search_lessEbEEEE10hipError_tPvRmT1_T2_T3_mmT4_T5_P12ihipStream_tbEUlRKjE_EESV_SZ_S10_mS11_S14_bEUlT_E_NS1_11comp_targetILNS1_3genE2ELNS1_11target_archE906ELNS1_3gpuE6ELNS1_3repE0EEENS1_30default_config_static_selectorELNS0_4arch9wavefront6targetE0EEEvSY_.uses_flat_scratch, 0
	.set _ZN7rocprim17ROCPRIM_400000_NS6detail17trampoline_kernelINS0_14default_configENS1_27lower_bound_config_selectorIjlEEZNS1_14transform_implILb0ES3_S5_N6thrust23THRUST_200600_302600_NS6detail15normal_iteratorINS8_7pointerIjNS8_11hip_rocprim5par_tENS8_11use_defaultESE_EEEENSA_INSB_IlSD_SE_SE_EEEEZNS1_13binary_searchIS3_S5_NSA_INS8_10device_ptrIjEEEESG_SI_NS1_21lower_bound_search_opENS9_16wrapped_functionINS8_6system6detail7generic6detail18binary_search_lessEbEEEE10hipError_tPvRmT1_T2_T3_mmT4_T5_P12ihipStream_tbEUlRKjE_EESV_SZ_S10_mS11_S14_bEUlT_E_NS1_11comp_targetILNS1_3genE2ELNS1_11target_archE906ELNS1_3gpuE6ELNS1_3repE0EEENS1_30default_config_static_selectorELNS0_4arch9wavefront6targetE0EEEvSY_.has_dyn_sized_stack, 0
	.set _ZN7rocprim17ROCPRIM_400000_NS6detail17trampoline_kernelINS0_14default_configENS1_27lower_bound_config_selectorIjlEEZNS1_14transform_implILb0ES3_S5_N6thrust23THRUST_200600_302600_NS6detail15normal_iteratorINS8_7pointerIjNS8_11hip_rocprim5par_tENS8_11use_defaultESE_EEEENSA_INSB_IlSD_SE_SE_EEEEZNS1_13binary_searchIS3_S5_NSA_INS8_10device_ptrIjEEEESG_SI_NS1_21lower_bound_search_opENS9_16wrapped_functionINS8_6system6detail7generic6detail18binary_search_lessEbEEEE10hipError_tPvRmT1_T2_T3_mmT4_T5_P12ihipStream_tbEUlRKjE_EESV_SZ_S10_mS11_S14_bEUlT_E_NS1_11comp_targetILNS1_3genE2ELNS1_11target_archE906ELNS1_3gpuE6ELNS1_3repE0EEENS1_30default_config_static_selectorELNS0_4arch9wavefront6targetE0EEEvSY_.has_recursion, 0
	.set _ZN7rocprim17ROCPRIM_400000_NS6detail17trampoline_kernelINS0_14default_configENS1_27lower_bound_config_selectorIjlEEZNS1_14transform_implILb0ES3_S5_N6thrust23THRUST_200600_302600_NS6detail15normal_iteratorINS8_7pointerIjNS8_11hip_rocprim5par_tENS8_11use_defaultESE_EEEENSA_INSB_IlSD_SE_SE_EEEEZNS1_13binary_searchIS3_S5_NSA_INS8_10device_ptrIjEEEESG_SI_NS1_21lower_bound_search_opENS9_16wrapped_functionINS8_6system6detail7generic6detail18binary_search_lessEbEEEE10hipError_tPvRmT1_T2_T3_mmT4_T5_P12ihipStream_tbEUlRKjE_EESV_SZ_S10_mS11_S14_bEUlT_E_NS1_11comp_targetILNS1_3genE2ELNS1_11target_archE906ELNS1_3gpuE6ELNS1_3repE0EEENS1_30default_config_static_selectorELNS0_4arch9wavefront6targetE0EEEvSY_.has_indirect_call, 0
	.section	.AMDGPU.csdata,"",@progbits
; Kernel info:
; codeLenInByte = 0
; TotalNumSgprs: 0
; NumVgprs: 0
; ScratchSize: 0
; MemoryBound: 0
; FloatMode: 240
; IeeeMode: 1
; LDSByteSize: 0 bytes/workgroup (compile time only)
; SGPRBlocks: 0
; VGPRBlocks: 0
; NumSGPRsForWavesPerEU: 1
; NumVGPRsForWavesPerEU: 1
; Occupancy: 16
; WaveLimiterHint : 0
; COMPUTE_PGM_RSRC2:SCRATCH_EN: 0
; COMPUTE_PGM_RSRC2:USER_SGPR: 6
; COMPUTE_PGM_RSRC2:TRAP_HANDLER: 0
; COMPUTE_PGM_RSRC2:TGID_X_EN: 1
; COMPUTE_PGM_RSRC2:TGID_Y_EN: 0
; COMPUTE_PGM_RSRC2:TGID_Z_EN: 0
; COMPUTE_PGM_RSRC2:TIDIG_COMP_CNT: 0
	.section	.text._ZN7rocprim17ROCPRIM_400000_NS6detail17trampoline_kernelINS0_14default_configENS1_27lower_bound_config_selectorIjlEEZNS1_14transform_implILb0ES3_S5_N6thrust23THRUST_200600_302600_NS6detail15normal_iteratorINS8_7pointerIjNS8_11hip_rocprim5par_tENS8_11use_defaultESE_EEEENSA_INSB_IlSD_SE_SE_EEEEZNS1_13binary_searchIS3_S5_NSA_INS8_10device_ptrIjEEEESG_SI_NS1_21lower_bound_search_opENS9_16wrapped_functionINS8_6system6detail7generic6detail18binary_search_lessEbEEEE10hipError_tPvRmT1_T2_T3_mmT4_T5_P12ihipStream_tbEUlRKjE_EESV_SZ_S10_mS11_S14_bEUlT_E_NS1_11comp_targetILNS1_3genE10ELNS1_11target_archE1201ELNS1_3gpuE5ELNS1_3repE0EEENS1_30default_config_static_selectorELNS0_4arch9wavefront6targetE0EEEvSY_,"axG",@progbits,_ZN7rocprim17ROCPRIM_400000_NS6detail17trampoline_kernelINS0_14default_configENS1_27lower_bound_config_selectorIjlEEZNS1_14transform_implILb0ES3_S5_N6thrust23THRUST_200600_302600_NS6detail15normal_iteratorINS8_7pointerIjNS8_11hip_rocprim5par_tENS8_11use_defaultESE_EEEENSA_INSB_IlSD_SE_SE_EEEEZNS1_13binary_searchIS3_S5_NSA_INS8_10device_ptrIjEEEESG_SI_NS1_21lower_bound_search_opENS9_16wrapped_functionINS8_6system6detail7generic6detail18binary_search_lessEbEEEE10hipError_tPvRmT1_T2_T3_mmT4_T5_P12ihipStream_tbEUlRKjE_EESV_SZ_S10_mS11_S14_bEUlT_E_NS1_11comp_targetILNS1_3genE10ELNS1_11target_archE1201ELNS1_3gpuE5ELNS1_3repE0EEENS1_30default_config_static_selectorELNS0_4arch9wavefront6targetE0EEEvSY_,comdat
	.protected	_ZN7rocprim17ROCPRIM_400000_NS6detail17trampoline_kernelINS0_14default_configENS1_27lower_bound_config_selectorIjlEEZNS1_14transform_implILb0ES3_S5_N6thrust23THRUST_200600_302600_NS6detail15normal_iteratorINS8_7pointerIjNS8_11hip_rocprim5par_tENS8_11use_defaultESE_EEEENSA_INSB_IlSD_SE_SE_EEEEZNS1_13binary_searchIS3_S5_NSA_INS8_10device_ptrIjEEEESG_SI_NS1_21lower_bound_search_opENS9_16wrapped_functionINS8_6system6detail7generic6detail18binary_search_lessEbEEEE10hipError_tPvRmT1_T2_T3_mmT4_T5_P12ihipStream_tbEUlRKjE_EESV_SZ_S10_mS11_S14_bEUlT_E_NS1_11comp_targetILNS1_3genE10ELNS1_11target_archE1201ELNS1_3gpuE5ELNS1_3repE0EEENS1_30default_config_static_selectorELNS0_4arch9wavefront6targetE0EEEvSY_ ; -- Begin function _ZN7rocprim17ROCPRIM_400000_NS6detail17trampoline_kernelINS0_14default_configENS1_27lower_bound_config_selectorIjlEEZNS1_14transform_implILb0ES3_S5_N6thrust23THRUST_200600_302600_NS6detail15normal_iteratorINS8_7pointerIjNS8_11hip_rocprim5par_tENS8_11use_defaultESE_EEEENSA_INSB_IlSD_SE_SE_EEEEZNS1_13binary_searchIS3_S5_NSA_INS8_10device_ptrIjEEEESG_SI_NS1_21lower_bound_search_opENS9_16wrapped_functionINS8_6system6detail7generic6detail18binary_search_lessEbEEEE10hipError_tPvRmT1_T2_T3_mmT4_T5_P12ihipStream_tbEUlRKjE_EESV_SZ_S10_mS11_S14_bEUlT_E_NS1_11comp_targetILNS1_3genE10ELNS1_11target_archE1201ELNS1_3gpuE5ELNS1_3repE0EEENS1_30default_config_static_selectorELNS0_4arch9wavefront6targetE0EEEvSY_
	.globl	_ZN7rocprim17ROCPRIM_400000_NS6detail17trampoline_kernelINS0_14default_configENS1_27lower_bound_config_selectorIjlEEZNS1_14transform_implILb0ES3_S5_N6thrust23THRUST_200600_302600_NS6detail15normal_iteratorINS8_7pointerIjNS8_11hip_rocprim5par_tENS8_11use_defaultESE_EEEENSA_INSB_IlSD_SE_SE_EEEEZNS1_13binary_searchIS3_S5_NSA_INS8_10device_ptrIjEEEESG_SI_NS1_21lower_bound_search_opENS9_16wrapped_functionINS8_6system6detail7generic6detail18binary_search_lessEbEEEE10hipError_tPvRmT1_T2_T3_mmT4_T5_P12ihipStream_tbEUlRKjE_EESV_SZ_S10_mS11_S14_bEUlT_E_NS1_11comp_targetILNS1_3genE10ELNS1_11target_archE1201ELNS1_3gpuE5ELNS1_3repE0EEENS1_30default_config_static_selectorELNS0_4arch9wavefront6targetE0EEEvSY_
	.p2align	8
	.type	_ZN7rocprim17ROCPRIM_400000_NS6detail17trampoline_kernelINS0_14default_configENS1_27lower_bound_config_selectorIjlEEZNS1_14transform_implILb0ES3_S5_N6thrust23THRUST_200600_302600_NS6detail15normal_iteratorINS8_7pointerIjNS8_11hip_rocprim5par_tENS8_11use_defaultESE_EEEENSA_INSB_IlSD_SE_SE_EEEEZNS1_13binary_searchIS3_S5_NSA_INS8_10device_ptrIjEEEESG_SI_NS1_21lower_bound_search_opENS9_16wrapped_functionINS8_6system6detail7generic6detail18binary_search_lessEbEEEE10hipError_tPvRmT1_T2_T3_mmT4_T5_P12ihipStream_tbEUlRKjE_EESV_SZ_S10_mS11_S14_bEUlT_E_NS1_11comp_targetILNS1_3genE10ELNS1_11target_archE1201ELNS1_3gpuE5ELNS1_3repE0EEENS1_30default_config_static_selectorELNS0_4arch9wavefront6targetE0EEEvSY_,@function
_ZN7rocprim17ROCPRIM_400000_NS6detail17trampoline_kernelINS0_14default_configENS1_27lower_bound_config_selectorIjlEEZNS1_14transform_implILb0ES3_S5_N6thrust23THRUST_200600_302600_NS6detail15normal_iteratorINS8_7pointerIjNS8_11hip_rocprim5par_tENS8_11use_defaultESE_EEEENSA_INSB_IlSD_SE_SE_EEEEZNS1_13binary_searchIS3_S5_NSA_INS8_10device_ptrIjEEEESG_SI_NS1_21lower_bound_search_opENS9_16wrapped_functionINS8_6system6detail7generic6detail18binary_search_lessEbEEEE10hipError_tPvRmT1_T2_T3_mmT4_T5_P12ihipStream_tbEUlRKjE_EESV_SZ_S10_mS11_S14_bEUlT_E_NS1_11comp_targetILNS1_3genE10ELNS1_11target_archE1201ELNS1_3gpuE5ELNS1_3repE0EEENS1_30default_config_static_selectorELNS0_4arch9wavefront6targetE0EEEvSY_: ; @_ZN7rocprim17ROCPRIM_400000_NS6detail17trampoline_kernelINS0_14default_configENS1_27lower_bound_config_selectorIjlEEZNS1_14transform_implILb0ES3_S5_N6thrust23THRUST_200600_302600_NS6detail15normal_iteratorINS8_7pointerIjNS8_11hip_rocprim5par_tENS8_11use_defaultESE_EEEENSA_INSB_IlSD_SE_SE_EEEEZNS1_13binary_searchIS3_S5_NSA_INS8_10device_ptrIjEEEESG_SI_NS1_21lower_bound_search_opENS9_16wrapped_functionINS8_6system6detail7generic6detail18binary_search_lessEbEEEE10hipError_tPvRmT1_T2_T3_mmT4_T5_P12ihipStream_tbEUlRKjE_EESV_SZ_S10_mS11_S14_bEUlT_E_NS1_11comp_targetILNS1_3genE10ELNS1_11target_archE1201ELNS1_3gpuE5ELNS1_3repE0EEENS1_30default_config_static_selectorELNS0_4arch9wavefront6targetE0EEEvSY_
; %bb.0:
	.section	.rodata,"a",@progbits
	.p2align	6, 0x0
	.amdhsa_kernel _ZN7rocprim17ROCPRIM_400000_NS6detail17trampoline_kernelINS0_14default_configENS1_27lower_bound_config_selectorIjlEEZNS1_14transform_implILb0ES3_S5_N6thrust23THRUST_200600_302600_NS6detail15normal_iteratorINS8_7pointerIjNS8_11hip_rocprim5par_tENS8_11use_defaultESE_EEEENSA_INSB_IlSD_SE_SE_EEEEZNS1_13binary_searchIS3_S5_NSA_INS8_10device_ptrIjEEEESG_SI_NS1_21lower_bound_search_opENS9_16wrapped_functionINS8_6system6detail7generic6detail18binary_search_lessEbEEEE10hipError_tPvRmT1_T2_T3_mmT4_T5_P12ihipStream_tbEUlRKjE_EESV_SZ_S10_mS11_S14_bEUlT_E_NS1_11comp_targetILNS1_3genE10ELNS1_11target_archE1201ELNS1_3gpuE5ELNS1_3repE0EEENS1_30default_config_static_selectorELNS0_4arch9wavefront6targetE0EEEvSY_
		.amdhsa_group_segment_fixed_size 0
		.amdhsa_private_segment_fixed_size 0
		.amdhsa_kernarg_size 56
		.amdhsa_user_sgpr_count 6
		.amdhsa_user_sgpr_private_segment_buffer 1
		.amdhsa_user_sgpr_dispatch_ptr 0
		.amdhsa_user_sgpr_queue_ptr 0
		.amdhsa_user_sgpr_kernarg_segment_ptr 1
		.amdhsa_user_sgpr_dispatch_id 0
		.amdhsa_user_sgpr_flat_scratch_init 0
		.amdhsa_user_sgpr_private_segment_size 0
		.amdhsa_wavefront_size32 1
		.amdhsa_uses_dynamic_stack 0
		.amdhsa_system_sgpr_private_segment_wavefront_offset 0
		.amdhsa_system_sgpr_workgroup_id_x 1
		.amdhsa_system_sgpr_workgroup_id_y 0
		.amdhsa_system_sgpr_workgroup_id_z 0
		.amdhsa_system_sgpr_workgroup_info 0
		.amdhsa_system_vgpr_workitem_id 0
		.amdhsa_next_free_vgpr 1
		.amdhsa_next_free_sgpr 1
		.amdhsa_reserve_vcc 0
		.amdhsa_reserve_flat_scratch 0
		.amdhsa_float_round_mode_32 0
		.amdhsa_float_round_mode_16_64 0
		.amdhsa_float_denorm_mode_32 3
		.amdhsa_float_denorm_mode_16_64 3
		.amdhsa_dx10_clamp 1
		.amdhsa_ieee_mode 1
		.amdhsa_fp16_overflow 0
		.amdhsa_workgroup_processor_mode 1
		.amdhsa_memory_ordered 1
		.amdhsa_forward_progress 1
		.amdhsa_shared_vgpr_count 0
		.amdhsa_exception_fp_ieee_invalid_op 0
		.amdhsa_exception_fp_denorm_src 0
		.amdhsa_exception_fp_ieee_div_zero 0
		.amdhsa_exception_fp_ieee_overflow 0
		.amdhsa_exception_fp_ieee_underflow 0
		.amdhsa_exception_fp_ieee_inexact 0
		.amdhsa_exception_int_div_zero 0
	.end_amdhsa_kernel
	.section	.text._ZN7rocprim17ROCPRIM_400000_NS6detail17trampoline_kernelINS0_14default_configENS1_27lower_bound_config_selectorIjlEEZNS1_14transform_implILb0ES3_S5_N6thrust23THRUST_200600_302600_NS6detail15normal_iteratorINS8_7pointerIjNS8_11hip_rocprim5par_tENS8_11use_defaultESE_EEEENSA_INSB_IlSD_SE_SE_EEEEZNS1_13binary_searchIS3_S5_NSA_INS8_10device_ptrIjEEEESG_SI_NS1_21lower_bound_search_opENS9_16wrapped_functionINS8_6system6detail7generic6detail18binary_search_lessEbEEEE10hipError_tPvRmT1_T2_T3_mmT4_T5_P12ihipStream_tbEUlRKjE_EESV_SZ_S10_mS11_S14_bEUlT_E_NS1_11comp_targetILNS1_3genE10ELNS1_11target_archE1201ELNS1_3gpuE5ELNS1_3repE0EEENS1_30default_config_static_selectorELNS0_4arch9wavefront6targetE0EEEvSY_,"axG",@progbits,_ZN7rocprim17ROCPRIM_400000_NS6detail17trampoline_kernelINS0_14default_configENS1_27lower_bound_config_selectorIjlEEZNS1_14transform_implILb0ES3_S5_N6thrust23THRUST_200600_302600_NS6detail15normal_iteratorINS8_7pointerIjNS8_11hip_rocprim5par_tENS8_11use_defaultESE_EEEENSA_INSB_IlSD_SE_SE_EEEEZNS1_13binary_searchIS3_S5_NSA_INS8_10device_ptrIjEEEESG_SI_NS1_21lower_bound_search_opENS9_16wrapped_functionINS8_6system6detail7generic6detail18binary_search_lessEbEEEE10hipError_tPvRmT1_T2_T3_mmT4_T5_P12ihipStream_tbEUlRKjE_EESV_SZ_S10_mS11_S14_bEUlT_E_NS1_11comp_targetILNS1_3genE10ELNS1_11target_archE1201ELNS1_3gpuE5ELNS1_3repE0EEENS1_30default_config_static_selectorELNS0_4arch9wavefront6targetE0EEEvSY_,comdat
.Lfunc_end372:
	.size	_ZN7rocprim17ROCPRIM_400000_NS6detail17trampoline_kernelINS0_14default_configENS1_27lower_bound_config_selectorIjlEEZNS1_14transform_implILb0ES3_S5_N6thrust23THRUST_200600_302600_NS6detail15normal_iteratorINS8_7pointerIjNS8_11hip_rocprim5par_tENS8_11use_defaultESE_EEEENSA_INSB_IlSD_SE_SE_EEEEZNS1_13binary_searchIS3_S5_NSA_INS8_10device_ptrIjEEEESG_SI_NS1_21lower_bound_search_opENS9_16wrapped_functionINS8_6system6detail7generic6detail18binary_search_lessEbEEEE10hipError_tPvRmT1_T2_T3_mmT4_T5_P12ihipStream_tbEUlRKjE_EESV_SZ_S10_mS11_S14_bEUlT_E_NS1_11comp_targetILNS1_3genE10ELNS1_11target_archE1201ELNS1_3gpuE5ELNS1_3repE0EEENS1_30default_config_static_selectorELNS0_4arch9wavefront6targetE0EEEvSY_, .Lfunc_end372-_ZN7rocprim17ROCPRIM_400000_NS6detail17trampoline_kernelINS0_14default_configENS1_27lower_bound_config_selectorIjlEEZNS1_14transform_implILb0ES3_S5_N6thrust23THRUST_200600_302600_NS6detail15normal_iteratorINS8_7pointerIjNS8_11hip_rocprim5par_tENS8_11use_defaultESE_EEEENSA_INSB_IlSD_SE_SE_EEEEZNS1_13binary_searchIS3_S5_NSA_INS8_10device_ptrIjEEEESG_SI_NS1_21lower_bound_search_opENS9_16wrapped_functionINS8_6system6detail7generic6detail18binary_search_lessEbEEEE10hipError_tPvRmT1_T2_T3_mmT4_T5_P12ihipStream_tbEUlRKjE_EESV_SZ_S10_mS11_S14_bEUlT_E_NS1_11comp_targetILNS1_3genE10ELNS1_11target_archE1201ELNS1_3gpuE5ELNS1_3repE0EEENS1_30default_config_static_selectorELNS0_4arch9wavefront6targetE0EEEvSY_
                                        ; -- End function
	.set _ZN7rocprim17ROCPRIM_400000_NS6detail17trampoline_kernelINS0_14default_configENS1_27lower_bound_config_selectorIjlEEZNS1_14transform_implILb0ES3_S5_N6thrust23THRUST_200600_302600_NS6detail15normal_iteratorINS8_7pointerIjNS8_11hip_rocprim5par_tENS8_11use_defaultESE_EEEENSA_INSB_IlSD_SE_SE_EEEEZNS1_13binary_searchIS3_S5_NSA_INS8_10device_ptrIjEEEESG_SI_NS1_21lower_bound_search_opENS9_16wrapped_functionINS8_6system6detail7generic6detail18binary_search_lessEbEEEE10hipError_tPvRmT1_T2_T3_mmT4_T5_P12ihipStream_tbEUlRKjE_EESV_SZ_S10_mS11_S14_bEUlT_E_NS1_11comp_targetILNS1_3genE10ELNS1_11target_archE1201ELNS1_3gpuE5ELNS1_3repE0EEENS1_30default_config_static_selectorELNS0_4arch9wavefront6targetE0EEEvSY_.num_vgpr, 0
	.set _ZN7rocprim17ROCPRIM_400000_NS6detail17trampoline_kernelINS0_14default_configENS1_27lower_bound_config_selectorIjlEEZNS1_14transform_implILb0ES3_S5_N6thrust23THRUST_200600_302600_NS6detail15normal_iteratorINS8_7pointerIjNS8_11hip_rocprim5par_tENS8_11use_defaultESE_EEEENSA_INSB_IlSD_SE_SE_EEEEZNS1_13binary_searchIS3_S5_NSA_INS8_10device_ptrIjEEEESG_SI_NS1_21lower_bound_search_opENS9_16wrapped_functionINS8_6system6detail7generic6detail18binary_search_lessEbEEEE10hipError_tPvRmT1_T2_T3_mmT4_T5_P12ihipStream_tbEUlRKjE_EESV_SZ_S10_mS11_S14_bEUlT_E_NS1_11comp_targetILNS1_3genE10ELNS1_11target_archE1201ELNS1_3gpuE5ELNS1_3repE0EEENS1_30default_config_static_selectorELNS0_4arch9wavefront6targetE0EEEvSY_.num_agpr, 0
	.set _ZN7rocprim17ROCPRIM_400000_NS6detail17trampoline_kernelINS0_14default_configENS1_27lower_bound_config_selectorIjlEEZNS1_14transform_implILb0ES3_S5_N6thrust23THRUST_200600_302600_NS6detail15normal_iteratorINS8_7pointerIjNS8_11hip_rocprim5par_tENS8_11use_defaultESE_EEEENSA_INSB_IlSD_SE_SE_EEEEZNS1_13binary_searchIS3_S5_NSA_INS8_10device_ptrIjEEEESG_SI_NS1_21lower_bound_search_opENS9_16wrapped_functionINS8_6system6detail7generic6detail18binary_search_lessEbEEEE10hipError_tPvRmT1_T2_T3_mmT4_T5_P12ihipStream_tbEUlRKjE_EESV_SZ_S10_mS11_S14_bEUlT_E_NS1_11comp_targetILNS1_3genE10ELNS1_11target_archE1201ELNS1_3gpuE5ELNS1_3repE0EEENS1_30default_config_static_selectorELNS0_4arch9wavefront6targetE0EEEvSY_.numbered_sgpr, 0
	.set _ZN7rocprim17ROCPRIM_400000_NS6detail17trampoline_kernelINS0_14default_configENS1_27lower_bound_config_selectorIjlEEZNS1_14transform_implILb0ES3_S5_N6thrust23THRUST_200600_302600_NS6detail15normal_iteratorINS8_7pointerIjNS8_11hip_rocprim5par_tENS8_11use_defaultESE_EEEENSA_INSB_IlSD_SE_SE_EEEEZNS1_13binary_searchIS3_S5_NSA_INS8_10device_ptrIjEEEESG_SI_NS1_21lower_bound_search_opENS9_16wrapped_functionINS8_6system6detail7generic6detail18binary_search_lessEbEEEE10hipError_tPvRmT1_T2_T3_mmT4_T5_P12ihipStream_tbEUlRKjE_EESV_SZ_S10_mS11_S14_bEUlT_E_NS1_11comp_targetILNS1_3genE10ELNS1_11target_archE1201ELNS1_3gpuE5ELNS1_3repE0EEENS1_30default_config_static_selectorELNS0_4arch9wavefront6targetE0EEEvSY_.num_named_barrier, 0
	.set _ZN7rocprim17ROCPRIM_400000_NS6detail17trampoline_kernelINS0_14default_configENS1_27lower_bound_config_selectorIjlEEZNS1_14transform_implILb0ES3_S5_N6thrust23THRUST_200600_302600_NS6detail15normal_iteratorINS8_7pointerIjNS8_11hip_rocprim5par_tENS8_11use_defaultESE_EEEENSA_INSB_IlSD_SE_SE_EEEEZNS1_13binary_searchIS3_S5_NSA_INS8_10device_ptrIjEEEESG_SI_NS1_21lower_bound_search_opENS9_16wrapped_functionINS8_6system6detail7generic6detail18binary_search_lessEbEEEE10hipError_tPvRmT1_T2_T3_mmT4_T5_P12ihipStream_tbEUlRKjE_EESV_SZ_S10_mS11_S14_bEUlT_E_NS1_11comp_targetILNS1_3genE10ELNS1_11target_archE1201ELNS1_3gpuE5ELNS1_3repE0EEENS1_30default_config_static_selectorELNS0_4arch9wavefront6targetE0EEEvSY_.private_seg_size, 0
	.set _ZN7rocprim17ROCPRIM_400000_NS6detail17trampoline_kernelINS0_14default_configENS1_27lower_bound_config_selectorIjlEEZNS1_14transform_implILb0ES3_S5_N6thrust23THRUST_200600_302600_NS6detail15normal_iteratorINS8_7pointerIjNS8_11hip_rocprim5par_tENS8_11use_defaultESE_EEEENSA_INSB_IlSD_SE_SE_EEEEZNS1_13binary_searchIS3_S5_NSA_INS8_10device_ptrIjEEEESG_SI_NS1_21lower_bound_search_opENS9_16wrapped_functionINS8_6system6detail7generic6detail18binary_search_lessEbEEEE10hipError_tPvRmT1_T2_T3_mmT4_T5_P12ihipStream_tbEUlRKjE_EESV_SZ_S10_mS11_S14_bEUlT_E_NS1_11comp_targetILNS1_3genE10ELNS1_11target_archE1201ELNS1_3gpuE5ELNS1_3repE0EEENS1_30default_config_static_selectorELNS0_4arch9wavefront6targetE0EEEvSY_.uses_vcc, 0
	.set _ZN7rocprim17ROCPRIM_400000_NS6detail17trampoline_kernelINS0_14default_configENS1_27lower_bound_config_selectorIjlEEZNS1_14transform_implILb0ES3_S5_N6thrust23THRUST_200600_302600_NS6detail15normal_iteratorINS8_7pointerIjNS8_11hip_rocprim5par_tENS8_11use_defaultESE_EEEENSA_INSB_IlSD_SE_SE_EEEEZNS1_13binary_searchIS3_S5_NSA_INS8_10device_ptrIjEEEESG_SI_NS1_21lower_bound_search_opENS9_16wrapped_functionINS8_6system6detail7generic6detail18binary_search_lessEbEEEE10hipError_tPvRmT1_T2_T3_mmT4_T5_P12ihipStream_tbEUlRKjE_EESV_SZ_S10_mS11_S14_bEUlT_E_NS1_11comp_targetILNS1_3genE10ELNS1_11target_archE1201ELNS1_3gpuE5ELNS1_3repE0EEENS1_30default_config_static_selectorELNS0_4arch9wavefront6targetE0EEEvSY_.uses_flat_scratch, 0
	.set _ZN7rocprim17ROCPRIM_400000_NS6detail17trampoline_kernelINS0_14default_configENS1_27lower_bound_config_selectorIjlEEZNS1_14transform_implILb0ES3_S5_N6thrust23THRUST_200600_302600_NS6detail15normal_iteratorINS8_7pointerIjNS8_11hip_rocprim5par_tENS8_11use_defaultESE_EEEENSA_INSB_IlSD_SE_SE_EEEEZNS1_13binary_searchIS3_S5_NSA_INS8_10device_ptrIjEEEESG_SI_NS1_21lower_bound_search_opENS9_16wrapped_functionINS8_6system6detail7generic6detail18binary_search_lessEbEEEE10hipError_tPvRmT1_T2_T3_mmT4_T5_P12ihipStream_tbEUlRKjE_EESV_SZ_S10_mS11_S14_bEUlT_E_NS1_11comp_targetILNS1_3genE10ELNS1_11target_archE1201ELNS1_3gpuE5ELNS1_3repE0EEENS1_30default_config_static_selectorELNS0_4arch9wavefront6targetE0EEEvSY_.has_dyn_sized_stack, 0
	.set _ZN7rocprim17ROCPRIM_400000_NS6detail17trampoline_kernelINS0_14default_configENS1_27lower_bound_config_selectorIjlEEZNS1_14transform_implILb0ES3_S5_N6thrust23THRUST_200600_302600_NS6detail15normal_iteratorINS8_7pointerIjNS8_11hip_rocprim5par_tENS8_11use_defaultESE_EEEENSA_INSB_IlSD_SE_SE_EEEEZNS1_13binary_searchIS3_S5_NSA_INS8_10device_ptrIjEEEESG_SI_NS1_21lower_bound_search_opENS9_16wrapped_functionINS8_6system6detail7generic6detail18binary_search_lessEbEEEE10hipError_tPvRmT1_T2_T3_mmT4_T5_P12ihipStream_tbEUlRKjE_EESV_SZ_S10_mS11_S14_bEUlT_E_NS1_11comp_targetILNS1_3genE10ELNS1_11target_archE1201ELNS1_3gpuE5ELNS1_3repE0EEENS1_30default_config_static_selectorELNS0_4arch9wavefront6targetE0EEEvSY_.has_recursion, 0
	.set _ZN7rocprim17ROCPRIM_400000_NS6detail17trampoline_kernelINS0_14default_configENS1_27lower_bound_config_selectorIjlEEZNS1_14transform_implILb0ES3_S5_N6thrust23THRUST_200600_302600_NS6detail15normal_iteratorINS8_7pointerIjNS8_11hip_rocprim5par_tENS8_11use_defaultESE_EEEENSA_INSB_IlSD_SE_SE_EEEEZNS1_13binary_searchIS3_S5_NSA_INS8_10device_ptrIjEEEESG_SI_NS1_21lower_bound_search_opENS9_16wrapped_functionINS8_6system6detail7generic6detail18binary_search_lessEbEEEE10hipError_tPvRmT1_T2_T3_mmT4_T5_P12ihipStream_tbEUlRKjE_EESV_SZ_S10_mS11_S14_bEUlT_E_NS1_11comp_targetILNS1_3genE10ELNS1_11target_archE1201ELNS1_3gpuE5ELNS1_3repE0EEENS1_30default_config_static_selectorELNS0_4arch9wavefront6targetE0EEEvSY_.has_indirect_call, 0
	.section	.AMDGPU.csdata,"",@progbits
; Kernel info:
; codeLenInByte = 0
; TotalNumSgprs: 0
; NumVgprs: 0
; ScratchSize: 0
; MemoryBound: 0
; FloatMode: 240
; IeeeMode: 1
; LDSByteSize: 0 bytes/workgroup (compile time only)
; SGPRBlocks: 0
; VGPRBlocks: 0
; NumSGPRsForWavesPerEU: 1
; NumVGPRsForWavesPerEU: 1
; Occupancy: 16
; WaveLimiterHint : 0
; COMPUTE_PGM_RSRC2:SCRATCH_EN: 0
; COMPUTE_PGM_RSRC2:USER_SGPR: 6
; COMPUTE_PGM_RSRC2:TRAP_HANDLER: 0
; COMPUTE_PGM_RSRC2:TGID_X_EN: 1
; COMPUTE_PGM_RSRC2:TGID_Y_EN: 0
; COMPUTE_PGM_RSRC2:TGID_Z_EN: 0
; COMPUTE_PGM_RSRC2:TIDIG_COMP_CNT: 0
	.section	.text._ZN7rocprim17ROCPRIM_400000_NS6detail17trampoline_kernelINS0_14default_configENS1_27lower_bound_config_selectorIjlEEZNS1_14transform_implILb0ES3_S5_N6thrust23THRUST_200600_302600_NS6detail15normal_iteratorINS8_7pointerIjNS8_11hip_rocprim5par_tENS8_11use_defaultESE_EEEENSA_INSB_IlSD_SE_SE_EEEEZNS1_13binary_searchIS3_S5_NSA_INS8_10device_ptrIjEEEESG_SI_NS1_21lower_bound_search_opENS9_16wrapped_functionINS8_6system6detail7generic6detail18binary_search_lessEbEEEE10hipError_tPvRmT1_T2_T3_mmT4_T5_P12ihipStream_tbEUlRKjE_EESV_SZ_S10_mS11_S14_bEUlT_E_NS1_11comp_targetILNS1_3genE10ELNS1_11target_archE1200ELNS1_3gpuE4ELNS1_3repE0EEENS1_30default_config_static_selectorELNS0_4arch9wavefront6targetE0EEEvSY_,"axG",@progbits,_ZN7rocprim17ROCPRIM_400000_NS6detail17trampoline_kernelINS0_14default_configENS1_27lower_bound_config_selectorIjlEEZNS1_14transform_implILb0ES3_S5_N6thrust23THRUST_200600_302600_NS6detail15normal_iteratorINS8_7pointerIjNS8_11hip_rocprim5par_tENS8_11use_defaultESE_EEEENSA_INSB_IlSD_SE_SE_EEEEZNS1_13binary_searchIS3_S5_NSA_INS8_10device_ptrIjEEEESG_SI_NS1_21lower_bound_search_opENS9_16wrapped_functionINS8_6system6detail7generic6detail18binary_search_lessEbEEEE10hipError_tPvRmT1_T2_T3_mmT4_T5_P12ihipStream_tbEUlRKjE_EESV_SZ_S10_mS11_S14_bEUlT_E_NS1_11comp_targetILNS1_3genE10ELNS1_11target_archE1200ELNS1_3gpuE4ELNS1_3repE0EEENS1_30default_config_static_selectorELNS0_4arch9wavefront6targetE0EEEvSY_,comdat
	.protected	_ZN7rocprim17ROCPRIM_400000_NS6detail17trampoline_kernelINS0_14default_configENS1_27lower_bound_config_selectorIjlEEZNS1_14transform_implILb0ES3_S5_N6thrust23THRUST_200600_302600_NS6detail15normal_iteratorINS8_7pointerIjNS8_11hip_rocprim5par_tENS8_11use_defaultESE_EEEENSA_INSB_IlSD_SE_SE_EEEEZNS1_13binary_searchIS3_S5_NSA_INS8_10device_ptrIjEEEESG_SI_NS1_21lower_bound_search_opENS9_16wrapped_functionINS8_6system6detail7generic6detail18binary_search_lessEbEEEE10hipError_tPvRmT1_T2_T3_mmT4_T5_P12ihipStream_tbEUlRKjE_EESV_SZ_S10_mS11_S14_bEUlT_E_NS1_11comp_targetILNS1_3genE10ELNS1_11target_archE1200ELNS1_3gpuE4ELNS1_3repE0EEENS1_30default_config_static_selectorELNS0_4arch9wavefront6targetE0EEEvSY_ ; -- Begin function _ZN7rocprim17ROCPRIM_400000_NS6detail17trampoline_kernelINS0_14default_configENS1_27lower_bound_config_selectorIjlEEZNS1_14transform_implILb0ES3_S5_N6thrust23THRUST_200600_302600_NS6detail15normal_iteratorINS8_7pointerIjNS8_11hip_rocprim5par_tENS8_11use_defaultESE_EEEENSA_INSB_IlSD_SE_SE_EEEEZNS1_13binary_searchIS3_S5_NSA_INS8_10device_ptrIjEEEESG_SI_NS1_21lower_bound_search_opENS9_16wrapped_functionINS8_6system6detail7generic6detail18binary_search_lessEbEEEE10hipError_tPvRmT1_T2_T3_mmT4_T5_P12ihipStream_tbEUlRKjE_EESV_SZ_S10_mS11_S14_bEUlT_E_NS1_11comp_targetILNS1_3genE10ELNS1_11target_archE1200ELNS1_3gpuE4ELNS1_3repE0EEENS1_30default_config_static_selectorELNS0_4arch9wavefront6targetE0EEEvSY_
	.globl	_ZN7rocprim17ROCPRIM_400000_NS6detail17trampoline_kernelINS0_14default_configENS1_27lower_bound_config_selectorIjlEEZNS1_14transform_implILb0ES3_S5_N6thrust23THRUST_200600_302600_NS6detail15normal_iteratorINS8_7pointerIjNS8_11hip_rocprim5par_tENS8_11use_defaultESE_EEEENSA_INSB_IlSD_SE_SE_EEEEZNS1_13binary_searchIS3_S5_NSA_INS8_10device_ptrIjEEEESG_SI_NS1_21lower_bound_search_opENS9_16wrapped_functionINS8_6system6detail7generic6detail18binary_search_lessEbEEEE10hipError_tPvRmT1_T2_T3_mmT4_T5_P12ihipStream_tbEUlRKjE_EESV_SZ_S10_mS11_S14_bEUlT_E_NS1_11comp_targetILNS1_3genE10ELNS1_11target_archE1200ELNS1_3gpuE4ELNS1_3repE0EEENS1_30default_config_static_selectorELNS0_4arch9wavefront6targetE0EEEvSY_
	.p2align	8
	.type	_ZN7rocprim17ROCPRIM_400000_NS6detail17trampoline_kernelINS0_14default_configENS1_27lower_bound_config_selectorIjlEEZNS1_14transform_implILb0ES3_S5_N6thrust23THRUST_200600_302600_NS6detail15normal_iteratorINS8_7pointerIjNS8_11hip_rocprim5par_tENS8_11use_defaultESE_EEEENSA_INSB_IlSD_SE_SE_EEEEZNS1_13binary_searchIS3_S5_NSA_INS8_10device_ptrIjEEEESG_SI_NS1_21lower_bound_search_opENS9_16wrapped_functionINS8_6system6detail7generic6detail18binary_search_lessEbEEEE10hipError_tPvRmT1_T2_T3_mmT4_T5_P12ihipStream_tbEUlRKjE_EESV_SZ_S10_mS11_S14_bEUlT_E_NS1_11comp_targetILNS1_3genE10ELNS1_11target_archE1200ELNS1_3gpuE4ELNS1_3repE0EEENS1_30default_config_static_selectorELNS0_4arch9wavefront6targetE0EEEvSY_,@function
_ZN7rocprim17ROCPRIM_400000_NS6detail17trampoline_kernelINS0_14default_configENS1_27lower_bound_config_selectorIjlEEZNS1_14transform_implILb0ES3_S5_N6thrust23THRUST_200600_302600_NS6detail15normal_iteratorINS8_7pointerIjNS8_11hip_rocprim5par_tENS8_11use_defaultESE_EEEENSA_INSB_IlSD_SE_SE_EEEEZNS1_13binary_searchIS3_S5_NSA_INS8_10device_ptrIjEEEESG_SI_NS1_21lower_bound_search_opENS9_16wrapped_functionINS8_6system6detail7generic6detail18binary_search_lessEbEEEE10hipError_tPvRmT1_T2_T3_mmT4_T5_P12ihipStream_tbEUlRKjE_EESV_SZ_S10_mS11_S14_bEUlT_E_NS1_11comp_targetILNS1_3genE10ELNS1_11target_archE1200ELNS1_3gpuE4ELNS1_3repE0EEENS1_30default_config_static_selectorELNS0_4arch9wavefront6targetE0EEEvSY_: ; @_ZN7rocprim17ROCPRIM_400000_NS6detail17trampoline_kernelINS0_14default_configENS1_27lower_bound_config_selectorIjlEEZNS1_14transform_implILb0ES3_S5_N6thrust23THRUST_200600_302600_NS6detail15normal_iteratorINS8_7pointerIjNS8_11hip_rocprim5par_tENS8_11use_defaultESE_EEEENSA_INSB_IlSD_SE_SE_EEEEZNS1_13binary_searchIS3_S5_NSA_INS8_10device_ptrIjEEEESG_SI_NS1_21lower_bound_search_opENS9_16wrapped_functionINS8_6system6detail7generic6detail18binary_search_lessEbEEEE10hipError_tPvRmT1_T2_T3_mmT4_T5_P12ihipStream_tbEUlRKjE_EESV_SZ_S10_mS11_S14_bEUlT_E_NS1_11comp_targetILNS1_3genE10ELNS1_11target_archE1200ELNS1_3gpuE4ELNS1_3repE0EEENS1_30default_config_static_selectorELNS0_4arch9wavefront6targetE0EEEvSY_
; %bb.0:
	.section	.rodata,"a",@progbits
	.p2align	6, 0x0
	.amdhsa_kernel _ZN7rocprim17ROCPRIM_400000_NS6detail17trampoline_kernelINS0_14default_configENS1_27lower_bound_config_selectorIjlEEZNS1_14transform_implILb0ES3_S5_N6thrust23THRUST_200600_302600_NS6detail15normal_iteratorINS8_7pointerIjNS8_11hip_rocprim5par_tENS8_11use_defaultESE_EEEENSA_INSB_IlSD_SE_SE_EEEEZNS1_13binary_searchIS3_S5_NSA_INS8_10device_ptrIjEEEESG_SI_NS1_21lower_bound_search_opENS9_16wrapped_functionINS8_6system6detail7generic6detail18binary_search_lessEbEEEE10hipError_tPvRmT1_T2_T3_mmT4_T5_P12ihipStream_tbEUlRKjE_EESV_SZ_S10_mS11_S14_bEUlT_E_NS1_11comp_targetILNS1_3genE10ELNS1_11target_archE1200ELNS1_3gpuE4ELNS1_3repE0EEENS1_30default_config_static_selectorELNS0_4arch9wavefront6targetE0EEEvSY_
		.amdhsa_group_segment_fixed_size 0
		.amdhsa_private_segment_fixed_size 0
		.amdhsa_kernarg_size 56
		.amdhsa_user_sgpr_count 6
		.amdhsa_user_sgpr_private_segment_buffer 1
		.amdhsa_user_sgpr_dispatch_ptr 0
		.amdhsa_user_sgpr_queue_ptr 0
		.amdhsa_user_sgpr_kernarg_segment_ptr 1
		.amdhsa_user_sgpr_dispatch_id 0
		.amdhsa_user_sgpr_flat_scratch_init 0
		.amdhsa_user_sgpr_private_segment_size 0
		.amdhsa_wavefront_size32 1
		.amdhsa_uses_dynamic_stack 0
		.amdhsa_system_sgpr_private_segment_wavefront_offset 0
		.amdhsa_system_sgpr_workgroup_id_x 1
		.amdhsa_system_sgpr_workgroup_id_y 0
		.amdhsa_system_sgpr_workgroup_id_z 0
		.amdhsa_system_sgpr_workgroup_info 0
		.amdhsa_system_vgpr_workitem_id 0
		.amdhsa_next_free_vgpr 1
		.amdhsa_next_free_sgpr 1
		.amdhsa_reserve_vcc 0
		.amdhsa_reserve_flat_scratch 0
		.amdhsa_float_round_mode_32 0
		.amdhsa_float_round_mode_16_64 0
		.amdhsa_float_denorm_mode_32 3
		.amdhsa_float_denorm_mode_16_64 3
		.amdhsa_dx10_clamp 1
		.amdhsa_ieee_mode 1
		.amdhsa_fp16_overflow 0
		.amdhsa_workgroup_processor_mode 1
		.amdhsa_memory_ordered 1
		.amdhsa_forward_progress 1
		.amdhsa_shared_vgpr_count 0
		.amdhsa_exception_fp_ieee_invalid_op 0
		.amdhsa_exception_fp_denorm_src 0
		.amdhsa_exception_fp_ieee_div_zero 0
		.amdhsa_exception_fp_ieee_overflow 0
		.amdhsa_exception_fp_ieee_underflow 0
		.amdhsa_exception_fp_ieee_inexact 0
		.amdhsa_exception_int_div_zero 0
	.end_amdhsa_kernel
	.section	.text._ZN7rocprim17ROCPRIM_400000_NS6detail17trampoline_kernelINS0_14default_configENS1_27lower_bound_config_selectorIjlEEZNS1_14transform_implILb0ES3_S5_N6thrust23THRUST_200600_302600_NS6detail15normal_iteratorINS8_7pointerIjNS8_11hip_rocprim5par_tENS8_11use_defaultESE_EEEENSA_INSB_IlSD_SE_SE_EEEEZNS1_13binary_searchIS3_S5_NSA_INS8_10device_ptrIjEEEESG_SI_NS1_21lower_bound_search_opENS9_16wrapped_functionINS8_6system6detail7generic6detail18binary_search_lessEbEEEE10hipError_tPvRmT1_T2_T3_mmT4_T5_P12ihipStream_tbEUlRKjE_EESV_SZ_S10_mS11_S14_bEUlT_E_NS1_11comp_targetILNS1_3genE10ELNS1_11target_archE1200ELNS1_3gpuE4ELNS1_3repE0EEENS1_30default_config_static_selectorELNS0_4arch9wavefront6targetE0EEEvSY_,"axG",@progbits,_ZN7rocprim17ROCPRIM_400000_NS6detail17trampoline_kernelINS0_14default_configENS1_27lower_bound_config_selectorIjlEEZNS1_14transform_implILb0ES3_S5_N6thrust23THRUST_200600_302600_NS6detail15normal_iteratorINS8_7pointerIjNS8_11hip_rocprim5par_tENS8_11use_defaultESE_EEEENSA_INSB_IlSD_SE_SE_EEEEZNS1_13binary_searchIS3_S5_NSA_INS8_10device_ptrIjEEEESG_SI_NS1_21lower_bound_search_opENS9_16wrapped_functionINS8_6system6detail7generic6detail18binary_search_lessEbEEEE10hipError_tPvRmT1_T2_T3_mmT4_T5_P12ihipStream_tbEUlRKjE_EESV_SZ_S10_mS11_S14_bEUlT_E_NS1_11comp_targetILNS1_3genE10ELNS1_11target_archE1200ELNS1_3gpuE4ELNS1_3repE0EEENS1_30default_config_static_selectorELNS0_4arch9wavefront6targetE0EEEvSY_,comdat
.Lfunc_end373:
	.size	_ZN7rocprim17ROCPRIM_400000_NS6detail17trampoline_kernelINS0_14default_configENS1_27lower_bound_config_selectorIjlEEZNS1_14transform_implILb0ES3_S5_N6thrust23THRUST_200600_302600_NS6detail15normal_iteratorINS8_7pointerIjNS8_11hip_rocprim5par_tENS8_11use_defaultESE_EEEENSA_INSB_IlSD_SE_SE_EEEEZNS1_13binary_searchIS3_S5_NSA_INS8_10device_ptrIjEEEESG_SI_NS1_21lower_bound_search_opENS9_16wrapped_functionINS8_6system6detail7generic6detail18binary_search_lessEbEEEE10hipError_tPvRmT1_T2_T3_mmT4_T5_P12ihipStream_tbEUlRKjE_EESV_SZ_S10_mS11_S14_bEUlT_E_NS1_11comp_targetILNS1_3genE10ELNS1_11target_archE1200ELNS1_3gpuE4ELNS1_3repE0EEENS1_30default_config_static_selectorELNS0_4arch9wavefront6targetE0EEEvSY_, .Lfunc_end373-_ZN7rocprim17ROCPRIM_400000_NS6detail17trampoline_kernelINS0_14default_configENS1_27lower_bound_config_selectorIjlEEZNS1_14transform_implILb0ES3_S5_N6thrust23THRUST_200600_302600_NS6detail15normal_iteratorINS8_7pointerIjNS8_11hip_rocprim5par_tENS8_11use_defaultESE_EEEENSA_INSB_IlSD_SE_SE_EEEEZNS1_13binary_searchIS3_S5_NSA_INS8_10device_ptrIjEEEESG_SI_NS1_21lower_bound_search_opENS9_16wrapped_functionINS8_6system6detail7generic6detail18binary_search_lessEbEEEE10hipError_tPvRmT1_T2_T3_mmT4_T5_P12ihipStream_tbEUlRKjE_EESV_SZ_S10_mS11_S14_bEUlT_E_NS1_11comp_targetILNS1_3genE10ELNS1_11target_archE1200ELNS1_3gpuE4ELNS1_3repE0EEENS1_30default_config_static_selectorELNS0_4arch9wavefront6targetE0EEEvSY_
                                        ; -- End function
	.set _ZN7rocprim17ROCPRIM_400000_NS6detail17trampoline_kernelINS0_14default_configENS1_27lower_bound_config_selectorIjlEEZNS1_14transform_implILb0ES3_S5_N6thrust23THRUST_200600_302600_NS6detail15normal_iteratorINS8_7pointerIjNS8_11hip_rocprim5par_tENS8_11use_defaultESE_EEEENSA_INSB_IlSD_SE_SE_EEEEZNS1_13binary_searchIS3_S5_NSA_INS8_10device_ptrIjEEEESG_SI_NS1_21lower_bound_search_opENS9_16wrapped_functionINS8_6system6detail7generic6detail18binary_search_lessEbEEEE10hipError_tPvRmT1_T2_T3_mmT4_T5_P12ihipStream_tbEUlRKjE_EESV_SZ_S10_mS11_S14_bEUlT_E_NS1_11comp_targetILNS1_3genE10ELNS1_11target_archE1200ELNS1_3gpuE4ELNS1_3repE0EEENS1_30default_config_static_selectorELNS0_4arch9wavefront6targetE0EEEvSY_.num_vgpr, 0
	.set _ZN7rocprim17ROCPRIM_400000_NS6detail17trampoline_kernelINS0_14default_configENS1_27lower_bound_config_selectorIjlEEZNS1_14transform_implILb0ES3_S5_N6thrust23THRUST_200600_302600_NS6detail15normal_iteratorINS8_7pointerIjNS8_11hip_rocprim5par_tENS8_11use_defaultESE_EEEENSA_INSB_IlSD_SE_SE_EEEEZNS1_13binary_searchIS3_S5_NSA_INS8_10device_ptrIjEEEESG_SI_NS1_21lower_bound_search_opENS9_16wrapped_functionINS8_6system6detail7generic6detail18binary_search_lessEbEEEE10hipError_tPvRmT1_T2_T3_mmT4_T5_P12ihipStream_tbEUlRKjE_EESV_SZ_S10_mS11_S14_bEUlT_E_NS1_11comp_targetILNS1_3genE10ELNS1_11target_archE1200ELNS1_3gpuE4ELNS1_3repE0EEENS1_30default_config_static_selectorELNS0_4arch9wavefront6targetE0EEEvSY_.num_agpr, 0
	.set _ZN7rocprim17ROCPRIM_400000_NS6detail17trampoline_kernelINS0_14default_configENS1_27lower_bound_config_selectorIjlEEZNS1_14transform_implILb0ES3_S5_N6thrust23THRUST_200600_302600_NS6detail15normal_iteratorINS8_7pointerIjNS8_11hip_rocprim5par_tENS8_11use_defaultESE_EEEENSA_INSB_IlSD_SE_SE_EEEEZNS1_13binary_searchIS3_S5_NSA_INS8_10device_ptrIjEEEESG_SI_NS1_21lower_bound_search_opENS9_16wrapped_functionINS8_6system6detail7generic6detail18binary_search_lessEbEEEE10hipError_tPvRmT1_T2_T3_mmT4_T5_P12ihipStream_tbEUlRKjE_EESV_SZ_S10_mS11_S14_bEUlT_E_NS1_11comp_targetILNS1_3genE10ELNS1_11target_archE1200ELNS1_3gpuE4ELNS1_3repE0EEENS1_30default_config_static_selectorELNS0_4arch9wavefront6targetE0EEEvSY_.numbered_sgpr, 0
	.set _ZN7rocprim17ROCPRIM_400000_NS6detail17trampoline_kernelINS0_14default_configENS1_27lower_bound_config_selectorIjlEEZNS1_14transform_implILb0ES3_S5_N6thrust23THRUST_200600_302600_NS6detail15normal_iteratorINS8_7pointerIjNS8_11hip_rocprim5par_tENS8_11use_defaultESE_EEEENSA_INSB_IlSD_SE_SE_EEEEZNS1_13binary_searchIS3_S5_NSA_INS8_10device_ptrIjEEEESG_SI_NS1_21lower_bound_search_opENS9_16wrapped_functionINS8_6system6detail7generic6detail18binary_search_lessEbEEEE10hipError_tPvRmT1_T2_T3_mmT4_T5_P12ihipStream_tbEUlRKjE_EESV_SZ_S10_mS11_S14_bEUlT_E_NS1_11comp_targetILNS1_3genE10ELNS1_11target_archE1200ELNS1_3gpuE4ELNS1_3repE0EEENS1_30default_config_static_selectorELNS0_4arch9wavefront6targetE0EEEvSY_.num_named_barrier, 0
	.set _ZN7rocprim17ROCPRIM_400000_NS6detail17trampoline_kernelINS0_14default_configENS1_27lower_bound_config_selectorIjlEEZNS1_14transform_implILb0ES3_S5_N6thrust23THRUST_200600_302600_NS6detail15normal_iteratorINS8_7pointerIjNS8_11hip_rocprim5par_tENS8_11use_defaultESE_EEEENSA_INSB_IlSD_SE_SE_EEEEZNS1_13binary_searchIS3_S5_NSA_INS8_10device_ptrIjEEEESG_SI_NS1_21lower_bound_search_opENS9_16wrapped_functionINS8_6system6detail7generic6detail18binary_search_lessEbEEEE10hipError_tPvRmT1_T2_T3_mmT4_T5_P12ihipStream_tbEUlRKjE_EESV_SZ_S10_mS11_S14_bEUlT_E_NS1_11comp_targetILNS1_3genE10ELNS1_11target_archE1200ELNS1_3gpuE4ELNS1_3repE0EEENS1_30default_config_static_selectorELNS0_4arch9wavefront6targetE0EEEvSY_.private_seg_size, 0
	.set _ZN7rocprim17ROCPRIM_400000_NS6detail17trampoline_kernelINS0_14default_configENS1_27lower_bound_config_selectorIjlEEZNS1_14transform_implILb0ES3_S5_N6thrust23THRUST_200600_302600_NS6detail15normal_iteratorINS8_7pointerIjNS8_11hip_rocprim5par_tENS8_11use_defaultESE_EEEENSA_INSB_IlSD_SE_SE_EEEEZNS1_13binary_searchIS3_S5_NSA_INS8_10device_ptrIjEEEESG_SI_NS1_21lower_bound_search_opENS9_16wrapped_functionINS8_6system6detail7generic6detail18binary_search_lessEbEEEE10hipError_tPvRmT1_T2_T3_mmT4_T5_P12ihipStream_tbEUlRKjE_EESV_SZ_S10_mS11_S14_bEUlT_E_NS1_11comp_targetILNS1_3genE10ELNS1_11target_archE1200ELNS1_3gpuE4ELNS1_3repE0EEENS1_30default_config_static_selectorELNS0_4arch9wavefront6targetE0EEEvSY_.uses_vcc, 0
	.set _ZN7rocprim17ROCPRIM_400000_NS6detail17trampoline_kernelINS0_14default_configENS1_27lower_bound_config_selectorIjlEEZNS1_14transform_implILb0ES3_S5_N6thrust23THRUST_200600_302600_NS6detail15normal_iteratorINS8_7pointerIjNS8_11hip_rocprim5par_tENS8_11use_defaultESE_EEEENSA_INSB_IlSD_SE_SE_EEEEZNS1_13binary_searchIS3_S5_NSA_INS8_10device_ptrIjEEEESG_SI_NS1_21lower_bound_search_opENS9_16wrapped_functionINS8_6system6detail7generic6detail18binary_search_lessEbEEEE10hipError_tPvRmT1_T2_T3_mmT4_T5_P12ihipStream_tbEUlRKjE_EESV_SZ_S10_mS11_S14_bEUlT_E_NS1_11comp_targetILNS1_3genE10ELNS1_11target_archE1200ELNS1_3gpuE4ELNS1_3repE0EEENS1_30default_config_static_selectorELNS0_4arch9wavefront6targetE0EEEvSY_.uses_flat_scratch, 0
	.set _ZN7rocprim17ROCPRIM_400000_NS6detail17trampoline_kernelINS0_14default_configENS1_27lower_bound_config_selectorIjlEEZNS1_14transform_implILb0ES3_S5_N6thrust23THRUST_200600_302600_NS6detail15normal_iteratorINS8_7pointerIjNS8_11hip_rocprim5par_tENS8_11use_defaultESE_EEEENSA_INSB_IlSD_SE_SE_EEEEZNS1_13binary_searchIS3_S5_NSA_INS8_10device_ptrIjEEEESG_SI_NS1_21lower_bound_search_opENS9_16wrapped_functionINS8_6system6detail7generic6detail18binary_search_lessEbEEEE10hipError_tPvRmT1_T2_T3_mmT4_T5_P12ihipStream_tbEUlRKjE_EESV_SZ_S10_mS11_S14_bEUlT_E_NS1_11comp_targetILNS1_3genE10ELNS1_11target_archE1200ELNS1_3gpuE4ELNS1_3repE0EEENS1_30default_config_static_selectorELNS0_4arch9wavefront6targetE0EEEvSY_.has_dyn_sized_stack, 0
	.set _ZN7rocprim17ROCPRIM_400000_NS6detail17trampoline_kernelINS0_14default_configENS1_27lower_bound_config_selectorIjlEEZNS1_14transform_implILb0ES3_S5_N6thrust23THRUST_200600_302600_NS6detail15normal_iteratorINS8_7pointerIjNS8_11hip_rocprim5par_tENS8_11use_defaultESE_EEEENSA_INSB_IlSD_SE_SE_EEEEZNS1_13binary_searchIS3_S5_NSA_INS8_10device_ptrIjEEEESG_SI_NS1_21lower_bound_search_opENS9_16wrapped_functionINS8_6system6detail7generic6detail18binary_search_lessEbEEEE10hipError_tPvRmT1_T2_T3_mmT4_T5_P12ihipStream_tbEUlRKjE_EESV_SZ_S10_mS11_S14_bEUlT_E_NS1_11comp_targetILNS1_3genE10ELNS1_11target_archE1200ELNS1_3gpuE4ELNS1_3repE0EEENS1_30default_config_static_selectorELNS0_4arch9wavefront6targetE0EEEvSY_.has_recursion, 0
	.set _ZN7rocprim17ROCPRIM_400000_NS6detail17trampoline_kernelINS0_14default_configENS1_27lower_bound_config_selectorIjlEEZNS1_14transform_implILb0ES3_S5_N6thrust23THRUST_200600_302600_NS6detail15normal_iteratorINS8_7pointerIjNS8_11hip_rocprim5par_tENS8_11use_defaultESE_EEEENSA_INSB_IlSD_SE_SE_EEEEZNS1_13binary_searchIS3_S5_NSA_INS8_10device_ptrIjEEEESG_SI_NS1_21lower_bound_search_opENS9_16wrapped_functionINS8_6system6detail7generic6detail18binary_search_lessEbEEEE10hipError_tPvRmT1_T2_T3_mmT4_T5_P12ihipStream_tbEUlRKjE_EESV_SZ_S10_mS11_S14_bEUlT_E_NS1_11comp_targetILNS1_3genE10ELNS1_11target_archE1200ELNS1_3gpuE4ELNS1_3repE0EEENS1_30default_config_static_selectorELNS0_4arch9wavefront6targetE0EEEvSY_.has_indirect_call, 0
	.section	.AMDGPU.csdata,"",@progbits
; Kernel info:
; codeLenInByte = 0
; TotalNumSgprs: 0
; NumVgprs: 0
; ScratchSize: 0
; MemoryBound: 0
; FloatMode: 240
; IeeeMode: 1
; LDSByteSize: 0 bytes/workgroup (compile time only)
; SGPRBlocks: 0
; VGPRBlocks: 0
; NumSGPRsForWavesPerEU: 1
; NumVGPRsForWavesPerEU: 1
; Occupancy: 16
; WaveLimiterHint : 0
; COMPUTE_PGM_RSRC2:SCRATCH_EN: 0
; COMPUTE_PGM_RSRC2:USER_SGPR: 6
; COMPUTE_PGM_RSRC2:TRAP_HANDLER: 0
; COMPUTE_PGM_RSRC2:TGID_X_EN: 1
; COMPUTE_PGM_RSRC2:TGID_Y_EN: 0
; COMPUTE_PGM_RSRC2:TGID_Z_EN: 0
; COMPUTE_PGM_RSRC2:TIDIG_COMP_CNT: 0
	.section	.text._ZN7rocprim17ROCPRIM_400000_NS6detail17trampoline_kernelINS0_14default_configENS1_27lower_bound_config_selectorIjlEEZNS1_14transform_implILb0ES3_S5_N6thrust23THRUST_200600_302600_NS6detail15normal_iteratorINS8_7pointerIjNS8_11hip_rocprim5par_tENS8_11use_defaultESE_EEEENSA_INSB_IlSD_SE_SE_EEEEZNS1_13binary_searchIS3_S5_NSA_INS8_10device_ptrIjEEEESG_SI_NS1_21lower_bound_search_opENS9_16wrapped_functionINS8_6system6detail7generic6detail18binary_search_lessEbEEEE10hipError_tPvRmT1_T2_T3_mmT4_T5_P12ihipStream_tbEUlRKjE_EESV_SZ_S10_mS11_S14_bEUlT_E_NS1_11comp_targetILNS1_3genE9ELNS1_11target_archE1100ELNS1_3gpuE3ELNS1_3repE0EEENS1_30default_config_static_selectorELNS0_4arch9wavefront6targetE0EEEvSY_,"axG",@progbits,_ZN7rocprim17ROCPRIM_400000_NS6detail17trampoline_kernelINS0_14default_configENS1_27lower_bound_config_selectorIjlEEZNS1_14transform_implILb0ES3_S5_N6thrust23THRUST_200600_302600_NS6detail15normal_iteratorINS8_7pointerIjNS8_11hip_rocprim5par_tENS8_11use_defaultESE_EEEENSA_INSB_IlSD_SE_SE_EEEEZNS1_13binary_searchIS3_S5_NSA_INS8_10device_ptrIjEEEESG_SI_NS1_21lower_bound_search_opENS9_16wrapped_functionINS8_6system6detail7generic6detail18binary_search_lessEbEEEE10hipError_tPvRmT1_T2_T3_mmT4_T5_P12ihipStream_tbEUlRKjE_EESV_SZ_S10_mS11_S14_bEUlT_E_NS1_11comp_targetILNS1_3genE9ELNS1_11target_archE1100ELNS1_3gpuE3ELNS1_3repE0EEENS1_30default_config_static_selectorELNS0_4arch9wavefront6targetE0EEEvSY_,comdat
	.protected	_ZN7rocprim17ROCPRIM_400000_NS6detail17trampoline_kernelINS0_14default_configENS1_27lower_bound_config_selectorIjlEEZNS1_14transform_implILb0ES3_S5_N6thrust23THRUST_200600_302600_NS6detail15normal_iteratorINS8_7pointerIjNS8_11hip_rocprim5par_tENS8_11use_defaultESE_EEEENSA_INSB_IlSD_SE_SE_EEEEZNS1_13binary_searchIS3_S5_NSA_INS8_10device_ptrIjEEEESG_SI_NS1_21lower_bound_search_opENS9_16wrapped_functionINS8_6system6detail7generic6detail18binary_search_lessEbEEEE10hipError_tPvRmT1_T2_T3_mmT4_T5_P12ihipStream_tbEUlRKjE_EESV_SZ_S10_mS11_S14_bEUlT_E_NS1_11comp_targetILNS1_3genE9ELNS1_11target_archE1100ELNS1_3gpuE3ELNS1_3repE0EEENS1_30default_config_static_selectorELNS0_4arch9wavefront6targetE0EEEvSY_ ; -- Begin function _ZN7rocprim17ROCPRIM_400000_NS6detail17trampoline_kernelINS0_14default_configENS1_27lower_bound_config_selectorIjlEEZNS1_14transform_implILb0ES3_S5_N6thrust23THRUST_200600_302600_NS6detail15normal_iteratorINS8_7pointerIjNS8_11hip_rocprim5par_tENS8_11use_defaultESE_EEEENSA_INSB_IlSD_SE_SE_EEEEZNS1_13binary_searchIS3_S5_NSA_INS8_10device_ptrIjEEEESG_SI_NS1_21lower_bound_search_opENS9_16wrapped_functionINS8_6system6detail7generic6detail18binary_search_lessEbEEEE10hipError_tPvRmT1_T2_T3_mmT4_T5_P12ihipStream_tbEUlRKjE_EESV_SZ_S10_mS11_S14_bEUlT_E_NS1_11comp_targetILNS1_3genE9ELNS1_11target_archE1100ELNS1_3gpuE3ELNS1_3repE0EEENS1_30default_config_static_selectorELNS0_4arch9wavefront6targetE0EEEvSY_
	.globl	_ZN7rocprim17ROCPRIM_400000_NS6detail17trampoline_kernelINS0_14default_configENS1_27lower_bound_config_selectorIjlEEZNS1_14transform_implILb0ES3_S5_N6thrust23THRUST_200600_302600_NS6detail15normal_iteratorINS8_7pointerIjNS8_11hip_rocprim5par_tENS8_11use_defaultESE_EEEENSA_INSB_IlSD_SE_SE_EEEEZNS1_13binary_searchIS3_S5_NSA_INS8_10device_ptrIjEEEESG_SI_NS1_21lower_bound_search_opENS9_16wrapped_functionINS8_6system6detail7generic6detail18binary_search_lessEbEEEE10hipError_tPvRmT1_T2_T3_mmT4_T5_P12ihipStream_tbEUlRKjE_EESV_SZ_S10_mS11_S14_bEUlT_E_NS1_11comp_targetILNS1_3genE9ELNS1_11target_archE1100ELNS1_3gpuE3ELNS1_3repE0EEENS1_30default_config_static_selectorELNS0_4arch9wavefront6targetE0EEEvSY_
	.p2align	8
	.type	_ZN7rocprim17ROCPRIM_400000_NS6detail17trampoline_kernelINS0_14default_configENS1_27lower_bound_config_selectorIjlEEZNS1_14transform_implILb0ES3_S5_N6thrust23THRUST_200600_302600_NS6detail15normal_iteratorINS8_7pointerIjNS8_11hip_rocprim5par_tENS8_11use_defaultESE_EEEENSA_INSB_IlSD_SE_SE_EEEEZNS1_13binary_searchIS3_S5_NSA_INS8_10device_ptrIjEEEESG_SI_NS1_21lower_bound_search_opENS9_16wrapped_functionINS8_6system6detail7generic6detail18binary_search_lessEbEEEE10hipError_tPvRmT1_T2_T3_mmT4_T5_P12ihipStream_tbEUlRKjE_EESV_SZ_S10_mS11_S14_bEUlT_E_NS1_11comp_targetILNS1_3genE9ELNS1_11target_archE1100ELNS1_3gpuE3ELNS1_3repE0EEENS1_30default_config_static_selectorELNS0_4arch9wavefront6targetE0EEEvSY_,@function
_ZN7rocprim17ROCPRIM_400000_NS6detail17trampoline_kernelINS0_14default_configENS1_27lower_bound_config_selectorIjlEEZNS1_14transform_implILb0ES3_S5_N6thrust23THRUST_200600_302600_NS6detail15normal_iteratorINS8_7pointerIjNS8_11hip_rocprim5par_tENS8_11use_defaultESE_EEEENSA_INSB_IlSD_SE_SE_EEEEZNS1_13binary_searchIS3_S5_NSA_INS8_10device_ptrIjEEEESG_SI_NS1_21lower_bound_search_opENS9_16wrapped_functionINS8_6system6detail7generic6detail18binary_search_lessEbEEEE10hipError_tPvRmT1_T2_T3_mmT4_T5_P12ihipStream_tbEUlRKjE_EESV_SZ_S10_mS11_S14_bEUlT_E_NS1_11comp_targetILNS1_3genE9ELNS1_11target_archE1100ELNS1_3gpuE3ELNS1_3repE0EEENS1_30default_config_static_selectorELNS0_4arch9wavefront6targetE0EEEvSY_: ; @_ZN7rocprim17ROCPRIM_400000_NS6detail17trampoline_kernelINS0_14default_configENS1_27lower_bound_config_selectorIjlEEZNS1_14transform_implILb0ES3_S5_N6thrust23THRUST_200600_302600_NS6detail15normal_iteratorINS8_7pointerIjNS8_11hip_rocprim5par_tENS8_11use_defaultESE_EEEENSA_INSB_IlSD_SE_SE_EEEEZNS1_13binary_searchIS3_S5_NSA_INS8_10device_ptrIjEEEESG_SI_NS1_21lower_bound_search_opENS9_16wrapped_functionINS8_6system6detail7generic6detail18binary_search_lessEbEEEE10hipError_tPvRmT1_T2_T3_mmT4_T5_P12ihipStream_tbEUlRKjE_EESV_SZ_S10_mS11_S14_bEUlT_E_NS1_11comp_targetILNS1_3genE9ELNS1_11target_archE1100ELNS1_3gpuE3ELNS1_3repE0EEENS1_30default_config_static_selectorELNS0_4arch9wavefront6targetE0EEEvSY_
; %bb.0:
	.section	.rodata,"a",@progbits
	.p2align	6, 0x0
	.amdhsa_kernel _ZN7rocprim17ROCPRIM_400000_NS6detail17trampoline_kernelINS0_14default_configENS1_27lower_bound_config_selectorIjlEEZNS1_14transform_implILb0ES3_S5_N6thrust23THRUST_200600_302600_NS6detail15normal_iteratorINS8_7pointerIjNS8_11hip_rocprim5par_tENS8_11use_defaultESE_EEEENSA_INSB_IlSD_SE_SE_EEEEZNS1_13binary_searchIS3_S5_NSA_INS8_10device_ptrIjEEEESG_SI_NS1_21lower_bound_search_opENS9_16wrapped_functionINS8_6system6detail7generic6detail18binary_search_lessEbEEEE10hipError_tPvRmT1_T2_T3_mmT4_T5_P12ihipStream_tbEUlRKjE_EESV_SZ_S10_mS11_S14_bEUlT_E_NS1_11comp_targetILNS1_3genE9ELNS1_11target_archE1100ELNS1_3gpuE3ELNS1_3repE0EEENS1_30default_config_static_selectorELNS0_4arch9wavefront6targetE0EEEvSY_
		.amdhsa_group_segment_fixed_size 0
		.amdhsa_private_segment_fixed_size 0
		.amdhsa_kernarg_size 56
		.amdhsa_user_sgpr_count 6
		.amdhsa_user_sgpr_private_segment_buffer 1
		.amdhsa_user_sgpr_dispatch_ptr 0
		.amdhsa_user_sgpr_queue_ptr 0
		.amdhsa_user_sgpr_kernarg_segment_ptr 1
		.amdhsa_user_sgpr_dispatch_id 0
		.amdhsa_user_sgpr_flat_scratch_init 0
		.amdhsa_user_sgpr_private_segment_size 0
		.amdhsa_wavefront_size32 1
		.amdhsa_uses_dynamic_stack 0
		.amdhsa_system_sgpr_private_segment_wavefront_offset 0
		.amdhsa_system_sgpr_workgroup_id_x 1
		.amdhsa_system_sgpr_workgroup_id_y 0
		.amdhsa_system_sgpr_workgroup_id_z 0
		.amdhsa_system_sgpr_workgroup_info 0
		.amdhsa_system_vgpr_workitem_id 0
		.amdhsa_next_free_vgpr 1
		.amdhsa_next_free_sgpr 1
		.amdhsa_reserve_vcc 0
		.amdhsa_reserve_flat_scratch 0
		.amdhsa_float_round_mode_32 0
		.amdhsa_float_round_mode_16_64 0
		.amdhsa_float_denorm_mode_32 3
		.amdhsa_float_denorm_mode_16_64 3
		.amdhsa_dx10_clamp 1
		.amdhsa_ieee_mode 1
		.amdhsa_fp16_overflow 0
		.amdhsa_workgroup_processor_mode 1
		.amdhsa_memory_ordered 1
		.amdhsa_forward_progress 1
		.amdhsa_shared_vgpr_count 0
		.amdhsa_exception_fp_ieee_invalid_op 0
		.amdhsa_exception_fp_denorm_src 0
		.amdhsa_exception_fp_ieee_div_zero 0
		.amdhsa_exception_fp_ieee_overflow 0
		.amdhsa_exception_fp_ieee_underflow 0
		.amdhsa_exception_fp_ieee_inexact 0
		.amdhsa_exception_int_div_zero 0
	.end_amdhsa_kernel
	.section	.text._ZN7rocprim17ROCPRIM_400000_NS6detail17trampoline_kernelINS0_14default_configENS1_27lower_bound_config_selectorIjlEEZNS1_14transform_implILb0ES3_S5_N6thrust23THRUST_200600_302600_NS6detail15normal_iteratorINS8_7pointerIjNS8_11hip_rocprim5par_tENS8_11use_defaultESE_EEEENSA_INSB_IlSD_SE_SE_EEEEZNS1_13binary_searchIS3_S5_NSA_INS8_10device_ptrIjEEEESG_SI_NS1_21lower_bound_search_opENS9_16wrapped_functionINS8_6system6detail7generic6detail18binary_search_lessEbEEEE10hipError_tPvRmT1_T2_T3_mmT4_T5_P12ihipStream_tbEUlRKjE_EESV_SZ_S10_mS11_S14_bEUlT_E_NS1_11comp_targetILNS1_3genE9ELNS1_11target_archE1100ELNS1_3gpuE3ELNS1_3repE0EEENS1_30default_config_static_selectorELNS0_4arch9wavefront6targetE0EEEvSY_,"axG",@progbits,_ZN7rocprim17ROCPRIM_400000_NS6detail17trampoline_kernelINS0_14default_configENS1_27lower_bound_config_selectorIjlEEZNS1_14transform_implILb0ES3_S5_N6thrust23THRUST_200600_302600_NS6detail15normal_iteratorINS8_7pointerIjNS8_11hip_rocprim5par_tENS8_11use_defaultESE_EEEENSA_INSB_IlSD_SE_SE_EEEEZNS1_13binary_searchIS3_S5_NSA_INS8_10device_ptrIjEEEESG_SI_NS1_21lower_bound_search_opENS9_16wrapped_functionINS8_6system6detail7generic6detail18binary_search_lessEbEEEE10hipError_tPvRmT1_T2_T3_mmT4_T5_P12ihipStream_tbEUlRKjE_EESV_SZ_S10_mS11_S14_bEUlT_E_NS1_11comp_targetILNS1_3genE9ELNS1_11target_archE1100ELNS1_3gpuE3ELNS1_3repE0EEENS1_30default_config_static_selectorELNS0_4arch9wavefront6targetE0EEEvSY_,comdat
.Lfunc_end374:
	.size	_ZN7rocprim17ROCPRIM_400000_NS6detail17trampoline_kernelINS0_14default_configENS1_27lower_bound_config_selectorIjlEEZNS1_14transform_implILb0ES3_S5_N6thrust23THRUST_200600_302600_NS6detail15normal_iteratorINS8_7pointerIjNS8_11hip_rocprim5par_tENS8_11use_defaultESE_EEEENSA_INSB_IlSD_SE_SE_EEEEZNS1_13binary_searchIS3_S5_NSA_INS8_10device_ptrIjEEEESG_SI_NS1_21lower_bound_search_opENS9_16wrapped_functionINS8_6system6detail7generic6detail18binary_search_lessEbEEEE10hipError_tPvRmT1_T2_T3_mmT4_T5_P12ihipStream_tbEUlRKjE_EESV_SZ_S10_mS11_S14_bEUlT_E_NS1_11comp_targetILNS1_3genE9ELNS1_11target_archE1100ELNS1_3gpuE3ELNS1_3repE0EEENS1_30default_config_static_selectorELNS0_4arch9wavefront6targetE0EEEvSY_, .Lfunc_end374-_ZN7rocprim17ROCPRIM_400000_NS6detail17trampoline_kernelINS0_14default_configENS1_27lower_bound_config_selectorIjlEEZNS1_14transform_implILb0ES3_S5_N6thrust23THRUST_200600_302600_NS6detail15normal_iteratorINS8_7pointerIjNS8_11hip_rocprim5par_tENS8_11use_defaultESE_EEEENSA_INSB_IlSD_SE_SE_EEEEZNS1_13binary_searchIS3_S5_NSA_INS8_10device_ptrIjEEEESG_SI_NS1_21lower_bound_search_opENS9_16wrapped_functionINS8_6system6detail7generic6detail18binary_search_lessEbEEEE10hipError_tPvRmT1_T2_T3_mmT4_T5_P12ihipStream_tbEUlRKjE_EESV_SZ_S10_mS11_S14_bEUlT_E_NS1_11comp_targetILNS1_3genE9ELNS1_11target_archE1100ELNS1_3gpuE3ELNS1_3repE0EEENS1_30default_config_static_selectorELNS0_4arch9wavefront6targetE0EEEvSY_
                                        ; -- End function
	.set _ZN7rocprim17ROCPRIM_400000_NS6detail17trampoline_kernelINS0_14default_configENS1_27lower_bound_config_selectorIjlEEZNS1_14transform_implILb0ES3_S5_N6thrust23THRUST_200600_302600_NS6detail15normal_iteratorINS8_7pointerIjNS8_11hip_rocprim5par_tENS8_11use_defaultESE_EEEENSA_INSB_IlSD_SE_SE_EEEEZNS1_13binary_searchIS3_S5_NSA_INS8_10device_ptrIjEEEESG_SI_NS1_21lower_bound_search_opENS9_16wrapped_functionINS8_6system6detail7generic6detail18binary_search_lessEbEEEE10hipError_tPvRmT1_T2_T3_mmT4_T5_P12ihipStream_tbEUlRKjE_EESV_SZ_S10_mS11_S14_bEUlT_E_NS1_11comp_targetILNS1_3genE9ELNS1_11target_archE1100ELNS1_3gpuE3ELNS1_3repE0EEENS1_30default_config_static_selectorELNS0_4arch9wavefront6targetE0EEEvSY_.num_vgpr, 0
	.set _ZN7rocprim17ROCPRIM_400000_NS6detail17trampoline_kernelINS0_14default_configENS1_27lower_bound_config_selectorIjlEEZNS1_14transform_implILb0ES3_S5_N6thrust23THRUST_200600_302600_NS6detail15normal_iteratorINS8_7pointerIjNS8_11hip_rocprim5par_tENS8_11use_defaultESE_EEEENSA_INSB_IlSD_SE_SE_EEEEZNS1_13binary_searchIS3_S5_NSA_INS8_10device_ptrIjEEEESG_SI_NS1_21lower_bound_search_opENS9_16wrapped_functionINS8_6system6detail7generic6detail18binary_search_lessEbEEEE10hipError_tPvRmT1_T2_T3_mmT4_T5_P12ihipStream_tbEUlRKjE_EESV_SZ_S10_mS11_S14_bEUlT_E_NS1_11comp_targetILNS1_3genE9ELNS1_11target_archE1100ELNS1_3gpuE3ELNS1_3repE0EEENS1_30default_config_static_selectorELNS0_4arch9wavefront6targetE0EEEvSY_.num_agpr, 0
	.set _ZN7rocprim17ROCPRIM_400000_NS6detail17trampoline_kernelINS0_14default_configENS1_27lower_bound_config_selectorIjlEEZNS1_14transform_implILb0ES3_S5_N6thrust23THRUST_200600_302600_NS6detail15normal_iteratorINS8_7pointerIjNS8_11hip_rocprim5par_tENS8_11use_defaultESE_EEEENSA_INSB_IlSD_SE_SE_EEEEZNS1_13binary_searchIS3_S5_NSA_INS8_10device_ptrIjEEEESG_SI_NS1_21lower_bound_search_opENS9_16wrapped_functionINS8_6system6detail7generic6detail18binary_search_lessEbEEEE10hipError_tPvRmT1_T2_T3_mmT4_T5_P12ihipStream_tbEUlRKjE_EESV_SZ_S10_mS11_S14_bEUlT_E_NS1_11comp_targetILNS1_3genE9ELNS1_11target_archE1100ELNS1_3gpuE3ELNS1_3repE0EEENS1_30default_config_static_selectorELNS0_4arch9wavefront6targetE0EEEvSY_.numbered_sgpr, 0
	.set _ZN7rocprim17ROCPRIM_400000_NS6detail17trampoline_kernelINS0_14default_configENS1_27lower_bound_config_selectorIjlEEZNS1_14transform_implILb0ES3_S5_N6thrust23THRUST_200600_302600_NS6detail15normal_iteratorINS8_7pointerIjNS8_11hip_rocprim5par_tENS8_11use_defaultESE_EEEENSA_INSB_IlSD_SE_SE_EEEEZNS1_13binary_searchIS3_S5_NSA_INS8_10device_ptrIjEEEESG_SI_NS1_21lower_bound_search_opENS9_16wrapped_functionINS8_6system6detail7generic6detail18binary_search_lessEbEEEE10hipError_tPvRmT1_T2_T3_mmT4_T5_P12ihipStream_tbEUlRKjE_EESV_SZ_S10_mS11_S14_bEUlT_E_NS1_11comp_targetILNS1_3genE9ELNS1_11target_archE1100ELNS1_3gpuE3ELNS1_3repE0EEENS1_30default_config_static_selectorELNS0_4arch9wavefront6targetE0EEEvSY_.num_named_barrier, 0
	.set _ZN7rocprim17ROCPRIM_400000_NS6detail17trampoline_kernelINS0_14default_configENS1_27lower_bound_config_selectorIjlEEZNS1_14transform_implILb0ES3_S5_N6thrust23THRUST_200600_302600_NS6detail15normal_iteratorINS8_7pointerIjNS8_11hip_rocprim5par_tENS8_11use_defaultESE_EEEENSA_INSB_IlSD_SE_SE_EEEEZNS1_13binary_searchIS3_S5_NSA_INS8_10device_ptrIjEEEESG_SI_NS1_21lower_bound_search_opENS9_16wrapped_functionINS8_6system6detail7generic6detail18binary_search_lessEbEEEE10hipError_tPvRmT1_T2_T3_mmT4_T5_P12ihipStream_tbEUlRKjE_EESV_SZ_S10_mS11_S14_bEUlT_E_NS1_11comp_targetILNS1_3genE9ELNS1_11target_archE1100ELNS1_3gpuE3ELNS1_3repE0EEENS1_30default_config_static_selectorELNS0_4arch9wavefront6targetE0EEEvSY_.private_seg_size, 0
	.set _ZN7rocprim17ROCPRIM_400000_NS6detail17trampoline_kernelINS0_14default_configENS1_27lower_bound_config_selectorIjlEEZNS1_14transform_implILb0ES3_S5_N6thrust23THRUST_200600_302600_NS6detail15normal_iteratorINS8_7pointerIjNS8_11hip_rocprim5par_tENS8_11use_defaultESE_EEEENSA_INSB_IlSD_SE_SE_EEEEZNS1_13binary_searchIS3_S5_NSA_INS8_10device_ptrIjEEEESG_SI_NS1_21lower_bound_search_opENS9_16wrapped_functionINS8_6system6detail7generic6detail18binary_search_lessEbEEEE10hipError_tPvRmT1_T2_T3_mmT4_T5_P12ihipStream_tbEUlRKjE_EESV_SZ_S10_mS11_S14_bEUlT_E_NS1_11comp_targetILNS1_3genE9ELNS1_11target_archE1100ELNS1_3gpuE3ELNS1_3repE0EEENS1_30default_config_static_selectorELNS0_4arch9wavefront6targetE0EEEvSY_.uses_vcc, 0
	.set _ZN7rocprim17ROCPRIM_400000_NS6detail17trampoline_kernelINS0_14default_configENS1_27lower_bound_config_selectorIjlEEZNS1_14transform_implILb0ES3_S5_N6thrust23THRUST_200600_302600_NS6detail15normal_iteratorINS8_7pointerIjNS8_11hip_rocprim5par_tENS8_11use_defaultESE_EEEENSA_INSB_IlSD_SE_SE_EEEEZNS1_13binary_searchIS3_S5_NSA_INS8_10device_ptrIjEEEESG_SI_NS1_21lower_bound_search_opENS9_16wrapped_functionINS8_6system6detail7generic6detail18binary_search_lessEbEEEE10hipError_tPvRmT1_T2_T3_mmT4_T5_P12ihipStream_tbEUlRKjE_EESV_SZ_S10_mS11_S14_bEUlT_E_NS1_11comp_targetILNS1_3genE9ELNS1_11target_archE1100ELNS1_3gpuE3ELNS1_3repE0EEENS1_30default_config_static_selectorELNS0_4arch9wavefront6targetE0EEEvSY_.uses_flat_scratch, 0
	.set _ZN7rocprim17ROCPRIM_400000_NS6detail17trampoline_kernelINS0_14default_configENS1_27lower_bound_config_selectorIjlEEZNS1_14transform_implILb0ES3_S5_N6thrust23THRUST_200600_302600_NS6detail15normal_iteratorINS8_7pointerIjNS8_11hip_rocprim5par_tENS8_11use_defaultESE_EEEENSA_INSB_IlSD_SE_SE_EEEEZNS1_13binary_searchIS3_S5_NSA_INS8_10device_ptrIjEEEESG_SI_NS1_21lower_bound_search_opENS9_16wrapped_functionINS8_6system6detail7generic6detail18binary_search_lessEbEEEE10hipError_tPvRmT1_T2_T3_mmT4_T5_P12ihipStream_tbEUlRKjE_EESV_SZ_S10_mS11_S14_bEUlT_E_NS1_11comp_targetILNS1_3genE9ELNS1_11target_archE1100ELNS1_3gpuE3ELNS1_3repE0EEENS1_30default_config_static_selectorELNS0_4arch9wavefront6targetE0EEEvSY_.has_dyn_sized_stack, 0
	.set _ZN7rocprim17ROCPRIM_400000_NS6detail17trampoline_kernelINS0_14default_configENS1_27lower_bound_config_selectorIjlEEZNS1_14transform_implILb0ES3_S5_N6thrust23THRUST_200600_302600_NS6detail15normal_iteratorINS8_7pointerIjNS8_11hip_rocprim5par_tENS8_11use_defaultESE_EEEENSA_INSB_IlSD_SE_SE_EEEEZNS1_13binary_searchIS3_S5_NSA_INS8_10device_ptrIjEEEESG_SI_NS1_21lower_bound_search_opENS9_16wrapped_functionINS8_6system6detail7generic6detail18binary_search_lessEbEEEE10hipError_tPvRmT1_T2_T3_mmT4_T5_P12ihipStream_tbEUlRKjE_EESV_SZ_S10_mS11_S14_bEUlT_E_NS1_11comp_targetILNS1_3genE9ELNS1_11target_archE1100ELNS1_3gpuE3ELNS1_3repE0EEENS1_30default_config_static_selectorELNS0_4arch9wavefront6targetE0EEEvSY_.has_recursion, 0
	.set _ZN7rocprim17ROCPRIM_400000_NS6detail17trampoline_kernelINS0_14default_configENS1_27lower_bound_config_selectorIjlEEZNS1_14transform_implILb0ES3_S5_N6thrust23THRUST_200600_302600_NS6detail15normal_iteratorINS8_7pointerIjNS8_11hip_rocprim5par_tENS8_11use_defaultESE_EEEENSA_INSB_IlSD_SE_SE_EEEEZNS1_13binary_searchIS3_S5_NSA_INS8_10device_ptrIjEEEESG_SI_NS1_21lower_bound_search_opENS9_16wrapped_functionINS8_6system6detail7generic6detail18binary_search_lessEbEEEE10hipError_tPvRmT1_T2_T3_mmT4_T5_P12ihipStream_tbEUlRKjE_EESV_SZ_S10_mS11_S14_bEUlT_E_NS1_11comp_targetILNS1_3genE9ELNS1_11target_archE1100ELNS1_3gpuE3ELNS1_3repE0EEENS1_30default_config_static_selectorELNS0_4arch9wavefront6targetE0EEEvSY_.has_indirect_call, 0
	.section	.AMDGPU.csdata,"",@progbits
; Kernel info:
; codeLenInByte = 0
; TotalNumSgprs: 0
; NumVgprs: 0
; ScratchSize: 0
; MemoryBound: 0
; FloatMode: 240
; IeeeMode: 1
; LDSByteSize: 0 bytes/workgroup (compile time only)
; SGPRBlocks: 0
; VGPRBlocks: 0
; NumSGPRsForWavesPerEU: 1
; NumVGPRsForWavesPerEU: 1
; Occupancy: 16
; WaveLimiterHint : 0
; COMPUTE_PGM_RSRC2:SCRATCH_EN: 0
; COMPUTE_PGM_RSRC2:USER_SGPR: 6
; COMPUTE_PGM_RSRC2:TRAP_HANDLER: 0
; COMPUTE_PGM_RSRC2:TGID_X_EN: 1
; COMPUTE_PGM_RSRC2:TGID_Y_EN: 0
; COMPUTE_PGM_RSRC2:TGID_Z_EN: 0
; COMPUTE_PGM_RSRC2:TIDIG_COMP_CNT: 0
	.section	.text._ZN7rocprim17ROCPRIM_400000_NS6detail17trampoline_kernelINS0_14default_configENS1_27lower_bound_config_selectorIjlEEZNS1_14transform_implILb0ES3_S5_N6thrust23THRUST_200600_302600_NS6detail15normal_iteratorINS8_7pointerIjNS8_11hip_rocprim5par_tENS8_11use_defaultESE_EEEENSA_INSB_IlSD_SE_SE_EEEEZNS1_13binary_searchIS3_S5_NSA_INS8_10device_ptrIjEEEESG_SI_NS1_21lower_bound_search_opENS9_16wrapped_functionINS8_6system6detail7generic6detail18binary_search_lessEbEEEE10hipError_tPvRmT1_T2_T3_mmT4_T5_P12ihipStream_tbEUlRKjE_EESV_SZ_S10_mS11_S14_bEUlT_E_NS1_11comp_targetILNS1_3genE8ELNS1_11target_archE1030ELNS1_3gpuE2ELNS1_3repE0EEENS1_30default_config_static_selectorELNS0_4arch9wavefront6targetE0EEEvSY_,"axG",@progbits,_ZN7rocprim17ROCPRIM_400000_NS6detail17trampoline_kernelINS0_14default_configENS1_27lower_bound_config_selectorIjlEEZNS1_14transform_implILb0ES3_S5_N6thrust23THRUST_200600_302600_NS6detail15normal_iteratorINS8_7pointerIjNS8_11hip_rocprim5par_tENS8_11use_defaultESE_EEEENSA_INSB_IlSD_SE_SE_EEEEZNS1_13binary_searchIS3_S5_NSA_INS8_10device_ptrIjEEEESG_SI_NS1_21lower_bound_search_opENS9_16wrapped_functionINS8_6system6detail7generic6detail18binary_search_lessEbEEEE10hipError_tPvRmT1_T2_T3_mmT4_T5_P12ihipStream_tbEUlRKjE_EESV_SZ_S10_mS11_S14_bEUlT_E_NS1_11comp_targetILNS1_3genE8ELNS1_11target_archE1030ELNS1_3gpuE2ELNS1_3repE0EEENS1_30default_config_static_selectorELNS0_4arch9wavefront6targetE0EEEvSY_,comdat
	.protected	_ZN7rocprim17ROCPRIM_400000_NS6detail17trampoline_kernelINS0_14default_configENS1_27lower_bound_config_selectorIjlEEZNS1_14transform_implILb0ES3_S5_N6thrust23THRUST_200600_302600_NS6detail15normal_iteratorINS8_7pointerIjNS8_11hip_rocprim5par_tENS8_11use_defaultESE_EEEENSA_INSB_IlSD_SE_SE_EEEEZNS1_13binary_searchIS3_S5_NSA_INS8_10device_ptrIjEEEESG_SI_NS1_21lower_bound_search_opENS9_16wrapped_functionINS8_6system6detail7generic6detail18binary_search_lessEbEEEE10hipError_tPvRmT1_T2_T3_mmT4_T5_P12ihipStream_tbEUlRKjE_EESV_SZ_S10_mS11_S14_bEUlT_E_NS1_11comp_targetILNS1_3genE8ELNS1_11target_archE1030ELNS1_3gpuE2ELNS1_3repE0EEENS1_30default_config_static_selectorELNS0_4arch9wavefront6targetE0EEEvSY_ ; -- Begin function _ZN7rocprim17ROCPRIM_400000_NS6detail17trampoline_kernelINS0_14default_configENS1_27lower_bound_config_selectorIjlEEZNS1_14transform_implILb0ES3_S5_N6thrust23THRUST_200600_302600_NS6detail15normal_iteratorINS8_7pointerIjNS8_11hip_rocprim5par_tENS8_11use_defaultESE_EEEENSA_INSB_IlSD_SE_SE_EEEEZNS1_13binary_searchIS3_S5_NSA_INS8_10device_ptrIjEEEESG_SI_NS1_21lower_bound_search_opENS9_16wrapped_functionINS8_6system6detail7generic6detail18binary_search_lessEbEEEE10hipError_tPvRmT1_T2_T3_mmT4_T5_P12ihipStream_tbEUlRKjE_EESV_SZ_S10_mS11_S14_bEUlT_E_NS1_11comp_targetILNS1_3genE8ELNS1_11target_archE1030ELNS1_3gpuE2ELNS1_3repE0EEENS1_30default_config_static_selectorELNS0_4arch9wavefront6targetE0EEEvSY_
	.globl	_ZN7rocprim17ROCPRIM_400000_NS6detail17trampoline_kernelINS0_14default_configENS1_27lower_bound_config_selectorIjlEEZNS1_14transform_implILb0ES3_S5_N6thrust23THRUST_200600_302600_NS6detail15normal_iteratorINS8_7pointerIjNS8_11hip_rocprim5par_tENS8_11use_defaultESE_EEEENSA_INSB_IlSD_SE_SE_EEEEZNS1_13binary_searchIS3_S5_NSA_INS8_10device_ptrIjEEEESG_SI_NS1_21lower_bound_search_opENS9_16wrapped_functionINS8_6system6detail7generic6detail18binary_search_lessEbEEEE10hipError_tPvRmT1_T2_T3_mmT4_T5_P12ihipStream_tbEUlRKjE_EESV_SZ_S10_mS11_S14_bEUlT_E_NS1_11comp_targetILNS1_3genE8ELNS1_11target_archE1030ELNS1_3gpuE2ELNS1_3repE0EEENS1_30default_config_static_selectorELNS0_4arch9wavefront6targetE0EEEvSY_
	.p2align	8
	.type	_ZN7rocprim17ROCPRIM_400000_NS6detail17trampoline_kernelINS0_14default_configENS1_27lower_bound_config_selectorIjlEEZNS1_14transform_implILb0ES3_S5_N6thrust23THRUST_200600_302600_NS6detail15normal_iteratorINS8_7pointerIjNS8_11hip_rocprim5par_tENS8_11use_defaultESE_EEEENSA_INSB_IlSD_SE_SE_EEEEZNS1_13binary_searchIS3_S5_NSA_INS8_10device_ptrIjEEEESG_SI_NS1_21lower_bound_search_opENS9_16wrapped_functionINS8_6system6detail7generic6detail18binary_search_lessEbEEEE10hipError_tPvRmT1_T2_T3_mmT4_T5_P12ihipStream_tbEUlRKjE_EESV_SZ_S10_mS11_S14_bEUlT_E_NS1_11comp_targetILNS1_3genE8ELNS1_11target_archE1030ELNS1_3gpuE2ELNS1_3repE0EEENS1_30default_config_static_selectorELNS0_4arch9wavefront6targetE0EEEvSY_,@function
_ZN7rocprim17ROCPRIM_400000_NS6detail17trampoline_kernelINS0_14default_configENS1_27lower_bound_config_selectorIjlEEZNS1_14transform_implILb0ES3_S5_N6thrust23THRUST_200600_302600_NS6detail15normal_iteratorINS8_7pointerIjNS8_11hip_rocprim5par_tENS8_11use_defaultESE_EEEENSA_INSB_IlSD_SE_SE_EEEEZNS1_13binary_searchIS3_S5_NSA_INS8_10device_ptrIjEEEESG_SI_NS1_21lower_bound_search_opENS9_16wrapped_functionINS8_6system6detail7generic6detail18binary_search_lessEbEEEE10hipError_tPvRmT1_T2_T3_mmT4_T5_P12ihipStream_tbEUlRKjE_EESV_SZ_S10_mS11_S14_bEUlT_E_NS1_11comp_targetILNS1_3genE8ELNS1_11target_archE1030ELNS1_3gpuE2ELNS1_3repE0EEENS1_30default_config_static_selectorELNS0_4arch9wavefront6targetE0EEEvSY_: ; @_ZN7rocprim17ROCPRIM_400000_NS6detail17trampoline_kernelINS0_14default_configENS1_27lower_bound_config_selectorIjlEEZNS1_14transform_implILb0ES3_S5_N6thrust23THRUST_200600_302600_NS6detail15normal_iteratorINS8_7pointerIjNS8_11hip_rocprim5par_tENS8_11use_defaultESE_EEEENSA_INSB_IlSD_SE_SE_EEEEZNS1_13binary_searchIS3_S5_NSA_INS8_10device_ptrIjEEEESG_SI_NS1_21lower_bound_search_opENS9_16wrapped_functionINS8_6system6detail7generic6detail18binary_search_lessEbEEEE10hipError_tPvRmT1_T2_T3_mmT4_T5_P12ihipStream_tbEUlRKjE_EESV_SZ_S10_mS11_S14_bEUlT_E_NS1_11comp_targetILNS1_3genE8ELNS1_11target_archE1030ELNS1_3gpuE2ELNS1_3repE0EEENS1_30default_config_static_selectorELNS0_4arch9wavefront6targetE0EEEvSY_
; %bb.0:
	s_clause 0x3
	s_load_dwordx4 s[12:15], s[4:5], 0x0
	s_load_dwordx4 s[0:3], s[4:5], 0x18
	s_load_dword s16, s[4:5], 0x38
	s_load_dwordx2 s[10:11], s[4:5], 0x28
	s_waitcnt lgkmcnt(0)
	s_lshl_b64 s[8:9], s[14:15], 2
	s_add_u32 s12, s12, s8
	s_addc_u32 s13, s13, s9
	s_lshl_b64 s[8:9], s[14:15], 3
	s_add_u32 s7, s0, s8
	s_addc_u32 s1, s1, s9
	s_add_i32 s16, s16, -1
	s_lshl_b32 s8, s6, 8
	s_mov_b32 s9, 0
	s_cmp_lg_u32 s6, s16
	s_mov_b32 s0, -1
	s_cbranch_scc0 .LBB375_7
; %bb.1:
	s_cmp_eq_u64 s[10:11], 0
	s_cbranch_scc1 .LBB375_5
; %bb.2:
	v_lshlrev_b32_e32 v1, 2, v0
	s_lshl_b64 s[14:15], s[8:9], 2
	v_mov_b32_e32 v3, s10
	s_add_u32 s0, s12, s14
	s_addc_u32 s6, s13, s15
	v_add_co_u32 v1, s0, s0, v1
	v_add_co_ci_u32_e64 v2, null, s6, 0, s0
	v_mov_b32_e32 v4, s11
	s_mov_b32 s0, 0
	flat_load_dword v5, v[1:2]
	v_mov_b32_e32 v1, 0
	v_mov_b32_e32 v2, 0
	s_inst_prefetch 0x1
	.p2align	6
.LBB375_3:                              ; =>This Inner Loop Header: Depth=1
	v_sub_co_u32 v6, vcc_lo, v3, v1
	v_sub_co_ci_u32_e64 v7, null, v4, v2, vcc_lo
	v_lshrrev_b64 v[8:9], 1, v[6:7]
	v_lshrrev_b64 v[6:7], 6, v[6:7]
	v_add_co_u32 v8, vcc_lo, v8, v1
	v_add_co_ci_u32_e64 v9, null, v9, v2, vcc_lo
	v_add_co_u32 v6, vcc_lo, v8, v6
	v_add_co_ci_u32_e64 v7, null, v9, v7, vcc_lo
	v_lshlrev_b64 v[8:9], 2, v[6:7]
	v_add_co_u32 v8, vcc_lo, s2, v8
	v_add_co_ci_u32_e64 v9, null, s3, v9, vcc_lo
	global_load_dword v8, v[8:9], off
	v_add_co_u32 v9, vcc_lo, v6, 1
	v_add_co_ci_u32_e64 v10, null, 0, v7, vcc_lo
	s_waitcnt vmcnt(0) lgkmcnt(0)
	v_cmp_lt_u32_e32 vcc_lo, v8, v5
	v_cndmask_b32_e32 v4, v7, v4, vcc_lo
	v_cndmask_b32_e32 v3, v6, v3, vcc_lo
	;; [unrolled: 1-line block ×4, first 2 shown]
	v_cmp_ge_u64_e32 vcc_lo, v[1:2], v[3:4]
	s_or_b32 s0, vcc_lo, s0
	s_andn2_b32 exec_lo, exec_lo, s0
	s_cbranch_execnz .LBB375_3
; %bb.4:
	s_inst_prefetch 0x2
	s_or_b32 exec_lo, exec_lo, s0
	s_branch .LBB375_6
.LBB375_5:
	v_mov_b32_e32 v1, 0
	v_mov_b32_e32 v2, 0
.LBB375_6:
	v_lshlrev_b32_e32 v3, 3, v0
	s_lshl_b64 s[14:15], s[8:9], 3
	s_add_u32 s0, s7, s14
	s_addc_u32 s6, s1, s15
	v_add_co_u32 v3, s0, s0, v3
	v_add_co_ci_u32_e64 v4, null, s6, 0, s0
	s_mov_b32 s0, 0
	flat_store_dwordx2 v[3:4], v[1:2]
.LBB375_7:
	s_and_b32 vcc_lo, exec_lo, s0
	s_cbranch_vccz .LBB375_16
; %bb.8:
	s_load_dword s0, s[4:5], 0x10
                                        ; implicit-def: $vgpr5
	s_waitcnt lgkmcnt(0)
	s_sub_i32 s4, s0, s8
	v_cmp_le_u32_e64 s0, s4, v0
	v_cmp_gt_u32_e32 vcc_lo, s4, v0
	s_and_saveexec_b32 s4, vcc_lo
	s_cbranch_execz .LBB375_10
; %bb.9:
	v_lshlrev_b32_e32 v1, 2, v0
	s_lshl_b64 s[14:15], s[8:9], 2
	s_add_u32 s5, s12, s14
	s_addc_u32 s6, s13, s15
	v_add_co_u32 v1, s5, s5, v1
	v_add_co_ci_u32_e64 v2, null, s6, 0, s5
	flat_load_dword v5, v[1:2]
.LBB375_10:
	s_or_b32 exec_lo, exec_lo, s4
	s_cmp_lg_u64 s[10:11], 0
	v_mov_b32_e32 v1, 0
	v_mov_b32_e32 v2, 0
	s_cselect_b32 s4, -1, 0
	s_xor_b32 s0, s0, -1
	s_and_b32 s0, s0, s4
	s_and_saveexec_b32 s4, s0
	s_cbranch_execz .LBB375_14
; %bb.11:
	v_mov_b32_e32 v1, 0
	v_mov_b32_e32 v3, s10
	;; [unrolled: 1-line block ×4, first 2 shown]
	s_mov_b32 s5, 0
	s_inst_prefetch 0x1
	.p2align	6
.LBB375_12:                             ; =>This Inner Loop Header: Depth=1
	v_sub_co_u32 v6, s0, v3, v1
	v_sub_co_ci_u32_e64 v7, null, v4, v2, s0
	v_lshrrev_b64 v[8:9], 1, v[6:7]
	v_lshrrev_b64 v[6:7], 6, v[6:7]
	v_add_co_u32 v8, s0, v8, v1
	v_add_co_ci_u32_e64 v9, null, v9, v2, s0
	v_add_co_u32 v6, s0, v8, v6
	v_add_co_ci_u32_e64 v7, null, v9, v7, s0
	v_lshlrev_b64 v[8:9], 2, v[6:7]
	v_add_co_u32 v8, s0, s2, v8
	v_add_co_ci_u32_e64 v9, null, s3, v9, s0
	global_load_dword v8, v[8:9], off
	v_add_co_u32 v9, s0, v6, 1
	v_add_co_ci_u32_e64 v10, null, 0, v7, s0
	s_waitcnt vmcnt(0) lgkmcnt(0)
	v_cmp_lt_u32_e64 s0, v8, v5
	v_cndmask_b32_e64 v4, v7, v4, s0
	v_cndmask_b32_e64 v3, v6, v3, s0
	;; [unrolled: 1-line block ×4, first 2 shown]
	v_cmp_ge_u64_e64 s0, v[1:2], v[3:4]
	s_or_b32 s5, s0, s5
	s_andn2_b32 exec_lo, exec_lo, s5
	s_cbranch_execnz .LBB375_12
; %bb.13:
	s_inst_prefetch 0x2
	s_or_b32 exec_lo, exec_lo, s5
.LBB375_14:
	s_or_b32 exec_lo, exec_lo, s4
	s_and_saveexec_b32 s0, vcc_lo
	s_cbranch_execz .LBB375_16
; %bb.15:
	v_lshlrev_b32_e32 v0, 3, v0
	s_lshl_b64 s[2:3], s[8:9], 3
	s_add_u32 s0, s7, s2
	s_addc_u32 s1, s1, s3
	v_add_co_u32 v3, s0, s0, v0
	v_add_co_ci_u32_e64 v4, null, s1, 0, s0
	flat_store_dwordx2 v[3:4], v[1:2]
.LBB375_16:
	s_endpgm
	.section	.rodata,"a",@progbits
	.p2align	6, 0x0
	.amdhsa_kernel _ZN7rocprim17ROCPRIM_400000_NS6detail17trampoline_kernelINS0_14default_configENS1_27lower_bound_config_selectorIjlEEZNS1_14transform_implILb0ES3_S5_N6thrust23THRUST_200600_302600_NS6detail15normal_iteratorINS8_7pointerIjNS8_11hip_rocprim5par_tENS8_11use_defaultESE_EEEENSA_INSB_IlSD_SE_SE_EEEEZNS1_13binary_searchIS3_S5_NSA_INS8_10device_ptrIjEEEESG_SI_NS1_21lower_bound_search_opENS9_16wrapped_functionINS8_6system6detail7generic6detail18binary_search_lessEbEEEE10hipError_tPvRmT1_T2_T3_mmT4_T5_P12ihipStream_tbEUlRKjE_EESV_SZ_S10_mS11_S14_bEUlT_E_NS1_11comp_targetILNS1_3genE8ELNS1_11target_archE1030ELNS1_3gpuE2ELNS1_3repE0EEENS1_30default_config_static_selectorELNS0_4arch9wavefront6targetE0EEEvSY_
		.amdhsa_group_segment_fixed_size 0
		.amdhsa_private_segment_fixed_size 0
		.amdhsa_kernarg_size 312
		.amdhsa_user_sgpr_count 6
		.amdhsa_user_sgpr_private_segment_buffer 1
		.amdhsa_user_sgpr_dispatch_ptr 0
		.amdhsa_user_sgpr_queue_ptr 0
		.amdhsa_user_sgpr_kernarg_segment_ptr 1
		.amdhsa_user_sgpr_dispatch_id 0
		.amdhsa_user_sgpr_flat_scratch_init 0
		.amdhsa_user_sgpr_private_segment_size 0
		.amdhsa_wavefront_size32 1
		.amdhsa_uses_dynamic_stack 0
		.amdhsa_system_sgpr_private_segment_wavefront_offset 0
		.amdhsa_system_sgpr_workgroup_id_x 1
		.amdhsa_system_sgpr_workgroup_id_y 0
		.amdhsa_system_sgpr_workgroup_id_z 0
		.amdhsa_system_sgpr_workgroup_info 0
		.amdhsa_system_vgpr_workitem_id 0
		.amdhsa_next_free_vgpr 11
		.amdhsa_next_free_sgpr 17
		.amdhsa_reserve_vcc 1
		.amdhsa_reserve_flat_scratch 0
		.amdhsa_float_round_mode_32 0
		.amdhsa_float_round_mode_16_64 0
		.amdhsa_float_denorm_mode_32 3
		.amdhsa_float_denorm_mode_16_64 3
		.amdhsa_dx10_clamp 1
		.amdhsa_ieee_mode 1
		.amdhsa_fp16_overflow 0
		.amdhsa_workgroup_processor_mode 1
		.amdhsa_memory_ordered 1
		.amdhsa_forward_progress 1
		.amdhsa_shared_vgpr_count 0
		.amdhsa_exception_fp_ieee_invalid_op 0
		.amdhsa_exception_fp_denorm_src 0
		.amdhsa_exception_fp_ieee_div_zero 0
		.amdhsa_exception_fp_ieee_overflow 0
		.amdhsa_exception_fp_ieee_underflow 0
		.amdhsa_exception_fp_ieee_inexact 0
		.amdhsa_exception_int_div_zero 0
	.end_amdhsa_kernel
	.section	.text._ZN7rocprim17ROCPRIM_400000_NS6detail17trampoline_kernelINS0_14default_configENS1_27lower_bound_config_selectorIjlEEZNS1_14transform_implILb0ES3_S5_N6thrust23THRUST_200600_302600_NS6detail15normal_iteratorINS8_7pointerIjNS8_11hip_rocprim5par_tENS8_11use_defaultESE_EEEENSA_INSB_IlSD_SE_SE_EEEEZNS1_13binary_searchIS3_S5_NSA_INS8_10device_ptrIjEEEESG_SI_NS1_21lower_bound_search_opENS9_16wrapped_functionINS8_6system6detail7generic6detail18binary_search_lessEbEEEE10hipError_tPvRmT1_T2_T3_mmT4_T5_P12ihipStream_tbEUlRKjE_EESV_SZ_S10_mS11_S14_bEUlT_E_NS1_11comp_targetILNS1_3genE8ELNS1_11target_archE1030ELNS1_3gpuE2ELNS1_3repE0EEENS1_30default_config_static_selectorELNS0_4arch9wavefront6targetE0EEEvSY_,"axG",@progbits,_ZN7rocprim17ROCPRIM_400000_NS6detail17trampoline_kernelINS0_14default_configENS1_27lower_bound_config_selectorIjlEEZNS1_14transform_implILb0ES3_S5_N6thrust23THRUST_200600_302600_NS6detail15normal_iteratorINS8_7pointerIjNS8_11hip_rocprim5par_tENS8_11use_defaultESE_EEEENSA_INSB_IlSD_SE_SE_EEEEZNS1_13binary_searchIS3_S5_NSA_INS8_10device_ptrIjEEEESG_SI_NS1_21lower_bound_search_opENS9_16wrapped_functionINS8_6system6detail7generic6detail18binary_search_lessEbEEEE10hipError_tPvRmT1_T2_T3_mmT4_T5_P12ihipStream_tbEUlRKjE_EESV_SZ_S10_mS11_S14_bEUlT_E_NS1_11comp_targetILNS1_3genE8ELNS1_11target_archE1030ELNS1_3gpuE2ELNS1_3repE0EEENS1_30default_config_static_selectorELNS0_4arch9wavefront6targetE0EEEvSY_,comdat
.Lfunc_end375:
	.size	_ZN7rocprim17ROCPRIM_400000_NS6detail17trampoline_kernelINS0_14default_configENS1_27lower_bound_config_selectorIjlEEZNS1_14transform_implILb0ES3_S5_N6thrust23THRUST_200600_302600_NS6detail15normal_iteratorINS8_7pointerIjNS8_11hip_rocprim5par_tENS8_11use_defaultESE_EEEENSA_INSB_IlSD_SE_SE_EEEEZNS1_13binary_searchIS3_S5_NSA_INS8_10device_ptrIjEEEESG_SI_NS1_21lower_bound_search_opENS9_16wrapped_functionINS8_6system6detail7generic6detail18binary_search_lessEbEEEE10hipError_tPvRmT1_T2_T3_mmT4_T5_P12ihipStream_tbEUlRKjE_EESV_SZ_S10_mS11_S14_bEUlT_E_NS1_11comp_targetILNS1_3genE8ELNS1_11target_archE1030ELNS1_3gpuE2ELNS1_3repE0EEENS1_30default_config_static_selectorELNS0_4arch9wavefront6targetE0EEEvSY_, .Lfunc_end375-_ZN7rocprim17ROCPRIM_400000_NS6detail17trampoline_kernelINS0_14default_configENS1_27lower_bound_config_selectorIjlEEZNS1_14transform_implILb0ES3_S5_N6thrust23THRUST_200600_302600_NS6detail15normal_iteratorINS8_7pointerIjNS8_11hip_rocprim5par_tENS8_11use_defaultESE_EEEENSA_INSB_IlSD_SE_SE_EEEEZNS1_13binary_searchIS3_S5_NSA_INS8_10device_ptrIjEEEESG_SI_NS1_21lower_bound_search_opENS9_16wrapped_functionINS8_6system6detail7generic6detail18binary_search_lessEbEEEE10hipError_tPvRmT1_T2_T3_mmT4_T5_P12ihipStream_tbEUlRKjE_EESV_SZ_S10_mS11_S14_bEUlT_E_NS1_11comp_targetILNS1_3genE8ELNS1_11target_archE1030ELNS1_3gpuE2ELNS1_3repE0EEENS1_30default_config_static_selectorELNS0_4arch9wavefront6targetE0EEEvSY_
                                        ; -- End function
	.set _ZN7rocprim17ROCPRIM_400000_NS6detail17trampoline_kernelINS0_14default_configENS1_27lower_bound_config_selectorIjlEEZNS1_14transform_implILb0ES3_S5_N6thrust23THRUST_200600_302600_NS6detail15normal_iteratorINS8_7pointerIjNS8_11hip_rocprim5par_tENS8_11use_defaultESE_EEEENSA_INSB_IlSD_SE_SE_EEEEZNS1_13binary_searchIS3_S5_NSA_INS8_10device_ptrIjEEEESG_SI_NS1_21lower_bound_search_opENS9_16wrapped_functionINS8_6system6detail7generic6detail18binary_search_lessEbEEEE10hipError_tPvRmT1_T2_T3_mmT4_T5_P12ihipStream_tbEUlRKjE_EESV_SZ_S10_mS11_S14_bEUlT_E_NS1_11comp_targetILNS1_3genE8ELNS1_11target_archE1030ELNS1_3gpuE2ELNS1_3repE0EEENS1_30default_config_static_selectorELNS0_4arch9wavefront6targetE0EEEvSY_.num_vgpr, 11
	.set _ZN7rocprim17ROCPRIM_400000_NS6detail17trampoline_kernelINS0_14default_configENS1_27lower_bound_config_selectorIjlEEZNS1_14transform_implILb0ES3_S5_N6thrust23THRUST_200600_302600_NS6detail15normal_iteratorINS8_7pointerIjNS8_11hip_rocprim5par_tENS8_11use_defaultESE_EEEENSA_INSB_IlSD_SE_SE_EEEEZNS1_13binary_searchIS3_S5_NSA_INS8_10device_ptrIjEEEESG_SI_NS1_21lower_bound_search_opENS9_16wrapped_functionINS8_6system6detail7generic6detail18binary_search_lessEbEEEE10hipError_tPvRmT1_T2_T3_mmT4_T5_P12ihipStream_tbEUlRKjE_EESV_SZ_S10_mS11_S14_bEUlT_E_NS1_11comp_targetILNS1_3genE8ELNS1_11target_archE1030ELNS1_3gpuE2ELNS1_3repE0EEENS1_30default_config_static_selectorELNS0_4arch9wavefront6targetE0EEEvSY_.num_agpr, 0
	.set _ZN7rocprim17ROCPRIM_400000_NS6detail17trampoline_kernelINS0_14default_configENS1_27lower_bound_config_selectorIjlEEZNS1_14transform_implILb0ES3_S5_N6thrust23THRUST_200600_302600_NS6detail15normal_iteratorINS8_7pointerIjNS8_11hip_rocprim5par_tENS8_11use_defaultESE_EEEENSA_INSB_IlSD_SE_SE_EEEEZNS1_13binary_searchIS3_S5_NSA_INS8_10device_ptrIjEEEESG_SI_NS1_21lower_bound_search_opENS9_16wrapped_functionINS8_6system6detail7generic6detail18binary_search_lessEbEEEE10hipError_tPvRmT1_T2_T3_mmT4_T5_P12ihipStream_tbEUlRKjE_EESV_SZ_S10_mS11_S14_bEUlT_E_NS1_11comp_targetILNS1_3genE8ELNS1_11target_archE1030ELNS1_3gpuE2ELNS1_3repE0EEENS1_30default_config_static_selectorELNS0_4arch9wavefront6targetE0EEEvSY_.numbered_sgpr, 17
	.set _ZN7rocprim17ROCPRIM_400000_NS6detail17trampoline_kernelINS0_14default_configENS1_27lower_bound_config_selectorIjlEEZNS1_14transform_implILb0ES3_S5_N6thrust23THRUST_200600_302600_NS6detail15normal_iteratorINS8_7pointerIjNS8_11hip_rocprim5par_tENS8_11use_defaultESE_EEEENSA_INSB_IlSD_SE_SE_EEEEZNS1_13binary_searchIS3_S5_NSA_INS8_10device_ptrIjEEEESG_SI_NS1_21lower_bound_search_opENS9_16wrapped_functionINS8_6system6detail7generic6detail18binary_search_lessEbEEEE10hipError_tPvRmT1_T2_T3_mmT4_T5_P12ihipStream_tbEUlRKjE_EESV_SZ_S10_mS11_S14_bEUlT_E_NS1_11comp_targetILNS1_3genE8ELNS1_11target_archE1030ELNS1_3gpuE2ELNS1_3repE0EEENS1_30default_config_static_selectorELNS0_4arch9wavefront6targetE0EEEvSY_.num_named_barrier, 0
	.set _ZN7rocprim17ROCPRIM_400000_NS6detail17trampoline_kernelINS0_14default_configENS1_27lower_bound_config_selectorIjlEEZNS1_14transform_implILb0ES3_S5_N6thrust23THRUST_200600_302600_NS6detail15normal_iteratorINS8_7pointerIjNS8_11hip_rocprim5par_tENS8_11use_defaultESE_EEEENSA_INSB_IlSD_SE_SE_EEEEZNS1_13binary_searchIS3_S5_NSA_INS8_10device_ptrIjEEEESG_SI_NS1_21lower_bound_search_opENS9_16wrapped_functionINS8_6system6detail7generic6detail18binary_search_lessEbEEEE10hipError_tPvRmT1_T2_T3_mmT4_T5_P12ihipStream_tbEUlRKjE_EESV_SZ_S10_mS11_S14_bEUlT_E_NS1_11comp_targetILNS1_3genE8ELNS1_11target_archE1030ELNS1_3gpuE2ELNS1_3repE0EEENS1_30default_config_static_selectorELNS0_4arch9wavefront6targetE0EEEvSY_.private_seg_size, 0
	.set _ZN7rocprim17ROCPRIM_400000_NS6detail17trampoline_kernelINS0_14default_configENS1_27lower_bound_config_selectorIjlEEZNS1_14transform_implILb0ES3_S5_N6thrust23THRUST_200600_302600_NS6detail15normal_iteratorINS8_7pointerIjNS8_11hip_rocprim5par_tENS8_11use_defaultESE_EEEENSA_INSB_IlSD_SE_SE_EEEEZNS1_13binary_searchIS3_S5_NSA_INS8_10device_ptrIjEEEESG_SI_NS1_21lower_bound_search_opENS9_16wrapped_functionINS8_6system6detail7generic6detail18binary_search_lessEbEEEE10hipError_tPvRmT1_T2_T3_mmT4_T5_P12ihipStream_tbEUlRKjE_EESV_SZ_S10_mS11_S14_bEUlT_E_NS1_11comp_targetILNS1_3genE8ELNS1_11target_archE1030ELNS1_3gpuE2ELNS1_3repE0EEENS1_30default_config_static_selectorELNS0_4arch9wavefront6targetE0EEEvSY_.uses_vcc, 1
	.set _ZN7rocprim17ROCPRIM_400000_NS6detail17trampoline_kernelINS0_14default_configENS1_27lower_bound_config_selectorIjlEEZNS1_14transform_implILb0ES3_S5_N6thrust23THRUST_200600_302600_NS6detail15normal_iteratorINS8_7pointerIjNS8_11hip_rocprim5par_tENS8_11use_defaultESE_EEEENSA_INSB_IlSD_SE_SE_EEEEZNS1_13binary_searchIS3_S5_NSA_INS8_10device_ptrIjEEEESG_SI_NS1_21lower_bound_search_opENS9_16wrapped_functionINS8_6system6detail7generic6detail18binary_search_lessEbEEEE10hipError_tPvRmT1_T2_T3_mmT4_T5_P12ihipStream_tbEUlRKjE_EESV_SZ_S10_mS11_S14_bEUlT_E_NS1_11comp_targetILNS1_3genE8ELNS1_11target_archE1030ELNS1_3gpuE2ELNS1_3repE0EEENS1_30default_config_static_selectorELNS0_4arch9wavefront6targetE0EEEvSY_.uses_flat_scratch, 0
	.set _ZN7rocprim17ROCPRIM_400000_NS6detail17trampoline_kernelINS0_14default_configENS1_27lower_bound_config_selectorIjlEEZNS1_14transform_implILb0ES3_S5_N6thrust23THRUST_200600_302600_NS6detail15normal_iteratorINS8_7pointerIjNS8_11hip_rocprim5par_tENS8_11use_defaultESE_EEEENSA_INSB_IlSD_SE_SE_EEEEZNS1_13binary_searchIS3_S5_NSA_INS8_10device_ptrIjEEEESG_SI_NS1_21lower_bound_search_opENS9_16wrapped_functionINS8_6system6detail7generic6detail18binary_search_lessEbEEEE10hipError_tPvRmT1_T2_T3_mmT4_T5_P12ihipStream_tbEUlRKjE_EESV_SZ_S10_mS11_S14_bEUlT_E_NS1_11comp_targetILNS1_3genE8ELNS1_11target_archE1030ELNS1_3gpuE2ELNS1_3repE0EEENS1_30default_config_static_selectorELNS0_4arch9wavefront6targetE0EEEvSY_.has_dyn_sized_stack, 0
	.set _ZN7rocprim17ROCPRIM_400000_NS6detail17trampoline_kernelINS0_14default_configENS1_27lower_bound_config_selectorIjlEEZNS1_14transform_implILb0ES3_S5_N6thrust23THRUST_200600_302600_NS6detail15normal_iteratorINS8_7pointerIjNS8_11hip_rocprim5par_tENS8_11use_defaultESE_EEEENSA_INSB_IlSD_SE_SE_EEEEZNS1_13binary_searchIS3_S5_NSA_INS8_10device_ptrIjEEEESG_SI_NS1_21lower_bound_search_opENS9_16wrapped_functionINS8_6system6detail7generic6detail18binary_search_lessEbEEEE10hipError_tPvRmT1_T2_T3_mmT4_T5_P12ihipStream_tbEUlRKjE_EESV_SZ_S10_mS11_S14_bEUlT_E_NS1_11comp_targetILNS1_3genE8ELNS1_11target_archE1030ELNS1_3gpuE2ELNS1_3repE0EEENS1_30default_config_static_selectorELNS0_4arch9wavefront6targetE0EEEvSY_.has_recursion, 0
	.set _ZN7rocprim17ROCPRIM_400000_NS6detail17trampoline_kernelINS0_14default_configENS1_27lower_bound_config_selectorIjlEEZNS1_14transform_implILb0ES3_S5_N6thrust23THRUST_200600_302600_NS6detail15normal_iteratorINS8_7pointerIjNS8_11hip_rocprim5par_tENS8_11use_defaultESE_EEEENSA_INSB_IlSD_SE_SE_EEEEZNS1_13binary_searchIS3_S5_NSA_INS8_10device_ptrIjEEEESG_SI_NS1_21lower_bound_search_opENS9_16wrapped_functionINS8_6system6detail7generic6detail18binary_search_lessEbEEEE10hipError_tPvRmT1_T2_T3_mmT4_T5_P12ihipStream_tbEUlRKjE_EESV_SZ_S10_mS11_S14_bEUlT_E_NS1_11comp_targetILNS1_3genE8ELNS1_11target_archE1030ELNS1_3gpuE2ELNS1_3repE0EEENS1_30default_config_static_selectorELNS0_4arch9wavefront6targetE0EEEvSY_.has_indirect_call, 0
	.section	.AMDGPU.csdata,"",@progbits
; Kernel info:
; codeLenInByte = 816
; TotalNumSgprs: 19
; NumVgprs: 11
; ScratchSize: 0
; MemoryBound: 0
; FloatMode: 240
; IeeeMode: 1
; LDSByteSize: 0 bytes/workgroup (compile time only)
; SGPRBlocks: 0
; VGPRBlocks: 1
; NumSGPRsForWavesPerEU: 19
; NumVGPRsForWavesPerEU: 11
; Occupancy: 16
; WaveLimiterHint : 0
; COMPUTE_PGM_RSRC2:SCRATCH_EN: 0
; COMPUTE_PGM_RSRC2:USER_SGPR: 6
; COMPUTE_PGM_RSRC2:TRAP_HANDLER: 0
; COMPUTE_PGM_RSRC2:TGID_X_EN: 1
; COMPUTE_PGM_RSRC2:TGID_Y_EN: 0
; COMPUTE_PGM_RSRC2:TGID_Z_EN: 0
; COMPUTE_PGM_RSRC2:TIDIG_COMP_CNT: 0
	.section	.text._ZN7rocprim17ROCPRIM_400000_NS6detail17trampoline_kernelINS0_14default_configENS1_27lower_bound_config_selectorItlEEZNS1_14transform_implILb0ES3_S5_N6thrust23THRUST_200600_302600_NS6detail15normal_iteratorINS8_7pointerItNS8_11hip_rocprim5par_tENS8_11use_defaultESE_EEEENSA_INSB_IlSD_SE_SE_EEEEZNS1_13binary_searchIS3_S5_NSA_INS8_10device_ptrItEEEESG_SI_NS1_21lower_bound_search_opENS9_16wrapped_functionINS8_6system6detail7generic6detail18binary_search_lessEbEEEE10hipError_tPvRmT1_T2_T3_mmT4_T5_P12ihipStream_tbEUlRKtE_EESV_SZ_S10_mS11_S14_bEUlT_E_NS1_11comp_targetILNS1_3genE0ELNS1_11target_archE4294967295ELNS1_3gpuE0ELNS1_3repE0EEENS1_30default_config_static_selectorELNS0_4arch9wavefront6targetE0EEEvSY_,"axG",@progbits,_ZN7rocprim17ROCPRIM_400000_NS6detail17trampoline_kernelINS0_14default_configENS1_27lower_bound_config_selectorItlEEZNS1_14transform_implILb0ES3_S5_N6thrust23THRUST_200600_302600_NS6detail15normal_iteratorINS8_7pointerItNS8_11hip_rocprim5par_tENS8_11use_defaultESE_EEEENSA_INSB_IlSD_SE_SE_EEEEZNS1_13binary_searchIS3_S5_NSA_INS8_10device_ptrItEEEESG_SI_NS1_21lower_bound_search_opENS9_16wrapped_functionINS8_6system6detail7generic6detail18binary_search_lessEbEEEE10hipError_tPvRmT1_T2_T3_mmT4_T5_P12ihipStream_tbEUlRKtE_EESV_SZ_S10_mS11_S14_bEUlT_E_NS1_11comp_targetILNS1_3genE0ELNS1_11target_archE4294967295ELNS1_3gpuE0ELNS1_3repE0EEENS1_30default_config_static_selectorELNS0_4arch9wavefront6targetE0EEEvSY_,comdat
	.protected	_ZN7rocprim17ROCPRIM_400000_NS6detail17trampoline_kernelINS0_14default_configENS1_27lower_bound_config_selectorItlEEZNS1_14transform_implILb0ES3_S5_N6thrust23THRUST_200600_302600_NS6detail15normal_iteratorINS8_7pointerItNS8_11hip_rocprim5par_tENS8_11use_defaultESE_EEEENSA_INSB_IlSD_SE_SE_EEEEZNS1_13binary_searchIS3_S5_NSA_INS8_10device_ptrItEEEESG_SI_NS1_21lower_bound_search_opENS9_16wrapped_functionINS8_6system6detail7generic6detail18binary_search_lessEbEEEE10hipError_tPvRmT1_T2_T3_mmT4_T5_P12ihipStream_tbEUlRKtE_EESV_SZ_S10_mS11_S14_bEUlT_E_NS1_11comp_targetILNS1_3genE0ELNS1_11target_archE4294967295ELNS1_3gpuE0ELNS1_3repE0EEENS1_30default_config_static_selectorELNS0_4arch9wavefront6targetE0EEEvSY_ ; -- Begin function _ZN7rocprim17ROCPRIM_400000_NS6detail17trampoline_kernelINS0_14default_configENS1_27lower_bound_config_selectorItlEEZNS1_14transform_implILb0ES3_S5_N6thrust23THRUST_200600_302600_NS6detail15normal_iteratorINS8_7pointerItNS8_11hip_rocprim5par_tENS8_11use_defaultESE_EEEENSA_INSB_IlSD_SE_SE_EEEEZNS1_13binary_searchIS3_S5_NSA_INS8_10device_ptrItEEEESG_SI_NS1_21lower_bound_search_opENS9_16wrapped_functionINS8_6system6detail7generic6detail18binary_search_lessEbEEEE10hipError_tPvRmT1_T2_T3_mmT4_T5_P12ihipStream_tbEUlRKtE_EESV_SZ_S10_mS11_S14_bEUlT_E_NS1_11comp_targetILNS1_3genE0ELNS1_11target_archE4294967295ELNS1_3gpuE0ELNS1_3repE0EEENS1_30default_config_static_selectorELNS0_4arch9wavefront6targetE0EEEvSY_
	.globl	_ZN7rocprim17ROCPRIM_400000_NS6detail17trampoline_kernelINS0_14default_configENS1_27lower_bound_config_selectorItlEEZNS1_14transform_implILb0ES3_S5_N6thrust23THRUST_200600_302600_NS6detail15normal_iteratorINS8_7pointerItNS8_11hip_rocprim5par_tENS8_11use_defaultESE_EEEENSA_INSB_IlSD_SE_SE_EEEEZNS1_13binary_searchIS3_S5_NSA_INS8_10device_ptrItEEEESG_SI_NS1_21lower_bound_search_opENS9_16wrapped_functionINS8_6system6detail7generic6detail18binary_search_lessEbEEEE10hipError_tPvRmT1_T2_T3_mmT4_T5_P12ihipStream_tbEUlRKtE_EESV_SZ_S10_mS11_S14_bEUlT_E_NS1_11comp_targetILNS1_3genE0ELNS1_11target_archE4294967295ELNS1_3gpuE0ELNS1_3repE0EEENS1_30default_config_static_selectorELNS0_4arch9wavefront6targetE0EEEvSY_
	.p2align	8
	.type	_ZN7rocprim17ROCPRIM_400000_NS6detail17trampoline_kernelINS0_14default_configENS1_27lower_bound_config_selectorItlEEZNS1_14transform_implILb0ES3_S5_N6thrust23THRUST_200600_302600_NS6detail15normal_iteratorINS8_7pointerItNS8_11hip_rocprim5par_tENS8_11use_defaultESE_EEEENSA_INSB_IlSD_SE_SE_EEEEZNS1_13binary_searchIS3_S5_NSA_INS8_10device_ptrItEEEESG_SI_NS1_21lower_bound_search_opENS9_16wrapped_functionINS8_6system6detail7generic6detail18binary_search_lessEbEEEE10hipError_tPvRmT1_T2_T3_mmT4_T5_P12ihipStream_tbEUlRKtE_EESV_SZ_S10_mS11_S14_bEUlT_E_NS1_11comp_targetILNS1_3genE0ELNS1_11target_archE4294967295ELNS1_3gpuE0ELNS1_3repE0EEENS1_30default_config_static_selectorELNS0_4arch9wavefront6targetE0EEEvSY_,@function
_ZN7rocprim17ROCPRIM_400000_NS6detail17trampoline_kernelINS0_14default_configENS1_27lower_bound_config_selectorItlEEZNS1_14transform_implILb0ES3_S5_N6thrust23THRUST_200600_302600_NS6detail15normal_iteratorINS8_7pointerItNS8_11hip_rocprim5par_tENS8_11use_defaultESE_EEEENSA_INSB_IlSD_SE_SE_EEEEZNS1_13binary_searchIS3_S5_NSA_INS8_10device_ptrItEEEESG_SI_NS1_21lower_bound_search_opENS9_16wrapped_functionINS8_6system6detail7generic6detail18binary_search_lessEbEEEE10hipError_tPvRmT1_T2_T3_mmT4_T5_P12ihipStream_tbEUlRKtE_EESV_SZ_S10_mS11_S14_bEUlT_E_NS1_11comp_targetILNS1_3genE0ELNS1_11target_archE4294967295ELNS1_3gpuE0ELNS1_3repE0EEENS1_30default_config_static_selectorELNS0_4arch9wavefront6targetE0EEEvSY_: ; @_ZN7rocprim17ROCPRIM_400000_NS6detail17trampoline_kernelINS0_14default_configENS1_27lower_bound_config_selectorItlEEZNS1_14transform_implILb0ES3_S5_N6thrust23THRUST_200600_302600_NS6detail15normal_iteratorINS8_7pointerItNS8_11hip_rocprim5par_tENS8_11use_defaultESE_EEEENSA_INSB_IlSD_SE_SE_EEEEZNS1_13binary_searchIS3_S5_NSA_INS8_10device_ptrItEEEESG_SI_NS1_21lower_bound_search_opENS9_16wrapped_functionINS8_6system6detail7generic6detail18binary_search_lessEbEEEE10hipError_tPvRmT1_T2_T3_mmT4_T5_P12ihipStream_tbEUlRKtE_EESV_SZ_S10_mS11_S14_bEUlT_E_NS1_11comp_targetILNS1_3genE0ELNS1_11target_archE4294967295ELNS1_3gpuE0ELNS1_3repE0EEENS1_30default_config_static_selectorELNS0_4arch9wavefront6targetE0EEEvSY_
; %bb.0:
	.section	.rodata,"a",@progbits
	.p2align	6, 0x0
	.amdhsa_kernel _ZN7rocprim17ROCPRIM_400000_NS6detail17trampoline_kernelINS0_14default_configENS1_27lower_bound_config_selectorItlEEZNS1_14transform_implILb0ES3_S5_N6thrust23THRUST_200600_302600_NS6detail15normal_iteratorINS8_7pointerItNS8_11hip_rocprim5par_tENS8_11use_defaultESE_EEEENSA_INSB_IlSD_SE_SE_EEEEZNS1_13binary_searchIS3_S5_NSA_INS8_10device_ptrItEEEESG_SI_NS1_21lower_bound_search_opENS9_16wrapped_functionINS8_6system6detail7generic6detail18binary_search_lessEbEEEE10hipError_tPvRmT1_T2_T3_mmT4_T5_P12ihipStream_tbEUlRKtE_EESV_SZ_S10_mS11_S14_bEUlT_E_NS1_11comp_targetILNS1_3genE0ELNS1_11target_archE4294967295ELNS1_3gpuE0ELNS1_3repE0EEENS1_30default_config_static_selectorELNS0_4arch9wavefront6targetE0EEEvSY_
		.amdhsa_group_segment_fixed_size 0
		.amdhsa_private_segment_fixed_size 0
		.amdhsa_kernarg_size 56
		.amdhsa_user_sgpr_count 6
		.amdhsa_user_sgpr_private_segment_buffer 1
		.amdhsa_user_sgpr_dispatch_ptr 0
		.amdhsa_user_sgpr_queue_ptr 0
		.amdhsa_user_sgpr_kernarg_segment_ptr 1
		.amdhsa_user_sgpr_dispatch_id 0
		.amdhsa_user_sgpr_flat_scratch_init 0
		.amdhsa_user_sgpr_private_segment_size 0
		.amdhsa_wavefront_size32 1
		.amdhsa_uses_dynamic_stack 0
		.amdhsa_system_sgpr_private_segment_wavefront_offset 0
		.amdhsa_system_sgpr_workgroup_id_x 1
		.amdhsa_system_sgpr_workgroup_id_y 0
		.amdhsa_system_sgpr_workgroup_id_z 0
		.amdhsa_system_sgpr_workgroup_info 0
		.amdhsa_system_vgpr_workitem_id 0
		.amdhsa_next_free_vgpr 1
		.amdhsa_next_free_sgpr 1
		.amdhsa_reserve_vcc 0
		.amdhsa_reserve_flat_scratch 0
		.amdhsa_float_round_mode_32 0
		.amdhsa_float_round_mode_16_64 0
		.amdhsa_float_denorm_mode_32 3
		.amdhsa_float_denorm_mode_16_64 3
		.amdhsa_dx10_clamp 1
		.amdhsa_ieee_mode 1
		.amdhsa_fp16_overflow 0
		.amdhsa_workgroup_processor_mode 1
		.amdhsa_memory_ordered 1
		.amdhsa_forward_progress 1
		.amdhsa_shared_vgpr_count 0
		.amdhsa_exception_fp_ieee_invalid_op 0
		.amdhsa_exception_fp_denorm_src 0
		.amdhsa_exception_fp_ieee_div_zero 0
		.amdhsa_exception_fp_ieee_overflow 0
		.amdhsa_exception_fp_ieee_underflow 0
		.amdhsa_exception_fp_ieee_inexact 0
		.amdhsa_exception_int_div_zero 0
	.end_amdhsa_kernel
	.section	.text._ZN7rocprim17ROCPRIM_400000_NS6detail17trampoline_kernelINS0_14default_configENS1_27lower_bound_config_selectorItlEEZNS1_14transform_implILb0ES3_S5_N6thrust23THRUST_200600_302600_NS6detail15normal_iteratorINS8_7pointerItNS8_11hip_rocprim5par_tENS8_11use_defaultESE_EEEENSA_INSB_IlSD_SE_SE_EEEEZNS1_13binary_searchIS3_S5_NSA_INS8_10device_ptrItEEEESG_SI_NS1_21lower_bound_search_opENS9_16wrapped_functionINS8_6system6detail7generic6detail18binary_search_lessEbEEEE10hipError_tPvRmT1_T2_T3_mmT4_T5_P12ihipStream_tbEUlRKtE_EESV_SZ_S10_mS11_S14_bEUlT_E_NS1_11comp_targetILNS1_3genE0ELNS1_11target_archE4294967295ELNS1_3gpuE0ELNS1_3repE0EEENS1_30default_config_static_selectorELNS0_4arch9wavefront6targetE0EEEvSY_,"axG",@progbits,_ZN7rocprim17ROCPRIM_400000_NS6detail17trampoline_kernelINS0_14default_configENS1_27lower_bound_config_selectorItlEEZNS1_14transform_implILb0ES3_S5_N6thrust23THRUST_200600_302600_NS6detail15normal_iteratorINS8_7pointerItNS8_11hip_rocprim5par_tENS8_11use_defaultESE_EEEENSA_INSB_IlSD_SE_SE_EEEEZNS1_13binary_searchIS3_S5_NSA_INS8_10device_ptrItEEEESG_SI_NS1_21lower_bound_search_opENS9_16wrapped_functionINS8_6system6detail7generic6detail18binary_search_lessEbEEEE10hipError_tPvRmT1_T2_T3_mmT4_T5_P12ihipStream_tbEUlRKtE_EESV_SZ_S10_mS11_S14_bEUlT_E_NS1_11comp_targetILNS1_3genE0ELNS1_11target_archE4294967295ELNS1_3gpuE0ELNS1_3repE0EEENS1_30default_config_static_selectorELNS0_4arch9wavefront6targetE0EEEvSY_,comdat
.Lfunc_end376:
	.size	_ZN7rocprim17ROCPRIM_400000_NS6detail17trampoline_kernelINS0_14default_configENS1_27lower_bound_config_selectorItlEEZNS1_14transform_implILb0ES3_S5_N6thrust23THRUST_200600_302600_NS6detail15normal_iteratorINS8_7pointerItNS8_11hip_rocprim5par_tENS8_11use_defaultESE_EEEENSA_INSB_IlSD_SE_SE_EEEEZNS1_13binary_searchIS3_S5_NSA_INS8_10device_ptrItEEEESG_SI_NS1_21lower_bound_search_opENS9_16wrapped_functionINS8_6system6detail7generic6detail18binary_search_lessEbEEEE10hipError_tPvRmT1_T2_T3_mmT4_T5_P12ihipStream_tbEUlRKtE_EESV_SZ_S10_mS11_S14_bEUlT_E_NS1_11comp_targetILNS1_3genE0ELNS1_11target_archE4294967295ELNS1_3gpuE0ELNS1_3repE0EEENS1_30default_config_static_selectorELNS0_4arch9wavefront6targetE0EEEvSY_, .Lfunc_end376-_ZN7rocprim17ROCPRIM_400000_NS6detail17trampoline_kernelINS0_14default_configENS1_27lower_bound_config_selectorItlEEZNS1_14transform_implILb0ES3_S5_N6thrust23THRUST_200600_302600_NS6detail15normal_iteratorINS8_7pointerItNS8_11hip_rocprim5par_tENS8_11use_defaultESE_EEEENSA_INSB_IlSD_SE_SE_EEEEZNS1_13binary_searchIS3_S5_NSA_INS8_10device_ptrItEEEESG_SI_NS1_21lower_bound_search_opENS9_16wrapped_functionINS8_6system6detail7generic6detail18binary_search_lessEbEEEE10hipError_tPvRmT1_T2_T3_mmT4_T5_P12ihipStream_tbEUlRKtE_EESV_SZ_S10_mS11_S14_bEUlT_E_NS1_11comp_targetILNS1_3genE0ELNS1_11target_archE4294967295ELNS1_3gpuE0ELNS1_3repE0EEENS1_30default_config_static_selectorELNS0_4arch9wavefront6targetE0EEEvSY_
                                        ; -- End function
	.set _ZN7rocprim17ROCPRIM_400000_NS6detail17trampoline_kernelINS0_14default_configENS1_27lower_bound_config_selectorItlEEZNS1_14transform_implILb0ES3_S5_N6thrust23THRUST_200600_302600_NS6detail15normal_iteratorINS8_7pointerItNS8_11hip_rocprim5par_tENS8_11use_defaultESE_EEEENSA_INSB_IlSD_SE_SE_EEEEZNS1_13binary_searchIS3_S5_NSA_INS8_10device_ptrItEEEESG_SI_NS1_21lower_bound_search_opENS9_16wrapped_functionINS8_6system6detail7generic6detail18binary_search_lessEbEEEE10hipError_tPvRmT1_T2_T3_mmT4_T5_P12ihipStream_tbEUlRKtE_EESV_SZ_S10_mS11_S14_bEUlT_E_NS1_11comp_targetILNS1_3genE0ELNS1_11target_archE4294967295ELNS1_3gpuE0ELNS1_3repE0EEENS1_30default_config_static_selectorELNS0_4arch9wavefront6targetE0EEEvSY_.num_vgpr, 0
	.set _ZN7rocprim17ROCPRIM_400000_NS6detail17trampoline_kernelINS0_14default_configENS1_27lower_bound_config_selectorItlEEZNS1_14transform_implILb0ES3_S5_N6thrust23THRUST_200600_302600_NS6detail15normal_iteratorINS8_7pointerItNS8_11hip_rocprim5par_tENS8_11use_defaultESE_EEEENSA_INSB_IlSD_SE_SE_EEEEZNS1_13binary_searchIS3_S5_NSA_INS8_10device_ptrItEEEESG_SI_NS1_21lower_bound_search_opENS9_16wrapped_functionINS8_6system6detail7generic6detail18binary_search_lessEbEEEE10hipError_tPvRmT1_T2_T3_mmT4_T5_P12ihipStream_tbEUlRKtE_EESV_SZ_S10_mS11_S14_bEUlT_E_NS1_11comp_targetILNS1_3genE0ELNS1_11target_archE4294967295ELNS1_3gpuE0ELNS1_3repE0EEENS1_30default_config_static_selectorELNS0_4arch9wavefront6targetE0EEEvSY_.num_agpr, 0
	.set _ZN7rocprim17ROCPRIM_400000_NS6detail17trampoline_kernelINS0_14default_configENS1_27lower_bound_config_selectorItlEEZNS1_14transform_implILb0ES3_S5_N6thrust23THRUST_200600_302600_NS6detail15normal_iteratorINS8_7pointerItNS8_11hip_rocprim5par_tENS8_11use_defaultESE_EEEENSA_INSB_IlSD_SE_SE_EEEEZNS1_13binary_searchIS3_S5_NSA_INS8_10device_ptrItEEEESG_SI_NS1_21lower_bound_search_opENS9_16wrapped_functionINS8_6system6detail7generic6detail18binary_search_lessEbEEEE10hipError_tPvRmT1_T2_T3_mmT4_T5_P12ihipStream_tbEUlRKtE_EESV_SZ_S10_mS11_S14_bEUlT_E_NS1_11comp_targetILNS1_3genE0ELNS1_11target_archE4294967295ELNS1_3gpuE0ELNS1_3repE0EEENS1_30default_config_static_selectorELNS0_4arch9wavefront6targetE0EEEvSY_.numbered_sgpr, 0
	.set _ZN7rocprim17ROCPRIM_400000_NS6detail17trampoline_kernelINS0_14default_configENS1_27lower_bound_config_selectorItlEEZNS1_14transform_implILb0ES3_S5_N6thrust23THRUST_200600_302600_NS6detail15normal_iteratorINS8_7pointerItNS8_11hip_rocprim5par_tENS8_11use_defaultESE_EEEENSA_INSB_IlSD_SE_SE_EEEEZNS1_13binary_searchIS3_S5_NSA_INS8_10device_ptrItEEEESG_SI_NS1_21lower_bound_search_opENS9_16wrapped_functionINS8_6system6detail7generic6detail18binary_search_lessEbEEEE10hipError_tPvRmT1_T2_T3_mmT4_T5_P12ihipStream_tbEUlRKtE_EESV_SZ_S10_mS11_S14_bEUlT_E_NS1_11comp_targetILNS1_3genE0ELNS1_11target_archE4294967295ELNS1_3gpuE0ELNS1_3repE0EEENS1_30default_config_static_selectorELNS0_4arch9wavefront6targetE0EEEvSY_.num_named_barrier, 0
	.set _ZN7rocprim17ROCPRIM_400000_NS6detail17trampoline_kernelINS0_14default_configENS1_27lower_bound_config_selectorItlEEZNS1_14transform_implILb0ES3_S5_N6thrust23THRUST_200600_302600_NS6detail15normal_iteratorINS8_7pointerItNS8_11hip_rocprim5par_tENS8_11use_defaultESE_EEEENSA_INSB_IlSD_SE_SE_EEEEZNS1_13binary_searchIS3_S5_NSA_INS8_10device_ptrItEEEESG_SI_NS1_21lower_bound_search_opENS9_16wrapped_functionINS8_6system6detail7generic6detail18binary_search_lessEbEEEE10hipError_tPvRmT1_T2_T3_mmT4_T5_P12ihipStream_tbEUlRKtE_EESV_SZ_S10_mS11_S14_bEUlT_E_NS1_11comp_targetILNS1_3genE0ELNS1_11target_archE4294967295ELNS1_3gpuE0ELNS1_3repE0EEENS1_30default_config_static_selectorELNS0_4arch9wavefront6targetE0EEEvSY_.private_seg_size, 0
	.set _ZN7rocprim17ROCPRIM_400000_NS6detail17trampoline_kernelINS0_14default_configENS1_27lower_bound_config_selectorItlEEZNS1_14transform_implILb0ES3_S5_N6thrust23THRUST_200600_302600_NS6detail15normal_iteratorINS8_7pointerItNS8_11hip_rocprim5par_tENS8_11use_defaultESE_EEEENSA_INSB_IlSD_SE_SE_EEEEZNS1_13binary_searchIS3_S5_NSA_INS8_10device_ptrItEEEESG_SI_NS1_21lower_bound_search_opENS9_16wrapped_functionINS8_6system6detail7generic6detail18binary_search_lessEbEEEE10hipError_tPvRmT1_T2_T3_mmT4_T5_P12ihipStream_tbEUlRKtE_EESV_SZ_S10_mS11_S14_bEUlT_E_NS1_11comp_targetILNS1_3genE0ELNS1_11target_archE4294967295ELNS1_3gpuE0ELNS1_3repE0EEENS1_30default_config_static_selectorELNS0_4arch9wavefront6targetE0EEEvSY_.uses_vcc, 0
	.set _ZN7rocprim17ROCPRIM_400000_NS6detail17trampoline_kernelINS0_14default_configENS1_27lower_bound_config_selectorItlEEZNS1_14transform_implILb0ES3_S5_N6thrust23THRUST_200600_302600_NS6detail15normal_iteratorINS8_7pointerItNS8_11hip_rocprim5par_tENS8_11use_defaultESE_EEEENSA_INSB_IlSD_SE_SE_EEEEZNS1_13binary_searchIS3_S5_NSA_INS8_10device_ptrItEEEESG_SI_NS1_21lower_bound_search_opENS9_16wrapped_functionINS8_6system6detail7generic6detail18binary_search_lessEbEEEE10hipError_tPvRmT1_T2_T3_mmT4_T5_P12ihipStream_tbEUlRKtE_EESV_SZ_S10_mS11_S14_bEUlT_E_NS1_11comp_targetILNS1_3genE0ELNS1_11target_archE4294967295ELNS1_3gpuE0ELNS1_3repE0EEENS1_30default_config_static_selectorELNS0_4arch9wavefront6targetE0EEEvSY_.uses_flat_scratch, 0
	.set _ZN7rocprim17ROCPRIM_400000_NS6detail17trampoline_kernelINS0_14default_configENS1_27lower_bound_config_selectorItlEEZNS1_14transform_implILb0ES3_S5_N6thrust23THRUST_200600_302600_NS6detail15normal_iteratorINS8_7pointerItNS8_11hip_rocprim5par_tENS8_11use_defaultESE_EEEENSA_INSB_IlSD_SE_SE_EEEEZNS1_13binary_searchIS3_S5_NSA_INS8_10device_ptrItEEEESG_SI_NS1_21lower_bound_search_opENS9_16wrapped_functionINS8_6system6detail7generic6detail18binary_search_lessEbEEEE10hipError_tPvRmT1_T2_T3_mmT4_T5_P12ihipStream_tbEUlRKtE_EESV_SZ_S10_mS11_S14_bEUlT_E_NS1_11comp_targetILNS1_3genE0ELNS1_11target_archE4294967295ELNS1_3gpuE0ELNS1_3repE0EEENS1_30default_config_static_selectorELNS0_4arch9wavefront6targetE0EEEvSY_.has_dyn_sized_stack, 0
	.set _ZN7rocprim17ROCPRIM_400000_NS6detail17trampoline_kernelINS0_14default_configENS1_27lower_bound_config_selectorItlEEZNS1_14transform_implILb0ES3_S5_N6thrust23THRUST_200600_302600_NS6detail15normal_iteratorINS8_7pointerItNS8_11hip_rocprim5par_tENS8_11use_defaultESE_EEEENSA_INSB_IlSD_SE_SE_EEEEZNS1_13binary_searchIS3_S5_NSA_INS8_10device_ptrItEEEESG_SI_NS1_21lower_bound_search_opENS9_16wrapped_functionINS8_6system6detail7generic6detail18binary_search_lessEbEEEE10hipError_tPvRmT1_T2_T3_mmT4_T5_P12ihipStream_tbEUlRKtE_EESV_SZ_S10_mS11_S14_bEUlT_E_NS1_11comp_targetILNS1_3genE0ELNS1_11target_archE4294967295ELNS1_3gpuE0ELNS1_3repE0EEENS1_30default_config_static_selectorELNS0_4arch9wavefront6targetE0EEEvSY_.has_recursion, 0
	.set _ZN7rocprim17ROCPRIM_400000_NS6detail17trampoline_kernelINS0_14default_configENS1_27lower_bound_config_selectorItlEEZNS1_14transform_implILb0ES3_S5_N6thrust23THRUST_200600_302600_NS6detail15normal_iteratorINS8_7pointerItNS8_11hip_rocprim5par_tENS8_11use_defaultESE_EEEENSA_INSB_IlSD_SE_SE_EEEEZNS1_13binary_searchIS3_S5_NSA_INS8_10device_ptrItEEEESG_SI_NS1_21lower_bound_search_opENS9_16wrapped_functionINS8_6system6detail7generic6detail18binary_search_lessEbEEEE10hipError_tPvRmT1_T2_T3_mmT4_T5_P12ihipStream_tbEUlRKtE_EESV_SZ_S10_mS11_S14_bEUlT_E_NS1_11comp_targetILNS1_3genE0ELNS1_11target_archE4294967295ELNS1_3gpuE0ELNS1_3repE0EEENS1_30default_config_static_selectorELNS0_4arch9wavefront6targetE0EEEvSY_.has_indirect_call, 0
	.section	.AMDGPU.csdata,"",@progbits
; Kernel info:
; codeLenInByte = 0
; TotalNumSgprs: 0
; NumVgprs: 0
; ScratchSize: 0
; MemoryBound: 0
; FloatMode: 240
; IeeeMode: 1
; LDSByteSize: 0 bytes/workgroup (compile time only)
; SGPRBlocks: 0
; VGPRBlocks: 0
; NumSGPRsForWavesPerEU: 1
; NumVGPRsForWavesPerEU: 1
; Occupancy: 16
; WaveLimiterHint : 0
; COMPUTE_PGM_RSRC2:SCRATCH_EN: 0
; COMPUTE_PGM_RSRC2:USER_SGPR: 6
; COMPUTE_PGM_RSRC2:TRAP_HANDLER: 0
; COMPUTE_PGM_RSRC2:TGID_X_EN: 1
; COMPUTE_PGM_RSRC2:TGID_Y_EN: 0
; COMPUTE_PGM_RSRC2:TGID_Z_EN: 0
; COMPUTE_PGM_RSRC2:TIDIG_COMP_CNT: 0
	.section	.text._ZN7rocprim17ROCPRIM_400000_NS6detail17trampoline_kernelINS0_14default_configENS1_27lower_bound_config_selectorItlEEZNS1_14transform_implILb0ES3_S5_N6thrust23THRUST_200600_302600_NS6detail15normal_iteratorINS8_7pointerItNS8_11hip_rocprim5par_tENS8_11use_defaultESE_EEEENSA_INSB_IlSD_SE_SE_EEEEZNS1_13binary_searchIS3_S5_NSA_INS8_10device_ptrItEEEESG_SI_NS1_21lower_bound_search_opENS9_16wrapped_functionINS8_6system6detail7generic6detail18binary_search_lessEbEEEE10hipError_tPvRmT1_T2_T3_mmT4_T5_P12ihipStream_tbEUlRKtE_EESV_SZ_S10_mS11_S14_bEUlT_E_NS1_11comp_targetILNS1_3genE5ELNS1_11target_archE942ELNS1_3gpuE9ELNS1_3repE0EEENS1_30default_config_static_selectorELNS0_4arch9wavefront6targetE0EEEvSY_,"axG",@progbits,_ZN7rocprim17ROCPRIM_400000_NS6detail17trampoline_kernelINS0_14default_configENS1_27lower_bound_config_selectorItlEEZNS1_14transform_implILb0ES3_S5_N6thrust23THRUST_200600_302600_NS6detail15normal_iteratorINS8_7pointerItNS8_11hip_rocprim5par_tENS8_11use_defaultESE_EEEENSA_INSB_IlSD_SE_SE_EEEEZNS1_13binary_searchIS3_S5_NSA_INS8_10device_ptrItEEEESG_SI_NS1_21lower_bound_search_opENS9_16wrapped_functionINS8_6system6detail7generic6detail18binary_search_lessEbEEEE10hipError_tPvRmT1_T2_T3_mmT4_T5_P12ihipStream_tbEUlRKtE_EESV_SZ_S10_mS11_S14_bEUlT_E_NS1_11comp_targetILNS1_3genE5ELNS1_11target_archE942ELNS1_3gpuE9ELNS1_3repE0EEENS1_30default_config_static_selectorELNS0_4arch9wavefront6targetE0EEEvSY_,comdat
	.protected	_ZN7rocprim17ROCPRIM_400000_NS6detail17trampoline_kernelINS0_14default_configENS1_27lower_bound_config_selectorItlEEZNS1_14transform_implILb0ES3_S5_N6thrust23THRUST_200600_302600_NS6detail15normal_iteratorINS8_7pointerItNS8_11hip_rocprim5par_tENS8_11use_defaultESE_EEEENSA_INSB_IlSD_SE_SE_EEEEZNS1_13binary_searchIS3_S5_NSA_INS8_10device_ptrItEEEESG_SI_NS1_21lower_bound_search_opENS9_16wrapped_functionINS8_6system6detail7generic6detail18binary_search_lessEbEEEE10hipError_tPvRmT1_T2_T3_mmT4_T5_P12ihipStream_tbEUlRKtE_EESV_SZ_S10_mS11_S14_bEUlT_E_NS1_11comp_targetILNS1_3genE5ELNS1_11target_archE942ELNS1_3gpuE9ELNS1_3repE0EEENS1_30default_config_static_selectorELNS0_4arch9wavefront6targetE0EEEvSY_ ; -- Begin function _ZN7rocprim17ROCPRIM_400000_NS6detail17trampoline_kernelINS0_14default_configENS1_27lower_bound_config_selectorItlEEZNS1_14transform_implILb0ES3_S5_N6thrust23THRUST_200600_302600_NS6detail15normal_iteratorINS8_7pointerItNS8_11hip_rocprim5par_tENS8_11use_defaultESE_EEEENSA_INSB_IlSD_SE_SE_EEEEZNS1_13binary_searchIS3_S5_NSA_INS8_10device_ptrItEEEESG_SI_NS1_21lower_bound_search_opENS9_16wrapped_functionINS8_6system6detail7generic6detail18binary_search_lessEbEEEE10hipError_tPvRmT1_T2_T3_mmT4_T5_P12ihipStream_tbEUlRKtE_EESV_SZ_S10_mS11_S14_bEUlT_E_NS1_11comp_targetILNS1_3genE5ELNS1_11target_archE942ELNS1_3gpuE9ELNS1_3repE0EEENS1_30default_config_static_selectorELNS0_4arch9wavefront6targetE0EEEvSY_
	.globl	_ZN7rocprim17ROCPRIM_400000_NS6detail17trampoline_kernelINS0_14default_configENS1_27lower_bound_config_selectorItlEEZNS1_14transform_implILb0ES3_S5_N6thrust23THRUST_200600_302600_NS6detail15normal_iteratorINS8_7pointerItNS8_11hip_rocprim5par_tENS8_11use_defaultESE_EEEENSA_INSB_IlSD_SE_SE_EEEEZNS1_13binary_searchIS3_S5_NSA_INS8_10device_ptrItEEEESG_SI_NS1_21lower_bound_search_opENS9_16wrapped_functionINS8_6system6detail7generic6detail18binary_search_lessEbEEEE10hipError_tPvRmT1_T2_T3_mmT4_T5_P12ihipStream_tbEUlRKtE_EESV_SZ_S10_mS11_S14_bEUlT_E_NS1_11comp_targetILNS1_3genE5ELNS1_11target_archE942ELNS1_3gpuE9ELNS1_3repE0EEENS1_30default_config_static_selectorELNS0_4arch9wavefront6targetE0EEEvSY_
	.p2align	8
	.type	_ZN7rocprim17ROCPRIM_400000_NS6detail17trampoline_kernelINS0_14default_configENS1_27lower_bound_config_selectorItlEEZNS1_14transform_implILb0ES3_S5_N6thrust23THRUST_200600_302600_NS6detail15normal_iteratorINS8_7pointerItNS8_11hip_rocprim5par_tENS8_11use_defaultESE_EEEENSA_INSB_IlSD_SE_SE_EEEEZNS1_13binary_searchIS3_S5_NSA_INS8_10device_ptrItEEEESG_SI_NS1_21lower_bound_search_opENS9_16wrapped_functionINS8_6system6detail7generic6detail18binary_search_lessEbEEEE10hipError_tPvRmT1_T2_T3_mmT4_T5_P12ihipStream_tbEUlRKtE_EESV_SZ_S10_mS11_S14_bEUlT_E_NS1_11comp_targetILNS1_3genE5ELNS1_11target_archE942ELNS1_3gpuE9ELNS1_3repE0EEENS1_30default_config_static_selectorELNS0_4arch9wavefront6targetE0EEEvSY_,@function
_ZN7rocprim17ROCPRIM_400000_NS6detail17trampoline_kernelINS0_14default_configENS1_27lower_bound_config_selectorItlEEZNS1_14transform_implILb0ES3_S5_N6thrust23THRUST_200600_302600_NS6detail15normal_iteratorINS8_7pointerItNS8_11hip_rocprim5par_tENS8_11use_defaultESE_EEEENSA_INSB_IlSD_SE_SE_EEEEZNS1_13binary_searchIS3_S5_NSA_INS8_10device_ptrItEEEESG_SI_NS1_21lower_bound_search_opENS9_16wrapped_functionINS8_6system6detail7generic6detail18binary_search_lessEbEEEE10hipError_tPvRmT1_T2_T3_mmT4_T5_P12ihipStream_tbEUlRKtE_EESV_SZ_S10_mS11_S14_bEUlT_E_NS1_11comp_targetILNS1_3genE5ELNS1_11target_archE942ELNS1_3gpuE9ELNS1_3repE0EEENS1_30default_config_static_selectorELNS0_4arch9wavefront6targetE0EEEvSY_: ; @_ZN7rocprim17ROCPRIM_400000_NS6detail17trampoline_kernelINS0_14default_configENS1_27lower_bound_config_selectorItlEEZNS1_14transform_implILb0ES3_S5_N6thrust23THRUST_200600_302600_NS6detail15normal_iteratorINS8_7pointerItNS8_11hip_rocprim5par_tENS8_11use_defaultESE_EEEENSA_INSB_IlSD_SE_SE_EEEEZNS1_13binary_searchIS3_S5_NSA_INS8_10device_ptrItEEEESG_SI_NS1_21lower_bound_search_opENS9_16wrapped_functionINS8_6system6detail7generic6detail18binary_search_lessEbEEEE10hipError_tPvRmT1_T2_T3_mmT4_T5_P12ihipStream_tbEUlRKtE_EESV_SZ_S10_mS11_S14_bEUlT_E_NS1_11comp_targetILNS1_3genE5ELNS1_11target_archE942ELNS1_3gpuE9ELNS1_3repE0EEENS1_30default_config_static_selectorELNS0_4arch9wavefront6targetE0EEEvSY_
; %bb.0:
	.section	.rodata,"a",@progbits
	.p2align	6, 0x0
	.amdhsa_kernel _ZN7rocprim17ROCPRIM_400000_NS6detail17trampoline_kernelINS0_14default_configENS1_27lower_bound_config_selectorItlEEZNS1_14transform_implILb0ES3_S5_N6thrust23THRUST_200600_302600_NS6detail15normal_iteratorINS8_7pointerItNS8_11hip_rocprim5par_tENS8_11use_defaultESE_EEEENSA_INSB_IlSD_SE_SE_EEEEZNS1_13binary_searchIS3_S5_NSA_INS8_10device_ptrItEEEESG_SI_NS1_21lower_bound_search_opENS9_16wrapped_functionINS8_6system6detail7generic6detail18binary_search_lessEbEEEE10hipError_tPvRmT1_T2_T3_mmT4_T5_P12ihipStream_tbEUlRKtE_EESV_SZ_S10_mS11_S14_bEUlT_E_NS1_11comp_targetILNS1_3genE5ELNS1_11target_archE942ELNS1_3gpuE9ELNS1_3repE0EEENS1_30default_config_static_selectorELNS0_4arch9wavefront6targetE0EEEvSY_
		.amdhsa_group_segment_fixed_size 0
		.amdhsa_private_segment_fixed_size 0
		.amdhsa_kernarg_size 56
		.amdhsa_user_sgpr_count 6
		.amdhsa_user_sgpr_private_segment_buffer 1
		.amdhsa_user_sgpr_dispatch_ptr 0
		.amdhsa_user_sgpr_queue_ptr 0
		.amdhsa_user_sgpr_kernarg_segment_ptr 1
		.amdhsa_user_sgpr_dispatch_id 0
		.amdhsa_user_sgpr_flat_scratch_init 0
		.amdhsa_user_sgpr_private_segment_size 0
		.amdhsa_wavefront_size32 1
		.amdhsa_uses_dynamic_stack 0
		.amdhsa_system_sgpr_private_segment_wavefront_offset 0
		.amdhsa_system_sgpr_workgroup_id_x 1
		.amdhsa_system_sgpr_workgroup_id_y 0
		.amdhsa_system_sgpr_workgroup_id_z 0
		.amdhsa_system_sgpr_workgroup_info 0
		.amdhsa_system_vgpr_workitem_id 0
		.amdhsa_next_free_vgpr 1
		.amdhsa_next_free_sgpr 1
		.amdhsa_reserve_vcc 0
		.amdhsa_reserve_flat_scratch 0
		.amdhsa_float_round_mode_32 0
		.amdhsa_float_round_mode_16_64 0
		.amdhsa_float_denorm_mode_32 3
		.amdhsa_float_denorm_mode_16_64 3
		.amdhsa_dx10_clamp 1
		.amdhsa_ieee_mode 1
		.amdhsa_fp16_overflow 0
		.amdhsa_workgroup_processor_mode 1
		.amdhsa_memory_ordered 1
		.amdhsa_forward_progress 1
		.amdhsa_shared_vgpr_count 0
		.amdhsa_exception_fp_ieee_invalid_op 0
		.amdhsa_exception_fp_denorm_src 0
		.amdhsa_exception_fp_ieee_div_zero 0
		.amdhsa_exception_fp_ieee_overflow 0
		.amdhsa_exception_fp_ieee_underflow 0
		.amdhsa_exception_fp_ieee_inexact 0
		.amdhsa_exception_int_div_zero 0
	.end_amdhsa_kernel
	.section	.text._ZN7rocprim17ROCPRIM_400000_NS6detail17trampoline_kernelINS0_14default_configENS1_27lower_bound_config_selectorItlEEZNS1_14transform_implILb0ES3_S5_N6thrust23THRUST_200600_302600_NS6detail15normal_iteratorINS8_7pointerItNS8_11hip_rocprim5par_tENS8_11use_defaultESE_EEEENSA_INSB_IlSD_SE_SE_EEEEZNS1_13binary_searchIS3_S5_NSA_INS8_10device_ptrItEEEESG_SI_NS1_21lower_bound_search_opENS9_16wrapped_functionINS8_6system6detail7generic6detail18binary_search_lessEbEEEE10hipError_tPvRmT1_T2_T3_mmT4_T5_P12ihipStream_tbEUlRKtE_EESV_SZ_S10_mS11_S14_bEUlT_E_NS1_11comp_targetILNS1_3genE5ELNS1_11target_archE942ELNS1_3gpuE9ELNS1_3repE0EEENS1_30default_config_static_selectorELNS0_4arch9wavefront6targetE0EEEvSY_,"axG",@progbits,_ZN7rocprim17ROCPRIM_400000_NS6detail17trampoline_kernelINS0_14default_configENS1_27lower_bound_config_selectorItlEEZNS1_14transform_implILb0ES3_S5_N6thrust23THRUST_200600_302600_NS6detail15normal_iteratorINS8_7pointerItNS8_11hip_rocprim5par_tENS8_11use_defaultESE_EEEENSA_INSB_IlSD_SE_SE_EEEEZNS1_13binary_searchIS3_S5_NSA_INS8_10device_ptrItEEEESG_SI_NS1_21lower_bound_search_opENS9_16wrapped_functionINS8_6system6detail7generic6detail18binary_search_lessEbEEEE10hipError_tPvRmT1_T2_T3_mmT4_T5_P12ihipStream_tbEUlRKtE_EESV_SZ_S10_mS11_S14_bEUlT_E_NS1_11comp_targetILNS1_3genE5ELNS1_11target_archE942ELNS1_3gpuE9ELNS1_3repE0EEENS1_30default_config_static_selectorELNS0_4arch9wavefront6targetE0EEEvSY_,comdat
.Lfunc_end377:
	.size	_ZN7rocprim17ROCPRIM_400000_NS6detail17trampoline_kernelINS0_14default_configENS1_27lower_bound_config_selectorItlEEZNS1_14transform_implILb0ES3_S5_N6thrust23THRUST_200600_302600_NS6detail15normal_iteratorINS8_7pointerItNS8_11hip_rocprim5par_tENS8_11use_defaultESE_EEEENSA_INSB_IlSD_SE_SE_EEEEZNS1_13binary_searchIS3_S5_NSA_INS8_10device_ptrItEEEESG_SI_NS1_21lower_bound_search_opENS9_16wrapped_functionINS8_6system6detail7generic6detail18binary_search_lessEbEEEE10hipError_tPvRmT1_T2_T3_mmT4_T5_P12ihipStream_tbEUlRKtE_EESV_SZ_S10_mS11_S14_bEUlT_E_NS1_11comp_targetILNS1_3genE5ELNS1_11target_archE942ELNS1_3gpuE9ELNS1_3repE0EEENS1_30default_config_static_selectorELNS0_4arch9wavefront6targetE0EEEvSY_, .Lfunc_end377-_ZN7rocprim17ROCPRIM_400000_NS6detail17trampoline_kernelINS0_14default_configENS1_27lower_bound_config_selectorItlEEZNS1_14transform_implILb0ES3_S5_N6thrust23THRUST_200600_302600_NS6detail15normal_iteratorINS8_7pointerItNS8_11hip_rocprim5par_tENS8_11use_defaultESE_EEEENSA_INSB_IlSD_SE_SE_EEEEZNS1_13binary_searchIS3_S5_NSA_INS8_10device_ptrItEEEESG_SI_NS1_21lower_bound_search_opENS9_16wrapped_functionINS8_6system6detail7generic6detail18binary_search_lessEbEEEE10hipError_tPvRmT1_T2_T3_mmT4_T5_P12ihipStream_tbEUlRKtE_EESV_SZ_S10_mS11_S14_bEUlT_E_NS1_11comp_targetILNS1_3genE5ELNS1_11target_archE942ELNS1_3gpuE9ELNS1_3repE0EEENS1_30default_config_static_selectorELNS0_4arch9wavefront6targetE0EEEvSY_
                                        ; -- End function
	.set _ZN7rocprim17ROCPRIM_400000_NS6detail17trampoline_kernelINS0_14default_configENS1_27lower_bound_config_selectorItlEEZNS1_14transform_implILb0ES3_S5_N6thrust23THRUST_200600_302600_NS6detail15normal_iteratorINS8_7pointerItNS8_11hip_rocprim5par_tENS8_11use_defaultESE_EEEENSA_INSB_IlSD_SE_SE_EEEEZNS1_13binary_searchIS3_S5_NSA_INS8_10device_ptrItEEEESG_SI_NS1_21lower_bound_search_opENS9_16wrapped_functionINS8_6system6detail7generic6detail18binary_search_lessEbEEEE10hipError_tPvRmT1_T2_T3_mmT4_T5_P12ihipStream_tbEUlRKtE_EESV_SZ_S10_mS11_S14_bEUlT_E_NS1_11comp_targetILNS1_3genE5ELNS1_11target_archE942ELNS1_3gpuE9ELNS1_3repE0EEENS1_30default_config_static_selectorELNS0_4arch9wavefront6targetE0EEEvSY_.num_vgpr, 0
	.set _ZN7rocprim17ROCPRIM_400000_NS6detail17trampoline_kernelINS0_14default_configENS1_27lower_bound_config_selectorItlEEZNS1_14transform_implILb0ES3_S5_N6thrust23THRUST_200600_302600_NS6detail15normal_iteratorINS8_7pointerItNS8_11hip_rocprim5par_tENS8_11use_defaultESE_EEEENSA_INSB_IlSD_SE_SE_EEEEZNS1_13binary_searchIS3_S5_NSA_INS8_10device_ptrItEEEESG_SI_NS1_21lower_bound_search_opENS9_16wrapped_functionINS8_6system6detail7generic6detail18binary_search_lessEbEEEE10hipError_tPvRmT1_T2_T3_mmT4_T5_P12ihipStream_tbEUlRKtE_EESV_SZ_S10_mS11_S14_bEUlT_E_NS1_11comp_targetILNS1_3genE5ELNS1_11target_archE942ELNS1_3gpuE9ELNS1_3repE0EEENS1_30default_config_static_selectorELNS0_4arch9wavefront6targetE0EEEvSY_.num_agpr, 0
	.set _ZN7rocprim17ROCPRIM_400000_NS6detail17trampoline_kernelINS0_14default_configENS1_27lower_bound_config_selectorItlEEZNS1_14transform_implILb0ES3_S5_N6thrust23THRUST_200600_302600_NS6detail15normal_iteratorINS8_7pointerItNS8_11hip_rocprim5par_tENS8_11use_defaultESE_EEEENSA_INSB_IlSD_SE_SE_EEEEZNS1_13binary_searchIS3_S5_NSA_INS8_10device_ptrItEEEESG_SI_NS1_21lower_bound_search_opENS9_16wrapped_functionINS8_6system6detail7generic6detail18binary_search_lessEbEEEE10hipError_tPvRmT1_T2_T3_mmT4_T5_P12ihipStream_tbEUlRKtE_EESV_SZ_S10_mS11_S14_bEUlT_E_NS1_11comp_targetILNS1_3genE5ELNS1_11target_archE942ELNS1_3gpuE9ELNS1_3repE0EEENS1_30default_config_static_selectorELNS0_4arch9wavefront6targetE0EEEvSY_.numbered_sgpr, 0
	.set _ZN7rocprim17ROCPRIM_400000_NS6detail17trampoline_kernelINS0_14default_configENS1_27lower_bound_config_selectorItlEEZNS1_14transform_implILb0ES3_S5_N6thrust23THRUST_200600_302600_NS6detail15normal_iteratorINS8_7pointerItNS8_11hip_rocprim5par_tENS8_11use_defaultESE_EEEENSA_INSB_IlSD_SE_SE_EEEEZNS1_13binary_searchIS3_S5_NSA_INS8_10device_ptrItEEEESG_SI_NS1_21lower_bound_search_opENS9_16wrapped_functionINS8_6system6detail7generic6detail18binary_search_lessEbEEEE10hipError_tPvRmT1_T2_T3_mmT4_T5_P12ihipStream_tbEUlRKtE_EESV_SZ_S10_mS11_S14_bEUlT_E_NS1_11comp_targetILNS1_3genE5ELNS1_11target_archE942ELNS1_3gpuE9ELNS1_3repE0EEENS1_30default_config_static_selectorELNS0_4arch9wavefront6targetE0EEEvSY_.num_named_barrier, 0
	.set _ZN7rocprim17ROCPRIM_400000_NS6detail17trampoline_kernelINS0_14default_configENS1_27lower_bound_config_selectorItlEEZNS1_14transform_implILb0ES3_S5_N6thrust23THRUST_200600_302600_NS6detail15normal_iteratorINS8_7pointerItNS8_11hip_rocprim5par_tENS8_11use_defaultESE_EEEENSA_INSB_IlSD_SE_SE_EEEEZNS1_13binary_searchIS3_S5_NSA_INS8_10device_ptrItEEEESG_SI_NS1_21lower_bound_search_opENS9_16wrapped_functionINS8_6system6detail7generic6detail18binary_search_lessEbEEEE10hipError_tPvRmT1_T2_T3_mmT4_T5_P12ihipStream_tbEUlRKtE_EESV_SZ_S10_mS11_S14_bEUlT_E_NS1_11comp_targetILNS1_3genE5ELNS1_11target_archE942ELNS1_3gpuE9ELNS1_3repE0EEENS1_30default_config_static_selectorELNS0_4arch9wavefront6targetE0EEEvSY_.private_seg_size, 0
	.set _ZN7rocprim17ROCPRIM_400000_NS6detail17trampoline_kernelINS0_14default_configENS1_27lower_bound_config_selectorItlEEZNS1_14transform_implILb0ES3_S5_N6thrust23THRUST_200600_302600_NS6detail15normal_iteratorINS8_7pointerItNS8_11hip_rocprim5par_tENS8_11use_defaultESE_EEEENSA_INSB_IlSD_SE_SE_EEEEZNS1_13binary_searchIS3_S5_NSA_INS8_10device_ptrItEEEESG_SI_NS1_21lower_bound_search_opENS9_16wrapped_functionINS8_6system6detail7generic6detail18binary_search_lessEbEEEE10hipError_tPvRmT1_T2_T3_mmT4_T5_P12ihipStream_tbEUlRKtE_EESV_SZ_S10_mS11_S14_bEUlT_E_NS1_11comp_targetILNS1_3genE5ELNS1_11target_archE942ELNS1_3gpuE9ELNS1_3repE0EEENS1_30default_config_static_selectorELNS0_4arch9wavefront6targetE0EEEvSY_.uses_vcc, 0
	.set _ZN7rocprim17ROCPRIM_400000_NS6detail17trampoline_kernelINS0_14default_configENS1_27lower_bound_config_selectorItlEEZNS1_14transform_implILb0ES3_S5_N6thrust23THRUST_200600_302600_NS6detail15normal_iteratorINS8_7pointerItNS8_11hip_rocprim5par_tENS8_11use_defaultESE_EEEENSA_INSB_IlSD_SE_SE_EEEEZNS1_13binary_searchIS3_S5_NSA_INS8_10device_ptrItEEEESG_SI_NS1_21lower_bound_search_opENS9_16wrapped_functionINS8_6system6detail7generic6detail18binary_search_lessEbEEEE10hipError_tPvRmT1_T2_T3_mmT4_T5_P12ihipStream_tbEUlRKtE_EESV_SZ_S10_mS11_S14_bEUlT_E_NS1_11comp_targetILNS1_3genE5ELNS1_11target_archE942ELNS1_3gpuE9ELNS1_3repE0EEENS1_30default_config_static_selectorELNS0_4arch9wavefront6targetE0EEEvSY_.uses_flat_scratch, 0
	.set _ZN7rocprim17ROCPRIM_400000_NS6detail17trampoline_kernelINS0_14default_configENS1_27lower_bound_config_selectorItlEEZNS1_14transform_implILb0ES3_S5_N6thrust23THRUST_200600_302600_NS6detail15normal_iteratorINS8_7pointerItNS8_11hip_rocprim5par_tENS8_11use_defaultESE_EEEENSA_INSB_IlSD_SE_SE_EEEEZNS1_13binary_searchIS3_S5_NSA_INS8_10device_ptrItEEEESG_SI_NS1_21lower_bound_search_opENS9_16wrapped_functionINS8_6system6detail7generic6detail18binary_search_lessEbEEEE10hipError_tPvRmT1_T2_T3_mmT4_T5_P12ihipStream_tbEUlRKtE_EESV_SZ_S10_mS11_S14_bEUlT_E_NS1_11comp_targetILNS1_3genE5ELNS1_11target_archE942ELNS1_3gpuE9ELNS1_3repE0EEENS1_30default_config_static_selectorELNS0_4arch9wavefront6targetE0EEEvSY_.has_dyn_sized_stack, 0
	.set _ZN7rocprim17ROCPRIM_400000_NS6detail17trampoline_kernelINS0_14default_configENS1_27lower_bound_config_selectorItlEEZNS1_14transform_implILb0ES3_S5_N6thrust23THRUST_200600_302600_NS6detail15normal_iteratorINS8_7pointerItNS8_11hip_rocprim5par_tENS8_11use_defaultESE_EEEENSA_INSB_IlSD_SE_SE_EEEEZNS1_13binary_searchIS3_S5_NSA_INS8_10device_ptrItEEEESG_SI_NS1_21lower_bound_search_opENS9_16wrapped_functionINS8_6system6detail7generic6detail18binary_search_lessEbEEEE10hipError_tPvRmT1_T2_T3_mmT4_T5_P12ihipStream_tbEUlRKtE_EESV_SZ_S10_mS11_S14_bEUlT_E_NS1_11comp_targetILNS1_3genE5ELNS1_11target_archE942ELNS1_3gpuE9ELNS1_3repE0EEENS1_30default_config_static_selectorELNS0_4arch9wavefront6targetE0EEEvSY_.has_recursion, 0
	.set _ZN7rocprim17ROCPRIM_400000_NS6detail17trampoline_kernelINS0_14default_configENS1_27lower_bound_config_selectorItlEEZNS1_14transform_implILb0ES3_S5_N6thrust23THRUST_200600_302600_NS6detail15normal_iteratorINS8_7pointerItNS8_11hip_rocprim5par_tENS8_11use_defaultESE_EEEENSA_INSB_IlSD_SE_SE_EEEEZNS1_13binary_searchIS3_S5_NSA_INS8_10device_ptrItEEEESG_SI_NS1_21lower_bound_search_opENS9_16wrapped_functionINS8_6system6detail7generic6detail18binary_search_lessEbEEEE10hipError_tPvRmT1_T2_T3_mmT4_T5_P12ihipStream_tbEUlRKtE_EESV_SZ_S10_mS11_S14_bEUlT_E_NS1_11comp_targetILNS1_3genE5ELNS1_11target_archE942ELNS1_3gpuE9ELNS1_3repE0EEENS1_30default_config_static_selectorELNS0_4arch9wavefront6targetE0EEEvSY_.has_indirect_call, 0
	.section	.AMDGPU.csdata,"",@progbits
; Kernel info:
; codeLenInByte = 0
; TotalNumSgprs: 0
; NumVgprs: 0
; ScratchSize: 0
; MemoryBound: 0
; FloatMode: 240
; IeeeMode: 1
; LDSByteSize: 0 bytes/workgroup (compile time only)
; SGPRBlocks: 0
; VGPRBlocks: 0
; NumSGPRsForWavesPerEU: 1
; NumVGPRsForWavesPerEU: 1
; Occupancy: 16
; WaveLimiterHint : 0
; COMPUTE_PGM_RSRC2:SCRATCH_EN: 0
; COMPUTE_PGM_RSRC2:USER_SGPR: 6
; COMPUTE_PGM_RSRC2:TRAP_HANDLER: 0
; COMPUTE_PGM_RSRC2:TGID_X_EN: 1
; COMPUTE_PGM_RSRC2:TGID_Y_EN: 0
; COMPUTE_PGM_RSRC2:TGID_Z_EN: 0
; COMPUTE_PGM_RSRC2:TIDIG_COMP_CNT: 0
	.section	.text._ZN7rocprim17ROCPRIM_400000_NS6detail17trampoline_kernelINS0_14default_configENS1_27lower_bound_config_selectorItlEEZNS1_14transform_implILb0ES3_S5_N6thrust23THRUST_200600_302600_NS6detail15normal_iteratorINS8_7pointerItNS8_11hip_rocprim5par_tENS8_11use_defaultESE_EEEENSA_INSB_IlSD_SE_SE_EEEEZNS1_13binary_searchIS3_S5_NSA_INS8_10device_ptrItEEEESG_SI_NS1_21lower_bound_search_opENS9_16wrapped_functionINS8_6system6detail7generic6detail18binary_search_lessEbEEEE10hipError_tPvRmT1_T2_T3_mmT4_T5_P12ihipStream_tbEUlRKtE_EESV_SZ_S10_mS11_S14_bEUlT_E_NS1_11comp_targetILNS1_3genE4ELNS1_11target_archE910ELNS1_3gpuE8ELNS1_3repE0EEENS1_30default_config_static_selectorELNS0_4arch9wavefront6targetE0EEEvSY_,"axG",@progbits,_ZN7rocprim17ROCPRIM_400000_NS6detail17trampoline_kernelINS0_14default_configENS1_27lower_bound_config_selectorItlEEZNS1_14transform_implILb0ES3_S5_N6thrust23THRUST_200600_302600_NS6detail15normal_iteratorINS8_7pointerItNS8_11hip_rocprim5par_tENS8_11use_defaultESE_EEEENSA_INSB_IlSD_SE_SE_EEEEZNS1_13binary_searchIS3_S5_NSA_INS8_10device_ptrItEEEESG_SI_NS1_21lower_bound_search_opENS9_16wrapped_functionINS8_6system6detail7generic6detail18binary_search_lessEbEEEE10hipError_tPvRmT1_T2_T3_mmT4_T5_P12ihipStream_tbEUlRKtE_EESV_SZ_S10_mS11_S14_bEUlT_E_NS1_11comp_targetILNS1_3genE4ELNS1_11target_archE910ELNS1_3gpuE8ELNS1_3repE0EEENS1_30default_config_static_selectorELNS0_4arch9wavefront6targetE0EEEvSY_,comdat
	.protected	_ZN7rocprim17ROCPRIM_400000_NS6detail17trampoline_kernelINS0_14default_configENS1_27lower_bound_config_selectorItlEEZNS1_14transform_implILb0ES3_S5_N6thrust23THRUST_200600_302600_NS6detail15normal_iteratorINS8_7pointerItNS8_11hip_rocprim5par_tENS8_11use_defaultESE_EEEENSA_INSB_IlSD_SE_SE_EEEEZNS1_13binary_searchIS3_S5_NSA_INS8_10device_ptrItEEEESG_SI_NS1_21lower_bound_search_opENS9_16wrapped_functionINS8_6system6detail7generic6detail18binary_search_lessEbEEEE10hipError_tPvRmT1_T2_T3_mmT4_T5_P12ihipStream_tbEUlRKtE_EESV_SZ_S10_mS11_S14_bEUlT_E_NS1_11comp_targetILNS1_3genE4ELNS1_11target_archE910ELNS1_3gpuE8ELNS1_3repE0EEENS1_30default_config_static_selectorELNS0_4arch9wavefront6targetE0EEEvSY_ ; -- Begin function _ZN7rocprim17ROCPRIM_400000_NS6detail17trampoline_kernelINS0_14default_configENS1_27lower_bound_config_selectorItlEEZNS1_14transform_implILb0ES3_S5_N6thrust23THRUST_200600_302600_NS6detail15normal_iteratorINS8_7pointerItNS8_11hip_rocprim5par_tENS8_11use_defaultESE_EEEENSA_INSB_IlSD_SE_SE_EEEEZNS1_13binary_searchIS3_S5_NSA_INS8_10device_ptrItEEEESG_SI_NS1_21lower_bound_search_opENS9_16wrapped_functionINS8_6system6detail7generic6detail18binary_search_lessEbEEEE10hipError_tPvRmT1_T2_T3_mmT4_T5_P12ihipStream_tbEUlRKtE_EESV_SZ_S10_mS11_S14_bEUlT_E_NS1_11comp_targetILNS1_3genE4ELNS1_11target_archE910ELNS1_3gpuE8ELNS1_3repE0EEENS1_30default_config_static_selectorELNS0_4arch9wavefront6targetE0EEEvSY_
	.globl	_ZN7rocprim17ROCPRIM_400000_NS6detail17trampoline_kernelINS0_14default_configENS1_27lower_bound_config_selectorItlEEZNS1_14transform_implILb0ES3_S5_N6thrust23THRUST_200600_302600_NS6detail15normal_iteratorINS8_7pointerItNS8_11hip_rocprim5par_tENS8_11use_defaultESE_EEEENSA_INSB_IlSD_SE_SE_EEEEZNS1_13binary_searchIS3_S5_NSA_INS8_10device_ptrItEEEESG_SI_NS1_21lower_bound_search_opENS9_16wrapped_functionINS8_6system6detail7generic6detail18binary_search_lessEbEEEE10hipError_tPvRmT1_T2_T3_mmT4_T5_P12ihipStream_tbEUlRKtE_EESV_SZ_S10_mS11_S14_bEUlT_E_NS1_11comp_targetILNS1_3genE4ELNS1_11target_archE910ELNS1_3gpuE8ELNS1_3repE0EEENS1_30default_config_static_selectorELNS0_4arch9wavefront6targetE0EEEvSY_
	.p2align	8
	.type	_ZN7rocprim17ROCPRIM_400000_NS6detail17trampoline_kernelINS0_14default_configENS1_27lower_bound_config_selectorItlEEZNS1_14transform_implILb0ES3_S5_N6thrust23THRUST_200600_302600_NS6detail15normal_iteratorINS8_7pointerItNS8_11hip_rocprim5par_tENS8_11use_defaultESE_EEEENSA_INSB_IlSD_SE_SE_EEEEZNS1_13binary_searchIS3_S5_NSA_INS8_10device_ptrItEEEESG_SI_NS1_21lower_bound_search_opENS9_16wrapped_functionINS8_6system6detail7generic6detail18binary_search_lessEbEEEE10hipError_tPvRmT1_T2_T3_mmT4_T5_P12ihipStream_tbEUlRKtE_EESV_SZ_S10_mS11_S14_bEUlT_E_NS1_11comp_targetILNS1_3genE4ELNS1_11target_archE910ELNS1_3gpuE8ELNS1_3repE0EEENS1_30default_config_static_selectorELNS0_4arch9wavefront6targetE0EEEvSY_,@function
_ZN7rocprim17ROCPRIM_400000_NS6detail17trampoline_kernelINS0_14default_configENS1_27lower_bound_config_selectorItlEEZNS1_14transform_implILb0ES3_S5_N6thrust23THRUST_200600_302600_NS6detail15normal_iteratorINS8_7pointerItNS8_11hip_rocprim5par_tENS8_11use_defaultESE_EEEENSA_INSB_IlSD_SE_SE_EEEEZNS1_13binary_searchIS3_S5_NSA_INS8_10device_ptrItEEEESG_SI_NS1_21lower_bound_search_opENS9_16wrapped_functionINS8_6system6detail7generic6detail18binary_search_lessEbEEEE10hipError_tPvRmT1_T2_T3_mmT4_T5_P12ihipStream_tbEUlRKtE_EESV_SZ_S10_mS11_S14_bEUlT_E_NS1_11comp_targetILNS1_3genE4ELNS1_11target_archE910ELNS1_3gpuE8ELNS1_3repE0EEENS1_30default_config_static_selectorELNS0_4arch9wavefront6targetE0EEEvSY_: ; @_ZN7rocprim17ROCPRIM_400000_NS6detail17trampoline_kernelINS0_14default_configENS1_27lower_bound_config_selectorItlEEZNS1_14transform_implILb0ES3_S5_N6thrust23THRUST_200600_302600_NS6detail15normal_iteratorINS8_7pointerItNS8_11hip_rocprim5par_tENS8_11use_defaultESE_EEEENSA_INSB_IlSD_SE_SE_EEEEZNS1_13binary_searchIS3_S5_NSA_INS8_10device_ptrItEEEESG_SI_NS1_21lower_bound_search_opENS9_16wrapped_functionINS8_6system6detail7generic6detail18binary_search_lessEbEEEE10hipError_tPvRmT1_T2_T3_mmT4_T5_P12ihipStream_tbEUlRKtE_EESV_SZ_S10_mS11_S14_bEUlT_E_NS1_11comp_targetILNS1_3genE4ELNS1_11target_archE910ELNS1_3gpuE8ELNS1_3repE0EEENS1_30default_config_static_selectorELNS0_4arch9wavefront6targetE0EEEvSY_
; %bb.0:
	.section	.rodata,"a",@progbits
	.p2align	6, 0x0
	.amdhsa_kernel _ZN7rocprim17ROCPRIM_400000_NS6detail17trampoline_kernelINS0_14default_configENS1_27lower_bound_config_selectorItlEEZNS1_14transform_implILb0ES3_S5_N6thrust23THRUST_200600_302600_NS6detail15normal_iteratorINS8_7pointerItNS8_11hip_rocprim5par_tENS8_11use_defaultESE_EEEENSA_INSB_IlSD_SE_SE_EEEEZNS1_13binary_searchIS3_S5_NSA_INS8_10device_ptrItEEEESG_SI_NS1_21lower_bound_search_opENS9_16wrapped_functionINS8_6system6detail7generic6detail18binary_search_lessEbEEEE10hipError_tPvRmT1_T2_T3_mmT4_T5_P12ihipStream_tbEUlRKtE_EESV_SZ_S10_mS11_S14_bEUlT_E_NS1_11comp_targetILNS1_3genE4ELNS1_11target_archE910ELNS1_3gpuE8ELNS1_3repE0EEENS1_30default_config_static_selectorELNS0_4arch9wavefront6targetE0EEEvSY_
		.amdhsa_group_segment_fixed_size 0
		.amdhsa_private_segment_fixed_size 0
		.amdhsa_kernarg_size 56
		.amdhsa_user_sgpr_count 6
		.amdhsa_user_sgpr_private_segment_buffer 1
		.amdhsa_user_sgpr_dispatch_ptr 0
		.amdhsa_user_sgpr_queue_ptr 0
		.amdhsa_user_sgpr_kernarg_segment_ptr 1
		.amdhsa_user_sgpr_dispatch_id 0
		.amdhsa_user_sgpr_flat_scratch_init 0
		.amdhsa_user_sgpr_private_segment_size 0
		.amdhsa_wavefront_size32 1
		.amdhsa_uses_dynamic_stack 0
		.amdhsa_system_sgpr_private_segment_wavefront_offset 0
		.amdhsa_system_sgpr_workgroup_id_x 1
		.amdhsa_system_sgpr_workgroup_id_y 0
		.amdhsa_system_sgpr_workgroup_id_z 0
		.amdhsa_system_sgpr_workgroup_info 0
		.amdhsa_system_vgpr_workitem_id 0
		.amdhsa_next_free_vgpr 1
		.amdhsa_next_free_sgpr 1
		.amdhsa_reserve_vcc 0
		.amdhsa_reserve_flat_scratch 0
		.amdhsa_float_round_mode_32 0
		.amdhsa_float_round_mode_16_64 0
		.amdhsa_float_denorm_mode_32 3
		.amdhsa_float_denorm_mode_16_64 3
		.amdhsa_dx10_clamp 1
		.amdhsa_ieee_mode 1
		.amdhsa_fp16_overflow 0
		.amdhsa_workgroup_processor_mode 1
		.amdhsa_memory_ordered 1
		.amdhsa_forward_progress 1
		.amdhsa_shared_vgpr_count 0
		.amdhsa_exception_fp_ieee_invalid_op 0
		.amdhsa_exception_fp_denorm_src 0
		.amdhsa_exception_fp_ieee_div_zero 0
		.amdhsa_exception_fp_ieee_overflow 0
		.amdhsa_exception_fp_ieee_underflow 0
		.amdhsa_exception_fp_ieee_inexact 0
		.amdhsa_exception_int_div_zero 0
	.end_amdhsa_kernel
	.section	.text._ZN7rocprim17ROCPRIM_400000_NS6detail17trampoline_kernelINS0_14default_configENS1_27lower_bound_config_selectorItlEEZNS1_14transform_implILb0ES3_S5_N6thrust23THRUST_200600_302600_NS6detail15normal_iteratorINS8_7pointerItNS8_11hip_rocprim5par_tENS8_11use_defaultESE_EEEENSA_INSB_IlSD_SE_SE_EEEEZNS1_13binary_searchIS3_S5_NSA_INS8_10device_ptrItEEEESG_SI_NS1_21lower_bound_search_opENS9_16wrapped_functionINS8_6system6detail7generic6detail18binary_search_lessEbEEEE10hipError_tPvRmT1_T2_T3_mmT4_T5_P12ihipStream_tbEUlRKtE_EESV_SZ_S10_mS11_S14_bEUlT_E_NS1_11comp_targetILNS1_3genE4ELNS1_11target_archE910ELNS1_3gpuE8ELNS1_3repE0EEENS1_30default_config_static_selectorELNS0_4arch9wavefront6targetE0EEEvSY_,"axG",@progbits,_ZN7rocprim17ROCPRIM_400000_NS6detail17trampoline_kernelINS0_14default_configENS1_27lower_bound_config_selectorItlEEZNS1_14transform_implILb0ES3_S5_N6thrust23THRUST_200600_302600_NS6detail15normal_iteratorINS8_7pointerItNS8_11hip_rocprim5par_tENS8_11use_defaultESE_EEEENSA_INSB_IlSD_SE_SE_EEEEZNS1_13binary_searchIS3_S5_NSA_INS8_10device_ptrItEEEESG_SI_NS1_21lower_bound_search_opENS9_16wrapped_functionINS8_6system6detail7generic6detail18binary_search_lessEbEEEE10hipError_tPvRmT1_T2_T3_mmT4_T5_P12ihipStream_tbEUlRKtE_EESV_SZ_S10_mS11_S14_bEUlT_E_NS1_11comp_targetILNS1_3genE4ELNS1_11target_archE910ELNS1_3gpuE8ELNS1_3repE0EEENS1_30default_config_static_selectorELNS0_4arch9wavefront6targetE0EEEvSY_,comdat
.Lfunc_end378:
	.size	_ZN7rocprim17ROCPRIM_400000_NS6detail17trampoline_kernelINS0_14default_configENS1_27lower_bound_config_selectorItlEEZNS1_14transform_implILb0ES3_S5_N6thrust23THRUST_200600_302600_NS6detail15normal_iteratorINS8_7pointerItNS8_11hip_rocprim5par_tENS8_11use_defaultESE_EEEENSA_INSB_IlSD_SE_SE_EEEEZNS1_13binary_searchIS3_S5_NSA_INS8_10device_ptrItEEEESG_SI_NS1_21lower_bound_search_opENS9_16wrapped_functionINS8_6system6detail7generic6detail18binary_search_lessEbEEEE10hipError_tPvRmT1_T2_T3_mmT4_T5_P12ihipStream_tbEUlRKtE_EESV_SZ_S10_mS11_S14_bEUlT_E_NS1_11comp_targetILNS1_3genE4ELNS1_11target_archE910ELNS1_3gpuE8ELNS1_3repE0EEENS1_30default_config_static_selectorELNS0_4arch9wavefront6targetE0EEEvSY_, .Lfunc_end378-_ZN7rocprim17ROCPRIM_400000_NS6detail17trampoline_kernelINS0_14default_configENS1_27lower_bound_config_selectorItlEEZNS1_14transform_implILb0ES3_S5_N6thrust23THRUST_200600_302600_NS6detail15normal_iteratorINS8_7pointerItNS8_11hip_rocprim5par_tENS8_11use_defaultESE_EEEENSA_INSB_IlSD_SE_SE_EEEEZNS1_13binary_searchIS3_S5_NSA_INS8_10device_ptrItEEEESG_SI_NS1_21lower_bound_search_opENS9_16wrapped_functionINS8_6system6detail7generic6detail18binary_search_lessEbEEEE10hipError_tPvRmT1_T2_T3_mmT4_T5_P12ihipStream_tbEUlRKtE_EESV_SZ_S10_mS11_S14_bEUlT_E_NS1_11comp_targetILNS1_3genE4ELNS1_11target_archE910ELNS1_3gpuE8ELNS1_3repE0EEENS1_30default_config_static_selectorELNS0_4arch9wavefront6targetE0EEEvSY_
                                        ; -- End function
	.set _ZN7rocprim17ROCPRIM_400000_NS6detail17trampoline_kernelINS0_14default_configENS1_27lower_bound_config_selectorItlEEZNS1_14transform_implILb0ES3_S5_N6thrust23THRUST_200600_302600_NS6detail15normal_iteratorINS8_7pointerItNS8_11hip_rocprim5par_tENS8_11use_defaultESE_EEEENSA_INSB_IlSD_SE_SE_EEEEZNS1_13binary_searchIS3_S5_NSA_INS8_10device_ptrItEEEESG_SI_NS1_21lower_bound_search_opENS9_16wrapped_functionINS8_6system6detail7generic6detail18binary_search_lessEbEEEE10hipError_tPvRmT1_T2_T3_mmT4_T5_P12ihipStream_tbEUlRKtE_EESV_SZ_S10_mS11_S14_bEUlT_E_NS1_11comp_targetILNS1_3genE4ELNS1_11target_archE910ELNS1_3gpuE8ELNS1_3repE0EEENS1_30default_config_static_selectorELNS0_4arch9wavefront6targetE0EEEvSY_.num_vgpr, 0
	.set _ZN7rocprim17ROCPRIM_400000_NS6detail17trampoline_kernelINS0_14default_configENS1_27lower_bound_config_selectorItlEEZNS1_14transform_implILb0ES3_S5_N6thrust23THRUST_200600_302600_NS6detail15normal_iteratorINS8_7pointerItNS8_11hip_rocprim5par_tENS8_11use_defaultESE_EEEENSA_INSB_IlSD_SE_SE_EEEEZNS1_13binary_searchIS3_S5_NSA_INS8_10device_ptrItEEEESG_SI_NS1_21lower_bound_search_opENS9_16wrapped_functionINS8_6system6detail7generic6detail18binary_search_lessEbEEEE10hipError_tPvRmT1_T2_T3_mmT4_T5_P12ihipStream_tbEUlRKtE_EESV_SZ_S10_mS11_S14_bEUlT_E_NS1_11comp_targetILNS1_3genE4ELNS1_11target_archE910ELNS1_3gpuE8ELNS1_3repE0EEENS1_30default_config_static_selectorELNS0_4arch9wavefront6targetE0EEEvSY_.num_agpr, 0
	.set _ZN7rocprim17ROCPRIM_400000_NS6detail17trampoline_kernelINS0_14default_configENS1_27lower_bound_config_selectorItlEEZNS1_14transform_implILb0ES3_S5_N6thrust23THRUST_200600_302600_NS6detail15normal_iteratorINS8_7pointerItNS8_11hip_rocprim5par_tENS8_11use_defaultESE_EEEENSA_INSB_IlSD_SE_SE_EEEEZNS1_13binary_searchIS3_S5_NSA_INS8_10device_ptrItEEEESG_SI_NS1_21lower_bound_search_opENS9_16wrapped_functionINS8_6system6detail7generic6detail18binary_search_lessEbEEEE10hipError_tPvRmT1_T2_T3_mmT4_T5_P12ihipStream_tbEUlRKtE_EESV_SZ_S10_mS11_S14_bEUlT_E_NS1_11comp_targetILNS1_3genE4ELNS1_11target_archE910ELNS1_3gpuE8ELNS1_3repE0EEENS1_30default_config_static_selectorELNS0_4arch9wavefront6targetE0EEEvSY_.numbered_sgpr, 0
	.set _ZN7rocprim17ROCPRIM_400000_NS6detail17trampoline_kernelINS0_14default_configENS1_27lower_bound_config_selectorItlEEZNS1_14transform_implILb0ES3_S5_N6thrust23THRUST_200600_302600_NS6detail15normal_iteratorINS8_7pointerItNS8_11hip_rocprim5par_tENS8_11use_defaultESE_EEEENSA_INSB_IlSD_SE_SE_EEEEZNS1_13binary_searchIS3_S5_NSA_INS8_10device_ptrItEEEESG_SI_NS1_21lower_bound_search_opENS9_16wrapped_functionINS8_6system6detail7generic6detail18binary_search_lessEbEEEE10hipError_tPvRmT1_T2_T3_mmT4_T5_P12ihipStream_tbEUlRKtE_EESV_SZ_S10_mS11_S14_bEUlT_E_NS1_11comp_targetILNS1_3genE4ELNS1_11target_archE910ELNS1_3gpuE8ELNS1_3repE0EEENS1_30default_config_static_selectorELNS0_4arch9wavefront6targetE0EEEvSY_.num_named_barrier, 0
	.set _ZN7rocprim17ROCPRIM_400000_NS6detail17trampoline_kernelINS0_14default_configENS1_27lower_bound_config_selectorItlEEZNS1_14transform_implILb0ES3_S5_N6thrust23THRUST_200600_302600_NS6detail15normal_iteratorINS8_7pointerItNS8_11hip_rocprim5par_tENS8_11use_defaultESE_EEEENSA_INSB_IlSD_SE_SE_EEEEZNS1_13binary_searchIS3_S5_NSA_INS8_10device_ptrItEEEESG_SI_NS1_21lower_bound_search_opENS9_16wrapped_functionINS8_6system6detail7generic6detail18binary_search_lessEbEEEE10hipError_tPvRmT1_T2_T3_mmT4_T5_P12ihipStream_tbEUlRKtE_EESV_SZ_S10_mS11_S14_bEUlT_E_NS1_11comp_targetILNS1_3genE4ELNS1_11target_archE910ELNS1_3gpuE8ELNS1_3repE0EEENS1_30default_config_static_selectorELNS0_4arch9wavefront6targetE0EEEvSY_.private_seg_size, 0
	.set _ZN7rocprim17ROCPRIM_400000_NS6detail17trampoline_kernelINS0_14default_configENS1_27lower_bound_config_selectorItlEEZNS1_14transform_implILb0ES3_S5_N6thrust23THRUST_200600_302600_NS6detail15normal_iteratorINS8_7pointerItNS8_11hip_rocprim5par_tENS8_11use_defaultESE_EEEENSA_INSB_IlSD_SE_SE_EEEEZNS1_13binary_searchIS3_S5_NSA_INS8_10device_ptrItEEEESG_SI_NS1_21lower_bound_search_opENS9_16wrapped_functionINS8_6system6detail7generic6detail18binary_search_lessEbEEEE10hipError_tPvRmT1_T2_T3_mmT4_T5_P12ihipStream_tbEUlRKtE_EESV_SZ_S10_mS11_S14_bEUlT_E_NS1_11comp_targetILNS1_3genE4ELNS1_11target_archE910ELNS1_3gpuE8ELNS1_3repE0EEENS1_30default_config_static_selectorELNS0_4arch9wavefront6targetE0EEEvSY_.uses_vcc, 0
	.set _ZN7rocprim17ROCPRIM_400000_NS6detail17trampoline_kernelINS0_14default_configENS1_27lower_bound_config_selectorItlEEZNS1_14transform_implILb0ES3_S5_N6thrust23THRUST_200600_302600_NS6detail15normal_iteratorINS8_7pointerItNS8_11hip_rocprim5par_tENS8_11use_defaultESE_EEEENSA_INSB_IlSD_SE_SE_EEEEZNS1_13binary_searchIS3_S5_NSA_INS8_10device_ptrItEEEESG_SI_NS1_21lower_bound_search_opENS9_16wrapped_functionINS8_6system6detail7generic6detail18binary_search_lessEbEEEE10hipError_tPvRmT1_T2_T3_mmT4_T5_P12ihipStream_tbEUlRKtE_EESV_SZ_S10_mS11_S14_bEUlT_E_NS1_11comp_targetILNS1_3genE4ELNS1_11target_archE910ELNS1_3gpuE8ELNS1_3repE0EEENS1_30default_config_static_selectorELNS0_4arch9wavefront6targetE0EEEvSY_.uses_flat_scratch, 0
	.set _ZN7rocprim17ROCPRIM_400000_NS6detail17trampoline_kernelINS0_14default_configENS1_27lower_bound_config_selectorItlEEZNS1_14transform_implILb0ES3_S5_N6thrust23THRUST_200600_302600_NS6detail15normal_iteratorINS8_7pointerItNS8_11hip_rocprim5par_tENS8_11use_defaultESE_EEEENSA_INSB_IlSD_SE_SE_EEEEZNS1_13binary_searchIS3_S5_NSA_INS8_10device_ptrItEEEESG_SI_NS1_21lower_bound_search_opENS9_16wrapped_functionINS8_6system6detail7generic6detail18binary_search_lessEbEEEE10hipError_tPvRmT1_T2_T3_mmT4_T5_P12ihipStream_tbEUlRKtE_EESV_SZ_S10_mS11_S14_bEUlT_E_NS1_11comp_targetILNS1_3genE4ELNS1_11target_archE910ELNS1_3gpuE8ELNS1_3repE0EEENS1_30default_config_static_selectorELNS0_4arch9wavefront6targetE0EEEvSY_.has_dyn_sized_stack, 0
	.set _ZN7rocprim17ROCPRIM_400000_NS6detail17trampoline_kernelINS0_14default_configENS1_27lower_bound_config_selectorItlEEZNS1_14transform_implILb0ES3_S5_N6thrust23THRUST_200600_302600_NS6detail15normal_iteratorINS8_7pointerItNS8_11hip_rocprim5par_tENS8_11use_defaultESE_EEEENSA_INSB_IlSD_SE_SE_EEEEZNS1_13binary_searchIS3_S5_NSA_INS8_10device_ptrItEEEESG_SI_NS1_21lower_bound_search_opENS9_16wrapped_functionINS8_6system6detail7generic6detail18binary_search_lessEbEEEE10hipError_tPvRmT1_T2_T3_mmT4_T5_P12ihipStream_tbEUlRKtE_EESV_SZ_S10_mS11_S14_bEUlT_E_NS1_11comp_targetILNS1_3genE4ELNS1_11target_archE910ELNS1_3gpuE8ELNS1_3repE0EEENS1_30default_config_static_selectorELNS0_4arch9wavefront6targetE0EEEvSY_.has_recursion, 0
	.set _ZN7rocprim17ROCPRIM_400000_NS6detail17trampoline_kernelINS0_14default_configENS1_27lower_bound_config_selectorItlEEZNS1_14transform_implILb0ES3_S5_N6thrust23THRUST_200600_302600_NS6detail15normal_iteratorINS8_7pointerItNS8_11hip_rocprim5par_tENS8_11use_defaultESE_EEEENSA_INSB_IlSD_SE_SE_EEEEZNS1_13binary_searchIS3_S5_NSA_INS8_10device_ptrItEEEESG_SI_NS1_21lower_bound_search_opENS9_16wrapped_functionINS8_6system6detail7generic6detail18binary_search_lessEbEEEE10hipError_tPvRmT1_T2_T3_mmT4_T5_P12ihipStream_tbEUlRKtE_EESV_SZ_S10_mS11_S14_bEUlT_E_NS1_11comp_targetILNS1_3genE4ELNS1_11target_archE910ELNS1_3gpuE8ELNS1_3repE0EEENS1_30default_config_static_selectorELNS0_4arch9wavefront6targetE0EEEvSY_.has_indirect_call, 0
	.section	.AMDGPU.csdata,"",@progbits
; Kernel info:
; codeLenInByte = 0
; TotalNumSgprs: 0
; NumVgprs: 0
; ScratchSize: 0
; MemoryBound: 0
; FloatMode: 240
; IeeeMode: 1
; LDSByteSize: 0 bytes/workgroup (compile time only)
; SGPRBlocks: 0
; VGPRBlocks: 0
; NumSGPRsForWavesPerEU: 1
; NumVGPRsForWavesPerEU: 1
; Occupancy: 16
; WaveLimiterHint : 0
; COMPUTE_PGM_RSRC2:SCRATCH_EN: 0
; COMPUTE_PGM_RSRC2:USER_SGPR: 6
; COMPUTE_PGM_RSRC2:TRAP_HANDLER: 0
; COMPUTE_PGM_RSRC2:TGID_X_EN: 1
; COMPUTE_PGM_RSRC2:TGID_Y_EN: 0
; COMPUTE_PGM_RSRC2:TGID_Z_EN: 0
; COMPUTE_PGM_RSRC2:TIDIG_COMP_CNT: 0
	.section	.text._ZN7rocprim17ROCPRIM_400000_NS6detail17trampoline_kernelINS0_14default_configENS1_27lower_bound_config_selectorItlEEZNS1_14transform_implILb0ES3_S5_N6thrust23THRUST_200600_302600_NS6detail15normal_iteratorINS8_7pointerItNS8_11hip_rocprim5par_tENS8_11use_defaultESE_EEEENSA_INSB_IlSD_SE_SE_EEEEZNS1_13binary_searchIS3_S5_NSA_INS8_10device_ptrItEEEESG_SI_NS1_21lower_bound_search_opENS9_16wrapped_functionINS8_6system6detail7generic6detail18binary_search_lessEbEEEE10hipError_tPvRmT1_T2_T3_mmT4_T5_P12ihipStream_tbEUlRKtE_EESV_SZ_S10_mS11_S14_bEUlT_E_NS1_11comp_targetILNS1_3genE3ELNS1_11target_archE908ELNS1_3gpuE7ELNS1_3repE0EEENS1_30default_config_static_selectorELNS0_4arch9wavefront6targetE0EEEvSY_,"axG",@progbits,_ZN7rocprim17ROCPRIM_400000_NS6detail17trampoline_kernelINS0_14default_configENS1_27lower_bound_config_selectorItlEEZNS1_14transform_implILb0ES3_S5_N6thrust23THRUST_200600_302600_NS6detail15normal_iteratorINS8_7pointerItNS8_11hip_rocprim5par_tENS8_11use_defaultESE_EEEENSA_INSB_IlSD_SE_SE_EEEEZNS1_13binary_searchIS3_S5_NSA_INS8_10device_ptrItEEEESG_SI_NS1_21lower_bound_search_opENS9_16wrapped_functionINS8_6system6detail7generic6detail18binary_search_lessEbEEEE10hipError_tPvRmT1_T2_T3_mmT4_T5_P12ihipStream_tbEUlRKtE_EESV_SZ_S10_mS11_S14_bEUlT_E_NS1_11comp_targetILNS1_3genE3ELNS1_11target_archE908ELNS1_3gpuE7ELNS1_3repE0EEENS1_30default_config_static_selectorELNS0_4arch9wavefront6targetE0EEEvSY_,comdat
	.protected	_ZN7rocprim17ROCPRIM_400000_NS6detail17trampoline_kernelINS0_14default_configENS1_27lower_bound_config_selectorItlEEZNS1_14transform_implILb0ES3_S5_N6thrust23THRUST_200600_302600_NS6detail15normal_iteratorINS8_7pointerItNS8_11hip_rocprim5par_tENS8_11use_defaultESE_EEEENSA_INSB_IlSD_SE_SE_EEEEZNS1_13binary_searchIS3_S5_NSA_INS8_10device_ptrItEEEESG_SI_NS1_21lower_bound_search_opENS9_16wrapped_functionINS8_6system6detail7generic6detail18binary_search_lessEbEEEE10hipError_tPvRmT1_T2_T3_mmT4_T5_P12ihipStream_tbEUlRKtE_EESV_SZ_S10_mS11_S14_bEUlT_E_NS1_11comp_targetILNS1_3genE3ELNS1_11target_archE908ELNS1_3gpuE7ELNS1_3repE0EEENS1_30default_config_static_selectorELNS0_4arch9wavefront6targetE0EEEvSY_ ; -- Begin function _ZN7rocprim17ROCPRIM_400000_NS6detail17trampoline_kernelINS0_14default_configENS1_27lower_bound_config_selectorItlEEZNS1_14transform_implILb0ES3_S5_N6thrust23THRUST_200600_302600_NS6detail15normal_iteratorINS8_7pointerItNS8_11hip_rocprim5par_tENS8_11use_defaultESE_EEEENSA_INSB_IlSD_SE_SE_EEEEZNS1_13binary_searchIS3_S5_NSA_INS8_10device_ptrItEEEESG_SI_NS1_21lower_bound_search_opENS9_16wrapped_functionINS8_6system6detail7generic6detail18binary_search_lessEbEEEE10hipError_tPvRmT1_T2_T3_mmT4_T5_P12ihipStream_tbEUlRKtE_EESV_SZ_S10_mS11_S14_bEUlT_E_NS1_11comp_targetILNS1_3genE3ELNS1_11target_archE908ELNS1_3gpuE7ELNS1_3repE0EEENS1_30default_config_static_selectorELNS0_4arch9wavefront6targetE0EEEvSY_
	.globl	_ZN7rocprim17ROCPRIM_400000_NS6detail17trampoline_kernelINS0_14default_configENS1_27lower_bound_config_selectorItlEEZNS1_14transform_implILb0ES3_S5_N6thrust23THRUST_200600_302600_NS6detail15normal_iteratorINS8_7pointerItNS8_11hip_rocprim5par_tENS8_11use_defaultESE_EEEENSA_INSB_IlSD_SE_SE_EEEEZNS1_13binary_searchIS3_S5_NSA_INS8_10device_ptrItEEEESG_SI_NS1_21lower_bound_search_opENS9_16wrapped_functionINS8_6system6detail7generic6detail18binary_search_lessEbEEEE10hipError_tPvRmT1_T2_T3_mmT4_T5_P12ihipStream_tbEUlRKtE_EESV_SZ_S10_mS11_S14_bEUlT_E_NS1_11comp_targetILNS1_3genE3ELNS1_11target_archE908ELNS1_3gpuE7ELNS1_3repE0EEENS1_30default_config_static_selectorELNS0_4arch9wavefront6targetE0EEEvSY_
	.p2align	8
	.type	_ZN7rocprim17ROCPRIM_400000_NS6detail17trampoline_kernelINS0_14default_configENS1_27lower_bound_config_selectorItlEEZNS1_14transform_implILb0ES3_S5_N6thrust23THRUST_200600_302600_NS6detail15normal_iteratorINS8_7pointerItNS8_11hip_rocprim5par_tENS8_11use_defaultESE_EEEENSA_INSB_IlSD_SE_SE_EEEEZNS1_13binary_searchIS3_S5_NSA_INS8_10device_ptrItEEEESG_SI_NS1_21lower_bound_search_opENS9_16wrapped_functionINS8_6system6detail7generic6detail18binary_search_lessEbEEEE10hipError_tPvRmT1_T2_T3_mmT4_T5_P12ihipStream_tbEUlRKtE_EESV_SZ_S10_mS11_S14_bEUlT_E_NS1_11comp_targetILNS1_3genE3ELNS1_11target_archE908ELNS1_3gpuE7ELNS1_3repE0EEENS1_30default_config_static_selectorELNS0_4arch9wavefront6targetE0EEEvSY_,@function
_ZN7rocprim17ROCPRIM_400000_NS6detail17trampoline_kernelINS0_14default_configENS1_27lower_bound_config_selectorItlEEZNS1_14transform_implILb0ES3_S5_N6thrust23THRUST_200600_302600_NS6detail15normal_iteratorINS8_7pointerItNS8_11hip_rocprim5par_tENS8_11use_defaultESE_EEEENSA_INSB_IlSD_SE_SE_EEEEZNS1_13binary_searchIS3_S5_NSA_INS8_10device_ptrItEEEESG_SI_NS1_21lower_bound_search_opENS9_16wrapped_functionINS8_6system6detail7generic6detail18binary_search_lessEbEEEE10hipError_tPvRmT1_T2_T3_mmT4_T5_P12ihipStream_tbEUlRKtE_EESV_SZ_S10_mS11_S14_bEUlT_E_NS1_11comp_targetILNS1_3genE3ELNS1_11target_archE908ELNS1_3gpuE7ELNS1_3repE0EEENS1_30default_config_static_selectorELNS0_4arch9wavefront6targetE0EEEvSY_: ; @_ZN7rocprim17ROCPRIM_400000_NS6detail17trampoline_kernelINS0_14default_configENS1_27lower_bound_config_selectorItlEEZNS1_14transform_implILb0ES3_S5_N6thrust23THRUST_200600_302600_NS6detail15normal_iteratorINS8_7pointerItNS8_11hip_rocprim5par_tENS8_11use_defaultESE_EEEENSA_INSB_IlSD_SE_SE_EEEEZNS1_13binary_searchIS3_S5_NSA_INS8_10device_ptrItEEEESG_SI_NS1_21lower_bound_search_opENS9_16wrapped_functionINS8_6system6detail7generic6detail18binary_search_lessEbEEEE10hipError_tPvRmT1_T2_T3_mmT4_T5_P12ihipStream_tbEUlRKtE_EESV_SZ_S10_mS11_S14_bEUlT_E_NS1_11comp_targetILNS1_3genE3ELNS1_11target_archE908ELNS1_3gpuE7ELNS1_3repE0EEENS1_30default_config_static_selectorELNS0_4arch9wavefront6targetE0EEEvSY_
; %bb.0:
	.section	.rodata,"a",@progbits
	.p2align	6, 0x0
	.amdhsa_kernel _ZN7rocprim17ROCPRIM_400000_NS6detail17trampoline_kernelINS0_14default_configENS1_27lower_bound_config_selectorItlEEZNS1_14transform_implILb0ES3_S5_N6thrust23THRUST_200600_302600_NS6detail15normal_iteratorINS8_7pointerItNS8_11hip_rocprim5par_tENS8_11use_defaultESE_EEEENSA_INSB_IlSD_SE_SE_EEEEZNS1_13binary_searchIS3_S5_NSA_INS8_10device_ptrItEEEESG_SI_NS1_21lower_bound_search_opENS9_16wrapped_functionINS8_6system6detail7generic6detail18binary_search_lessEbEEEE10hipError_tPvRmT1_T2_T3_mmT4_T5_P12ihipStream_tbEUlRKtE_EESV_SZ_S10_mS11_S14_bEUlT_E_NS1_11comp_targetILNS1_3genE3ELNS1_11target_archE908ELNS1_3gpuE7ELNS1_3repE0EEENS1_30default_config_static_selectorELNS0_4arch9wavefront6targetE0EEEvSY_
		.amdhsa_group_segment_fixed_size 0
		.amdhsa_private_segment_fixed_size 0
		.amdhsa_kernarg_size 56
		.amdhsa_user_sgpr_count 6
		.amdhsa_user_sgpr_private_segment_buffer 1
		.amdhsa_user_sgpr_dispatch_ptr 0
		.amdhsa_user_sgpr_queue_ptr 0
		.amdhsa_user_sgpr_kernarg_segment_ptr 1
		.amdhsa_user_sgpr_dispatch_id 0
		.amdhsa_user_sgpr_flat_scratch_init 0
		.amdhsa_user_sgpr_private_segment_size 0
		.amdhsa_wavefront_size32 1
		.amdhsa_uses_dynamic_stack 0
		.amdhsa_system_sgpr_private_segment_wavefront_offset 0
		.amdhsa_system_sgpr_workgroup_id_x 1
		.amdhsa_system_sgpr_workgroup_id_y 0
		.amdhsa_system_sgpr_workgroup_id_z 0
		.amdhsa_system_sgpr_workgroup_info 0
		.amdhsa_system_vgpr_workitem_id 0
		.amdhsa_next_free_vgpr 1
		.amdhsa_next_free_sgpr 1
		.amdhsa_reserve_vcc 0
		.amdhsa_reserve_flat_scratch 0
		.amdhsa_float_round_mode_32 0
		.amdhsa_float_round_mode_16_64 0
		.amdhsa_float_denorm_mode_32 3
		.amdhsa_float_denorm_mode_16_64 3
		.amdhsa_dx10_clamp 1
		.amdhsa_ieee_mode 1
		.amdhsa_fp16_overflow 0
		.amdhsa_workgroup_processor_mode 1
		.amdhsa_memory_ordered 1
		.amdhsa_forward_progress 1
		.amdhsa_shared_vgpr_count 0
		.amdhsa_exception_fp_ieee_invalid_op 0
		.amdhsa_exception_fp_denorm_src 0
		.amdhsa_exception_fp_ieee_div_zero 0
		.amdhsa_exception_fp_ieee_overflow 0
		.amdhsa_exception_fp_ieee_underflow 0
		.amdhsa_exception_fp_ieee_inexact 0
		.amdhsa_exception_int_div_zero 0
	.end_amdhsa_kernel
	.section	.text._ZN7rocprim17ROCPRIM_400000_NS6detail17trampoline_kernelINS0_14default_configENS1_27lower_bound_config_selectorItlEEZNS1_14transform_implILb0ES3_S5_N6thrust23THRUST_200600_302600_NS6detail15normal_iteratorINS8_7pointerItNS8_11hip_rocprim5par_tENS8_11use_defaultESE_EEEENSA_INSB_IlSD_SE_SE_EEEEZNS1_13binary_searchIS3_S5_NSA_INS8_10device_ptrItEEEESG_SI_NS1_21lower_bound_search_opENS9_16wrapped_functionINS8_6system6detail7generic6detail18binary_search_lessEbEEEE10hipError_tPvRmT1_T2_T3_mmT4_T5_P12ihipStream_tbEUlRKtE_EESV_SZ_S10_mS11_S14_bEUlT_E_NS1_11comp_targetILNS1_3genE3ELNS1_11target_archE908ELNS1_3gpuE7ELNS1_3repE0EEENS1_30default_config_static_selectorELNS0_4arch9wavefront6targetE0EEEvSY_,"axG",@progbits,_ZN7rocprim17ROCPRIM_400000_NS6detail17trampoline_kernelINS0_14default_configENS1_27lower_bound_config_selectorItlEEZNS1_14transform_implILb0ES3_S5_N6thrust23THRUST_200600_302600_NS6detail15normal_iteratorINS8_7pointerItNS8_11hip_rocprim5par_tENS8_11use_defaultESE_EEEENSA_INSB_IlSD_SE_SE_EEEEZNS1_13binary_searchIS3_S5_NSA_INS8_10device_ptrItEEEESG_SI_NS1_21lower_bound_search_opENS9_16wrapped_functionINS8_6system6detail7generic6detail18binary_search_lessEbEEEE10hipError_tPvRmT1_T2_T3_mmT4_T5_P12ihipStream_tbEUlRKtE_EESV_SZ_S10_mS11_S14_bEUlT_E_NS1_11comp_targetILNS1_3genE3ELNS1_11target_archE908ELNS1_3gpuE7ELNS1_3repE0EEENS1_30default_config_static_selectorELNS0_4arch9wavefront6targetE0EEEvSY_,comdat
.Lfunc_end379:
	.size	_ZN7rocprim17ROCPRIM_400000_NS6detail17trampoline_kernelINS0_14default_configENS1_27lower_bound_config_selectorItlEEZNS1_14transform_implILb0ES3_S5_N6thrust23THRUST_200600_302600_NS6detail15normal_iteratorINS8_7pointerItNS8_11hip_rocprim5par_tENS8_11use_defaultESE_EEEENSA_INSB_IlSD_SE_SE_EEEEZNS1_13binary_searchIS3_S5_NSA_INS8_10device_ptrItEEEESG_SI_NS1_21lower_bound_search_opENS9_16wrapped_functionINS8_6system6detail7generic6detail18binary_search_lessEbEEEE10hipError_tPvRmT1_T2_T3_mmT4_T5_P12ihipStream_tbEUlRKtE_EESV_SZ_S10_mS11_S14_bEUlT_E_NS1_11comp_targetILNS1_3genE3ELNS1_11target_archE908ELNS1_3gpuE7ELNS1_3repE0EEENS1_30default_config_static_selectorELNS0_4arch9wavefront6targetE0EEEvSY_, .Lfunc_end379-_ZN7rocprim17ROCPRIM_400000_NS6detail17trampoline_kernelINS0_14default_configENS1_27lower_bound_config_selectorItlEEZNS1_14transform_implILb0ES3_S5_N6thrust23THRUST_200600_302600_NS6detail15normal_iteratorINS8_7pointerItNS8_11hip_rocprim5par_tENS8_11use_defaultESE_EEEENSA_INSB_IlSD_SE_SE_EEEEZNS1_13binary_searchIS3_S5_NSA_INS8_10device_ptrItEEEESG_SI_NS1_21lower_bound_search_opENS9_16wrapped_functionINS8_6system6detail7generic6detail18binary_search_lessEbEEEE10hipError_tPvRmT1_T2_T3_mmT4_T5_P12ihipStream_tbEUlRKtE_EESV_SZ_S10_mS11_S14_bEUlT_E_NS1_11comp_targetILNS1_3genE3ELNS1_11target_archE908ELNS1_3gpuE7ELNS1_3repE0EEENS1_30default_config_static_selectorELNS0_4arch9wavefront6targetE0EEEvSY_
                                        ; -- End function
	.set _ZN7rocprim17ROCPRIM_400000_NS6detail17trampoline_kernelINS0_14default_configENS1_27lower_bound_config_selectorItlEEZNS1_14transform_implILb0ES3_S5_N6thrust23THRUST_200600_302600_NS6detail15normal_iteratorINS8_7pointerItNS8_11hip_rocprim5par_tENS8_11use_defaultESE_EEEENSA_INSB_IlSD_SE_SE_EEEEZNS1_13binary_searchIS3_S5_NSA_INS8_10device_ptrItEEEESG_SI_NS1_21lower_bound_search_opENS9_16wrapped_functionINS8_6system6detail7generic6detail18binary_search_lessEbEEEE10hipError_tPvRmT1_T2_T3_mmT4_T5_P12ihipStream_tbEUlRKtE_EESV_SZ_S10_mS11_S14_bEUlT_E_NS1_11comp_targetILNS1_3genE3ELNS1_11target_archE908ELNS1_3gpuE7ELNS1_3repE0EEENS1_30default_config_static_selectorELNS0_4arch9wavefront6targetE0EEEvSY_.num_vgpr, 0
	.set _ZN7rocprim17ROCPRIM_400000_NS6detail17trampoline_kernelINS0_14default_configENS1_27lower_bound_config_selectorItlEEZNS1_14transform_implILb0ES3_S5_N6thrust23THRUST_200600_302600_NS6detail15normal_iteratorINS8_7pointerItNS8_11hip_rocprim5par_tENS8_11use_defaultESE_EEEENSA_INSB_IlSD_SE_SE_EEEEZNS1_13binary_searchIS3_S5_NSA_INS8_10device_ptrItEEEESG_SI_NS1_21lower_bound_search_opENS9_16wrapped_functionINS8_6system6detail7generic6detail18binary_search_lessEbEEEE10hipError_tPvRmT1_T2_T3_mmT4_T5_P12ihipStream_tbEUlRKtE_EESV_SZ_S10_mS11_S14_bEUlT_E_NS1_11comp_targetILNS1_3genE3ELNS1_11target_archE908ELNS1_3gpuE7ELNS1_3repE0EEENS1_30default_config_static_selectorELNS0_4arch9wavefront6targetE0EEEvSY_.num_agpr, 0
	.set _ZN7rocprim17ROCPRIM_400000_NS6detail17trampoline_kernelINS0_14default_configENS1_27lower_bound_config_selectorItlEEZNS1_14transform_implILb0ES3_S5_N6thrust23THRUST_200600_302600_NS6detail15normal_iteratorINS8_7pointerItNS8_11hip_rocprim5par_tENS8_11use_defaultESE_EEEENSA_INSB_IlSD_SE_SE_EEEEZNS1_13binary_searchIS3_S5_NSA_INS8_10device_ptrItEEEESG_SI_NS1_21lower_bound_search_opENS9_16wrapped_functionINS8_6system6detail7generic6detail18binary_search_lessEbEEEE10hipError_tPvRmT1_T2_T3_mmT4_T5_P12ihipStream_tbEUlRKtE_EESV_SZ_S10_mS11_S14_bEUlT_E_NS1_11comp_targetILNS1_3genE3ELNS1_11target_archE908ELNS1_3gpuE7ELNS1_3repE0EEENS1_30default_config_static_selectorELNS0_4arch9wavefront6targetE0EEEvSY_.numbered_sgpr, 0
	.set _ZN7rocprim17ROCPRIM_400000_NS6detail17trampoline_kernelINS0_14default_configENS1_27lower_bound_config_selectorItlEEZNS1_14transform_implILb0ES3_S5_N6thrust23THRUST_200600_302600_NS6detail15normal_iteratorINS8_7pointerItNS8_11hip_rocprim5par_tENS8_11use_defaultESE_EEEENSA_INSB_IlSD_SE_SE_EEEEZNS1_13binary_searchIS3_S5_NSA_INS8_10device_ptrItEEEESG_SI_NS1_21lower_bound_search_opENS9_16wrapped_functionINS8_6system6detail7generic6detail18binary_search_lessEbEEEE10hipError_tPvRmT1_T2_T3_mmT4_T5_P12ihipStream_tbEUlRKtE_EESV_SZ_S10_mS11_S14_bEUlT_E_NS1_11comp_targetILNS1_3genE3ELNS1_11target_archE908ELNS1_3gpuE7ELNS1_3repE0EEENS1_30default_config_static_selectorELNS0_4arch9wavefront6targetE0EEEvSY_.num_named_barrier, 0
	.set _ZN7rocprim17ROCPRIM_400000_NS6detail17trampoline_kernelINS0_14default_configENS1_27lower_bound_config_selectorItlEEZNS1_14transform_implILb0ES3_S5_N6thrust23THRUST_200600_302600_NS6detail15normal_iteratorINS8_7pointerItNS8_11hip_rocprim5par_tENS8_11use_defaultESE_EEEENSA_INSB_IlSD_SE_SE_EEEEZNS1_13binary_searchIS3_S5_NSA_INS8_10device_ptrItEEEESG_SI_NS1_21lower_bound_search_opENS9_16wrapped_functionINS8_6system6detail7generic6detail18binary_search_lessEbEEEE10hipError_tPvRmT1_T2_T3_mmT4_T5_P12ihipStream_tbEUlRKtE_EESV_SZ_S10_mS11_S14_bEUlT_E_NS1_11comp_targetILNS1_3genE3ELNS1_11target_archE908ELNS1_3gpuE7ELNS1_3repE0EEENS1_30default_config_static_selectorELNS0_4arch9wavefront6targetE0EEEvSY_.private_seg_size, 0
	.set _ZN7rocprim17ROCPRIM_400000_NS6detail17trampoline_kernelINS0_14default_configENS1_27lower_bound_config_selectorItlEEZNS1_14transform_implILb0ES3_S5_N6thrust23THRUST_200600_302600_NS6detail15normal_iteratorINS8_7pointerItNS8_11hip_rocprim5par_tENS8_11use_defaultESE_EEEENSA_INSB_IlSD_SE_SE_EEEEZNS1_13binary_searchIS3_S5_NSA_INS8_10device_ptrItEEEESG_SI_NS1_21lower_bound_search_opENS9_16wrapped_functionINS8_6system6detail7generic6detail18binary_search_lessEbEEEE10hipError_tPvRmT1_T2_T3_mmT4_T5_P12ihipStream_tbEUlRKtE_EESV_SZ_S10_mS11_S14_bEUlT_E_NS1_11comp_targetILNS1_3genE3ELNS1_11target_archE908ELNS1_3gpuE7ELNS1_3repE0EEENS1_30default_config_static_selectorELNS0_4arch9wavefront6targetE0EEEvSY_.uses_vcc, 0
	.set _ZN7rocprim17ROCPRIM_400000_NS6detail17trampoline_kernelINS0_14default_configENS1_27lower_bound_config_selectorItlEEZNS1_14transform_implILb0ES3_S5_N6thrust23THRUST_200600_302600_NS6detail15normal_iteratorINS8_7pointerItNS8_11hip_rocprim5par_tENS8_11use_defaultESE_EEEENSA_INSB_IlSD_SE_SE_EEEEZNS1_13binary_searchIS3_S5_NSA_INS8_10device_ptrItEEEESG_SI_NS1_21lower_bound_search_opENS9_16wrapped_functionINS8_6system6detail7generic6detail18binary_search_lessEbEEEE10hipError_tPvRmT1_T2_T3_mmT4_T5_P12ihipStream_tbEUlRKtE_EESV_SZ_S10_mS11_S14_bEUlT_E_NS1_11comp_targetILNS1_3genE3ELNS1_11target_archE908ELNS1_3gpuE7ELNS1_3repE0EEENS1_30default_config_static_selectorELNS0_4arch9wavefront6targetE0EEEvSY_.uses_flat_scratch, 0
	.set _ZN7rocprim17ROCPRIM_400000_NS6detail17trampoline_kernelINS0_14default_configENS1_27lower_bound_config_selectorItlEEZNS1_14transform_implILb0ES3_S5_N6thrust23THRUST_200600_302600_NS6detail15normal_iteratorINS8_7pointerItNS8_11hip_rocprim5par_tENS8_11use_defaultESE_EEEENSA_INSB_IlSD_SE_SE_EEEEZNS1_13binary_searchIS3_S5_NSA_INS8_10device_ptrItEEEESG_SI_NS1_21lower_bound_search_opENS9_16wrapped_functionINS8_6system6detail7generic6detail18binary_search_lessEbEEEE10hipError_tPvRmT1_T2_T3_mmT4_T5_P12ihipStream_tbEUlRKtE_EESV_SZ_S10_mS11_S14_bEUlT_E_NS1_11comp_targetILNS1_3genE3ELNS1_11target_archE908ELNS1_3gpuE7ELNS1_3repE0EEENS1_30default_config_static_selectorELNS0_4arch9wavefront6targetE0EEEvSY_.has_dyn_sized_stack, 0
	.set _ZN7rocprim17ROCPRIM_400000_NS6detail17trampoline_kernelINS0_14default_configENS1_27lower_bound_config_selectorItlEEZNS1_14transform_implILb0ES3_S5_N6thrust23THRUST_200600_302600_NS6detail15normal_iteratorINS8_7pointerItNS8_11hip_rocprim5par_tENS8_11use_defaultESE_EEEENSA_INSB_IlSD_SE_SE_EEEEZNS1_13binary_searchIS3_S5_NSA_INS8_10device_ptrItEEEESG_SI_NS1_21lower_bound_search_opENS9_16wrapped_functionINS8_6system6detail7generic6detail18binary_search_lessEbEEEE10hipError_tPvRmT1_T2_T3_mmT4_T5_P12ihipStream_tbEUlRKtE_EESV_SZ_S10_mS11_S14_bEUlT_E_NS1_11comp_targetILNS1_3genE3ELNS1_11target_archE908ELNS1_3gpuE7ELNS1_3repE0EEENS1_30default_config_static_selectorELNS0_4arch9wavefront6targetE0EEEvSY_.has_recursion, 0
	.set _ZN7rocprim17ROCPRIM_400000_NS6detail17trampoline_kernelINS0_14default_configENS1_27lower_bound_config_selectorItlEEZNS1_14transform_implILb0ES3_S5_N6thrust23THRUST_200600_302600_NS6detail15normal_iteratorINS8_7pointerItNS8_11hip_rocprim5par_tENS8_11use_defaultESE_EEEENSA_INSB_IlSD_SE_SE_EEEEZNS1_13binary_searchIS3_S5_NSA_INS8_10device_ptrItEEEESG_SI_NS1_21lower_bound_search_opENS9_16wrapped_functionINS8_6system6detail7generic6detail18binary_search_lessEbEEEE10hipError_tPvRmT1_T2_T3_mmT4_T5_P12ihipStream_tbEUlRKtE_EESV_SZ_S10_mS11_S14_bEUlT_E_NS1_11comp_targetILNS1_3genE3ELNS1_11target_archE908ELNS1_3gpuE7ELNS1_3repE0EEENS1_30default_config_static_selectorELNS0_4arch9wavefront6targetE0EEEvSY_.has_indirect_call, 0
	.section	.AMDGPU.csdata,"",@progbits
; Kernel info:
; codeLenInByte = 0
; TotalNumSgprs: 0
; NumVgprs: 0
; ScratchSize: 0
; MemoryBound: 0
; FloatMode: 240
; IeeeMode: 1
; LDSByteSize: 0 bytes/workgroup (compile time only)
; SGPRBlocks: 0
; VGPRBlocks: 0
; NumSGPRsForWavesPerEU: 1
; NumVGPRsForWavesPerEU: 1
; Occupancy: 16
; WaveLimiterHint : 0
; COMPUTE_PGM_RSRC2:SCRATCH_EN: 0
; COMPUTE_PGM_RSRC2:USER_SGPR: 6
; COMPUTE_PGM_RSRC2:TRAP_HANDLER: 0
; COMPUTE_PGM_RSRC2:TGID_X_EN: 1
; COMPUTE_PGM_RSRC2:TGID_Y_EN: 0
; COMPUTE_PGM_RSRC2:TGID_Z_EN: 0
; COMPUTE_PGM_RSRC2:TIDIG_COMP_CNT: 0
	.section	.text._ZN7rocprim17ROCPRIM_400000_NS6detail17trampoline_kernelINS0_14default_configENS1_27lower_bound_config_selectorItlEEZNS1_14transform_implILb0ES3_S5_N6thrust23THRUST_200600_302600_NS6detail15normal_iteratorINS8_7pointerItNS8_11hip_rocprim5par_tENS8_11use_defaultESE_EEEENSA_INSB_IlSD_SE_SE_EEEEZNS1_13binary_searchIS3_S5_NSA_INS8_10device_ptrItEEEESG_SI_NS1_21lower_bound_search_opENS9_16wrapped_functionINS8_6system6detail7generic6detail18binary_search_lessEbEEEE10hipError_tPvRmT1_T2_T3_mmT4_T5_P12ihipStream_tbEUlRKtE_EESV_SZ_S10_mS11_S14_bEUlT_E_NS1_11comp_targetILNS1_3genE2ELNS1_11target_archE906ELNS1_3gpuE6ELNS1_3repE0EEENS1_30default_config_static_selectorELNS0_4arch9wavefront6targetE0EEEvSY_,"axG",@progbits,_ZN7rocprim17ROCPRIM_400000_NS6detail17trampoline_kernelINS0_14default_configENS1_27lower_bound_config_selectorItlEEZNS1_14transform_implILb0ES3_S5_N6thrust23THRUST_200600_302600_NS6detail15normal_iteratorINS8_7pointerItNS8_11hip_rocprim5par_tENS8_11use_defaultESE_EEEENSA_INSB_IlSD_SE_SE_EEEEZNS1_13binary_searchIS3_S5_NSA_INS8_10device_ptrItEEEESG_SI_NS1_21lower_bound_search_opENS9_16wrapped_functionINS8_6system6detail7generic6detail18binary_search_lessEbEEEE10hipError_tPvRmT1_T2_T3_mmT4_T5_P12ihipStream_tbEUlRKtE_EESV_SZ_S10_mS11_S14_bEUlT_E_NS1_11comp_targetILNS1_3genE2ELNS1_11target_archE906ELNS1_3gpuE6ELNS1_3repE0EEENS1_30default_config_static_selectorELNS0_4arch9wavefront6targetE0EEEvSY_,comdat
	.protected	_ZN7rocprim17ROCPRIM_400000_NS6detail17trampoline_kernelINS0_14default_configENS1_27lower_bound_config_selectorItlEEZNS1_14transform_implILb0ES3_S5_N6thrust23THRUST_200600_302600_NS6detail15normal_iteratorINS8_7pointerItNS8_11hip_rocprim5par_tENS8_11use_defaultESE_EEEENSA_INSB_IlSD_SE_SE_EEEEZNS1_13binary_searchIS3_S5_NSA_INS8_10device_ptrItEEEESG_SI_NS1_21lower_bound_search_opENS9_16wrapped_functionINS8_6system6detail7generic6detail18binary_search_lessEbEEEE10hipError_tPvRmT1_T2_T3_mmT4_T5_P12ihipStream_tbEUlRKtE_EESV_SZ_S10_mS11_S14_bEUlT_E_NS1_11comp_targetILNS1_3genE2ELNS1_11target_archE906ELNS1_3gpuE6ELNS1_3repE0EEENS1_30default_config_static_selectorELNS0_4arch9wavefront6targetE0EEEvSY_ ; -- Begin function _ZN7rocprim17ROCPRIM_400000_NS6detail17trampoline_kernelINS0_14default_configENS1_27lower_bound_config_selectorItlEEZNS1_14transform_implILb0ES3_S5_N6thrust23THRUST_200600_302600_NS6detail15normal_iteratorINS8_7pointerItNS8_11hip_rocprim5par_tENS8_11use_defaultESE_EEEENSA_INSB_IlSD_SE_SE_EEEEZNS1_13binary_searchIS3_S5_NSA_INS8_10device_ptrItEEEESG_SI_NS1_21lower_bound_search_opENS9_16wrapped_functionINS8_6system6detail7generic6detail18binary_search_lessEbEEEE10hipError_tPvRmT1_T2_T3_mmT4_T5_P12ihipStream_tbEUlRKtE_EESV_SZ_S10_mS11_S14_bEUlT_E_NS1_11comp_targetILNS1_3genE2ELNS1_11target_archE906ELNS1_3gpuE6ELNS1_3repE0EEENS1_30default_config_static_selectorELNS0_4arch9wavefront6targetE0EEEvSY_
	.globl	_ZN7rocprim17ROCPRIM_400000_NS6detail17trampoline_kernelINS0_14default_configENS1_27lower_bound_config_selectorItlEEZNS1_14transform_implILb0ES3_S5_N6thrust23THRUST_200600_302600_NS6detail15normal_iteratorINS8_7pointerItNS8_11hip_rocprim5par_tENS8_11use_defaultESE_EEEENSA_INSB_IlSD_SE_SE_EEEEZNS1_13binary_searchIS3_S5_NSA_INS8_10device_ptrItEEEESG_SI_NS1_21lower_bound_search_opENS9_16wrapped_functionINS8_6system6detail7generic6detail18binary_search_lessEbEEEE10hipError_tPvRmT1_T2_T3_mmT4_T5_P12ihipStream_tbEUlRKtE_EESV_SZ_S10_mS11_S14_bEUlT_E_NS1_11comp_targetILNS1_3genE2ELNS1_11target_archE906ELNS1_3gpuE6ELNS1_3repE0EEENS1_30default_config_static_selectorELNS0_4arch9wavefront6targetE0EEEvSY_
	.p2align	8
	.type	_ZN7rocprim17ROCPRIM_400000_NS6detail17trampoline_kernelINS0_14default_configENS1_27lower_bound_config_selectorItlEEZNS1_14transform_implILb0ES3_S5_N6thrust23THRUST_200600_302600_NS6detail15normal_iteratorINS8_7pointerItNS8_11hip_rocprim5par_tENS8_11use_defaultESE_EEEENSA_INSB_IlSD_SE_SE_EEEEZNS1_13binary_searchIS3_S5_NSA_INS8_10device_ptrItEEEESG_SI_NS1_21lower_bound_search_opENS9_16wrapped_functionINS8_6system6detail7generic6detail18binary_search_lessEbEEEE10hipError_tPvRmT1_T2_T3_mmT4_T5_P12ihipStream_tbEUlRKtE_EESV_SZ_S10_mS11_S14_bEUlT_E_NS1_11comp_targetILNS1_3genE2ELNS1_11target_archE906ELNS1_3gpuE6ELNS1_3repE0EEENS1_30default_config_static_selectorELNS0_4arch9wavefront6targetE0EEEvSY_,@function
_ZN7rocprim17ROCPRIM_400000_NS6detail17trampoline_kernelINS0_14default_configENS1_27lower_bound_config_selectorItlEEZNS1_14transform_implILb0ES3_S5_N6thrust23THRUST_200600_302600_NS6detail15normal_iteratorINS8_7pointerItNS8_11hip_rocprim5par_tENS8_11use_defaultESE_EEEENSA_INSB_IlSD_SE_SE_EEEEZNS1_13binary_searchIS3_S5_NSA_INS8_10device_ptrItEEEESG_SI_NS1_21lower_bound_search_opENS9_16wrapped_functionINS8_6system6detail7generic6detail18binary_search_lessEbEEEE10hipError_tPvRmT1_T2_T3_mmT4_T5_P12ihipStream_tbEUlRKtE_EESV_SZ_S10_mS11_S14_bEUlT_E_NS1_11comp_targetILNS1_3genE2ELNS1_11target_archE906ELNS1_3gpuE6ELNS1_3repE0EEENS1_30default_config_static_selectorELNS0_4arch9wavefront6targetE0EEEvSY_: ; @_ZN7rocprim17ROCPRIM_400000_NS6detail17trampoline_kernelINS0_14default_configENS1_27lower_bound_config_selectorItlEEZNS1_14transform_implILb0ES3_S5_N6thrust23THRUST_200600_302600_NS6detail15normal_iteratorINS8_7pointerItNS8_11hip_rocprim5par_tENS8_11use_defaultESE_EEEENSA_INSB_IlSD_SE_SE_EEEEZNS1_13binary_searchIS3_S5_NSA_INS8_10device_ptrItEEEESG_SI_NS1_21lower_bound_search_opENS9_16wrapped_functionINS8_6system6detail7generic6detail18binary_search_lessEbEEEE10hipError_tPvRmT1_T2_T3_mmT4_T5_P12ihipStream_tbEUlRKtE_EESV_SZ_S10_mS11_S14_bEUlT_E_NS1_11comp_targetILNS1_3genE2ELNS1_11target_archE906ELNS1_3gpuE6ELNS1_3repE0EEENS1_30default_config_static_selectorELNS0_4arch9wavefront6targetE0EEEvSY_
; %bb.0:
	.section	.rodata,"a",@progbits
	.p2align	6, 0x0
	.amdhsa_kernel _ZN7rocprim17ROCPRIM_400000_NS6detail17trampoline_kernelINS0_14default_configENS1_27lower_bound_config_selectorItlEEZNS1_14transform_implILb0ES3_S5_N6thrust23THRUST_200600_302600_NS6detail15normal_iteratorINS8_7pointerItNS8_11hip_rocprim5par_tENS8_11use_defaultESE_EEEENSA_INSB_IlSD_SE_SE_EEEEZNS1_13binary_searchIS3_S5_NSA_INS8_10device_ptrItEEEESG_SI_NS1_21lower_bound_search_opENS9_16wrapped_functionINS8_6system6detail7generic6detail18binary_search_lessEbEEEE10hipError_tPvRmT1_T2_T3_mmT4_T5_P12ihipStream_tbEUlRKtE_EESV_SZ_S10_mS11_S14_bEUlT_E_NS1_11comp_targetILNS1_3genE2ELNS1_11target_archE906ELNS1_3gpuE6ELNS1_3repE0EEENS1_30default_config_static_selectorELNS0_4arch9wavefront6targetE0EEEvSY_
		.amdhsa_group_segment_fixed_size 0
		.amdhsa_private_segment_fixed_size 0
		.amdhsa_kernarg_size 56
		.amdhsa_user_sgpr_count 6
		.amdhsa_user_sgpr_private_segment_buffer 1
		.amdhsa_user_sgpr_dispatch_ptr 0
		.amdhsa_user_sgpr_queue_ptr 0
		.amdhsa_user_sgpr_kernarg_segment_ptr 1
		.amdhsa_user_sgpr_dispatch_id 0
		.amdhsa_user_sgpr_flat_scratch_init 0
		.amdhsa_user_sgpr_private_segment_size 0
		.amdhsa_wavefront_size32 1
		.amdhsa_uses_dynamic_stack 0
		.amdhsa_system_sgpr_private_segment_wavefront_offset 0
		.amdhsa_system_sgpr_workgroup_id_x 1
		.amdhsa_system_sgpr_workgroup_id_y 0
		.amdhsa_system_sgpr_workgroup_id_z 0
		.amdhsa_system_sgpr_workgroup_info 0
		.amdhsa_system_vgpr_workitem_id 0
		.amdhsa_next_free_vgpr 1
		.amdhsa_next_free_sgpr 1
		.amdhsa_reserve_vcc 0
		.amdhsa_reserve_flat_scratch 0
		.amdhsa_float_round_mode_32 0
		.amdhsa_float_round_mode_16_64 0
		.amdhsa_float_denorm_mode_32 3
		.amdhsa_float_denorm_mode_16_64 3
		.amdhsa_dx10_clamp 1
		.amdhsa_ieee_mode 1
		.amdhsa_fp16_overflow 0
		.amdhsa_workgroup_processor_mode 1
		.amdhsa_memory_ordered 1
		.amdhsa_forward_progress 1
		.amdhsa_shared_vgpr_count 0
		.amdhsa_exception_fp_ieee_invalid_op 0
		.amdhsa_exception_fp_denorm_src 0
		.amdhsa_exception_fp_ieee_div_zero 0
		.amdhsa_exception_fp_ieee_overflow 0
		.amdhsa_exception_fp_ieee_underflow 0
		.amdhsa_exception_fp_ieee_inexact 0
		.amdhsa_exception_int_div_zero 0
	.end_amdhsa_kernel
	.section	.text._ZN7rocprim17ROCPRIM_400000_NS6detail17trampoline_kernelINS0_14default_configENS1_27lower_bound_config_selectorItlEEZNS1_14transform_implILb0ES3_S5_N6thrust23THRUST_200600_302600_NS6detail15normal_iteratorINS8_7pointerItNS8_11hip_rocprim5par_tENS8_11use_defaultESE_EEEENSA_INSB_IlSD_SE_SE_EEEEZNS1_13binary_searchIS3_S5_NSA_INS8_10device_ptrItEEEESG_SI_NS1_21lower_bound_search_opENS9_16wrapped_functionINS8_6system6detail7generic6detail18binary_search_lessEbEEEE10hipError_tPvRmT1_T2_T3_mmT4_T5_P12ihipStream_tbEUlRKtE_EESV_SZ_S10_mS11_S14_bEUlT_E_NS1_11comp_targetILNS1_3genE2ELNS1_11target_archE906ELNS1_3gpuE6ELNS1_3repE0EEENS1_30default_config_static_selectorELNS0_4arch9wavefront6targetE0EEEvSY_,"axG",@progbits,_ZN7rocprim17ROCPRIM_400000_NS6detail17trampoline_kernelINS0_14default_configENS1_27lower_bound_config_selectorItlEEZNS1_14transform_implILb0ES3_S5_N6thrust23THRUST_200600_302600_NS6detail15normal_iteratorINS8_7pointerItNS8_11hip_rocprim5par_tENS8_11use_defaultESE_EEEENSA_INSB_IlSD_SE_SE_EEEEZNS1_13binary_searchIS3_S5_NSA_INS8_10device_ptrItEEEESG_SI_NS1_21lower_bound_search_opENS9_16wrapped_functionINS8_6system6detail7generic6detail18binary_search_lessEbEEEE10hipError_tPvRmT1_T2_T3_mmT4_T5_P12ihipStream_tbEUlRKtE_EESV_SZ_S10_mS11_S14_bEUlT_E_NS1_11comp_targetILNS1_3genE2ELNS1_11target_archE906ELNS1_3gpuE6ELNS1_3repE0EEENS1_30default_config_static_selectorELNS0_4arch9wavefront6targetE0EEEvSY_,comdat
.Lfunc_end380:
	.size	_ZN7rocprim17ROCPRIM_400000_NS6detail17trampoline_kernelINS0_14default_configENS1_27lower_bound_config_selectorItlEEZNS1_14transform_implILb0ES3_S5_N6thrust23THRUST_200600_302600_NS6detail15normal_iteratorINS8_7pointerItNS8_11hip_rocprim5par_tENS8_11use_defaultESE_EEEENSA_INSB_IlSD_SE_SE_EEEEZNS1_13binary_searchIS3_S5_NSA_INS8_10device_ptrItEEEESG_SI_NS1_21lower_bound_search_opENS9_16wrapped_functionINS8_6system6detail7generic6detail18binary_search_lessEbEEEE10hipError_tPvRmT1_T2_T3_mmT4_T5_P12ihipStream_tbEUlRKtE_EESV_SZ_S10_mS11_S14_bEUlT_E_NS1_11comp_targetILNS1_3genE2ELNS1_11target_archE906ELNS1_3gpuE6ELNS1_3repE0EEENS1_30default_config_static_selectorELNS0_4arch9wavefront6targetE0EEEvSY_, .Lfunc_end380-_ZN7rocprim17ROCPRIM_400000_NS6detail17trampoline_kernelINS0_14default_configENS1_27lower_bound_config_selectorItlEEZNS1_14transform_implILb0ES3_S5_N6thrust23THRUST_200600_302600_NS6detail15normal_iteratorINS8_7pointerItNS8_11hip_rocprim5par_tENS8_11use_defaultESE_EEEENSA_INSB_IlSD_SE_SE_EEEEZNS1_13binary_searchIS3_S5_NSA_INS8_10device_ptrItEEEESG_SI_NS1_21lower_bound_search_opENS9_16wrapped_functionINS8_6system6detail7generic6detail18binary_search_lessEbEEEE10hipError_tPvRmT1_T2_T3_mmT4_T5_P12ihipStream_tbEUlRKtE_EESV_SZ_S10_mS11_S14_bEUlT_E_NS1_11comp_targetILNS1_3genE2ELNS1_11target_archE906ELNS1_3gpuE6ELNS1_3repE0EEENS1_30default_config_static_selectorELNS0_4arch9wavefront6targetE0EEEvSY_
                                        ; -- End function
	.set _ZN7rocprim17ROCPRIM_400000_NS6detail17trampoline_kernelINS0_14default_configENS1_27lower_bound_config_selectorItlEEZNS1_14transform_implILb0ES3_S5_N6thrust23THRUST_200600_302600_NS6detail15normal_iteratorINS8_7pointerItNS8_11hip_rocprim5par_tENS8_11use_defaultESE_EEEENSA_INSB_IlSD_SE_SE_EEEEZNS1_13binary_searchIS3_S5_NSA_INS8_10device_ptrItEEEESG_SI_NS1_21lower_bound_search_opENS9_16wrapped_functionINS8_6system6detail7generic6detail18binary_search_lessEbEEEE10hipError_tPvRmT1_T2_T3_mmT4_T5_P12ihipStream_tbEUlRKtE_EESV_SZ_S10_mS11_S14_bEUlT_E_NS1_11comp_targetILNS1_3genE2ELNS1_11target_archE906ELNS1_3gpuE6ELNS1_3repE0EEENS1_30default_config_static_selectorELNS0_4arch9wavefront6targetE0EEEvSY_.num_vgpr, 0
	.set _ZN7rocprim17ROCPRIM_400000_NS6detail17trampoline_kernelINS0_14default_configENS1_27lower_bound_config_selectorItlEEZNS1_14transform_implILb0ES3_S5_N6thrust23THRUST_200600_302600_NS6detail15normal_iteratorINS8_7pointerItNS8_11hip_rocprim5par_tENS8_11use_defaultESE_EEEENSA_INSB_IlSD_SE_SE_EEEEZNS1_13binary_searchIS3_S5_NSA_INS8_10device_ptrItEEEESG_SI_NS1_21lower_bound_search_opENS9_16wrapped_functionINS8_6system6detail7generic6detail18binary_search_lessEbEEEE10hipError_tPvRmT1_T2_T3_mmT4_T5_P12ihipStream_tbEUlRKtE_EESV_SZ_S10_mS11_S14_bEUlT_E_NS1_11comp_targetILNS1_3genE2ELNS1_11target_archE906ELNS1_3gpuE6ELNS1_3repE0EEENS1_30default_config_static_selectorELNS0_4arch9wavefront6targetE0EEEvSY_.num_agpr, 0
	.set _ZN7rocprim17ROCPRIM_400000_NS6detail17trampoline_kernelINS0_14default_configENS1_27lower_bound_config_selectorItlEEZNS1_14transform_implILb0ES3_S5_N6thrust23THRUST_200600_302600_NS6detail15normal_iteratorINS8_7pointerItNS8_11hip_rocprim5par_tENS8_11use_defaultESE_EEEENSA_INSB_IlSD_SE_SE_EEEEZNS1_13binary_searchIS3_S5_NSA_INS8_10device_ptrItEEEESG_SI_NS1_21lower_bound_search_opENS9_16wrapped_functionINS8_6system6detail7generic6detail18binary_search_lessEbEEEE10hipError_tPvRmT1_T2_T3_mmT4_T5_P12ihipStream_tbEUlRKtE_EESV_SZ_S10_mS11_S14_bEUlT_E_NS1_11comp_targetILNS1_3genE2ELNS1_11target_archE906ELNS1_3gpuE6ELNS1_3repE0EEENS1_30default_config_static_selectorELNS0_4arch9wavefront6targetE0EEEvSY_.numbered_sgpr, 0
	.set _ZN7rocprim17ROCPRIM_400000_NS6detail17trampoline_kernelINS0_14default_configENS1_27lower_bound_config_selectorItlEEZNS1_14transform_implILb0ES3_S5_N6thrust23THRUST_200600_302600_NS6detail15normal_iteratorINS8_7pointerItNS8_11hip_rocprim5par_tENS8_11use_defaultESE_EEEENSA_INSB_IlSD_SE_SE_EEEEZNS1_13binary_searchIS3_S5_NSA_INS8_10device_ptrItEEEESG_SI_NS1_21lower_bound_search_opENS9_16wrapped_functionINS8_6system6detail7generic6detail18binary_search_lessEbEEEE10hipError_tPvRmT1_T2_T3_mmT4_T5_P12ihipStream_tbEUlRKtE_EESV_SZ_S10_mS11_S14_bEUlT_E_NS1_11comp_targetILNS1_3genE2ELNS1_11target_archE906ELNS1_3gpuE6ELNS1_3repE0EEENS1_30default_config_static_selectorELNS0_4arch9wavefront6targetE0EEEvSY_.num_named_barrier, 0
	.set _ZN7rocprim17ROCPRIM_400000_NS6detail17trampoline_kernelINS0_14default_configENS1_27lower_bound_config_selectorItlEEZNS1_14transform_implILb0ES3_S5_N6thrust23THRUST_200600_302600_NS6detail15normal_iteratorINS8_7pointerItNS8_11hip_rocprim5par_tENS8_11use_defaultESE_EEEENSA_INSB_IlSD_SE_SE_EEEEZNS1_13binary_searchIS3_S5_NSA_INS8_10device_ptrItEEEESG_SI_NS1_21lower_bound_search_opENS9_16wrapped_functionINS8_6system6detail7generic6detail18binary_search_lessEbEEEE10hipError_tPvRmT1_T2_T3_mmT4_T5_P12ihipStream_tbEUlRKtE_EESV_SZ_S10_mS11_S14_bEUlT_E_NS1_11comp_targetILNS1_3genE2ELNS1_11target_archE906ELNS1_3gpuE6ELNS1_3repE0EEENS1_30default_config_static_selectorELNS0_4arch9wavefront6targetE0EEEvSY_.private_seg_size, 0
	.set _ZN7rocprim17ROCPRIM_400000_NS6detail17trampoline_kernelINS0_14default_configENS1_27lower_bound_config_selectorItlEEZNS1_14transform_implILb0ES3_S5_N6thrust23THRUST_200600_302600_NS6detail15normal_iteratorINS8_7pointerItNS8_11hip_rocprim5par_tENS8_11use_defaultESE_EEEENSA_INSB_IlSD_SE_SE_EEEEZNS1_13binary_searchIS3_S5_NSA_INS8_10device_ptrItEEEESG_SI_NS1_21lower_bound_search_opENS9_16wrapped_functionINS8_6system6detail7generic6detail18binary_search_lessEbEEEE10hipError_tPvRmT1_T2_T3_mmT4_T5_P12ihipStream_tbEUlRKtE_EESV_SZ_S10_mS11_S14_bEUlT_E_NS1_11comp_targetILNS1_3genE2ELNS1_11target_archE906ELNS1_3gpuE6ELNS1_3repE0EEENS1_30default_config_static_selectorELNS0_4arch9wavefront6targetE0EEEvSY_.uses_vcc, 0
	.set _ZN7rocprim17ROCPRIM_400000_NS6detail17trampoline_kernelINS0_14default_configENS1_27lower_bound_config_selectorItlEEZNS1_14transform_implILb0ES3_S5_N6thrust23THRUST_200600_302600_NS6detail15normal_iteratorINS8_7pointerItNS8_11hip_rocprim5par_tENS8_11use_defaultESE_EEEENSA_INSB_IlSD_SE_SE_EEEEZNS1_13binary_searchIS3_S5_NSA_INS8_10device_ptrItEEEESG_SI_NS1_21lower_bound_search_opENS9_16wrapped_functionINS8_6system6detail7generic6detail18binary_search_lessEbEEEE10hipError_tPvRmT1_T2_T3_mmT4_T5_P12ihipStream_tbEUlRKtE_EESV_SZ_S10_mS11_S14_bEUlT_E_NS1_11comp_targetILNS1_3genE2ELNS1_11target_archE906ELNS1_3gpuE6ELNS1_3repE0EEENS1_30default_config_static_selectorELNS0_4arch9wavefront6targetE0EEEvSY_.uses_flat_scratch, 0
	.set _ZN7rocprim17ROCPRIM_400000_NS6detail17trampoline_kernelINS0_14default_configENS1_27lower_bound_config_selectorItlEEZNS1_14transform_implILb0ES3_S5_N6thrust23THRUST_200600_302600_NS6detail15normal_iteratorINS8_7pointerItNS8_11hip_rocprim5par_tENS8_11use_defaultESE_EEEENSA_INSB_IlSD_SE_SE_EEEEZNS1_13binary_searchIS3_S5_NSA_INS8_10device_ptrItEEEESG_SI_NS1_21lower_bound_search_opENS9_16wrapped_functionINS8_6system6detail7generic6detail18binary_search_lessEbEEEE10hipError_tPvRmT1_T2_T3_mmT4_T5_P12ihipStream_tbEUlRKtE_EESV_SZ_S10_mS11_S14_bEUlT_E_NS1_11comp_targetILNS1_3genE2ELNS1_11target_archE906ELNS1_3gpuE6ELNS1_3repE0EEENS1_30default_config_static_selectorELNS0_4arch9wavefront6targetE0EEEvSY_.has_dyn_sized_stack, 0
	.set _ZN7rocprim17ROCPRIM_400000_NS6detail17trampoline_kernelINS0_14default_configENS1_27lower_bound_config_selectorItlEEZNS1_14transform_implILb0ES3_S5_N6thrust23THRUST_200600_302600_NS6detail15normal_iteratorINS8_7pointerItNS8_11hip_rocprim5par_tENS8_11use_defaultESE_EEEENSA_INSB_IlSD_SE_SE_EEEEZNS1_13binary_searchIS3_S5_NSA_INS8_10device_ptrItEEEESG_SI_NS1_21lower_bound_search_opENS9_16wrapped_functionINS8_6system6detail7generic6detail18binary_search_lessEbEEEE10hipError_tPvRmT1_T2_T3_mmT4_T5_P12ihipStream_tbEUlRKtE_EESV_SZ_S10_mS11_S14_bEUlT_E_NS1_11comp_targetILNS1_3genE2ELNS1_11target_archE906ELNS1_3gpuE6ELNS1_3repE0EEENS1_30default_config_static_selectorELNS0_4arch9wavefront6targetE0EEEvSY_.has_recursion, 0
	.set _ZN7rocprim17ROCPRIM_400000_NS6detail17trampoline_kernelINS0_14default_configENS1_27lower_bound_config_selectorItlEEZNS1_14transform_implILb0ES3_S5_N6thrust23THRUST_200600_302600_NS6detail15normal_iteratorINS8_7pointerItNS8_11hip_rocprim5par_tENS8_11use_defaultESE_EEEENSA_INSB_IlSD_SE_SE_EEEEZNS1_13binary_searchIS3_S5_NSA_INS8_10device_ptrItEEEESG_SI_NS1_21lower_bound_search_opENS9_16wrapped_functionINS8_6system6detail7generic6detail18binary_search_lessEbEEEE10hipError_tPvRmT1_T2_T3_mmT4_T5_P12ihipStream_tbEUlRKtE_EESV_SZ_S10_mS11_S14_bEUlT_E_NS1_11comp_targetILNS1_3genE2ELNS1_11target_archE906ELNS1_3gpuE6ELNS1_3repE0EEENS1_30default_config_static_selectorELNS0_4arch9wavefront6targetE0EEEvSY_.has_indirect_call, 0
	.section	.AMDGPU.csdata,"",@progbits
; Kernel info:
; codeLenInByte = 0
; TotalNumSgprs: 0
; NumVgprs: 0
; ScratchSize: 0
; MemoryBound: 0
; FloatMode: 240
; IeeeMode: 1
; LDSByteSize: 0 bytes/workgroup (compile time only)
; SGPRBlocks: 0
; VGPRBlocks: 0
; NumSGPRsForWavesPerEU: 1
; NumVGPRsForWavesPerEU: 1
; Occupancy: 16
; WaveLimiterHint : 0
; COMPUTE_PGM_RSRC2:SCRATCH_EN: 0
; COMPUTE_PGM_RSRC2:USER_SGPR: 6
; COMPUTE_PGM_RSRC2:TRAP_HANDLER: 0
; COMPUTE_PGM_RSRC2:TGID_X_EN: 1
; COMPUTE_PGM_RSRC2:TGID_Y_EN: 0
; COMPUTE_PGM_RSRC2:TGID_Z_EN: 0
; COMPUTE_PGM_RSRC2:TIDIG_COMP_CNT: 0
	.section	.text._ZN7rocprim17ROCPRIM_400000_NS6detail17trampoline_kernelINS0_14default_configENS1_27lower_bound_config_selectorItlEEZNS1_14transform_implILb0ES3_S5_N6thrust23THRUST_200600_302600_NS6detail15normal_iteratorINS8_7pointerItNS8_11hip_rocprim5par_tENS8_11use_defaultESE_EEEENSA_INSB_IlSD_SE_SE_EEEEZNS1_13binary_searchIS3_S5_NSA_INS8_10device_ptrItEEEESG_SI_NS1_21lower_bound_search_opENS9_16wrapped_functionINS8_6system6detail7generic6detail18binary_search_lessEbEEEE10hipError_tPvRmT1_T2_T3_mmT4_T5_P12ihipStream_tbEUlRKtE_EESV_SZ_S10_mS11_S14_bEUlT_E_NS1_11comp_targetILNS1_3genE10ELNS1_11target_archE1201ELNS1_3gpuE5ELNS1_3repE0EEENS1_30default_config_static_selectorELNS0_4arch9wavefront6targetE0EEEvSY_,"axG",@progbits,_ZN7rocprim17ROCPRIM_400000_NS6detail17trampoline_kernelINS0_14default_configENS1_27lower_bound_config_selectorItlEEZNS1_14transform_implILb0ES3_S5_N6thrust23THRUST_200600_302600_NS6detail15normal_iteratorINS8_7pointerItNS8_11hip_rocprim5par_tENS8_11use_defaultESE_EEEENSA_INSB_IlSD_SE_SE_EEEEZNS1_13binary_searchIS3_S5_NSA_INS8_10device_ptrItEEEESG_SI_NS1_21lower_bound_search_opENS9_16wrapped_functionINS8_6system6detail7generic6detail18binary_search_lessEbEEEE10hipError_tPvRmT1_T2_T3_mmT4_T5_P12ihipStream_tbEUlRKtE_EESV_SZ_S10_mS11_S14_bEUlT_E_NS1_11comp_targetILNS1_3genE10ELNS1_11target_archE1201ELNS1_3gpuE5ELNS1_3repE0EEENS1_30default_config_static_selectorELNS0_4arch9wavefront6targetE0EEEvSY_,comdat
	.protected	_ZN7rocprim17ROCPRIM_400000_NS6detail17trampoline_kernelINS0_14default_configENS1_27lower_bound_config_selectorItlEEZNS1_14transform_implILb0ES3_S5_N6thrust23THRUST_200600_302600_NS6detail15normal_iteratorINS8_7pointerItNS8_11hip_rocprim5par_tENS8_11use_defaultESE_EEEENSA_INSB_IlSD_SE_SE_EEEEZNS1_13binary_searchIS3_S5_NSA_INS8_10device_ptrItEEEESG_SI_NS1_21lower_bound_search_opENS9_16wrapped_functionINS8_6system6detail7generic6detail18binary_search_lessEbEEEE10hipError_tPvRmT1_T2_T3_mmT4_T5_P12ihipStream_tbEUlRKtE_EESV_SZ_S10_mS11_S14_bEUlT_E_NS1_11comp_targetILNS1_3genE10ELNS1_11target_archE1201ELNS1_3gpuE5ELNS1_3repE0EEENS1_30default_config_static_selectorELNS0_4arch9wavefront6targetE0EEEvSY_ ; -- Begin function _ZN7rocprim17ROCPRIM_400000_NS6detail17trampoline_kernelINS0_14default_configENS1_27lower_bound_config_selectorItlEEZNS1_14transform_implILb0ES3_S5_N6thrust23THRUST_200600_302600_NS6detail15normal_iteratorINS8_7pointerItNS8_11hip_rocprim5par_tENS8_11use_defaultESE_EEEENSA_INSB_IlSD_SE_SE_EEEEZNS1_13binary_searchIS3_S5_NSA_INS8_10device_ptrItEEEESG_SI_NS1_21lower_bound_search_opENS9_16wrapped_functionINS8_6system6detail7generic6detail18binary_search_lessEbEEEE10hipError_tPvRmT1_T2_T3_mmT4_T5_P12ihipStream_tbEUlRKtE_EESV_SZ_S10_mS11_S14_bEUlT_E_NS1_11comp_targetILNS1_3genE10ELNS1_11target_archE1201ELNS1_3gpuE5ELNS1_3repE0EEENS1_30default_config_static_selectorELNS0_4arch9wavefront6targetE0EEEvSY_
	.globl	_ZN7rocprim17ROCPRIM_400000_NS6detail17trampoline_kernelINS0_14default_configENS1_27lower_bound_config_selectorItlEEZNS1_14transform_implILb0ES3_S5_N6thrust23THRUST_200600_302600_NS6detail15normal_iteratorINS8_7pointerItNS8_11hip_rocprim5par_tENS8_11use_defaultESE_EEEENSA_INSB_IlSD_SE_SE_EEEEZNS1_13binary_searchIS3_S5_NSA_INS8_10device_ptrItEEEESG_SI_NS1_21lower_bound_search_opENS9_16wrapped_functionINS8_6system6detail7generic6detail18binary_search_lessEbEEEE10hipError_tPvRmT1_T2_T3_mmT4_T5_P12ihipStream_tbEUlRKtE_EESV_SZ_S10_mS11_S14_bEUlT_E_NS1_11comp_targetILNS1_3genE10ELNS1_11target_archE1201ELNS1_3gpuE5ELNS1_3repE0EEENS1_30default_config_static_selectorELNS0_4arch9wavefront6targetE0EEEvSY_
	.p2align	8
	.type	_ZN7rocprim17ROCPRIM_400000_NS6detail17trampoline_kernelINS0_14default_configENS1_27lower_bound_config_selectorItlEEZNS1_14transform_implILb0ES3_S5_N6thrust23THRUST_200600_302600_NS6detail15normal_iteratorINS8_7pointerItNS8_11hip_rocprim5par_tENS8_11use_defaultESE_EEEENSA_INSB_IlSD_SE_SE_EEEEZNS1_13binary_searchIS3_S5_NSA_INS8_10device_ptrItEEEESG_SI_NS1_21lower_bound_search_opENS9_16wrapped_functionINS8_6system6detail7generic6detail18binary_search_lessEbEEEE10hipError_tPvRmT1_T2_T3_mmT4_T5_P12ihipStream_tbEUlRKtE_EESV_SZ_S10_mS11_S14_bEUlT_E_NS1_11comp_targetILNS1_3genE10ELNS1_11target_archE1201ELNS1_3gpuE5ELNS1_3repE0EEENS1_30default_config_static_selectorELNS0_4arch9wavefront6targetE0EEEvSY_,@function
_ZN7rocprim17ROCPRIM_400000_NS6detail17trampoline_kernelINS0_14default_configENS1_27lower_bound_config_selectorItlEEZNS1_14transform_implILb0ES3_S5_N6thrust23THRUST_200600_302600_NS6detail15normal_iteratorINS8_7pointerItNS8_11hip_rocprim5par_tENS8_11use_defaultESE_EEEENSA_INSB_IlSD_SE_SE_EEEEZNS1_13binary_searchIS3_S5_NSA_INS8_10device_ptrItEEEESG_SI_NS1_21lower_bound_search_opENS9_16wrapped_functionINS8_6system6detail7generic6detail18binary_search_lessEbEEEE10hipError_tPvRmT1_T2_T3_mmT4_T5_P12ihipStream_tbEUlRKtE_EESV_SZ_S10_mS11_S14_bEUlT_E_NS1_11comp_targetILNS1_3genE10ELNS1_11target_archE1201ELNS1_3gpuE5ELNS1_3repE0EEENS1_30default_config_static_selectorELNS0_4arch9wavefront6targetE0EEEvSY_: ; @_ZN7rocprim17ROCPRIM_400000_NS6detail17trampoline_kernelINS0_14default_configENS1_27lower_bound_config_selectorItlEEZNS1_14transform_implILb0ES3_S5_N6thrust23THRUST_200600_302600_NS6detail15normal_iteratorINS8_7pointerItNS8_11hip_rocprim5par_tENS8_11use_defaultESE_EEEENSA_INSB_IlSD_SE_SE_EEEEZNS1_13binary_searchIS3_S5_NSA_INS8_10device_ptrItEEEESG_SI_NS1_21lower_bound_search_opENS9_16wrapped_functionINS8_6system6detail7generic6detail18binary_search_lessEbEEEE10hipError_tPvRmT1_T2_T3_mmT4_T5_P12ihipStream_tbEUlRKtE_EESV_SZ_S10_mS11_S14_bEUlT_E_NS1_11comp_targetILNS1_3genE10ELNS1_11target_archE1201ELNS1_3gpuE5ELNS1_3repE0EEENS1_30default_config_static_selectorELNS0_4arch9wavefront6targetE0EEEvSY_
; %bb.0:
	.section	.rodata,"a",@progbits
	.p2align	6, 0x0
	.amdhsa_kernel _ZN7rocprim17ROCPRIM_400000_NS6detail17trampoline_kernelINS0_14default_configENS1_27lower_bound_config_selectorItlEEZNS1_14transform_implILb0ES3_S5_N6thrust23THRUST_200600_302600_NS6detail15normal_iteratorINS8_7pointerItNS8_11hip_rocprim5par_tENS8_11use_defaultESE_EEEENSA_INSB_IlSD_SE_SE_EEEEZNS1_13binary_searchIS3_S5_NSA_INS8_10device_ptrItEEEESG_SI_NS1_21lower_bound_search_opENS9_16wrapped_functionINS8_6system6detail7generic6detail18binary_search_lessEbEEEE10hipError_tPvRmT1_T2_T3_mmT4_T5_P12ihipStream_tbEUlRKtE_EESV_SZ_S10_mS11_S14_bEUlT_E_NS1_11comp_targetILNS1_3genE10ELNS1_11target_archE1201ELNS1_3gpuE5ELNS1_3repE0EEENS1_30default_config_static_selectorELNS0_4arch9wavefront6targetE0EEEvSY_
		.amdhsa_group_segment_fixed_size 0
		.amdhsa_private_segment_fixed_size 0
		.amdhsa_kernarg_size 56
		.amdhsa_user_sgpr_count 6
		.amdhsa_user_sgpr_private_segment_buffer 1
		.amdhsa_user_sgpr_dispatch_ptr 0
		.amdhsa_user_sgpr_queue_ptr 0
		.amdhsa_user_sgpr_kernarg_segment_ptr 1
		.amdhsa_user_sgpr_dispatch_id 0
		.amdhsa_user_sgpr_flat_scratch_init 0
		.amdhsa_user_sgpr_private_segment_size 0
		.amdhsa_wavefront_size32 1
		.amdhsa_uses_dynamic_stack 0
		.amdhsa_system_sgpr_private_segment_wavefront_offset 0
		.amdhsa_system_sgpr_workgroup_id_x 1
		.amdhsa_system_sgpr_workgroup_id_y 0
		.amdhsa_system_sgpr_workgroup_id_z 0
		.amdhsa_system_sgpr_workgroup_info 0
		.amdhsa_system_vgpr_workitem_id 0
		.amdhsa_next_free_vgpr 1
		.amdhsa_next_free_sgpr 1
		.amdhsa_reserve_vcc 0
		.amdhsa_reserve_flat_scratch 0
		.amdhsa_float_round_mode_32 0
		.amdhsa_float_round_mode_16_64 0
		.amdhsa_float_denorm_mode_32 3
		.amdhsa_float_denorm_mode_16_64 3
		.amdhsa_dx10_clamp 1
		.amdhsa_ieee_mode 1
		.amdhsa_fp16_overflow 0
		.amdhsa_workgroup_processor_mode 1
		.amdhsa_memory_ordered 1
		.amdhsa_forward_progress 1
		.amdhsa_shared_vgpr_count 0
		.amdhsa_exception_fp_ieee_invalid_op 0
		.amdhsa_exception_fp_denorm_src 0
		.amdhsa_exception_fp_ieee_div_zero 0
		.amdhsa_exception_fp_ieee_overflow 0
		.amdhsa_exception_fp_ieee_underflow 0
		.amdhsa_exception_fp_ieee_inexact 0
		.amdhsa_exception_int_div_zero 0
	.end_amdhsa_kernel
	.section	.text._ZN7rocprim17ROCPRIM_400000_NS6detail17trampoline_kernelINS0_14default_configENS1_27lower_bound_config_selectorItlEEZNS1_14transform_implILb0ES3_S5_N6thrust23THRUST_200600_302600_NS6detail15normal_iteratorINS8_7pointerItNS8_11hip_rocprim5par_tENS8_11use_defaultESE_EEEENSA_INSB_IlSD_SE_SE_EEEEZNS1_13binary_searchIS3_S5_NSA_INS8_10device_ptrItEEEESG_SI_NS1_21lower_bound_search_opENS9_16wrapped_functionINS8_6system6detail7generic6detail18binary_search_lessEbEEEE10hipError_tPvRmT1_T2_T3_mmT4_T5_P12ihipStream_tbEUlRKtE_EESV_SZ_S10_mS11_S14_bEUlT_E_NS1_11comp_targetILNS1_3genE10ELNS1_11target_archE1201ELNS1_3gpuE5ELNS1_3repE0EEENS1_30default_config_static_selectorELNS0_4arch9wavefront6targetE0EEEvSY_,"axG",@progbits,_ZN7rocprim17ROCPRIM_400000_NS6detail17trampoline_kernelINS0_14default_configENS1_27lower_bound_config_selectorItlEEZNS1_14transform_implILb0ES3_S5_N6thrust23THRUST_200600_302600_NS6detail15normal_iteratorINS8_7pointerItNS8_11hip_rocprim5par_tENS8_11use_defaultESE_EEEENSA_INSB_IlSD_SE_SE_EEEEZNS1_13binary_searchIS3_S5_NSA_INS8_10device_ptrItEEEESG_SI_NS1_21lower_bound_search_opENS9_16wrapped_functionINS8_6system6detail7generic6detail18binary_search_lessEbEEEE10hipError_tPvRmT1_T2_T3_mmT4_T5_P12ihipStream_tbEUlRKtE_EESV_SZ_S10_mS11_S14_bEUlT_E_NS1_11comp_targetILNS1_3genE10ELNS1_11target_archE1201ELNS1_3gpuE5ELNS1_3repE0EEENS1_30default_config_static_selectorELNS0_4arch9wavefront6targetE0EEEvSY_,comdat
.Lfunc_end381:
	.size	_ZN7rocprim17ROCPRIM_400000_NS6detail17trampoline_kernelINS0_14default_configENS1_27lower_bound_config_selectorItlEEZNS1_14transform_implILb0ES3_S5_N6thrust23THRUST_200600_302600_NS6detail15normal_iteratorINS8_7pointerItNS8_11hip_rocprim5par_tENS8_11use_defaultESE_EEEENSA_INSB_IlSD_SE_SE_EEEEZNS1_13binary_searchIS3_S5_NSA_INS8_10device_ptrItEEEESG_SI_NS1_21lower_bound_search_opENS9_16wrapped_functionINS8_6system6detail7generic6detail18binary_search_lessEbEEEE10hipError_tPvRmT1_T2_T3_mmT4_T5_P12ihipStream_tbEUlRKtE_EESV_SZ_S10_mS11_S14_bEUlT_E_NS1_11comp_targetILNS1_3genE10ELNS1_11target_archE1201ELNS1_3gpuE5ELNS1_3repE0EEENS1_30default_config_static_selectorELNS0_4arch9wavefront6targetE0EEEvSY_, .Lfunc_end381-_ZN7rocprim17ROCPRIM_400000_NS6detail17trampoline_kernelINS0_14default_configENS1_27lower_bound_config_selectorItlEEZNS1_14transform_implILb0ES3_S5_N6thrust23THRUST_200600_302600_NS6detail15normal_iteratorINS8_7pointerItNS8_11hip_rocprim5par_tENS8_11use_defaultESE_EEEENSA_INSB_IlSD_SE_SE_EEEEZNS1_13binary_searchIS3_S5_NSA_INS8_10device_ptrItEEEESG_SI_NS1_21lower_bound_search_opENS9_16wrapped_functionINS8_6system6detail7generic6detail18binary_search_lessEbEEEE10hipError_tPvRmT1_T2_T3_mmT4_T5_P12ihipStream_tbEUlRKtE_EESV_SZ_S10_mS11_S14_bEUlT_E_NS1_11comp_targetILNS1_3genE10ELNS1_11target_archE1201ELNS1_3gpuE5ELNS1_3repE0EEENS1_30default_config_static_selectorELNS0_4arch9wavefront6targetE0EEEvSY_
                                        ; -- End function
	.set _ZN7rocprim17ROCPRIM_400000_NS6detail17trampoline_kernelINS0_14default_configENS1_27lower_bound_config_selectorItlEEZNS1_14transform_implILb0ES3_S5_N6thrust23THRUST_200600_302600_NS6detail15normal_iteratorINS8_7pointerItNS8_11hip_rocprim5par_tENS8_11use_defaultESE_EEEENSA_INSB_IlSD_SE_SE_EEEEZNS1_13binary_searchIS3_S5_NSA_INS8_10device_ptrItEEEESG_SI_NS1_21lower_bound_search_opENS9_16wrapped_functionINS8_6system6detail7generic6detail18binary_search_lessEbEEEE10hipError_tPvRmT1_T2_T3_mmT4_T5_P12ihipStream_tbEUlRKtE_EESV_SZ_S10_mS11_S14_bEUlT_E_NS1_11comp_targetILNS1_3genE10ELNS1_11target_archE1201ELNS1_3gpuE5ELNS1_3repE0EEENS1_30default_config_static_selectorELNS0_4arch9wavefront6targetE0EEEvSY_.num_vgpr, 0
	.set _ZN7rocprim17ROCPRIM_400000_NS6detail17trampoline_kernelINS0_14default_configENS1_27lower_bound_config_selectorItlEEZNS1_14transform_implILb0ES3_S5_N6thrust23THRUST_200600_302600_NS6detail15normal_iteratorINS8_7pointerItNS8_11hip_rocprim5par_tENS8_11use_defaultESE_EEEENSA_INSB_IlSD_SE_SE_EEEEZNS1_13binary_searchIS3_S5_NSA_INS8_10device_ptrItEEEESG_SI_NS1_21lower_bound_search_opENS9_16wrapped_functionINS8_6system6detail7generic6detail18binary_search_lessEbEEEE10hipError_tPvRmT1_T2_T3_mmT4_T5_P12ihipStream_tbEUlRKtE_EESV_SZ_S10_mS11_S14_bEUlT_E_NS1_11comp_targetILNS1_3genE10ELNS1_11target_archE1201ELNS1_3gpuE5ELNS1_3repE0EEENS1_30default_config_static_selectorELNS0_4arch9wavefront6targetE0EEEvSY_.num_agpr, 0
	.set _ZN7rocprim17ROCPRIM_400000_NS6detail17trampoline_kernelINS0_14default_configENS1_27lower_bound_config_selectorItlEEZNS1_14transform_implILb0ES3_S5_N6thrust23THRUST_200600_302600_NS6detail15normal_iteratorINS8_7pointerItNS8_11hip_rocprim5par_tENS8_11use_defaultESE_EEEENSA_INSB_IlSD_SE_SE_EEEEZNS1_13binary_searchIS3_S5_NSA_INS8_10device_ptrItEEEESG_SI_NS1_21lower_bound_search_opENS9_16wrapped_functionINS8_6system6detail7generic6detail18binary_search_lessEbEEEE10hipError_tPvRmT1_T2_T3_mmT4_T5_P12ihipStream_tbEUlRKtE_EESV_SZ_S10_mS11_S14_bEUlT_E_NS1_11comp_targetILNS1_3genE10ELNS1_11target_archE1201ELNS1_3gpuE5ELNS1_3repE0EEENS1_30default_config_static_selectorELNS0_4arch9wavefront6targetE0EEEvSY_.numbered_sgpr, 0
	.set _ZN7rocprim17ROCPRIM_400000_NS6detail17trampoline_kernelINS0_14default_configENS1_27lower_bound_config_selectorItlEEZNS1_14transform_implILb0ES3_S5_N6thrust23THRUST_200600_302600_NS6detail15normal_iteratorINS8_7pointerItNS8_11hip_rocprim5par_tENS8_11use_defaultESE_EEEENSA_INSB_IlSD_SE_SE_EEEEZNS1_13binary_searchIS3_S5_NSA_INS8_10device_ptrItEEEESG_SI_NS1_21lower_bound_search_opENS9_16wrapped_functionINS8_6system6detail7generic6detail18binary_search_lessEbEEEE10hipError_tPvRmT1_T2_T3_mmT4_T5_P12ihipStream_tbEUlRKtE_EESV_SZ_S10_mS11_S14_bEUlT_E_NS1_11comp_targetILNS1_3genE10ELNS1_11target_archE1201ELNS1_3gpuE5ELNS1_3repE0EEENS1_30default_config_static_selectorELNS0_4arch9wavefront6targetE0EEEvSY_.num_named_barrier, 0
	.set _ZN7rocprim17ROCPRIM_400000_NS6detail17trampoline_kernelINS0_14default_configENS1_27lower_bound_config_selectorItlEEZNS1_14transform_implILb0ES3_S5_N6thrust23THRUST_200600_302600_NS6detail15normal_iteratorINS8_7pointerItNS8_11hip_rocprim5par_tENS8_11use_defaultESE_EEEENSA_INSB_IlSD_SE_SE_EEEEZNS1_13binary_searchIS3_S5_NSA_INS8_10device_ptrItEEEESG_SI_NS1_21lower_bound_search_opENS9_16wrapped_functionINS8_6system6detail7generic6detail18binary_search_lessEbEEEE10hipError_tPvRmT1_T2_T3_mmT4_T5_P12ihipStream_tbEUlRKtE_EESV_SZ_S10_mS11_S14_bEUlT_E_NS1_11comp_targetILNS1_3genE10ELNS1_11target_archE1201ELNS1_3gpuE5ELNS1_3repE0EEENS1_30default_config_static_selectorELNS0_4arch9wavefront6targetE0EEEvSY_.private_seg_size, 0
	.set _ZN7rocprim17ROCPRIM_400000_NS6detail17trampoline_kernelINS0_14default_configENS1_27lower_bound_config_selectorItlEEZNS1_14transform_implILb0ES3_S5_N6thrust23THRUST_200600_302600_NS6detail15normal_iteratorINS8_7pointerItNS8_11hip_rocprim5par_tENS8_11use_defaultESE_EEEENSA_INSB_IlSD_SE_SE_EEEEZNS1_13binary_searchIS3_S5_NSA_INS8_10device_ptrItEEEESG_SI_NS1_21lower_bound_search_opENS9_16wrapped_functionINS8_6system6detail7generic6detail18binary_search_lessEbEEEE10hipError_tPvRmT1_T2_T3_mmT4_T5_P12ihipStream_tbEUlRKtE_EESV_SZ_S10_mS11_S14_bEUlT_E_NS1_11comp_targetILNS1_3genE10ELNS1_11target_archE1201ELNS1_3gpuE5ELNS1_3repE0EEENS1_30default_config_static_selectorELNS0_4arch9wavefront6targetE0EEEvSY_.uses_vcc, 0
	.set _ZN7rocprim17ROCPRIM_400000_NS6detail17trampoline_kernelINS0_14default_configENS1_27lower_bound_config_selectorItlEEZNS1_14transform_implILb0ES3_S5_N6thrust23THRUST_200600_302600_NS6detail15normal_iteratorINS8_7pointerItNS8_11hip_rocprim5par_tENS8_11use_defaultESE_EEEENSA_INSB_IlSD_SE_SE_EEEEZNS1_13binary_searchIS3_S5_NSA_INS8_10device_ptrItEEEESG_SI_NS1_21lower_bound_search_opENS9_16wrapped_functionINS8_6system6detail7generic6detail18binary_search_lessEbEEEE10hipError_tPvRmT1_T2_T3_mmT4_T5_P12ihipStream_tbEUlRKtE_EESV_SZ_S10_mS11_S14_bEUlT_E_NS1_11comp_targetILNS1_3genE10ELNS1_11target_archE1201ELNS1_3gpuE5ELNS1_3repE0EEENS1_30default_config_static_selectorELNS0_4arch9wavefront6targetE0EEEvSY_.uses_flat_scratch, 0
	.set _ZN7rocprim17ROCPRIM_400000_NS6detail17trampoline_kernelINS0_14default_configENS1_27lower_bound_config_selectorItlEEZNS1_14transform_implILb0ES3_S5_N6thrust23THRUST_200600_302600_NS6detail15normal_iteratorINS8_7pointerItNS8_11hip_rocprim5par_tENS8_11use_defaultESE_EEEENSA_INSB_IlSD_SE_SE_EEEEZNS1_13binary_searchIS3_S5_NSA_INS8_10device_ptrItEEEESG_SI_NS1_21lower_bound_search_opENS9_16wrapped_functionINS8_6system6detail7generic6detail18binary_search_lessEbEEEE10hipError_tPvRmT1_T2_T3_mmT4_T5_P12ihipStream_tbEUlRKtE_EESV_SZ_S10_mS11_S14_bEUlT_E_NS1_11comp_targetILNS1_3genE10ELNS1_11target_archE1201ELNS1_3gpuE5ELNS1_3repE0EEENS1_30default_config_static_selectorELNS0_4arch9wavefront6targetE0EEEvSY_.has_dyn_sized_stack, 0
	.set _ZN7rocprim17ROCPRIM_400000_NS6detail17trampoline_kernelINS0_14default_configENS1_27lower_bound_config_selectorItlEEZNS1_14transform_implILb0ES3_S5_N6thrust23THRUST_200600_302600_NS6detail15normal_iteratorINS8_7pointerItNS8_11hip_rocprim5par_tENS8_11use_defaultESE_EEEENSA_INSB_IlSD_SE_SE_EEEEZNS1_13binary_searchIS3_S5_NSA_INS8_10device_ptrItEEEESG_SI_NS1_21lower_bound_search_opENS9_16wrapped_functionINS8_6system6detail7generic6detail18binary_search_lessEbEEEE10hipError_tPvRmT1_T2_T3_mmT4_T5_P12ihipStream_tbEUlRKtE_EESV_SZ_S10_mS11_S14_bEUlT_E_NS1_11comp_targetILNS1_3genE10ELNS1_11target_archE1201ELNS1_3gpuE5ELNS1_3repE0EEENS1_30default_config_static_selectorELNS0_4arch9wavefront6targetE0EEEvSY_.has_recursion, 0
	.set _ZN7rocprim17ROCPRIM_400000_NS6detail17trampoline_kernelINS0_14default_configENS1_27lower_bound_config_selectorItlEEZNS1_14transform_implILb0ES3_S5_N6thrust23THRUST_200600_302600_NS6detail15normal_iteratorINS8_7pointerItNS8_11hip_rocprim5par_tENS8_11use_defaultESE_EEEENSA_INSB_IlSD_SE_SE_EEEEZNS1_13binary_searchIS3_S5_NSA_INS8_10device_ptrItEEEESG_SI_NS1_21lower_bound_search_opENS9_16wrapped_functionINS8_6system6detail7generic6detail18binary_search_lessEbEEEE10hipError_tPvRmT1_T2_T3_mmT4_T5_P12ihipStream_tbEUlRKtE_EESV_SZ_S10_mS11_S14_bEUlT_E_NS1_11comp_targetILNS1_3genE10ELNS1_11target_archE1201ELNS1_3gpuE5ELNS1_3repE0EEENS1_30default_config_static_selectorELNS0_4arch9wavefront6targetE0EEEvSY_.has_indirect_call, 0
	.section	.AMDGPU.csdata,"",@progbits
; Kernel info:
; codeLenInByte = 0
; TotalNumSgprs: 0
; NumVgprs: 0
; ScratchSize: 0
; MemoryBound: 0
; FloatMode: 240
; IeeeMode: 1
; LDSByteSize: 0 bytes/workgroup (compile time only)
; SGPRBlocks: 0
; VGPRBlocks: 0
; NumSGPRsForWavesPerEU: 1
; NumVGPRsForWavesPerEU: 1
; Occupancy: 16
; WaveLimiterHint : 0
; COMPUTE_PGM_RSRC2:SCRATCH_EN: 0
; COMPUTE_PGM_RSRC2:USER_SGPR: 6
; COMPUTE_PGM_RSRC2:TRAP_HANDLER: 0
; COMPUTE_PGM_RSRC2:TGID_X_EN: 1
; COMPUTE_PGM_RSRC2:TGID_Y_EN: 0
; COMPUTE_PGM_RSRC2:TGID_Z_EN: 0
; COMPUTE_PGM_RSRC2:TIDIG_COMP_CNT: 0
	.section	.text._ZN7rocprim17ROCPRIM_400000_NS6detail17trampoline_kernelINS0_14default_configENS1_27lower_bound_config_selectorItlEEZNS1_14transform_implILb0ES3_S5_N6thrust23THRUST_200600_302600_NS6detail15normal_iteratorINS8_7pointerItNS8_11hip_rocprim5par_tENS8_11use_defaultESE_EEEENSA_INSB_IlSD_SE_SE_EEEEZNS1_13binary_searchIS3_S5_NSA_INS8_10device_ptrItEEEESG_SI_NS1_21lower_bound_search_opENS9_16wrapped_functionINS8_6system6detail7generic6detail18binary_search_lessEbEEEE10hipError_tPvRmT1_T2_T3_mmT4_T5_P12ihipStream_tbEUlRKtE_EESV_SZ_S10_mS11_S14_bEUlT_E_NS1_11comp_targetILNS1_3genE10ELNS1_11target_archE1200ELNS1_3gpuE4ELNS1_3repE0EEENS1_30default_config_static_selectorELNS0_4arch9wavefront6targetE0EEEvSY_,"axG",@progbits,_ZN7rocprim17ROCPRIM_400000_NS6detail17trampoline_kernelINS0_14default_configENS1_27lower_bound_config_selectorItlEEZNS1_14transform_implILb0ES3_S5_N6thrust23THRUST_200600_302600_NS6detail15normal_iteratorINS8_7pointerItNS8_11hip_rocprim5par_tENS8_11use_defaultESE_EEEENSA_INSB_IlSD_SE_SE_EEEEZNS1_13binary_searchIS3_S5_NSA_INS8_10device_ptrItEEEESG_SI_NS1_21lower_bound_search_opENS9_16wrapped_functionINS8_6system6detail7generic6detail18binary_search_lessEbEEEE10hipError_tPvRmT1_T2_T3_mmT4_T5_P12ihipStream_tbEUlRKtE_EESV_SZ_S10_mS11_S14_bEUlT_E_NS1_11comp_targetILNS1_3genE10ELNS1_11target_archE1200ELNS1_3gpuE4ELNS1_3repE0EEENS1_30default_config_static_selectorELNS0_4arch9wavefront6targetE0EEEvSY_,comdat
	.protected	_ZN7rocprim17ROCPRIM_400000_NS6detail17trampoline_kernelINS0_14default_configENS1_27lower_bound_config_selectorItlEEZNS1_14transform_implILb0ES3_S5_N6thrust23THRUST_200600_302600_NS6detail15normal_iteratorINS8_7pointerItNS8_11hip_rocprim5par_tENS8_11use_defaultESE_EEEENSA_INSB_IlSD_SE_SE_EEEEZNS1_13binary_searchIS3_S5_NSA_INS8_10device_ptrItEEEESG_SI_NS1_21lower_bound_search_opENS9_16wrapped_functionINS8_6system6detail7generic6detail18binary_search_lessEbEEEE10hipError_tPvRmT1_T2_T3_mmT4_T5_P12ihipStream_tbEUlRKtE_EESV_SZ_S10_mS11_S14_bEUlT_E_NS1_11comp_targetILNS1_3genE10ELNS1_11target_archE1200ELNS1_3gpuE4ELNS1_3repE0EEENS1_30default_config_static_selectorELNS0_4arch9wavefront6targetE0EEEvSY_ ; -- Begin function _ZN7rocprim17ROCPRIM_400000_NS6detail17trampoline_kernelINS0_14default_configENS1_27lower_bound_config_selectorItlEEZNS1_14transform_implILb0ES3_S5_N6thrust23THRUST_200600_302600_NS6detail15normal_iteratorINS8_7pointerItNS8_11hip_rocprim5par_tENS8_11use_defaultESE_EEEENSA_INSB_IlSD_SE_SE_EEEEZNS1_13binary_searchIS3_S5_NSA_INS8_10device_ptrItEEEESG_SI_NS1_21lower_bound_search_opENS9_16wrapped_functionINS8_6system6detail7generic6detail18binary_search_lessEbEEEE10hipError_tPvRmT1_T2_T3_mmT4_T5_P12ihipStream_tbEUlRKtE_EESV_SZ_S10_mS11_S14_bEUlT_E_NS1_11comp_targetILNS1_3genE10ELNS1_11target_archE1200ELNS1_3gpuE4ELNS1_3repE0EEENS1_30default_config_static_selectorELNS0_4arch9wavefront6targetE0EEEvSY_
	.globl	_ZN7rocprim17ROCPRIM_400000_NS6detail17trampoline_kernelINS0_14default_configENS1_27lower_bound_config_selectorItlEEZNS1_14transform_implILb0ES3_S5_N6thrust23THRUST_200600_302600_NS6detail15normal_iteratorINS8_7pointerItNS8_11hip_rocprim5par_tENS8_11use_defaultESE_EEEENSA_INSB_IlSD_SE_SE_EEEEZNS1_13binary_searchIS3_S5_NSA_INS8_10device_ptrItEEEESG_SI_NS1_21lower_bound_search_opENS9_16wrapped_functionINS8_6system6detail7generic6detail18binary_search_lessEbEEEE10hipError_tPvRmT1_T2_T3_mmT4_T5_P12ihipStream_tbEUlRKtE_EESV_SZ_S10_mS11_S14_bEUlT_E_NS1_11comp_targetILNS1_3genE10ELNS1_11target_archE1200ELNS1_3gpuE4ELNS1_3repE0EEENS1_30default_config_static_selectorELNS0_4arch9wavefront6targetE0EEEvSY_
	.p2align	8
	.type	_ZN7rocprim17ROCPRIM_400000_NS6detail17trampoline_kernelINS0_14default_configENS1_27lower_bound_config_selectorItlEEZNS1_14transform_implILb0ES3_S5_N6thrust23THRUST_200600_302600_NS6detail15normal_iteratorINS8_7pointerItNS8_11hip_rocprim5par_tENS8_11use_defaultESE_EEEENSA_INSB_IlSD_SE_SE_EEEEZNS1_13binary_searchIS3_S5_NSA_INS8_10device_ptrItEEEESG_SI_NS1_21lower_bound_search_opENS9_16wrapped_functionINS8_6system6detail7generic6detail18binary_search_lessEbEEEE10hipError_tPvRmT1_T2_T3_mmT4_T5_P12ihipStream_tbEUlRKtE_EESV_SZ_S10_mS11_S14_bEUlT_E_NS1_11comp_targetILNS1_3genE10ELNS1_11target_archE1200ELNS1_3gpuE4ELNS1_3repE0EEENS1_30default_config_static_selectorELNS0_4arch9wavefront6targetE0EEEvSY_,@function
_ZN7rocprim17ROCPRIM_400000_NS6detail17trampoline_kernelINS0_14default_configENS1_27lower_bound_config_selectorItlEEZNS1_14transform_implILb0ES3_S5_N6thrust23THRUST_200600_302600_NS6detail15normal_iteratorINS8_7pointerItNS8_11hip_rocprim5par_tENS8_11use_defaultESE_EEEENSA_INSB_IlSD_SE_SE_EEEEZNS1_13binary_searchIS3_S5_NSA_INS8_10device_ptrItEEEESG_SI_NS1_21lower_bound_search_opENS9_16wrapped_functionINS8_6system6detail7generic6detail18binary_search_lessEbEEEE10hipError_tPvRmT1_T2_T3_mmT4_T5_P12ihipStream_tbEUlRKtE_EESV_SZ_S10_mS11_S14_bEUlT_E_NS1_11comp_targetILNS1_3genE10ELNS1_11target_archE1200ELNS1_3gpuE4ELNS1_3repE0EEENS1_30default_config_static_selectorELNS0_4arch9wavefront6targetE0EEEvSY_: ; @_ZN7rocprim17ROCPRIM_400000_NS6detail17trampoline_kernelINS0_14default_configENS1_27lower_bound_config_selectorItlEEZNS1_14transform_implILb0ES3_S5_N6thrust23THRUST_200600_302600_NS6detail15normal_iteratorINS8_7pointerItNS8_11hip_rocprim5par_tENS8_11use_defaultESE_EEEENSA_INSB_IlSD_SE_SE_EEEEZNS1_13binary_searchIS3_S5_NSA_INS8_10device_ptrItEEEESG_SI_NS1_21lower_bound_search_opENS9_16wrapped_functionINS8_6system6detail7generic6detail18binary_search_lessEbEEEE10hipError_tPvRmT1_T2_T3_mmT4_T5_P12ihipStream_tbEUlRKtE_EESV_SZ_S10_mS11_S14_bEUlT_E_NS1_11comp_targetILNS1_3genE10ELNS1_11target_archE1200ELNS1_3gpuE4ELNS1_3repE0EEENS1_30default_config_static_selectorELNS0_4arch9wavefront6targetE0EEEvSY_
; %bb.0:
	.section	.rodata,"a",@progbits
	.p2align	6, 0x0
	.amdhsa_kernel _ZN7rocprim17ROCPRIM_400000_NS6detail17trampoline_kernelINS0_14default_configENS1_27lower_bound_config_selectorItlEEZNS1_14transform_implILb0ES3_S5_N6thrust23THRUST_200600_302600_NS6detail15normal_iteratorINS8_7pointerItNS8_11hip_rocprim5par_tENS8_11use_defaultESE_EEEENSA_INSB_IlSD_SE_SE_EEEEZNS1_13binary_searchIS3_S5_NSA_INS8_10device_ptrItEEEESG_SI_NS1_21lower_bound_search_opENS9_16wrapped_functionINS8_6system6detail7generic6detail18binary_search_lessEbEEEE10hipError_tPvRmT1_T2_T3_mmT4_T5_P12ihipStream_tbEUlRKtE_EESV_SZ_S10_mS11_S14_bEUlT_E_NS1_11comp_targetILNS1_3genE10ELNS1_11target_archE1200ELNS1_3gpuE4ELNS1_3repE0EEENS1_30default_config_static_selectorELNS0_4arch9wavefront6targetE0EEEvSY_
		.amdhsa_group_segment_fixed_size 0
		.amdhsa_private_segment_fixed_size 0
		.amdhsa_kernarg_size 56
		.amdhsa_user_sgpr_count 6
		.amdhsa_user_sgpr_private_segment_buffer 1
		.amdhsa_user_sgpr_dispatch_ptr 0
		.amdhsa_user_sgpr_queue_ptr 0
		.amdhsa_user_sgpr_kernarg_segment_ptr 1
		.amdhsa_user_sgpr_dispatch_id 0
		.amdhsa_user_sgpr_flat_scratch_init 0
		.amdhsa_user_sgpr_private_segment_size 0
		.amdhsa_wavefront_size32 1
		.amdhsa_uses_dynamic_stack 0
		.amdhsa_system_sgpr_private_segment_wavefront_offset 0
		.amdhsa_system_sgpr_workgroup_id_x 1
		.amdhsa_system_sgpr_workgroup_id_y 0
		.amdhsa_system_sgpr_workgroup_id_z 0
		.amdhsa_system_sgpr_workgroup_info 0
		.amdhsa_system_vgpr_workitem_id 0
		.amdhsa_next_free_vgpr 1
		.amdhsa_next_free_sgpr 1
		.amdhsa_reserve_vcc 0
		.amdhsa_reserve_flat_scratch 0
		.amdhsa_float_round_mode_32 0
		.amdhsa_float_round_mode_16_64 0
		.amdhsa_float_denorm_mode_32 3
		.amdhsa_float_denorm_mode_16_64 3
		.amdhsa_dx10_clamp 1
		.amdhsa_ieee_mode 1
		.amdhsa_fp16_overflow 0
		.amdhsa_workgroup_processor_mode 1
		.amdhsa_memory_ordered 1
		.amdhsa_forward_progress 1
		.amdhsa_shared_vgpr_count 0
		.amdhsa_exception_fp_ieee_invalid_op 0
		.amdhsa_exception_fp_denorm_src 0
		.amdhsa_exception_fp_ieee_div_zero 0
		.amdhsa_exception_fp_ieee_overflow 0
		.amdhsa_exception_fp_ieee_underflow 0
		.amdhsa_exception_fp_ieee_inexact 0
		.amdhsa_exception_int_div_zero 0
	.end_amdhsa_kernel
	.section	.text._ZN7rocprim17ROCPRIM_400000_NS6detail17trampoline_kernelINS0_14default_configENS1_27lower_bound_config_selectorItlEEZNS1_14transform_implILb0ES3_S5_N6thrust23THRUST_200600_302600_NS6detail15normal_iteratorINS8_7pointerItNS8_11hip_rocprim5par_tENS8_11use_defaultESE_EEEENSA_INSB_IlSD_SE_SE_EEEEZNS1_13binary_searchIS3_S5_NSA_INS8_10device_ptrItEEEESG_SI_NS1_21lower_bound_search_opENS9_16wrapped_functionINS8_6system6detail7generic6detail18binary_search_lessEbEEEE10hipError_tPvRmT1_T2_T3_mmT4_T5_P12ihipStream_tbEUlRKtE_EESV_SZ_S10_mS11_S14_bEUlT_E_NS1_11comp_targetILNS1_3genE10ELNS1_11target_archE1200ELNS1_3gpuE4ELNS1_3repE0EEENS1_30default_config_static_selectorELNS0_4arch9wavefront6targetE0EEEvSY_,"axG",@progbits,_ZN7rocprim17ROCPRIM_400000_NS6detail17trampoline_kernelINS0_14default_configENS1_27lower_bound_config_selectorItlEEZNS1_14transform_implILb0ES3_S5_N6thrust23THRUST_200600_302600_NS6detail15normal_iteratorINS8_7pointerItNS8_11hip_rocprim5par_tENS8_11use_defaultESE_EEEENSA_INSB_IlSD_SE_SE_EEEEZNS1_13binary_searchIS3_S5_NSA_INS8_10device_ptrItEEEESG_SI_NS1_21lower_bound_search_opENS9_16wrapped_functionINS8_6system6detail7generic6detail18binary_search_lessEbEEEE10hipError_tPvRmT1_T2_T3_mmT4_T5_P12ihipStream_tbEUlRKtE_EESV_SZ_S10_mS11_S14_bEUlT_E_NS1_11comp_targetILNS1_3genE10ELNS1_11target_archE1200ELNS1_3gpuE4ELNS1_3repE0EEENS1_30default_config_static_selectorELNS0_4arch9wavefront6targetE0EEEvSY_,comdat
.Lfunc_end382:
	.size	_ZN7rocprim17ROCPRIM_400000_NS6detail17trampoline_kernelINS0_14default_configENS1_27lower_bound_config_selectorItlEEZNS1_14transform_implILb0ES3_S5_N6thrust23THRUST_200600_302600_NS6detail15normal_iteratorINS8_7pointerItNS8_11hip_rocprim5par_tENS8_11use_defaultESE_EEEENSA_INSB_IlSD_SE_SE_EEEEZNS1_13binary_searchIS3_S5_NSA_INS8_10device_ptrItEEEESG_SI_NS1_21lower_bound_search_opENS9_16wrapped_functionINS8_6system6detail7generic6detail18binary_search_lessEbEEEE10hipError_tPvRmT1_T2_T3_mmT4_T5_P12ihipStream_tbEUlRKtE_EESV_SZ_S10_mS11_S14_bEUlT_E_NS1_11comp_targetILNS1_3genE10ELNS1_11target_archE1200ELNS1_3gpuE4ELNS1_3repE0EEENS1_30default_config_static_selectorELNS0_4arch9wavefront6targetE0EEEvSY_, .Lfunc_end382-_ZN7rocprim17ROCPRIM_400000_NS6detail17trampoline_kernelINS0_14default_configENS1_27lower_bound_config_selectorItlEEZNS1_14transform_implILb0ES3_S5_N6thrust23THRUST_200600_302600_NS6detail15normal_iteratorINS8_7pointerItNS8_11hip_rocprim5par_tENS8_11use_defaultESE_EEEENSA_INSB_IlSD_SE_SE_EEEEZNS1_13binary_searchIS3_S5_NSA_INS8_10device_ptrItEEEESG_SI_NS1_21lower_bound_search_opENS9_16wrapped_functionINS8_6system6detail7generic6detail18binary_search_lessEbEEEE10hipError_tPvRmT1_T2_T3_mmT4_T5_P12ihipStream_tbEUlRKtE_EESV_SZ_S10_mS11_S14_bEUlT_E_NS1_11comp_targetILNS1_3genE10ELNS1_11target_archE1200ELNS1_3gpuE4ELNS1_3repE0EEENS1_30default_config_static_selectorELNS0_4arch9wavefront6targetE0EEEvSY_
                                        ; -- End function
	.set _ZN7rocprim17ROCPRIM_400000_NS6detail17trampoline_kernelINS0_14default_configENS1_27lower_bound_config_selectorItlEEZNS1_14transform_implILb0ES3_S5_N6thrust23THRUST_200600_302600_NS6detail15normal_iteratorINS8_7pointerItNS8_11hip_rocprim5par_tENS8_11use_defaultESE_EEEENSA_INSB_IlSD_SE_SE_EEEEZNS1_13binary_searchIS3_S5_NSA_INS8_10device_ptrItEEEESG_SI_NS1_21lower_bound_search_opENS9_16wrapped_functionINS8_6system6detail7generic6detail18binary_search_lessEbEEEE10hipError_tPvRmT1_T2_T3_mmT4_T5_P12ihipStream_tbEUlRKtE_EESV_SZ_S10_mS11_S14_bEUlT_E_NS1_11comp_targetILNS1_3genE10ELNS1_11target_archE1200ELNS1_3gpuE4ELNS1_3repE0EEENS1_30default_config_static_selectorELNS0_4arch9wavefront6targetE0EEEvSY_.num_vgpr, 0
	.set _ZN7rocprim17ROCPRIM_400000_NS6detail17trampoline_kernelINS0_14default_configENS1_27lower_bound_config_selectorItlEEZNS1_14transform_implILb0ES3_S5_N6thrust23THRUST_200600_302600_NS6detail15normal_iteratorINS8_7pointerItNS8_11hip_rocprim5par_tENS8_11use_defaultESE_EEEENSA_INSB_IlSD_SE_SE_EEEEZNS1_13binary_searchIS3_S5_NSA_INS8_10device_ptrItEEEESG_SI_NS1_21lower_bound_search_opENS9_16wrapped_functionINS8_6system6detail7generic6detail18binary_search_lessEbEEEE10hipError_tPvRmT1_T2_T3_mmT4_T5_P12ihipStream_tbEUlRKtE_EESV_SZ_S10_mS11_S14_bEUlT_E_NS1_11comp_targetILNS1_3genE10ELNS1_11target_archE1200ELNS1_3gpuE4ELNS1_3repE0EEENS1_30default_config_static_selectorELNS0_4arch9wavefront6targetE0EEEvSY_.num_agpr, 0
	.set _ZN7rocprim17ROCPRIM_400000_NS6detail17trampoline_kernelINS0_14default_configENS1_27lower_bound_config_selectorItlEEZNS1_14transform_implILb0ES3_S5_N6thrust23THRUST_200600_302600_NS6detail15normal_iteratorINS8_7pointerItNS8_11hip_rocprim5par_tENS8_11use_defaultESE_EEEENSA_INSB_IlSD_SE_SE_EEEEZNS1_13binary_searchIS3_S5_NSA_INS8_10device_ptrItEEEESG_SI_NS1_21lower_bound_search_opENS9_16wrapped_functionINS8_6system6detail7generic6detail18binary_search_lessEbEEEE10hipError_tPvRmT1_T2_T3_mmT4_T5_P12ihipStream_tbEUlRKtE_EESV_SZ_S10_mS11_S14_bEUlT_E_NS1_11comp_targetILNS1_3genE10ELNS1_11target_archE1200ELNS1_3gpuE4ELNS1_3repE0EEENS1_30default_config_static_selectorELNS0_4arch9wavefront6targetE0EEEvSY_.numbered_sgpr, 0
	.set _ZN7rocprim17ROCPRIM_400000_NS6detail17trampoline_kernelINS0_14default_configENS1_27lower_bound_config_selectorItlEEZNS1_14transform_implILb0ES3_S5_N6thrust23THRUST_200600_302600_NS6detail15normal_iteratorINS8_7pointerItNS8_11hip_rocprim5par_tENS8_11use_defaultESE_EEEENSA_INSB_IlSD_SE_SE_EEEEZNS1_13binary_searchIS3_S5_NSA_INS8_10device_ptrItEEEESG_SI_NS1_21lower_bound_search_opENS9_16wrapped_functionINS8_6system6detail7generic6detail18binary_search_lessEbEEEE10hipError_tPvRmT1_T2_T3_mmT4_T5_P12ihipStream_tbEUlRKtE_EESV_SZ_S10_mS11_S14_bEUlT_E_NS1_11comp_targetILNS1_3genE10ELNS1_11target_archE1200ELNS1_3gpuE4ELNS1_3repE0EEENS1_30default_config_static_selectorELNS0_4arch9wavefront6targetE0EEEvSY_.num_named_barrier, 0
	.set _ZN7rocprim17ROCPRIM_400000_NS6detail17trampoline_kernelINS0_14default_configENS1_27lower_bound_config_selectorItlEEZNS1_14transform_implILb0ES3_S5_N6thrust23THRUST_200600_302600_NS6detail15normal_iteratorINS8_7pointerItNS8_11hip_rocprim5par_tENS8_11use_defaultESE_EEEENSA_INSB_IlSD_SE_SE_EEEEZNS1_13binary_searchIS3_S5_NSA_INS8_10device_ptrItEEEESG_SI_NS1_21lower_bound_search_opENS9_16wrapped_functionINS8_6system6detail7generic6detail18binary_search_lessEbEEEE10hipError_tPvRmT1_T2_T3_mmT4_T5_P12ihipStream_tbEUlRKtE_EESV_SZ_S10_mS11_S14_bEUlT_E_NS1_11comp_targetILNS1_3genE10ELNS1_11target_archE1200ELNS1_3gpuE4ELNS1_3repE0EEENS1_30default_config_static_selectorELNS0_4arch9wavefront6targetE0EEEvSY_.private_seg_size, 0
	.set _ZN7rocprim17ROCPRIM_400000_NS6detail17trampoline_kernelINS0_14default_configENS1_27lower_bound_config_selectorItlEEZNS1_14transform_implILb0ES3_S5_N6thrust23THRUST_200600_302600_NS6detail15normal_iteratorINS8_7pointerItNS8_11hip_rocprim5par_tENS8_11use_defaultESE_EEEENSA_INSB_IlSD_SE_SE_EEEEZNS1_13binary_searchIS3_S5_NSA_INS8_10device_ptrItEEEESG_SI_NS1_21lower_bound_search_opENS9_16wrapped_functionINS8_6system6detail7generic6detail18binary_search_lessEbEEEE10hipError_tPvRmT1_T2_T3_mmT4_T5_P12ihipStream_tbEUlRKtE_EESV_SZ_S10_mS11_S14_bEUlT_E_NS1_11comp_targetILNS1_3genE10ELNS1_11target_archE1200ELNS1_3gpuE4ELNS1_3repE0EEENS1_30default_config_static_selectorELNS0_4arch9wavefront6targetE0EEEvSY_.uses_vcc, 0
	.set _ZN7rocprim17ROCPRIM_400000_NS6detail17trampoline_kernelINS0_14default_configENS1_27lower_bound_config_selectorItlEEZNS1_14transform_implILb0ES3_S5_N6thrust23THRUST_200600_302600_NS6detail15normal_iteratorINS8_7pointerItNS8_11hip_rocprim5par_tENS8_11use_defaultESE_EEEENSA_INSB_IlSD_SE_SE_EEEEZNS1_13binary_searchIS3_S5_NSA_INS8_10device_ptrItEEEESG_SI_NS1_21lower_bound_search_opENS9_16wrapped_functionINS8_6system6detail7generic6detail18binary_search_lessEbEEEE10hipError_tPvRmT1_T2_T3_mmT4_T5_P12ihipStream_tbEUlRKtE_EESV_SZ_S10_mS11_S14_bEUlT_E_NS1_11comp_targetILNS1_3genE10ELNS1_11target_archE1200ELNS1_3gpuE4ELNS1_3repE0EEENS1_30default_config_static_selectorELNS0_4arch9wavefront6targetE0EEEvSY_.uses_flat_scratch, 0
	.set _ZN7rocprim17ROCPRIM_400000_NS6detail17trampoline_kernelINS0_14default_configENS1_27lower_bound_config_selectorItlEEZNS1_14transform_implILb0ES3_S5_N6thrust23THRUST_200600_302600_NS6detail15normal_iteratorINS8_7pointerItNS8_11hip_rocprim5par_tENS8_11use_defaultESE_EEEENSA_INSB_IlSD_SE_SE_EEEEZNS1_13binary_searchIS3_S5_NSA_INS8_10device_ptrItEEEESG_SI_NS1_21lower_bound_search_opENS9_16wrapped_functionINS8_6system6detail7generic6detail18binary_search_lessEbEEEE10hipError_tPvRmT1_T2_T3_mmT4_T5_P12ihipStream_tbEUlRKtE_EESV_SZ_S10_mS11_S14_bEUlT_E_NS1_11comp_targetILNS1_3genE10ELNS1_11target_archE1200ELNS1_3gpuE4ELNS1_3repE0EEENS1_30default_config_static_selectorELNS0_4arch9wavefront6targetE0EEEvSY_.has_dyn_sized_stack, 0
	.set _ZN7rocprim17ROCPRIM_400000_NS6detail17trampoline_kernelINS0_14default_configENS1_27lower_bound_config_selectorItlEEZNS1_14transform_implILb0ES3_S5_N6thrust23THRUST_200600_302600_NS6detail15normal_iteratorINS8_7pointerItNS8_11hip_rocprim5par_tENS8_11use_defaultESE_EEEENSA_INSB_IlSD_SE_SE_EEEEZNS1_13binary_searchIS3_S5_NSA_INS8_10device_ptrItEEEESG_SI_NS1_21lower_bound_search_opENS9_16wrapped_functionINS8_6system6detail7generic6detail18binary_search_lessEbEEEE10hipError_tPvRmT1_T2_T3_mmT4_T5_P12ihipStream_tbEUlRKtE_EESV_SZ_S10_mS11_S14_bEUlT_E_NS1_11comp_targetILNS1_3genE10ELNS1_11target_archE1200ELNS1_3gpuE4ELNS1_3repE0EEENS1_30default_config_static_selectorELNS0_4arch9wavefront6targetE0EEEvSY_.has_recursion, 0
	.set _ZN7rocprim17ROCPRIM_400000_NS6detail17trampoline_kernelINS0_14default_configENS1_27lower_bound_config_selectorItlEEZNS1_14transform_implILb0ES3_S5_N6thrust23THRUST_200600_302600_NS6detail15normal_iteratorINS8_7pointerItNS8_11hip_rocprim5par_tENS8_11use_defaultESE_EEEENSA_INSB_IlSD_SE_SE_EEEEZNS1_13binary_searchIS3_S5_NSA_INS8_10device_ptrItEEEESG_SI_NS1_21lower_bound_search_opENS9_16wrapped_functionINS8_6system6detail7generic6detail18binary_search_lessEbEEEE10hipError_tPvRmT1_T2_T3_mmT4_T5_P12ihipStream_tbEUlRKtE_EESV_SZ_S10_mS11_S14_bEUlT_E_NS1_11comp_targetILNS1_3genE10ELNS1_11target_archE1200ELNS1_3gpuE4ELNS1_3repE0EEENS1_30default_config_static_selectorELNS0_4arch9wavefront6targetE0EEEvSY_.has_indirect_call, 0
	.section	.AMDGPU.csdata,"",@progbits
; Kernel info:
; codeLenInByte = 0
; TotalNumSgprs: 0
; NumVgprs: 0
; ScratchSize: 0
; MemoryBound: 0
; FloatMode: 240
; IeeeMode: 1
; LDSByteSize: 0 bytes/workgroup (compile time only)
; SGPRBlocks: 0
; VGPRBlocks: 0
; NumSGPRsForWavesPerEU: 1
; NumVGPRsForWavesPerEU: 1
; Occupancy: 16
; WaveLimiterHint : 0
; COMPUTE_PGM_RSRC2:SCRATCH_EN: 0
; COMPUTE_PGM_RSRC2:USER_SGPR: 6
; COMPUTE_PGM_RSRC2:TRAP_HANDLER: 0
; COMPUTE_PGM_RSRC2:TGID_X_EN: 1
; COMPUTE_PGM_RSRC2:TGID_Y_EN: 0
; COMPUTE_PGM_RSRC2:TGID_Z_EN: 0
; COMPUTE_PGM_RSRC2:TIDIG_COMP_CNT: 0
	.section	.text._ZN7rocprim17ROCPRIM_400000_NS6detail17trampoline_kernelINS0_14default_configENS1_27lower_bound_config_selectorItlEEZNS1_14transform_implILb0ES3_S5_N6thrust23THRUST_200600_302600_NS6detail15normal_iteratorINS8_7pointerItNS8_11hip_rocprim5par_tENS8_11use_defaultESE_EEEENSA_INSB_IlSD_SE_SE_EEEEZNS1_13binary_searchIS3_S5_NSA_INS8_10device_ptrItEEEESG_SI_NS1_21lower_bound_search_opENS9_16wrapped_functionINS8_6system6detail7generic6detail18binary_search_lessEbEEEE10hipError_tPvRmT1_T2_T3_mmT4_T5_P12ihipStream_tbEUlRKtE_EESV_SZ_S10_mS11_S14_bEUlT_E_NS1_11comp_targetILNS1_3genE9ELNS1_11target_archE1100ELNS1_3gpuE3ELNS1_3repE0EEENS1_30default_config_static_selectorELNS0_4arch9wavefront6targetE0EEEvSY_,"axG",@progbits,_ZN7rocprim17ROCPRIM_400000_NS6detail17trampoline_kernelINS0_14default_configENS1_27lower_bound_config_selectorItlEEZNS1_14transform_implILb0ES3_S5_N6thrust23THRUST_200600_302600_NS6detail15normal_iteratorINS8_7pointerItNS8_11hip_rocprim5par_tENS8_11use_defaultESE_EEEENSA_INSB_IlSD_SE_SE_EEEEZNS1_13binary_searchIS3_S5_NSA_INS8_10device_ptrItEEEESG_SI_NS1_21lower_bound_search_opENS9_16wrapped_functionINS8_6system6detail7generic6detail18binary_search_lessEbEEEE10hipError_tPvRmT1_T2_T3_mmT4_T5_P12ihipStream_tbEUlRKtE_EESV_SZ_S10_mS11_S14_bEUlT_E_NS1_11comp_targetILNS1_3genE9ELNS1_11target_archE1100ELNS1_3gpuE3ELNS1_3repE0EEENS1_30default_config_static_selectorELNS0_4arch9wavefront6targetE0EEEvSY_,comdat
	.protected	_ZN7rocprim17ROCPRIM_400000_NS6detail17trampoline_kernelINS0_14default_configENS1_27lower_bound_config_selectorItlEEZNS1_14transform_implILb0ES3_S5_N6thrust23THRUST_200600_302600_NS6detail15normal_iteratorINS8_7pointerItNS8_11hip_rocprim5par_tENS8_11use_defaultESE_EEEENSA_INSB_IlSD_SE_SE_EEEEZNS1_13binary_searchIS3_S5_NSA_INS8_10device_ptrItEEEESG_SI_NS1_21lower_bound_search_opENS9_16wrapped_functionINS8_6system6detail7generic6detail18binary_search_lessEbEEEE10hipError_tPvRmT1_T2_T3_mmT4_T5_P12ihipStream_tbEUlRKtE_EESV_SZ_S10_mS11_S14_bEUlT_E_NS1_11comp_targetILNS1_3genE9ELNS1_11target_archE1100ELNS1_3gpuE3ELNS1_3repE0EEENS1_30default_config_static_selectorELNS0_4arch9wavefront6targetE0EEEvSY_ ; -- Begin function _ZN7rocprim17ROCPRIM_400000_NS6detail17trampoline_kernelINS0_14default_configENS1_27lower_bound_config_selectorItlEEZNS1_14transform_implILb0ES3_S5_N6thrust23THRUST_200600_302600_NS6detail15normal_iteratorINS8_7pointerItNS8_11hip_rocprim5par_tENS8_11use_defaultESE_EEEENSA_INSB_IlSD_SE_SE_EEEEZNS1_13binary_searchIS3_S5_NSA_INS8_10device_ptrItEEEESG_SI_NS1_21lower_bound_search_opENS9_16wrapped_functionINS8_6system6detail7generic6detail18binary_search_lessEbEEEE10hipError_tPvRmT1_T2_T3_mmT4_T5_P12ihipStream_tbEUlRKtE_EESV_SZ_S10_mS11_S14_bEUlT_E_NS1_11comp_targetILNS1_3genE9ELNS1_11target_archE1100ELNS1_3gpuE3ELNS1_3repE0EEENS1_30default_config_static_selectorELNS0_4arch9wavefront6targetE0EEEvSY_
	.globl	_ZN7rocprim17ROCPRIM_400000_NS6detail17trampoline_kernelINS0_14default_configENS1_27lower_bound_config_selectorItlEEZNS1_14transform_implILb0ES3_S5_N6thrust23THRUST_200600_302600_NS6detail15normal_iteratorINS8_7pointerItNS8_11hip_rocprim5par_tENS8_11use_defaultESE_EEEENSA_INSB_IlSD_SE_SE_EEEEZNS1_13binary_searchIS3_S5_NSA_INS8_10device_ptrItEEEESG_SI_NS1_21lower_bound_search_opENS9_16wrapped_functionINS8_6system6detail7generic6detail18binary_search_lessEbEEEE10hipError_tPvRmT1_T2_T3_mmT4_T5_P12ihipStream_tbEUlRKtE_EESV_SZ_S10_mS11_S14_bEUlT_E_NS1_11comp_targetILNS1_3genE9ELNS1_11target_archE1100ELNS1_3gpuE3ELNS1_3repE0EEENS1_30default_config_static_selectorELNS0_4arch9wavefront6targetE0EEEvSY_
	.p2align	8
	.type	_ZN7rocprim17ROCPRIM_400000_NS6detail17trampoline_kernelINS0_14default_configENS1_27lower_bound_config_selectorItlEEZNS1_14transform_implILb0ES3_S5_N6thrust23THRUST_200600_302600_NS6detail15normal_iteratorINS8_7pointerItNS8_11hip_rocprim5par_tENS8_11use_defaultESE_EEEENSA_INSB_IlSD_SE_SE_EEEEZNS1_13binary_searchIS3_S5_NSA_INS8_10device_ptrItEEEESG_SI_NS1_21lower_bound_search_opENS9_16wrapped_functionINS8_6system6detail7generic6detail18binary_search_lessEbEEEE10hipError_tPvRmT1_T2_T3_mmT4_T5_P12ihipStream_tbEUlRKtE_EESV_SZ_S10_mS11_S14_bEUlT_E_NS1_11comp_targetILNS1_3genE9ELNS1_11target_archE1100ELNS1_3gpuE3ELNS1_3repE0EEENS1_30default_config_static_selectorELNS0_4arch9wavefront6targetE0EEEvSY_,@function
_ZN7rocprim17ROCPRIM_400000_NS6detail17trampoline_kernelINS0_14default_configENS1_27lower_bound_config_selectorItlEEZNS1_14transform_implILb0ES3_S5_N6thrust23THRUST_200600_302600_NS6detail15normal_iteratorINS8_7pointerItNS8_11hip_rocprim5par_tENS8_11use_defaultESE_EEEENSA_INSB_IlSD_SE_SE_EEEEZNS1_13binary_searchIS3_S5_NSA_INS8_10device_ptrItEEEESG_SI_NS1_21lower_bound_search_opENS9_16wrapped_functionINS8_6system6detail7generic6detail18binary_search_lessEbEEEE10hipError_tPvRmT1_T2_T3_mmT4_T5_P12ihipStream_tbEUlRKtE_EESV_SZ_S10_mS11_S14_bEUlT_E_NS1_11comp_targetILNS1_3genE9ELNS1_11target_archE1100ELNS1_3gpuE3ELNS1_3repE0EEENS1_30default_config_static_selectorELNS0_4arch9wavefront6targetE0EEEvSY_: ; @_ZN7rocprim17ROCPRIM_400000_NS6detail17trampoline_kernelINS0_14default_configENS1_27lower_bound_config_selectorItlEEZNS1_14transform_implILb0ES3_S5_N6thrust23THRUST_200600_302600_NS6detail15normal_iteratorINS8_7pointerItNS8_11hip_rocprim5par_tENS8_11use_defaultESE_EEEENSA_INSB_IlSD_SE_SE_EEEEZNS1_13binary_searchIS3_S5_NSA_INS8_10device_ptrItEEEESG_SI_NS1_21lower_bound_search_opENS9_16wrapped_functionINS8_6system6detail7generic6detail18binary_search_lessEbEEEE10hipError_tPvRmT1_T2_T3_mmT4_T5_P12ihipStream_tbEUlRKtE_EESV_SZ_S10_mS11_S14_bEUlT_E_NS1_11comp_targetILNS1_3genE9ELNS1_11target_archE1100ELNS1_3gpuE3ELNS1_3repE0EEENS1_30default_config_static_selectorELNS0_4arch9wavefront6targetE0EEEvSY_
; %bb.0:
	.section	.rodata,"a",@progbits
	.p2align	6, 0x0
	.amdhsa_kernel _ZN7rocprim17ROCPRIM_400000_NS6detail17trampoline_kernelINS0_14default_configENS1_27lower_bound_config_selectorItlEEZNS1_14transform_implILb0ES3_S5_N6thrust23THRUST_200600_302600_NS6detail15normal_iteratorINS8_7pointerItNS8_11hip_rocprim5par_tENS8_11use_defaultESE_EEEENSA_INSB_IlSD_SE_SE_EEEEZNS1_13binary_searchIS3_S5_NSA_INS8_10device_ptrItEEEESG_SI_NS1_21lower_bound_search_opENS9_16wrapped_functionINS8_6system6detail7generic6detail18binary_search_lessEbEEEE10hipError_tPvRmT1_T2_T3_mmT4_T5_P12ihipStream_tbEUlRKtE_EESV_SZ_S10_mS11_S14_bEUlT_E_NS1_11comp_targetILNS1_3genE9ELNS1_11target_archE1100ELNS1_3gpuE3ELNS1_3repE0EEENS1_30default_config_static_selectorELNS0_4arch9wavefront6targetE0EEEvSY_
		.amdhsa_group_segment_fixed_size 0
		.amdhsa_private_segment_fixed_size 0
		.amdhsa_kernarg_size 56
		.amdhsa_user_sgpr_count 6
		.amdhsa_user_sgpr_private_segment_buffer 1
		.amdhsa_user_sgpr_dispatch_ptr 0
		.amdhsa_user_sgpr_queue_ptr 0
		.amdhsa_user_sgpr_kernarg_segment_ptr 1
		.amdhsa_user_sgpr_dispatch_id 0
		.amdhsa_user_sgpr_flat_scratch_init 0
		.amdhsa_user_sgpr_private_segment_size 0
		.amdhsa_wavefront_size32 1
		.amdhsa_uses_dynamic_stack 0
		.amdhsa_system_sgpr_private_segment_wavefront_offset 0
		.amdhsa_system_sgpr_workgroup_id_x 1
		.amdhsa_system_sgpr_workgroup_id_y 0
		.amdhsa_system_sgpr_workgroup_id_z 0
		.amdhsa_system_sgpr_workgroup_info 0
		.amdhsa_system_vgpr_workitem_id 0
		.amdhsa_next_free_vgpr 1
		.amdhsa_next_free_sgpr 1
		.amdhsa_reserve_vcc 0
		.amdhsa_reserve_flat_scratch 0
		.amdhsa_float_round_mode_32 0
		.amdhsa_float_round_mode_16_64 0
		.amdhsa_float_denorm_mode_32 3
		.amdhsa_float_denorm_mode_16_64 3
		.amdhsa_dx10_clamp 1
		.amdhsa_ieee_mode 1
		.amdhsa_fp16_overflow 0
		.amdhsa_workgroup_processor_mode 1
		.amdhsa_memory_ordered 1
		.amdhsa_forward_progress 1
		.amdhsa_shared_vgpr_count 0
		.amdhsa_exception_fp_ieee_invalid_op 0
		.amdhsa_exception_fp_denorm_src 0
		.amdhsa_exception_fp_ieee_div_zero 0
		.amdhsa_exception_fp_ieee_overflow 0
		.amdhsa_exception_fp_ieee_underflow 0
		.amdhsa_exception_fp_ieee_inexact 0
		.amdhsa_exception_int_div_zero 0
	.end_amdhsa_kernel
	.section	.text._ZN7rocprim17ROCPRIM_400000_NS6detail17trampoline_kernelINS0_14default_configENS1_27lower_bound_config_selectorItlEEZNS1_14transform_implILb0ES3_S5_N6thrust23THRUST_200600_302600_NS6detail15normal_iteratorINS8_7pointerItNS8_11hip_rocprim5par_tENS8_11use_defaultESE_EEEENSA_INSB_IlSD_SE_SE_EEEEZNS1_13binary_searchIS3_S5_NSA_INS8_10device_ptrItEEEESG_SI_NS1_21lower_bound_search_opENS9_16wrapped_functionINS8_6system6detail7generic6detail18binary_search_lessEbEEEE10hipError_tPvRmT1_T2_T3_mmT4_T5_P12ihipStream_tbEUlRKtE_EESV_SZ_S10_mS11_S14_bEUlT_E_NS1_11comp_targetILNS1_3genE9ELNS1_11target_archE1100ELNS1_3gpuE3ELNS1_3repE0EEENS1_30default_config_static_selectorELNS0_4arch9wavefront6targetE0EEEvSY_,"axG",@progbits,_ZN7rocprim17ROCPRIM_400000_NS6detail17trampoline_kernelINS0_14default_configENS1_27lower_bound_config_selectorItlEEZNS1_14transform_implILb0ES3_S5_N6thrust23THRUST_200600_302600_NS6detail15normal_iteratorINS8_7pointerItNS8_11hip_rocprim5par_tENS8_11use_defaultESE_EEEENSA_INSB_IlSD_SE_SE_EEEEZNS1_13binary_searchIS3_S5_NSA_INS8_10device_ptrItEEEESG_SI_NS1_21lower_bound_search_opENS9_16wrapped_functionINS8_6system6detail7generic6detail18binary_search_lessEbEEEE10hipError_tPvRmT1_T2_T3_mmT4_T5_P12ihipStream_tbEUlRKtE_EESV_SZ_S10_mS11_S14_bEUlT_E_NS1_11comp_targetILNS1_3genE9ELNS1_11target_archE1100ELNS1_3gpuE3ELNS1_3repE0EEENS1_30default_config_static_selectorELNS0_4arch9wavefront6targetE0EEEvSY_,comdat
.Lfunc_end383:
	.size	_ZN7rocprim17ROCPRIM_400000_NS6detail17trampoline_kernelINS0_14default_configENS1_27lower_bound_config_selectorItlEEZNS1_14transform_implILb0ES3_S5_N6thrust23THRUST_200600_302600_NS6detail15normal_iteratorINS8_7pointerItNS8_11hip_rocprim5par_tENS8_11use_defaultESE_EEEENSA_INSB_IlSD_SE_SE_EEEEZNS1_13binary_searchIS3_S5_NSA_INS8_10device_ptrItEEEESG_SI_NS1_21lower_bound_search_opENS9_16wrapped_functionINS8_6system6detail7generic6detail18binary_search_lessEbEEEE10hipError_tPvRmT1_T2_T3_mmT4_T5_P12ihipStream_tbEUlRKtE_EESV_SZ_S10_mS11_S14_bEUlT_E_NS1_11comp_targetILNS1_3genE9ELNS1_11target_archE1100ELNS1_3gpuE3ELNS1_3repE0EEENS1_30default_config_static_selectorELNS0_4arch9wavefront6targetE0EEEvSY_, .Lfunc_end383-_ZN7rocprim17ROCPRIM_400000_NS6detail17trampoline_kernelINS0_14default_configENS1_27lower_bound_config_selectorItlEEZNS1_14transform_implILb0ES3_S5_N6thrust23THRUST_200600_302600_NS6detail15normal_iteratorINS8_7pointerItNS8_11hip_rocprim5par_tENS8_11use_defaultESE_EEEENSA_INSB_IlSD_SE_SE_EEEEZNS1_13binary_searchIS3_S5_NSA_INS8_10device_ptrItEEEESG_SI_NS1_21lower_bound_search_opENS9_16wrapped_functionINS8_6system6detail7generic6detail18binary_search_lessEbEEEE10hipError_tPvRmT1_T2_T3_mmT4_T5_P12ihipStream_tbEUlRKtE_EESV_SZ_S10_mS11_S14_bEUlT_E_NS1_11comp_targetILNS1_3genE9ELNS1_11target_archE1100ELNS1_3gpuE3ELNS1_3repE0EEENS1_30default_config_static_selectorELNS0_4arch9wavefront6targetE0EEEvSY_
                                        ; -- End function
	.set _ZN7rocprim17ROCPRIM_400000_NS6detail17trampoline_kernelINS0_14default_configENS1_27lower_bound_config_selectorItlEEZNS1_14transform_implILb0ES3_S5_N6thrust23THRUST_200600_302600_NS6detail15normal_iteratorINS8_7pointerItNS8_11hip_rocprim5par_tENS8_11use_defaultESE_EEEENSA_INSB_IlSD_SE_SE_EEEEZNS1_13binary_searchIS3_S5_NSA_INS8_10device_ptrItEEEESG_SI_NS1_21lower_bound_search_opENS9_16wrapped_functionINS8_6system6detail7generic6detail18binary_search_lessEbEEEE10hipError_tPvRmT1_T2_T3_mmT4_T5_P12ihipStream_tbEUlRKtE_EESV_SZ_S10_mS11_S14_bEUlT_E_NS1_11comp_targetILNS1_3genE9ELNS1_11target_archE1100ELNS1_3gpuE3ELNS1_3repE0EEENS1_30default_config_static_selectorELNS0_4arch9wavefront6targetE0EEEvSY_.num_vgpr, 0
	.set _ZN7rocprim17ROCPRIM_400000_NS6detail17trampoline_kernelINS0_14default_configENS1_27lower_bound_config_selectorItlEEZNS1_14transform_implILb0ES3_S5_N6thrust23THRUST_200600_302600_NS6detail15normal_iteratorINS8_7pointerItNS8_11hip_rocprim5par_tENS8_11use_defaultESE_EEEENSA_INSB_IlSD_SE_SE_EEEEZNS1_13binary_searchIS3_S5_NSA_INS8_10device_ptrItEEEESG_SI_NS1_21lower_bound_search_opENS9_16wrapped_functionINS8_6system6detail7generic6detail18binary_search_lessEbEEEE10hipError_tPvRmT1_T2_T3_mmT4_T5_P12ihipStream_tbEUlRKtE_EESV_SZ_S10_mS11_S14_bEUlT_E_NS1_11comp_targetILNS1_3genE9ELNS1_11target_archE1100ELNS1_3gpuE3ELNS1_3repE0EEENS1_30default_config_static_selectorELNS0_4arch9wavefront6targetE0EEEvSY_.num_agpr, 0
	.set _ZN7rocprim17ROCPRIM_400000_NS6detail17trampoline_kernelINS0_14default_configENS1_27lower_bound_config_selectorItlEEZNS1_14transform_implILb0ES3_S5_N6thrust23THRUST_200600_302600_NS6detail15normal_iteratorINS8_7pointerItNS8_11hip_rocprim5par_tENS8_11use_defaultESE_EEEENSA_INSB_IlSD_SE_SE_EEEEZNS1_13binary_searchIS3_S5_NSA_INS8_10device_ptrItEEEESG_SI_NS1_21lower_bound_search_opENS9_16wrapped_functionINS8_6system6detail7generic6detail18binary_search_lessEbEEEE10hipError_tPvRmT1_T2_T3_mmT4_T5_P12ihipStream_tbEUlRKtE_EESV_SZ_S10_mS11_S14_bEUlT_E_NS1_11comp_targetILNS1_3genE9ELNS1_11target_archE1100ELNS1_3gpuE3ELNS1_3repE0EEENS1_30default_config_static_selectorELNS0_4arch9wavefront6targetE0EEEvSY_.numbered_sgpr, 0
	.set _ZN7rocprim17ROCPRIM_400000_NS6detail17trampoline_kernelINS0_14default_configENS1_27lower_bound_config_selectorItlEEZNS1_14transform_implILb0ES3_S5_N6thrust23THRUST_200600_302600_NS6detail15normal_iteratorINS8_7pointerItNS8_11hip_rocprim5par_tENS8_11use_defaultESE_EEEENSA_INSB_IlSD_SE_SE_EEEEZNS1_13binary_searchIS3_S5_NSA_INS8_10device_ptrItEEEESG_SI_NS1_21lower_bound_search_opENS9_16wrapped_functionINS8_6system6detail7generic6detail18binary_search_lessEbEEEE10hipError_tPvRmT1_T2_T3_mmT4_T5_P12ihipStream_tbEUlRKtE_EESV_SZ_S10_mS11_S14_bEUlT_E_NS1_11comp_targetILNS1_3genE9ELNS1_11target_archE1100ELNS1_3gpuE3ELNS1_3repE0EEENS1_30default_config_static_selectorELNS0_4arch9wavefront6targetE0EEEvSY_.num_named_barrier, 0
	.set _ZN7rocprim17ROCPRIM_400000_NS6detail17trampoline_kernelINS0_14default_configENS1_27lower_bound_config_selectorItlEEZNS1_14transform_implILb0ES3_S5_N6thrust23THRUST_200600_302600_NS6detail15normal_iteratorINS8_7pointerItNS8_11hip_rocprim5par_tENS8_11use_defaultESE_EEEENSA_INSB_IlSD_SE_SE_EEEEZNS1_13binary_searchIS3_S5_NSA_INS8_10device_ptrItEEEESG_SI_NS1_21lower_bound_search_opENS9_16wrapped_functionINS8_6system6detail7generic6detail18binary_search_lessEbEEEE10hipError_tPvRmT1_T2_T3_mmT4_T5_P12ihipStream_tbEUlRKtE_EESV_SZ_S10_mS11_S14_bEUlT_E_NS1_11comp_targetILNS1_3genE9ELNS1_11target_archE1100ELNS1_3gpuE3ELNS1_3repE0EEENS1_30default_config_static_selectorELNS0_4arch9wavefront6targetE0EEEvSY_.private_seg_size, 0
	.set _ZN7rocprim17ROCPRIM_400000_NS6detail17trampoline_kernelINS0_14default_configENS1_27lower_bound_config_selectorItlEEZNS1_14transform_implILb0ES3_S5_N6thrust23THRUST_200600_302600_NS6detail15normal_iteratorINS8_7pointerItNS8_11hip_rocprim5par_tENS8_11use_defaultESE_EEEENSA_INSB_IlSD_SE_SE_EEEEZNS1_13binary_searchIS3_S5_NSA_INS8_10device_ptrItEEEESG_SI_NS1_21lower_bound_search_opENS9_16wrapped_functionINS8_6system6detail7generic6detail18binary_search_lessEbEEEE10hipError_tPvRmT1_T2_T3_mmT4_T5_P12ihipStream_tbEUlRKtE_EESV_SZ_S10_mS11_S14_bEUlT_E_NS1_11comp_targetILNS1_3genE9ELNS1_11target_archE1100ELNS1_3gpuE3ELNS1_3repE0EEENS1_30default_config_static_selectorELNS0_4arch9wavefront6targetE0EEEvSY_.uses_vcc, 0
	.set _ZN7rocprim17ROCPRIM_400000_NS6detail17trampoline_kernelINS0_14default_configENS1_27lower_bound_config_selectorItlEEZNS1_14transform_implILb0ES3_S5_N6thrust23THRUST_200600_302600_NS6detail15normal_iteratorINS8_7pointerItNS8_11hip_rocprim5par_tENS8_11use_defaultESE_EEEENSA_INSB_IlSD_SE_SE_EEEEZNS1_13binary_searchIS3_S5_NSA_INS8_10device_ptrItEEEESG_SI_NS1_21lower_bound_search_opENS9_16wrapped_functionINS8_6system6detail7generic6detail18binary_search_lessEbEEEE10hipError_tPvRmT1_T2_T3_mmT4_T5_P12ihipStream_tbEUlRKtE_EESV_SZ_S10_mS11_S14_bEUlT_E_NS1_11comp_targetILNS1_3genE9ELNS1_11target_archE1100ELNS1_3gpuE3ELNS1_3repE0EEENS1_30default_config_static_selectorELNS0_4arch9wavefront6targetE0EEEvSY_.uses_flat_scratch, 0
	.set _ZN7rocprim17ROCPRIM_400000_NS6detail17trampoline_kernelINS0_14default_configENS1_27lower_bound_config_selectorItlEEZNS1_14transform_implILb0ES3_S5_N6thrust23THRUST_200600_302600_NS6detail15normal_iteratorINS8_7pointerItNS8_11hip_rocprim5par_tENS8_11use_defaultESE_EEEENSA_INSB_IlSD_SE_SE_EEEEZNS1_13binary_searchIS3_S5_NSA_INS8_10device_ptrItEEEESG_SI_NS1_21lower_bound_search_opENS9_16wrapped_functionINS8_6system6detail7generic6detail18binary_search_lessEbEEEE10hipError_tPvRmT1_T2_T3_mmT4_T5_P12ihipStream_tbEUlRKtE_EESV_SZ_S10_mS11_S14_bEUlT_E_NS1_11comp_targetILNS1_3genE9ELNS1_11target_archE1100ELNS1_3gpuE3ELNS1_3repE0EEENS1_30default_config_static_selectorELNS0_4arch9wavefront6targetE0EEEvSY_.has_dyn_sized_stack, 0
	.set _ZN7rocprim17ROCPRIM_400000_NS6detail17trampoline_kernelINS0_14default_configENS1_27lower_bound_config_selectorItlEEZNS1_14transform_implILb0ES3_S5_N6thrust23THRUST_200600_302600_NS6detail15normal_iteratorINS8_7pointerItNS8_11hip_rocprim5par_tENS8_11use_defaultESE_EEEENSA_INSB_IlSD_SE_SE_EEEEZNS1_13binary_searchIS3_S5_NSA_INS8_10device_ptrItEEEESG_SI_NS1_21lower_bound_search_opENS9_16wrapped_functionINS8_6system6detail7generic6detail18binary_search_lessEbEEEE10hipError_tPvRmT1_T2_T3_mmT4_T5_P12ihipStream_tbEUlRKtE_EESV_SZ_S10_mS11_S14_bEUlT_E_NS1_11comp_targetILNS1_3genE9ELNS1_11target_archE1100ELNS1_3gpuE3ELNS1_3repE0EEENS1_30default_config_static_selectorELNS0_4arch9wavefront6targetE0EEEvSY_.has_recursion, 0
	.set _ZN7rocprim17ROCPRIM_400000_NS6detail17trampoline_kernelINS0_14default_configENS1_27lower_bound_config_selectorItlEEZNS1_14transform_implILb0ES3_S5_N6thrust23THRUST_200600_302600_NS6detail15normal_iteratorINS8_7pointerItNS8_11hip_rocprim5par_tENS8_11use_defaultESE_EEEENSA_INSB_IlSD_SE_SE_EEEEZNS1_13binary_searchIS3_S5_NSA_INS8_10device_ptrItEEEESG_SI_NS1_21lower_bound_search_opENS9_16wrapped_functionINS8_6system6detail7generic6detail18binary_search_lessEbEEEE10hipError_tPvRmT1_T2_T3_mmT4_T5_P12ihipStream_tbEUlRKtE_EESV_SZ_S10_mS11_S14_bEUlT_E_NS1_11comp_targetILNS1_3genE9ELNS1_11target_archE1100ELNS1_3gpuE3ELNS1_3repE0EEENS1_30default_config_static_selectorELNS0_4arch9wavefront6targetE0EEEvSY_.has_indirect_call, 0
	.section	.AMDGPU.csdata,"",@progbits
; Kernel info:
; codeLenInByte = 0
; TotalNumSgprs: 0
; NumVgprs: 0
; ScratchSize: 0
; MemoryBound: 0
; FloatMode: 240
; IeeeMode: 1
; LDSByteSize: 0 bytes/workgroup (compile time only)
; SGPRBlocks: 0
; VGPRBlocks: 0
; NumSGPRsForWavesPerEU: 1
; NumVGPRsForWavesPerEU: 1
; Occupancy: 16
; WaveLimiterHint : 0
; COMPUTE_PGM_RSRC2:SCRATCH_EN: 0
; COMPUTE_PGM_RSRC2:USER_SGPR: 6
; COMPUTE_PGM_RSRC2:TRAP_HANDLER: 0
; COMPUTE_PGM_RSRC2:TGID_X_EN: 1
; COMPUTE_PGM_RSRC2:TGID_Y_EN: 0
; COMPUTE_PGM_RSRC2:TGID_Z_EN: 0
; COMPUTE_PGM_RSRC2:TIDIG_COMP_CNT: 0
	.section	.text._ZN7rocprim17ROCPRIM_400000_NS6detail17trampoline_kernelINS0_14default_configENS1_27lower_bound_config_selectorItlEEZNS1_14transform_implILb0ES3_S5_N6thrust23THRUST_200600_302600_NS6detail15normal_iteratorINS8_7pointerItNS8_11hip_rocprim5par_tENS8_11use_defaultESE_EEEENSA_INSB_IlSD_SE_SE_EEEEZNS1_13binary_searchIS3_S5_NSA_INS8_10device_ptrItEEEESG_SI_NS1_21lower_bound_search_opENS9_16wrapped_functionINS8_6system6detail7generic6detail18binary_search_lessEbEEEE10hipError_tPvRmT1_T2_T3_mmT4_T5_P12ihipStream_tbEUlRKtE_EESV_SZ_S10_mS11_S14_bEUlT_E_NS1_11comp_targetILNS1_3genE8ELNS1_11target_archE1030ELNS1_3gpuE2ELNS1_3repE0EEENS1_30default_config_static_selectorELNS0_4arch9wavefront6targetE0EEEvSY_,"axG",@progbits,_ZN7rocprim17ROCPRIM_400000_NS6detail17trampoline_kernelINS0_14default_configENS1_27lower_bound_config_selectorItlEEZNS1_14transform_implILb0ES3_S5_N6thrust23THRUST_200600_302600_NS6detail15normal_iteratorINS8_7pointerItNS8_11hip_rocprim5par_tENS8_11use_defaultESE_EEEENSA_INSB_IlSD_SE_SE_EEEEZNS1_13binary_searchIS3_S5_NSA_INS8_10device_ptrItEEEESG_SI_NS1_21lower_bound_search_opENS9_16wrapped_functionINS8_6system6detail7generic6detail18binary_search_lessEbEEEE10hipError_tPvRmT1_T2_T3_mmT4_T5_P12ihipStream_tbEUlRKtE_EESV_SZ_S10_mS11_S14_bEUlT_E_NS1_11comp_targetILNS1_3genE8ELNS1_11target_archE1030ELNS1_3gpuE2ELNS1_3repE0EEENS1_30default_config_static_selectorELNS0_4arch9wavefront6targetE0EEEvSY_,comdat
	.protected	_ZN7rocprim17ROCPRIM_400000_NS6detail17trampoline_kernelINS0_14default_configENS1_27lower_bound_config_selectorItlEEZNS1_14transform_implILb0ES3_S5_N6thrust23THRUST_200600_302600_NS6detail15normal_iteratorINS8_7pointerItNS8_11hip_rocprim5par_tENS8_11use_defaultESE_EEEENSA_INSB_IlSD_SE_SE_EEEEZNS1_13binary_searchIS3_S5_NSA_INS8_10device_ptrItEEEESG_SI_NS1_21lower_bound_search_opENS9_16wrapped_functionINS8_6system6detail7generic6detail18binary_search_lessEbEEEE10hipError_tPvRmT1_T2_T3_mmT4_T5_P12ihipStream_tbEUlRKtE_EESV_SZ_S10_mS11_S14_bEUlT_E_NS1_11comp_targetILNS1_3genE8ELNS1_11target_archE1030ELNS1_3gpuE2ELNS1_3repE0EEENS1_30default_config_static_selectorELNS0_4arch9wavefront6targetE0EEEvSY_ ; -- Begin function _ZN7rocprim17ROCPRIM_400000_NS6detail17trampoline_kernelINS0_14default_configENS1_27lower_bound_config_selectorItlEEZNS1_14transform_implILb0ES3_S5_N6thrust23THRUST_200600_302600_NS6detail15normal_iteratorINS8_7pointerItNS8_11hip_rocprim5par_tENS8_11use_defaultESE_EEEENSA_INSB_IlSD_SE_SE_EEEEZNS1_13binary_searchIS3_S5_NSA_INS8_10device_ptrItEEEESG_SI_NS1_21lower_bound_search_opENS9_16wrapped_functionINS8_6system6detail7generic6detail18binary_search_lessEbEEEE10hipError_tPvRmT1_T2_T3_mmT4_T5_P12ihipStream_tbEUlRKtE_EESV_SZ_S10_mS11_S14_bEUlT_E_NS1_11comp_targetILNS1_3genE8ELNS1_11target_archE1030ELNS1_3gpuE2ELNS1_3repE0EEENS1_30default_config_static_selectorELNS0_4arch9wavefront6targetE0EEEvSY_
	.globl	_ZN7rocprim17ROCPRIM_400000_NS6detail17trampoline_kernelINS0_14default_configENS1_27lower_bound_config_selectorItlEEZNS1_14transform_implILb0ES3_S5_N6thrust23THRUST_200600_302600_NS6detail15normal_iteratorINS8_7pointerItNS8_11hip_rocprim5par_tENS8_11use_defaultESE_EEEENSA_INSB_IlSD_SE_SE_EEEEZNS1_13binary_searchIS3_S5_NSA_INS8_10device_ptrItEEEESG_SI_NS1_21lower_bound_search_opENS9_16wrapped_functionINS8_6system6detail7generic6detail18binary_search_lessEbEEEE10hipError_tPvRmT1_T2_T3_mmT4_T5_P12ihipStream_tbEUlRKtE_EESV_SZ_S10_mS11_S14_bEUlT_E_NS1_11comp_targetILNS1_3genE8ELNS1_11target_archE1030ELNS1_3gpuE2ELNS1_3repE0EEENS1_30default_config_static_selectorELNS0_4arch9wavefront6targetE0EEEvSY_
	.p2align	8
	.type	_ZN7rocprim17ROCPRIM_400000_NS6detail17trampoline_kernelINS0_14default_configENS1_27lower_bound_config_selectorItlEEZNS1_14transform_implILb0ES3_S5_N6thrust23THRUST_200600_302600_NS6detail15normal_iteratorINS8_7pointerItNS8_11hip_rocprim5par_tENS8_11use_defaultESE_EEEENSA_INSB_IlSD_SE_SE_EEEEZNS1_13binary_searchIS3_S5_NSA_INS8_10device_ptrItEEEESG_SI_NS1_21lower_bound_search_opENS9_16wrapped_functionINS8_6system6detail7generic6detail18binary_search_lessEbEEEE10hipError_tPvRmT1_T2_T3_mmT4_T5_P12ihipStream_tbEUlRKtE_EESV_SZ_S10_mS11_S14_bEUlT_E_NS1_11comp_targetILNS1_3genE8ELNS1_11target_archE1030ELNS1_3gpuE2ELNS1_3repE0EEENS1_30default_config_static_selectorELNS0_4arch9wavefront6targetE0EEEvSY_,@function
_ZN7rocprim17ROCPRIM_400000_NS6detail17trampoline_kernelINS0_14default_configENS1_27lower_bound_config_selectorItlEEZNS1_14transform_implILb0ES3_S5_N6thrust23THRUST_200600_302600_NS6detail15normal_iteratorINS8_7pointerItNS8_11hip_rocprim5par_tENS8_11use_defaultESE_EEEENSA_INSB_IlSD_SE_SE_EEEEZNS1_13binary_searchIS3_S5_NSA_INS8_10device_ptrItEEEESG_SI_NS1_21lower_bound_search_opENS9_16wrapped_functionINS8_6system6detail7generic6detail18binary_search_lessEbEEEE10hipError_tPvRmT1_T2_T3_mmT4_T5_P12ihipStream_tbEUlRKtE_EESV_SZ_S10_mS11_S14_bEUlT_E_NS1_11comp_targetILNS1_3genE8ELNS1_11target_archE1030ELNS1_3gpuE2ELNS1_3repE0EEENS1_30default_config_static_selectorELNS0_4arch9wavefront6targetE0EEEvSY_: ; @_ZN7rocprim17ROCPRIM_400000_NS6detail17trampoline_kernelINS0_14default_configENS1_27lower_bound_config_selectorItlEEZNS1_14transform_implILb0ES3_S5_N6thrust23THRUST_200600_302600_NS6detail15normal_iteratorINS8_7pointerItNS8_11hip_rocprim5par_tENS8_11use_defaultESE_EEEENSA_INSB_IlSD_SE_SE_EEEEZNS1_13binary_searchIS3_S5_NSA_INS8_10device_ptrItEEEESG_SI_NS1_21lower_bound_search_opENS9_16wrapped_functionINS8_6system6detail7generic6detail18binary_search_lessEbEEEE10hipError_tPvRmT1_T2_T3_mmT4_T5_P12ihipStream_tbEUlRKtE_EESV_SZ_S10_mS11_S14_bEUlT_E_NS1_11comp_targetILNS1_3genE8ELNS1_11target_archE1030ELNS1_3gpuE2ELNS1_3repE0EEENS1_30default_config_static_selectorELNS0_4arch9wavefront6targetE0EEEvSY_
; %bb.0:
	s_clause 0x2
	s_load_dwordx8 s[8:15], s[4:5], 0x0
	s_load_dword s2, s[4:5], 0x38
	s_load_dwordx4 s[16:19], s[4:5], 0x20
	s_mov_b32 s5, 0
	s_waitcnt lgkmcnt(0)
	s_lshl_b64 s[0:1], s[10:11], 1
	s_add_u32 s8, s8, s0
	s_addc_u32 s9, s9, s1
	s_lshl_b64 s[0:1], s[10:11], 3
	s_add_u32 s3, s14, s0
	s_addc_u32 s7, s15, s1
	s_lshl_b32 s4, s6, 9
	s_add_i32 s2, s2, -1
	s_lshl_b64 s[0:1], s[4:5], 1
	s_add_u32 s8, s8, s0
	s_addc_u32 s9, s9, s1
	s_cmp_lg_u32 s6, s2
	s_mov_b32 s0, -1
	s_cbranch_scc0 .LBB384_5
; %bb.1:
	v_lshlrev_b32_e32 v1, 1, v0
	s_cmp_lg_u64 s[18:19], 0
	v_add_co_u32 v1, s0, s8, v1
	v_add_co_ci_u32_e64 v2, null, s9, 0, s0
	s_cselect_b32 s0, -1, 0
	s_cmp_eq_u64 s[18:19], 0
	s_clause 0x2
	flat_load_ushort v7, v[1:2] offset:256
	flat_load_ushort v9, v[1:2] offset:512
	;; [unrolled: 1-line block ×3, first 2 shown]
	s_cbranch_scc1 .LBB384_6
; %bb.2:
	flat_load_ushort v5, v[1:2]
	v_mov_b32_e32 v1, 0
	v_mov_b32_e32 v3, s18
	;; [unrolled: 1-line block ×4, first 2 shown]
	s_mov_b32 s1, 0
	s_inst_prefetch 0x1
	.p2align	6
.LBB384_3:                              ; =>This Inner Loop Header: Depth=1
	v_sub_co_u32 v12, vcc_lo, v3, v1
	v_sub_co_ci_u32_e64 v13, null, v4, v2, vcc_lo
	v_lshrrev_b64 v[14:15], 1, v[12:13]
	v_lshrrev_b64 v[12:13], 6, v[12:13]
	v_add_co_u32 v6, vcc_lo, v14, v1
	v_add_co_ci_u32_e64 v8, null, v15, v2, vcc_lo
	v_add_co_u32 v12, vcc_lo, v6, v12
	v_add_co_ci_u32_e64 v13, null, v8, v13, vcc_lo
	v_lshlrev_b64 v[14:15], 1, v[12:13]
	v_add_co_u32 v14, vcc_lo, s16, v14
	v_add_co_ci_u32_e64 v15, null, s17, v15, vcc_lo
	v_add_co_u32 v8, vcc_lo, v12, 1
	v_add_co_ci_u32_e64 v10, null, 0, v13, vcc_lo
	global_load_ushort v6, v[14:15], off
	s_waitcnt vmcnt(0) lgkmcnt(0)
	v_cmp_lt_u16_e32 vcc_lo, v6, v5
	v_cndmask_b32_e32 v4, v13, v4, vcc_lo
	v_cndmask_b32_e32 v3, v12, v3, vcc_lo
	;; [unrolled: 1-line block ×4, first 2 shown]
	v_cmp_ge_u64_e32 vcc_lo, v[1:2], v[3:4]
	s_or_b32 s1, vcc_lo, s1
	s_andn2_b32 exec_lo, exec_lo, s1
	s_cbranch_execnz .LBB384_3
; %bb.4:
	s_inst_prefetch 0x2
	s_or_b32 exec_lo, exec_lo, s1
	s_branch .LBB384_7
.LBB384_5:
	s_mov_b32 s6, s5
                                        ; implicit-def: $vgpr7_vgpr8
                                        ; implicit-def: $vgpr11_vgpr12
	s_and_b32 vcc_lo, exec_lo, s0
	s_cbranch_vccnz .LBB384_20
	s_branch .LBB384_53
.LBB384_6:
	v_mov_b32_e32 v1, 0
	v_mov_b32_e32 v2, 0
.LBB384_7:
	v_mov_b32_e32 v3, 0
	v_cndmask_b32_e64 v10, 0, 1, s0
	v_mov_b32_e32 v4, 0
	s_andn2_b32 vcc_lo, exec_lo, s0
	s_cbranch_vccnz .LBB384_11
; %bb.8:
	v_mov_b32_e32 v5, s18
	v_mov_b32_e32 v6, s19
	s_mov_b32 s0, 0
	s_inst_prefetch 0x1
	.p2align	6
.LBB384_9:                              ; =>This Inner Loop Header: Depth=1
	v_sub_co_u32 v12, vcc_lo, v5, v3
	v_sub_co_ci_u32_e64 v13, null, v6, v4, vcc_lo
	v_lshrrev_b64 v[14:15], 1, v[12:13]
	v_lshrrev_b64 v[12:13], 6, v[12:13]
	v_add_co_u32 v8, vcc_lo, v14, v3
	v_add_co_ci_u32_e64 v14, null, v15, v4, vcc_lo
	v_add_co_u32 v12, vcc_lo, v8, v12
	v_add_co_ci_u32_e64 v13, null, v14, v13, vcc_lo
	v_lshlrev_b64 v[14:15], 1, v[12:13]
	v_add_co_u32 v14, vcc_lo, s16, v14
	v_add_co_ci_u32_e64 v15, null, s17, v15, vcc_lo
	global_load_ushort v8, v[14:15], off
	v_add_co_u32 v14, vcc_lo, v12, 1
	v_add_co_ci_u32_e64 v15, null, 0, v13, vcc_lo
	s_waitcnt vmcnt(0) lgkmcnt(2)
	v_cmp_lt_u16_e32 vcc_lo, v8, v7
	v_cndmask_b32_e32 v6, v13, v6, vcc_lo
	v_cndmask_b32_e32 v5, v12, v5, vcc_lo
	;; [unrolled: 1-line block ×4, first 2 shown]
	v_cmp_ge_u64_e32 vcc_lo, v[3:4], v[5:6]
	s_or_b32 s0, vcc_lo, s0
	s_andn2_b32 exec_lo, exec_lo, s0
	s_cbranch_execnz .LBB384_9
; %bb.10:
	s_inst_prefetch 0x2
	s_or_b32 exec_lo, exec_lo, s0
.LBB384_11:
	v_cmp_ne_u32_e32 vcc_lo, 1, v10
	v_mov_b32_e32 v5, 0
	v_mov_b32_e32 v6, 0
	s_cbranch_vccnz .LBB384_15
; %bb.12:
	s_waitcnt vmcnt(2) lgkmcnt(2)
	v_mov_b32_e32 v7, s18
	v_mov_b32_e32 v8, s19
	s_mov_b32 s0, 0
	s_inst_prefetch 0x1
	.p2align	6
.LBB384_13:                             ; =>This Inner Loop Header: Depth=1
	v_sub_co_u32 v12, vcc_lo, v7, v5
	v_sub_co_ci_u32_e64 v13, null, v8, v6, vcc_lo
	v_lshrrev_b64 v[14:15], 1, v[12:13]
	v_lshrrev_b64 v[12:13], 6, v[12:13]
	v_add_co_u32 v14, vcc_lo, v14, v5
	v_add_co_ci_u32_e64 v15, null, v15, v6, vcc_lo
	v_add_co_u32 v12, vcc_lo, v14, v12
	v_add_co_ci_u32_e64 v13, null, v15, v13, vcc_lo
	v_lshlrev_b64 v[14:15], 1, v[12:13]
	v_add_co_u32 v14, vcc_lo, s16, v14
	v_add_co_ci_u32_e64 v15, null, s17, v15, vcc_lo
	global_load_ushort v14, v[14:15], off
	v_add_co_u32 v15, vcc_lo, v12, 1
	v_add_co_ci_u32_e64 v16, null, 0, v13, vcc_lo
	s_waitcnt vmcnt(0) lgkmcnt(1)
	v_cmp_lt_u16_e32 vcc_lo, v14, v9
	v_cndmask_b32_e32 v8, v13, v8, vcc_lo
	v_cndmask_b32_e32 v7, v12, v7, vcc_lo
	;; [unrolled: 1-line block ×4, first 2 shown]
	v_cmp_ge_u64_e32 vcc_lo, v[5:6], v[7:8]
	s_or_b32 s0, vcc_lo, s0
	s_andn2_b32 exec_lo, exec_lo, s0
	s_cbranch_execnz .LBB384_13
; %bb.14:
	s_inst_prefetch 0x2
	s_or_b32 exec_lo, exec_lo, s0
.LBB384_15:
	v_cmp_ne_u32_e32 vcc_lo, 1, v10
	s_waitcnt vmcnt(2) lgkmcnt(2)
	v_mov_b32_e32 v7, 0
	v_mov_b32_e32 v8, 0
	s_cbranch_vccnz .LBB384_19
; %bb.16:
	s_waitcnt vmcnt(1) lgkmcnt(1)
	v_mov_b32_e32 v9, s18
	v_mov_b32_e32 v10, s19
	s_mov_b32 s0, 0
	s_inst_prefetch 0x1
	.p2align	6
.LBB384_17:                             ; =>This Inner Loop Header: Depth=1
	v_sub_co_u32 v12, vcc_lo, v9, v7
	v_sub_co_ci_u32_e64 v13, null, v10, v8, vcc_lo
	v_lshrrev_b64 v[14:15], 1, v[12:13]
	v_lshrrev_b64 v[12:13], 6, v[12:13]
	v_add_co_u32 v14, vcc_lo, v14, v7
	v_add_co_ci_u32_e64 v15, null, v15, v8, vcc_lo
	v_add_co_u32 v12, vcc_lo, v14, v12
	v_add_co_ci_u32_e64 v13, null, v15, v13, vcc_lo
	v_lshlrev_b64 v[14:15], 1, v[12:13]
	v_add_co_u32 v14, vcc_lo, s16, v14
	v_add_co_ci_u32_e64 v15, null, s17, v15, vcc_lo
	global_load_ushort v14, v[14:15], off
	v_add_co_u32 v15, vcc_lo, v12, 1
	v_add_co_ci_u32_e64 v16, null, 0, v13, vcc_lo
	s_waitcnt vmcnt(0) lgkmcnt(0)
	v_cmp_lt_u16_e32 vcc_lo, v14, v11
	v_cndmask_b32_e32 v10, v13, v10, vcc_lo
	v_cndmask_b32_e32 v9, v12, v9, vcc_lo
	;; [unrolled: 1-line block ×4, first 2 shown]
	v_cmp_ge_u64_e32 vcc_lo, v[7:8], v[9:10]
	s_or_b32 s0, vcc_lo, s0
	s_andn2_b32 exec_lo, exec_lo, s0
	s_cbranch_execnz .LBB384_17
; %bb.18:
	s_inst_prefetch 0x2
	s_or_b32 exec_lo, exec_lo, s0
.LBB384_19:
	s_waitcnt vmcnt(1) lgkmcnt(1)
	v_lshlrev_b32_e32 v9, 3, v0
	s_lshl_b64 s[0:1], s[4:5], 3
	s_mov_b32 s6, -1
	s_add_u32 s0, s3, s0
	s_addc_u32 s1, s7, s1
	s_waitcnt vmcnt(0) lgkmcnt(0)
	v_add_co_u32 v11, s0, s0, v9
	v_add_co_ci_u32_e64 v12, null, s1, 0, s0
	v_add_co_u32 v9, vcc_lo, 0x800, v11
	v_add_co_ci_u32_e64 v10, null, 0, v12, vcc_lo
	flat_store_dwordx2 v[11:12], v[1:2]
	flat_store_dwordx2 v[11:12], v[3:4] offset:1024
	flat_store_dwordx2 v[9:10], v[5:6]
	s_branch .LBB384_53
.LBB384_20:
	v_mov_b32_e32 v1, 0
	s_sub_i32 s6, s12, s4
	v_cmp_gt_u32_e64 s0, s6, v0
	v_mov_b32_e32 v2, v1
	s_and_saveexec_b32 s1, s0
	s_cbranch_execz .LBB384_22
; %bb.21:
	v_lshlrev_b32_e32 v2, 1, v0
	v_mov_b32_e32 v4, v1
	v_mov_b32_e32 v5, v1
	v_add_co_u32 v2, s2, s8, v2
	v_add_co_ci_u32_e64 v3, null, s9, 0, s2
	flat_load_short_d16 v4, v[2:3]
	s_waitcnt vmcnt(0) lgkmcnt(0)
	v_mov_b32_e32 v1, v4
	v_mov_b32_e32 v2, v5
.LBB384_22:
	s_or_b32 exec_lo, exec_lo, s1
	v_or_b32_e32 v3, 0x80, v0
	v_cmp_gt_u32_e64 s1, s6, v3
	s_and_saveexec_b32 s2, s1
	s_cbranch_execz .LBB384_24
; %bb.23:
	v_lshlrev_b32_e32 v3, 1, v0
	v_add_co_u32 v3, s10, s8, v3
	v_add_co_ci_u32_e64 v4, null, s9, 0, s10
	flat_load_short_d16_hi v1, v[3:4] offset:256
.LBB384_24:
	s_or_b32 exec_lo, exec_lo, s2
	v_or_b32_e32 v3, 0x100, v0
	v_cmp_gt_u32_e64 s2, s6, v3
	s_and_saveexec_b32 s10, s2
	s_cbranch_execz .LBB384_26
; %bb.25:
	v_lshlrev_b32_e32 v3, 1, v0
	v_add_co_u32 v3, s11, s8, v3
	v_add_co_ci_u32_e64 v4, null, s9, 0, s11
	flat_load_short_d16 v2, v[3:4] offset:512
.LBB384_26:
	s_or_b32 exec_lo, exec_lo, s10
	v_or_b32_e32 v3, 0x180, v0
	v_cmp_gt_u32_e64 s6, s6, v3
	s_and_saveexec_b32 s10, s6
	s_cbranch_execz .LBB384_28
; %bb.27:
	v_lshlrev_b32_e32 v3, 1, v0
	v_add_co_u32 v3, s8, s8, v3
	v_add_co_ci_u32_e64 v4, null, s9, 0, s8
	s_waitcnt vmcnt(0) lgkmcnt(0)
	flat_load_short_d16_hi v2, v[3:4] offset:768
.LBB384_28:
	s_or_b32 exec_lo, exec_lo, s10
	s_cmp_lg_u64 s[18:19], 0
                                        ; implicit-def: $vgpr3_vgpr4
	s_cselect_b32 s8, -1, 0
	s_and_saveexec_b32 s9, s0
	s_cbranch_execz .LBB384_33
; %bb.29:
	v_mov_b32_e32 v3, 0
	v_mov_b32_e32 v4, 0
	s_andn2_b32 vcc_lo, exec_lo, s8
	s_cbranch_vccnz .LBB384_33
; %bb.30:
	v_mov_b32_e32 v5, s18
	v_mov_b32_e32 v6, s19
	s_mov_b32 s10, 0
	s_inst_prefetch 0x1
	.p2align	6
.LBB384_31:                             ; =>This Inner Loop Header: Depth=1
	v_sub_co_u32 v7, vcc_lo, v5, v3
	v_sub_co_ci_u32_e64 v8, null, v6, v4, vcc_lo
	v_lshrrev_b64 v[9:10], 1, v[7:8]
	v_lshrrev_b64 v[7:8], 6, v[7:8]
	v_add_co_u32 v9, vcc_lo, v9, v3
	v_add_co_ci_u32_e64 v10, null, v10, v4, vcc_lo
	v_add_co_u32 v7, vcc_lo, v9, v7
	v_add_co_ci_u32_e64 v8, null, v10, v8, vcc_lo
	v_lshlrev_b64 v[9:10], 1, v[7:8]
	v_add_co_u32 v9, vcc_lo, s16, v9
	v_add_co_ci_u32_e64 v10, null, s17, v10, vcc_lo
	global_load_ushort v9, v[9:10], off
	v_add_co_u32 v10, vcc_lo, v7, 1
	v_add_co_ci_u32_e64 v11, null, 0, v8, vcc_lo
	s_waitcnt vmcnt(0) lgkmcnt(0)
	v_cmp_lt_u16_e32 vcc_lo, v9, v1
	v_cndmask_b32_e32 v6, v8, v6, vcc_lo
	v_cndmask_b32_e32 v5, v7, v5, vcc_lo
	;; [unrolled: 1-line block ×4, first 2 shown]
	v_cmp_ge_u64_e32 vcc_lo, v[3:4], v[5:6]
	s_or_b32 s10, vcc_lo, s10
	s_andn2_b32 exec_lo, exec_lo, s10
	s_cbranch_execnz .LBB384_31
; %bb.32:
	s_inst_prefetch 0x2
	s_or_b32 exec_lo, exec_lo, s10
.LBB384_33:
	s_or_b32 exec_lo, exec_lo, s9
                                        ; implicit-def: $vgpr5_vgpr6
	s_and_saveexec_b32 s9, s1
	s_cbranch_execz .LBB384_38
; %bb.34:
	v_mov_b32_e32 v5, 0
	v_mov_b32_e32 v6, 0
	s_andn2_b32 vcc_lo, exec_lo, s8
	s_cbranch_vccnz .LBB384_38
; %bb.35:
	v_mov_b32_e32 v7, s18
	v_mov_b32_e32 v8, s19
	s_mov_b32 s10, 0
	s_inst_prefetch 0x1
	.p2align	6
.LBB384_36:                             ; =>This Inner Loop Header: Depth=1
	v_sub_co_u32 v9, vcc_lo, v7, v5
	v_sub_co_ci_u32_e64 v10, null, v8, v6, vcc_lo
	v_lshrrev_b64 v[11:12], 1, v[9:10]
	v_lshrrev_b64 v[9:10], 6, v[9:10]
	v_add_co_u32 v11, vcc_lo, v11, v5
	v_add_co_ci_u32_e64 v12, null, v12, v6, vcc_lo
	v_add_co_u32 v9, vcc_lo, v11, v9
	v_add_co_ci_u32_e64 v10, null, v12, v10, vcc_lo
	v_lshlrev_b64 v[11:12], 1, v[9:10]
	v_add_co_u32 v11, vcc_lo, s16, v11
	v_add_co_ci_u32_e64 v12, null, s17, v12, vcc_lo
	global_load_ushort v11, v[11:12], off
	v_add_co_u32 v12, vcc_lo, v9, 1
	v_add_co_ci_u32_e64 v13, null, 0, v10, vcc_lo
	s_waitcnt vmcnt(0) lgkmcnt(0)
	v_cmp_lt_u16_sdwa vcc_lo, v11, v1 src0_sel:DWORD src1_sel:WORD_1
	v_cndmask_b32_e32 v8, v10, v8, vcc_lo
	v_cndmask_b32_e32 v7, v9, v7, vcc_lo
	;; [unrolled: 1-line block ×4, first 2 shown]
	v_cmp_ge_u64_e32 vcc_lo, v[5:6], v[7:8]
	s_or_b32 s10, vcc_lo, s10
	s_andn2_b32 exec_lo, exec_lo, s10
	s_cbranch_execnz .LBB384_36
; %bb.37:
	s_inst_prefetch 0x2
	s_or_b32 exec_lo, exec_lo, s10
.LBB384_38:
	s_or_b32 exec_lo, exec_lo, s9
                                        ; implicit-def: $vgpr9_vgpr10
	s_and_saveexec_b32 s9, s2
	s_cbranch_execz .LBB384_43
; %bb.39:
	v_mov_b32_e32 v9, 0
	v_mov_b32_e32 v10, 0
	s_andn2_b32 vcc_lo, exec_lo, s8
	s_cbranch_vccnz .LBB384_43
; %bb.40:
	v_mov_b32_e32 v7, s18
	v_mov_b32_e32 v8, s19
	s_mov_b32 s10, 0
	s_inst_prefetch 0x1
	.p2align	6
.LBB384_41:                             ; =>This Inner Loop Header: Depth=1
	v_sub_co_u32 v11, vcc_lo, v7, v9
	v_sub_co_ci_u32_e64 v12, null, v8, v10, vcc_lo
	v_lshrrev_b64 v[13:14], 1, v[11:12]
	v_lshrrev_b64 v[11:12], 6, v[11:12]
	s_waitcnt vmcnt(0) lgkmcnt(0)
	v_add_co_u32 v1, vcc_lo, v13, v9
	v_add_co_ci_u32_e64 v13, null, v14, v10, vcc_lo
	v_add_co_u32 v11, vcc_lo, v1, v11
	v_add_co_ci_u32_e64 v12, null, v13, v12, vcc_lo
	v_lshlrev_b64 v[13:14], 1, v[11:12]
	v_add_co_u32 v13, vcc_lo, s16, v13
	v_add_co_ci_u32_e64 v14, null, s17, v14, vcc_lo
	global_load_ushort v1, v[13:14], off
	v_add_co_u32 v13, vcc_lo, v11, 1
	v_add_co_ci_u32_e64 v14, null, 0, v12, vcc_lo
	s_waitcnt vmcnt(0)
	v_cmp_lt_u16_e32 vcc_lo, v1, v2
	v_cndmask_b32_e32 v8, v12, v8, vcc_lo
	v_cndmask_b32_e32 v7, v11, v7, vcc_lo
	;; [unrolled: 1-line block ×4, first 2 shown]
	v_cmp_ge_u64_e32 vcc_lo, v[9:10], v[7:8]
	s_or_b32 s10, vcc_lo, s10
	s_andn2_b32 exec_lo, exec_lo, s10
	s_cbranch_execnz .LBB384_41
; %bb.42:
	s_inst_prefetch 0x2
	s_or_b32 exec_lo, exec_lo, s10
.LBB384_43:
	s_or_b32 exec_lo, exec_lo, s9
                                        ; implicit-def: $vgpr7_vgpr8
	s_and_saveexec_b32 s9, s6
	s_cbranch_execz .LBB384_48
; %bb.44:
	v_mov_b32_e32 v7, 0
	v_mov_b32_e32 v8, 0
	s_andn2_b32 vcc_lo, exec_lo, s8
	s_cbranch_vccnz .LBB384_48
; %bb.45:
	v_mov_b32_e32 v11, s18
	v_mov_b32_e32 v12, s19
	s_mov_b32 s8, 0
	s_inst_prefetch 0x1
	.p2align	6
.LBB384_46:                             ; =>This Inner Loop Header: Depth=1
	v_sub_co_u32 v13, vcc_lo, v11, v7
	v_sub_co_ci_u32_e64 v14, null, v12, v8, vcc_lo
	v_lshrrev_b64 v[15:16], 1, v[13:14]
	v_lshrrev_b64 v[13:14], 6, v[13:14]
	s_waitcnt vmcnt(0) lgkmcnt(0)
	v_add_co_u32 v1, vcc_lo, v15, v7
	v_add_co_ci_u32_e64 v15, null, v16, v8, vcc_lo
	v_add_co_u32 v13, vcc_lo, v1, v13
	v_add_co_ci_u32_e64 v14, null, v15, v14, vcc_lo
	v_lshlrev_b64 v[15:16], 1, v[13:14]
	v_add_co_u32 v15, vcc_lo, s16, v15
	v_add_co_ci_u32_e64 v16, null, s17, v16, vcc_lo
	global_load_ushort v1, v[15:16], off
	v_add_co_u32 v15, vcc_lo, v13, 1
	v_add_co_ci_u32_e64 v16, null, 0, v14, vcc_lo
	s_waitcnt vmcnt(0)
	v_cmp_lt_u16_sdwa vcc_lo, v1, v2 src0_sel:DWORD src1_sel:WORD_1
	v_cndmask_b32_e32 v12, v14, v12, vcc_lo
	v_cndmask_b32_e32 v11, v13, v11, vcc_lo
	;; [unrolled: 1-line block ×4, first 2 shown]
	v_cmp_ge_u64_e32 vcc_lo, v[7:8], v[11:12]
	s_or_b32 s8, vcc_lo, s8
	s_andn2_b32 exec_lo, exec_lo, s8
	s_cbranch_execnz .LBB384_46
; %bb.47:
	s_inst_prefetch 0x2
	s_or_b32 exec_lo, exec_lo, s8
.LBB384_48:
	s_or_b32 exec_lo, exec_lo, s9
	v_lshlrev_b32_e32 v0, 3, v0
	s_lshl_b64 s[4:5], s[4:5], 3
	s_add_u32 s3, s3, s4
	s_addc_u32 s4, s7, s5
	v_add_co_u32 v11, s3, s3, v0
	v_add_co_ci_u32_e64 v12, null, s4, 0, s3
	s_and_saveexec_b32 s3, s0
	s_xor_b32 s0, exec_lo, s3
	s_cbranch_execnz .LBB384_56
; %bb.49:
	s_or_b32 exec_lo, exec_lo, s0
	s_and_saveexec_b32 s0, s1
	s_cbranch_execnz .LBB384_57
.LBB384_50:
	s_or_b32 exec_lo, exec_lo, s0
	s_and_saveexec_b32 s0, s2
	s_cbranch_execz .LBB384_52
.LBB384_51:
	v_add_co_u32 v0, vcc_lo, 0x800, v11
	s_waitcnt vmcnt(0) lgkmcnt(0)
	v_add_co_ci_u32_e64 v1, null, 0, v12, vcc_lo
	flat_store_dwordx2 v[0:1], v[9:10]
.LBB384_52:
	s_or_b32 exec_lo, exec_lo, s0
.LBB384_53:
	s_and_saveexec_b32 s0, s6
	s_cbranch_execnz .LBB384_55
; %bb.54:
	s_endpgm
.LBB384_55:
	v_add_co_u32 v0, vcc_lo, 0x800, v11
	s_waitcnt vmcnt(0) lgkmcnt(0)
	v_add_co_ci_u32_e64 v1, null, 0, v12, vcc_lo
	flat_store_dwordx2 v[0:1], v[7:8] offset:1024
	s_endpgm
.LBB384_56:
	flat_store_dwordx2 v[11:12], v[3:4]
	s_or_b32 exec_lo, exec_lo, s0
	s_and_saveexec_b32 s0, s1
	s_cbranch_execz .LBB384_50
.LBB384_57:
	flat_store_dwordx2 v[11:12], v[5:6] offset:1024
	s_or_b32 exec_lo, exec_lo, s0
	s_and_saveexec_b32 s0, s2
	s_cbranch_execnz .LBB384_51
	s_branch .LBB384_52
	.section	.rodata,"a",@progbits
	.p2align	6, 0x0
	.amdhsa_kernel _ZN7rocprim17ROCPRIM_400000_NS6detail17trampoline_kernelINS0_14default_configENS1_27lower_bound_config_selectorItlEEZNS1_14transform_implILb0ES3_S5_N6thrust23THRUST_200600_302600_NS6detail15normal_iteratorINS8_7pointerItNS8_11hip_rocprim5par_tENS8_11use_defaultESE_EEEENSA_INSB_IlSD_SE_SE_EEEEZNS1_13binary_searchIS3_S5_NSA_INS8_10device_ptrItEEEESG_SI_NS1_21lower_bound_search_opENS9_16wrapped_functionINS8_6system6detail7generic6detail18binary_search_lessEbEEEE10hipError_tPvRmT1_T2_T3_mmT4_T5_P12ihipStream_tbEUlRKtE_EESV_SZ_S10_mS11_S14_bEUlT_E_NS1_11comp_targetILNS1_3genE8ELNS1_11target_archE1030ELNS1_3gpuE2ELNS1_3repE0EEENS1_30default_config_static_selectorELNS0_4arch9wavefront6targetE0EEEvSY_
		.amdhsa_group_segment_fixed_size 0
		.amdhsa_private_segment_fixed_size 0
		.amdhsa_kernarg_size 312
		.amdhsa_user_sgpr_count 6
		.amdhsa_user_sgpr_private_segment_buffer 1
		.amdhsa_user_sgpr_dispatch_ptr 0
		.amdhsa_user_sgpr_queue_ptr 0
		.amdhsa_user_sgpr_kernarg_segment_ptr 1
		.amdhsa_user_sgpr_dispatch_id 0
		.amdhsa_user_sgpr_flat_scratch_init 0
		.amdhsa_user_sgpr_private_segment_size 0
		.amdhsa_wavefront_size32 1
		.amdhsa_uses_dynamic_stack 0
		.amdhsa_system_sgpr_private_segment_wavefront_offset 0
		.amdhsa_system_sgpr_workgroup_id_x 1
		.amdhsa_system_sgpr_workgroup_id_y 0
		.amdhsa_system_sgpr_workgroup_id_z 0
		.amdhsa_system_sgpr_workgroup_info 0
		.amdhsa_system_vgpr_workitem_id 0
		.amdhsa_next_free_vgpr 17
		.amdhsa_next_free_sgpr 20
		.amdhsa_reserve_vcc 1
		.amdhsa_reserve_flat_scratch 1
		.amdhsa_float_round_mode_32 0
		.amdhsa_float_round_mode_16_64 0
		.amdhsa_float_denorm_mode_32 3
		.amdhsa_float_denorm_mode_16_64 3
		.amdhsa_dx10_clamp 1
		.amdhsa_ieee_mode 1
		.amdhsa_fp16_overflow 0
		.amdhsa_workgroup_processor_mode 1
		.amdhsa_memory_ordered 1
		.amdhsa_forward_progress 1
		.amdhsa_shared_vgpr_count 0
		.amdhsa_exception_fp_ieee_invalid_op 0
		.amdhsa_exception_fp_denorm_src 0
		.amdhsa_exception_fp_ieee_div_zero 0
		.amdhsa_exception_fp_ieee_overflow 0
		.amdhsa_exception_fp_ieee_underflow 0
		.amdhsa_exception_fp_ieee_inexact 0
		.amdhsa_exception_int_div_zero 0
	.end_amdhsa_kernel
	.section	.text._ZN7rocprim17ROCPRIM_400000_NS6detail17trampoline_kernelINS0_14default_configENS1_27lower_bound_config_selectorItlEEZNS1_14transform_implILb0ES3_S5_N6thrust23THRUST_200600_302600_NS6detail15normal_iteratorINS8_7pointerItNS8_11hip_rocprim5par_tENS8_11use_defaultESE_EEEENSA_INSB_IlSD_SE_SE_EEEEZNS1_13binary_searchIS3_S5_NSA_INS8_10device_ptrItEEEESG_SI_NS1_21lower_bound_search_opENS9_16wrapped_functionINS8_6system6detail7generic6detail18binary_search_lessEbEEEE10hipError_tPvRmT1_T2_T3_mmT4_T5_P12ihipStream_tbEUlRKtE_EESV_SZ_S10_mS11_S14_bEUlT_E_NS1_11comp_targetILNS1_3genE8ELNS1_11target_archE1030ELNS1_3gpuE2ELNS1_3repE0EEENS1_30default_config_static_selectorELNS0_4arch9wavefront6targetE0EEEvSY_,"axG",@progbits,_ZN7rocprim17ROCPRIM_400000_NS6detail17trampoline_kernelINS0_14default_configENS1_27lower_bound_config_selectorItlEEZNS1_14transform_implILb0ES3_S5_N6thrust23THRUST_200600_302600_NS6detail15normal_iteratorINS8_7pointerItNS8_11hip_rocprim5par_tENS8_11use_defaultESE_EEEENSA_INSB_IlSD_SE_SE_EEEEZNS1_13binary_searchIS3_S5_NSA_INS8_10device_ptrItEEEESG_SI_NS1_21lower_bound_search_opENS9_16wrapped_functionINS8_6system6detail7generic6detail18binary_search_lessEbEEEE10hipError_tPvRmT1_T2_T3_mmT4_T5_P12ihipStream_tbEUlRKtE_EESV_SZ_S10_mS11_S14_bEUlT_E_NS1_11comp_targetILNS1_3genE8ELNS1_11target_archE1030ELNS1_3gpuE2ELNS1_3repE0EEENS1_30default_config_static_selectorELNS0_4arch9wavefront6targetE0EEEvSY_,comdat
.Lfunc_end384:
	.size	_ZN7rocprim17ROCPRIM_400000_NS6detail17trampoline_kernelINS0_14default_configENS1_27lower_bound_config_selectorItlEEZNS1_14transform_implILb0ES3_S5_N6thrust23THRUST_200600_302600_NS6detail15normal_iteratorINS8_7pointerItNS8_11hip_rocprim5par_tENS8_11use_defaultESE_EEEENSA_INSB_IlSD_SE_SE_EEEEZNS1_13binary_searchIS3_S5_NSA_INS8_10device_ptrItEEEESG_SI_NS1_21lower_bound_search_opENS9_16wrapped_functionINS8_6system6detail7generic6detail18binary_search_lessEbEEEE10hipError_tPvRmT1_T2_T3_mmT4_T5_P12ihipStream_tbEUlRKtE_EESV_SZ_S10_mS11_S14_bEUlT_E_NS1_11comp_targetILNS1_3genE8ELNS1_11target_archE1030ELNS1_3gpuE2ELNS1_3repE0EEENS1_30default_config_static_selectorELNS0_4arch9wavefront6targetE0EEEvSY_, .Lfunc_end384-_ZN7rocprim17ROCPRIM_400000_NS6detail17trampoline_kernelINS0_14default_configENS1_27lower_bound_config_selectorItlEEZNS1_14transform_implILb0ES3_S5_N6thrust23THRUST_200600_302600_NS6detail15normal_iteratorINS8_7pointerItNS8_11hip_rocprim5par_tENS8_11use_defaultESE_EEEENSA_INSB_IlSD_SE_SE_EEEEZNS1_13binary_searchIS3_S5_NSA_INS8_10device_ptrItEEEESG_SI_NS1_21lower_bound_search_opENS9_16wrapped_functionINS8_6system6detail7generic6detail18binary_search_lessEbEEEE10hipError_tPvRmT1_T2_T3_mmT4_T5_P12ihipStream_tbEUlRKtE_EESV_SZ_S10_mS11_S14_bEUlT_E_NS1_11comp_targetILNS1_3genE8ELNS1_11target_archE1030ELNS1_3gpuE2ELNS1_3repE0EEENS1_30default_config_static_selectorELNS0_4arch9wavefront6targetE0EEEvSY_
                                        ; -- End function
	.set _ZN7rocprim17ROCPRIM_400000_NS6detail17trampoline_kernelINS0_14default_configENS1_27lower_bound_config_selectorItlEEZNS1_14transform_implILb0ES3_S5_N6thrust23THRUST_200600_302600_NS6detail15normal_iteratorINS8_7pointerItNS8_11hip_rocprim5par_tENS8_11use_defaultESE_EEEENSA_INSB_IlSD_SE_SE_EEEEZNS1_13binary_searchIS3_S5_NSA_INS8_10device_ptrItEEEESG_SI_NS1_21lower_bound_search_opENS9_16wrapped_functionINS8_6system6detail7generic6detail18binary_search_lessEbEEEE10hipError_tPvRmT1_T2_T3_mmT4_T5_P12ihipStream_tbEUlRKtE_EESV_SZ_S10_mS11_S14_bEUlT_E_NS1_11comp_targetILNS1_3genE8ELNS1_11target_archE1030ELNS1_3gpuE2ELNS1_3repE0EEENS1_30default_config_static_selectorELNS0_4arch9wavefront6targetE0EEEvSY_.num_vgpr, 17
	.set _ZN7rocprim17ROCPRIM_400000_NS6detail17trampoline_kernelINS0_14default_configENS1_27lower_bound_config_selectorItlEEZNS1_14transform_implILb0ES3_S5_N6thrust23THRUST_200600_302600_NS6detail15normal_iteratorINS8_7pointerItNS8_11hip_rocprim5par_tENS8_11use_defaultESE_EEEENSA_INSB_IlSD_SE_SE_EEEEZNS1_13binary_searchIS3_S5_NSA_INS8_10device_ptrItEEEESG_SI_NS1_21lower_bound_search_opENS9_16wrapped_functionINS8_6system6detail7generic6detail18binary_search_lessEbEEEE10hipError_tPvRmT1_T2_T3_mmT4_T5_P12ihipStream_tbEUlRKtE_EESV_SZ_S10_mS11_S14_bEUlT_E_NS1_11comp_targetILNS1_3genE8ELNS1_11target_archE1030ELNS1_3gpuE2ELNS1_3repE0EEENS1_30default_config_static_selectorELNS0_4arch9wavefront6targetE0EEEvSY_.num_agpr, 0
	.set _ZN7rocprim17ROCPRIM_400000_NS6detail17trampoline_kernelINS0_14default_configENS1_27lower_bound_config_selectorItlEEZNS1_14transform_implILb0ES3_S5_N6thrust23THRUST_200600_302600_NS6detail15normal_iteratorINS8_7pointerItNS8_11hip_rocprim5par_tENS8_11use_defaultESE_EEEENSA_INSB_IlSD_SE_SE_EEEEZNS1_13binary_searchIS3_S5_NSA_INS8_10device_ptrItEEEESG_SI_NS1_21lower_bound_search_opENS9_16wrapped_functionINS8_6system6detail7generic6detail18binary_search_lessEbEEEE10hipError_tPvRmT1_T2_T3_mmT4_T5_P12ihipStream_tbEUlRKtE_EESV_SZ_S10_mS11_S14_bEUlT_E_NS1_11comp_targetILNS1_3genE8ELNS1_11target_archE1030ELNS1_3gpuE2ELNS1_3repE0EEENS1_30default_config_static_selectorELNS0_4arch9wavefront6targetE0EEEvSY_.numbered_sgpr, 20
	.set _ZN7rocprim17ROCPRIM_400000_NS6detail17trampoline_kernelINS0_14default_configENS1_27lower_bound_config_selectorItlEEZNS1_14transform_implILb0ES3_S5_N6thrust23THRUST_200600_302600_NS6detail15normal_iteratorINS8_7pointerItNS8_11hip_rocprim5par_tENS8_11use_defaultESE_EEEENSA_INSB_IlSD_SE_SE_EEEEZNS1_13binary_searchIS3_S5_NSA_INS8_10device_ptrItEEEESG_SI_NS1_21lower_bound_search_opENS9_16wrapped_functionINS8_6system6detail7generic6detail18binary_search_lessEbEEEE10hipError_tPvRmT1_T2_T3_mmT4_T5_P12ihipStream_tbEUlRKtE_EESV_SZ_S10_mS11_S14_bEUlT_E_NS1_11comp_targetILNS1_3genE8ELNS1_11target_archE1030ELNS1_3gpuE2ELNS1_3repE0EEENS1_30default_config_static_selectorELNS0_4arch9wavefront6targetE0EEEvSY_.num_named_barrier, 0
	.set _ZN7rocprim17ROCPRIM_400000_NS6detail17trampoline_kernelINS0_14default_configENS1_27lower_bound_config_selectorItlEEZNS1_14transform_implILb0ES3_S5_N6thrust23THRUST_200600_302600_NS6detail15normal_iteratorINS8_7pointerItNS8_11hip_rocprim5par_tENS8_11use_defaultESE_EEEENSA_INSB_IlSD_SE_SE_EEEEZNS1_13binary_searchIS3_S5_NSA_INS8_10device_ptrItEEEESG_SI_NS1_21lower_bound_search_opENS9_16wrapped_functionINS8_6system6detail7generic6detail18binary_search_lessEbEEEE10hipError_tPvRmT1_T2_T3_mmT4_T5_P12ihipStream_tbEUlRKtE_EESV_SZ_S10_mS11_S14_bEUlT_E_NS1_11comp_targetILNS1_3genE8ELNS1_11target_archE1030ELNS1_3gpuE2ELNS1_3repE0EEENS1_30default_config_static_selectorELNS0_4arch9wavefront6targetE0EEEvSY_.private_seg_size, 0
	.set _ZN7rocprim17ROCPRIM_400000_NS6detail17trampoline_kernelINS0_14default_configENS1_27lower_bound_config_selectorItlEEZNS1_14transform_implILb0ES3_S5_N6thrust23THRUST_200600_302600_NS6detail15normal_iteratorINS8_7pointerItNS8_11hip_rocprim5par_tENS8_11use_defaultESE_EEEENSA_INSB_IlSD_SE_SE_EEEEZNS1_13binary_searchIS3_S5_NSA_INS8_10device_ptrItEEEESG_SI_NS1_21lower_bound_search_opENS9_16wrapped_functionINS8_6system6detail7generic6detail18binary_search_lessEbEEEE10hipError_tPvRmT1_T2_T3_mmT4_T5_P12ihipStream_tbEUlRKtE_EESV_SZ_S10_mS11_S14_bEUlT_E_NS1_11comp_targetILNS1_3genE8ELNS1_11target_archE1030ELNS1_3gpuE2ELNS1_3repE0EEENS1_30default_config_static_selectorELNS0_4arch9wavefront6targetE0EEEvSY_.uses_vcc, 1
	.set _ZN7rocprim17ROCPRIM_400000_NS6detail17trampoline_kernelINS0_14default_configENS1_27lower_bound_config_selectorItlEEZNS1_14transform_implILb0ES3_S5_N6thrust23THRUST_200600_302600_NS6detail15normal_iteratorINS8_7pointerItNS8_11hip_rocprim5par_tENS8_11use_defaultESE_EEEENSA_INSB_IlSD_SE_SE_EEEEZNS1_13binary_searchIS3_S5_NSA_INS8_10device_ptrItEEEESG_SI_NS1_21lower_bound_search_opENS9_16wrapped_functionINS8_6system6detail7generic6detail18binary_search_lessEbEEEE10hipError_tPvRmT1_T2_T3_mmT4_T5_P12ihipStream_tbEUlRKtE_EESV_SZ_S10_mS11_S14_bEUlT_E_NS1_11comp_targetILNS1_3genE8ELNS1_11target_archE1030ELNS1_3gpuE2ELNS1_3repE0EEENS1_30default_config_static_selectorELNS0_4arch9wavefront6targetE0EEEvSY_.uses_flat_scratch, 1
	.set _ZN7rocprim17ROCPRIM_400000_NS6detail17trampoline_kernelINS0_14default_configENS1_27lower_bound_config_selectorItlEEZNS1_14transform_implILb0ES3_S5_N6thrust23THRUST_200600_302600_NS6detail15normal_iteratorINS8_7pointerItNS8_11hip_rocprim5par_tENS8_11use_defaultESE_EEEENSA_INSB_IlSD_SE_SE_EEEEZNS1_13binary_searchIS3_S5_NSA_INS8_10device_ptrItEEEESG_SI_NS1_21lower_bound_search_opENS9_16wrapped_functionINS8_6system6detail7generic6detail18binary_search_lessEbEEEE10hipError_tPvRmT1_T2_T3_mmT4_T5_P12ihipStream_tbEUlRKtE_EESV_SZ_S10_mS11_S14_bEUlT_E_NS1_11comp_targetILNS1_3genE8ELNS1_11target_archE1030ELNS1_3gpuE2ELNS1_3repE0EEENS1_30default_config_static_selectorELNS0_4arch9wavefront6targetE0EEEvSY_.has_dyn_sized_stack, 0
	.set _ZN7rocprim17ROCPRIM_400000_NS6detail17trampoline_kernelINS0_14default_configENS1_27lower_bound_config_selectorItlEEZNS1_14transform_implILb0ES3_S5_N6thrust23THRUST_200600_302600_NS6detail15normal_iteratorINS8_7pointerItNS8_11hip_rocprim5par_tENS8_11use_defaultESE_EEEENSA_INSB_IlSD_SE_SE_EEEEZNS1_13binary_searchIS3_S5_NSA_INS8_10device_ptrItEEEESG_SI_NS1_21lower_bound_search_opENS9_16wrapped_functionINS8_6system6detail7generic6detail18binary_search_lessEbEEEE10hipError_tPvRmT1_T2_T3_mmT4_T5_P12ihipStream_tbEUlRKtE_EESV_SZ_S10_mS11_S14_bEUlT_E_NS1_11comp_targetILNS1_3genE8ELNS1_11target_archE1030ELNS1_3gpuE2ELNS1_3repE0EEENS1_30default_config_static_selectorELNS0_4arch9wavefront6targetE0EEEvSY_.has_recursion, 0
	.set _ZN7rocprim17ROCPRIM_400000_NS6detail17trampoline_kernelINS0_14default_configENS1_27lower_bound_config_selectorItlEEZNS1_14transform_implILb0ES3_S5_N6thrust23THRUST_200600_302600_NS6detail15normal_iteratorINS8_7pointerItNS8_11hip_rocprim5par_tENS8_11use_defaultESE_EEEENSA_INSB_IlSD_SE_SE_EEEEZNS1_13binary_searchIS3_S5_NSA_INS8_10device_ptrItEEEESG_SI_NS1_21lower_bound_search_opENS9_16wrapped_functionINS8_6system6detail7generic6detail18binary_search_lessEbEEEE10hipError_tPvRmT1_T2_T3_mmT4_T5_P12ihipStream_tbEUlRKtE_EESV_SZ_S10_mS11_S14_bEUlT_E_NS1_11comp_targetILNS1_3genE8ELNS1_11target_archE1030ELNS1_3gpuE2ELNS1_3repE0EEENS1_30default_config_static_selectorELNS0_4arch9wavefront6targetE0EEEvSY_.has_indirect_call, 0
	.section	.AMDGPU.csdata,"",@progbits
; Kernel info:
; codeLenInByte = 2672
; TotalNumSgprs: 22
; NumVgprs: 17
; ScratchSize: 0
; MemoryBound: 0
; FloatMode: 240
; IeeeMode: 1
; LDSByteSize: 0 bytes/workgroup (compile time only)
; SGPRBlocks: 0
; VGPRBlocks: 2
; NumSGPRsForWavesPerEU: 22
; NumVGPRsForWavesPerEU: 17
; Occupancy: 16
; WaveLimiterHint : 1
; COMPUTE_PGM_RSRC2:SCRATCH_EN: 0
; COMPUTE_PGM_RSRC2:USER_SGPR: 6
; COMPUTE_PGM_RSRC2:TRAP_HANDLER: 0
; COMPUTE_PGM_RSRC2:TGID_X_EN: 1
; COMPUTE_PGM_RSRC2:TGID_Y_EN: 0
; COMPUTE_PGM_RSRC2:TGID_Z_EN: 0
; COMPUTE_PGM_RSRC2:TIDIG_COMP_CNT: 0
	.section	.text._ZN7rocprim17ROCPRIM_400000_NS6detail17trampoline_kernelINS0_14default_configENS1_27lower_bound_config_selectorIxlEEZNS1_14transform_implILb0ES3_S5_N6thrust23THRUST_200600_302600_NS6detail15normal_iteratorINS8_7pointerIxNS8_11hip_rocprim5par_tENS8_11use_defaultESE_EEEENSA_INSB_IlSD_SE_SE_EEEEZNS1_13binary_searchIS3_S5_NSA_INS8_10device_ptrIxEEEESG_SI_NS1_21lower_bound_search_opENS9_16wrapped_functionINS8_6system6detail7generic6detail18binary_search_lessEbEEEE10hipError_tPvRmT1_T2_T3_mmT4_T5_P12ihipStream_tbEUlRKxE_EESV_SZ_S10_mS11_S14_bEUlT_E_NS1_11comp_targetILNS1_3genE0ELNS1_11target_archE4294967295ELNS1_3gpuE0ELNS1_3repE0EEENS1_30default_config_static_selectorELNS0_4arch9wavefront6targetE0EEEvSY_,"axG",@progbits,_ZN7rocprim17ROCPRIM_400000_NS6detail17trampoline_kernelINS0_14default_configENS1_27lower_bound_config_selectorIxlEEZNS1_14transform_implILb0ES3_S5_N6thrust23THRUST_200600_302600_NS6detail15normal_iteratorINS8_7pointerIxNS8_11hip_rocprim5par_tENS8_11use_defaultESE_EEEENSA_INSB_IlSD_SE_SE_EEEEZNS1_13binary_searchIS3_S5_NSA_INS8_10device_ptrIxEEEESG_SI_NS1_21lower_bound_search_opENS9_16wrapped_functionINS8_6system6detail7generic6detail18binary_search_lessEbEEEE10hipError_tPvRmT1_T2_T3_mmT4_T5_P12ihipStream_tbEUlRKxE_EESV_SZ_S10_mS11_S14_bEUlT_E_NS1_11comp_targetILNS1_3genE0ELNS1_11target_archE4294967295ELNS1_3gpuE0ELNS1_3repE0EEENS1_30default_config_static_selectorELNS0_4arch9wavefront6targetE0EEEvSY_,comdat
	.protected	_ZN7rocprim17ROCPRIM_400000_NS6detail17trampoline_kernelINS0_14default_configENS1_27lower_bound_config_selectorIxlEEZNS1_14transform_implILb0ES3_S5_N6thrust23THRUST_200600_302600_NS6detail15normal_iteratorINS8_7pointerIxNS8_11hip_rocprim5par_tENS8_11use_defaultESE_EEEENSA_INSB_IlSD_SE_SE_EEEEZNS1_13binary_searchIS3_S5_NSA_INS8_10device_ptrIxEEEESG_SI_NS1_21lower_bound_search_opENS9_16wrapped_functionINS8_6system6detail7generic6detail18binary_search_lessEbEEEE10hipError_tPvRmT1_T2_T3_mmT4_T5_P12ihipStream_tbEUlRKxE_EESV_SZ_S10_mS11_S14_bEUlT_E_NS1_11comp_targetILNS1_3genE0ELNS1_11target_archE4294967295ELNS1_3gpuE0ELNS1_3repE0EEENS1_30default_config_static_selectorELNS0_4arch9wavefront6targetE0EEEvSY_ ; -- Begin function _ZN7rocprim17ROCPRIM_400000_NS6detail17trampoline_kernelINS0_14default_configENS1_27lower_bound_config_selectorIxlEEZNS1_14transform_implILb0ES3_S5_N6thrust23THRUST_200600_302600_NS6detail15normal_iteratorINS8_7pointerIxNS8_11hip_rocprim5par_tENS8_11use_defaultESE_EEEENSA_INSB_IlSD_SE_SE_EEEEZNS1_13binary_searchIS3_S5_NSA_INS8_10device_ptrIxEEEESG_SI_NS1_21lower_bound_search_opENS9_16wrapped_functionINS8_6system6detail7generic6detail18binary_search_lessEbEEEE10hipError_tPvRmT1_T2_T3_mmT4_T5_P12ihipStream_tbEUlRKxE_EESV_SZ_S10_mS11_S14_bEUlT_E_NS1_11comp_targetILNS1_3genE0ELNS1_11target_archE4294967295ELNS1_3gpuE0ELNS1_3repE0EEENS1_30default_config_static_selectorELNS0_4arch9wavefront6targetE0EEEvSY_
	.globl	_ZN7rocprim17ROCPRIM_400000_NS6detail17trampoline_kernelINS0_14default_configENS1_27lower_bound_config_selectorIxlEEZNS1_14transform_implILb0ES3_S5_N6thrust23THRUST_200600_302600_NS6detail15normal_iteratorINS8_7pointerIxNS8_11hip_rocprim5par_tENS8_11use_defaultESE_EEEENSA_INSB_IlSD_SE_SE_EEEEZNS1_13binary_searchIS3_S5_NSA_INS8_10device_ptrIxEEEESG_SI_NS1_21lower_bound_search_opENS9_16wrapped_functionINS8_6system6detail7generic6detail18binary_search_lessEbEEEE10hipError_tPvRmT1_T2_T3_mmT4_T5_P12ihipStream_tbEUlRKxE_EESV_SZ_S10_mS11_S14_bEUlT_E_NS1_11comp_targetILNS1_3genE0ELNS1_11target_archE4294967295ELNS1_3gpuE0ELNS1_3repE0EEENS1_30default_config_static_selectorELNS0_4arch9wavefront6targetE0EEEvSY_
	.p2align	8
	.type	_ZN7rocprim17ROCPRIM_400000_NS6detail17trampoline_kernelINS0_14default_configENS1_27lower_bound_config_selectorIxlEEZNS1_14transform_implILb0ES3_S5_N6thrust23THRUST_200600_302600_NS6detail15normal_iteratorINS8_7pointerIxNS8_11hip_rocprim5par_tENS8_11use_defaultESE_EEEENSA_INSB_IlSD_SE_SE_EEEEZNS1_13binary_searchIS3_S5_NSA_INS8_10device_ptrIxEEEESG_SI_NS1_21lower_bound_search_opENS9_16wrapped_functionINS8_6system6detail7generic6detail18binary_search_lessEbEEEE10hipError_tPvRmT1_T2_T3_mmT4_T5_P12ihipStream_tbEUlRKxE_EESV_SZ_S10_mS11_S14_bEUlT_E_NS1_11comp_targetILNS1_3genE0ELNS1_11target_archE4294967295ELNS1_3gpuE0ELNS1_3repE0EEENS1_30default_config_static_selectorELNS0_4arch9wavefront6targetE0EEEvSY_,@function
_ZN7rocprim17ROCPRIM_400000_NS6detail17trampoline_kernelINS0_14default_configENS1_27lower_bound_config_selectorIxlEEZNS1_14transform_implILb0ES3_S5_N6thrust23THRUST_200600_302600_NS6detail15normal_iteratorINS8_7pointerIxNS8_11hip_rocprim5par_tENS8_11use_defaultESE_EEEENSA_INSB_IlSD_SE_SE_EEEEZNS1_13binary_searchIS3_S5_NSA_INS8_10device_ptrIxEEEESG_SI_NS1_21lower_bound_search_opENS9_16wrapped_functionINS8_6system6detail7generic6detail18binary_search_lessEbEEEE10hipError_tPvRmT1_T2_T3_mmT4_T5_P12ihipStream_tbEUlRKxE_EESV_SZ_S10_mS11_S14_bEUlT_E_NS1_11comp_targetILNS1_3genE0ELNS1_11target_archE4294967295ELNS1_3gpuE0ELNS1_3repE0EEENS1_30default_config_static_selectorELNS0_4arch9wavefront6targetE0EEEvSY_: ; @_ZN7rocprim17ROCPRIM_400000_NS6detail17trampoline_kernelINS0_14default_configENS1_27lower_bound_config_selectorIxlEEZNS1_14transform_implILb0ES3_S5_N6thrust23THRUST_200600_302600_NS6detail15normal_iteratorINS8_7pointerIxNS8_11hip_rocprim5par_tENS8_11use_defaultESE_EEEENSA_INSB_IlSD_SE_SE_EEEEZNS1_13binary_searchIS3_S5_NSA_INS8_10device_ptrIxEEEESG_SI_NS1_21lower_bound_search_opENS9_16wrapped_functionINS8_6system6detail7generic6detail18binary_search_lessEbEEEE10hipError_tPvRmT1_T2_T3_mmT4_T5_P12ihipStream_tbEUlRKxE_EESV_SZ_S10_mS11_S14_bEUlT_E_NS1_11comp_targetILNS1_3genE0ELNS1_11target_archE4294967295ELNS1_3gpuE0ELNS1_3repE0EEENS1_30default_config_static_selectorELNS0_4arch9wavefront6targetE0EEEvSY_
; %bb.0:
	.section	.rodata,"a",@progbits
	.p2align	6, 0x0
	.amdhsa_kernel _ZN7rocprim17ROCPRIM_400000_NS6detail17trampoline_kernelINS0_14default_configENS1_27lower_bound_config_selectorIxlEEZNS1_14transform_implILb0ES3_S5_N6thrust23THRUST_200600_302600_NS6detail15normal_iteratorINS8_7pointerIxNS8_11hip_rocprim5par_tENS8_11use_defaultESE_EEEENSA_INSB_IlSD_SE_SE_EEEEZNS1_13binary_searchIS3_S5_NSA_INS8_10device_ptrIxEEEESG_SI_NS1_21lower_bound_search_opENS9_16wrapped_functionINS8_6system6detail7generic6detail18binary_search_lessEbEEEE10hipError_tPvRmT1_T2_T3_mmT4_T5_P12ihipStream_tbEUlRKxE_EESV_SZ_S10_mS11_S14_bEUlT_E_NS1_11comp_targetILNS1_3genE0ELNS1_11target_archE4294967295ELNS1_3gpuE0ELNS1_3repE0EEENS1_30default_config_static_selectorELNS0_4arch9wavefront6targetE0EEEvSY_
		.amdhsa_group_segment_fixed_size 0
		.amdhsa_private_segment_fixed_size 0
		.amdhsa_kernarg_size 56
		.amdhsa_user_sgpr_count 6
		.amdhsa_user_sgpr_private_segment_buffer 1
		.amdhsa_user_sgpr_dispatch_ptr 0
		.amdhsa_user_sgpr_queue_ptr 0
		.amdhsa_user_sgpr_kernarg_segment_ptr 1
		.amdhsa_user_sgpr_dispatch_id 0
		.amdhsa_user_sgpr_flat_scratch_init 0
		.amdhsa_user_sgpr_private_segment_size 0
		.amdhsa_wavefront_size32 1
		.amdhsa_uses_dynamic_stack 0
		.amdhsa_system_sgpr_private_segment_wavefront_offset 0
		.amdhsa_system_sgpr_workgroup_id_x 1
		.amdhsa_system_sgpr_workgroup_id_y 0
		.amdhsa_system_sgpr_workgroup_id_z 0
		.amdhsa_system_sgpr_workgroup_info 0
		.amdhsa_system_vgpr_workitem_id 0
		.amdhsa_next_free_vgpr 1
		.amdhsa_next_free_sgpr 1
		.amdhsa_reserve_vcc 0
		.amdhsa_reserve_flat_scratch 0
		.amdhsa_float_round_mode_32 0
		.amdhsa_float_round_mode_16_64 0
		.amdhsa_float_denorm_mode_32 3
		.amdhsa_float_denorm_mode_16_64 3
		.amdhsa_dx10_clamp 1
		.amdhsa_ieee_mode 1
		.amdhsa_fp16_overflow 0
		.amdhsa_workgroup_processor_mode 1
		.amdhsa_memory_ordered 1
		.amdhsa_forward_progress 1
		.amdhsa_shared_vgpr_count 0
		.amdhsa_exception_fp_ieee_invalid_op 0
		.amdhsa_exception_fp_denorm_src 0
		.amdhsa_exception_fp_ieee_div_zero 0
		.amdhsa_exception_fp_ieee_overflow 0
		.amdhsa_exception_fp_ieee_underflow 0
		.amdhsa_exception_fp_ieee_inexact 0
		.amdhsa_exception_int_div_zero 0
	.end_amdhsa_kernel
	.section	.text._ZN7rocprim17ROCPRIM_400000_NS6detail17trampoline_kernelINS0_14default_configENS1_27lower_bound_config_selectorIxlEEZNS1_14transform_implILb0ES3_S5_N6thrust23THRUST_200600_302600_NS6detail15normal_iteratorINS8_7pointerIxNS8_11hip_rocprim5par_tENS8_11use_defaultESE_EEEENSA_INSB_IlSD_SE_SE_EEEEZNS1_13binary_searchIS3_S5_NSA_INS8_10device_ptrIxEEEESG_SI_NS1_21lower_bound_search_opENS9_16wrapped_functionINS8_6system6detail7generic6detail18binary_search_lessEbEEEE10hipError_tPvRmT1_T2_T3_mmT4_T5_P12ihipStream_tbEUlRKxE_EESV_SZ_S10_mS11_S14_bEUlT_E_NS1_11comp_targetILNS1_3genE0ELNS1_11target_archE4294967295ELNS1_3gpuE0ELNS1_3repE0EEENS1_30default_config_static_selectorELNS0_4arch9wavefront6targetE0EEEvSY_,"axG",@progbits,_ZN7rocprim17ROCPRIM_400000_NS6detail17trampoline_kernelINS0_14default_configENS1_27lower_bound_config_selectorIxlEEZNS1_14transform_implILb0ES3_S5_N6thrust23THRUST_200600_302600_NS6detail15normal_iteratorINS8_7pointerIxNS8_11hip_rocprim5par_tENS8_11use_defaultESE_EEEENSA_INSB_IlSD_SE_SE_EEEEZNS1_13binary_searchIS3_S5_NSA_INS8_10device_ptrIxEEEESG_SI_NS1_21lower_bound_search_opENS9_16wrapped_functionINS8_6system6detail7generic6detail18binary_search_lessEbEEEE10hipError_tPvRmT1_T2_T3_mmT4_T5_P12ihipStream_tbEUlRKxE_EESV_SZ_S10_mS11_S14_bEUlT_E_NS1_11comp_targetILNS1_3genE0ELNS1_11target_archE4294967295ELNS1_3gpuE0ELNS1_3repE0EEENS1_30default_config_static_selectorELNS0_4arch9wavefront6targetE0EEEvSY_,comdat
.Lfunc_end385:
	.size	_ZN7rocprim17ROCPRIM_400000_NS6detail17trampoline_kernelINS0_14default_configENS1_27lower_bound_config_selectorIxlEEZNS1_14transform_implILb0ES3_S5_N6thrust23THRUST_200600_302600_NS6detail15normal_iteratorINS8_7pointerIxNS8_11hip_rocprim5par_tENS8_11use_defaultESE_EEEENSA_INSB_IlSD_SE_SE_EEEEZNS1_13binary_searchIS3_S5_NSA_INS8_10device_ptrIxEEEESG_SI_NS1_21lower_bound_search_opENS9_16wrapped_functionINS8_6system6detail7generic6detail18binary_search_lessEbEEEE10hipError_tPvRmT1_T2_T3_mmT4_T5_P12ihipStream_tbEUlRKxE_EESV_SZ_S10_mS11_S14_bEUlT_E_NS1_11comp_targetILNS1_3genE0ELNS1_11target_archE4294967295ELNS1_3gpuE0ELNS1_3repE0EEENS1_30default_config_static_selectorELNS0_4arch9wavefront6targetE0EEEvSY_, .Lfunc_end385-_ZN7rocprim17ROCPRIM_400000_NS6detail17trampoline_kernelINS0_14default_configENS1_27lower_bound_config_selectorIxlEEZNS1_14transform_implILb0ES3_S5_N6thrust23THRUST_200600_302600_NS6detail15normal_iteratorINS8_7pointerIxNS8_11hip_rocprim5par_tENS8_11use_defaultESE_EEEENSA_INSB_IlSD_SE_SE_EEEEZNS1_13binary_searchIS3_S5_NSA_INS8_10device_ptrIxEEEESG_SI_NS1_21lower_bound_search_opENS9_16wrapped_functionINS8_6system6detail7generic6detail18binary_search_lessEbEEEE10hipError_tPvRmT1_T2_T3_mmT4_T5_P12ihipStream_tbEUlRKxE_EESV_SZ_S10_mS11_S14_bEUlT_E_NS1_11comp_targetILNS1_3genE0ELNS1_11target_archE4294967295ELNS1_3gpuE0ELNS1_3repE0EEENS1_30default_config_static_selectorELNS0_4arch9wavefront6targetE0EEEvSY_
                                        ; -- End function
	.set _ZN7rocprim17ROCPRIM_400000_NS6detail17trampoline_kernelINS0_14default_configENS1_27lower_bound_config_selectorIxlEEZNS1_14transform_implILb0ES3_S5_N6thrust23THRUST_200600_302600_NS6detail15normal_iteratorINS8_7pointerIxNS8_11hip_rocprim5par_tENS8_11use_defaultESE_EEEENSA_INSB_IlSD_SE_SE_EEEEZNS1_13binary_searchIS3_S5_NSA_INS8_10device_ptrIxEEEESG_SI_NS1_21lower_bound_search_opENS9_16wrapped_functionINS8_6system6detail7generic6detail18binary_search_lessEbEEEE10hipError_tPvRmT1_T2_T3_mmT4_T5_P12ihipStream_tbEUlRKxE_EESV_SZ_S10_mS11_S14_bEUlT_E_NS1_11comp_targetILNS1_3genE0ELNS1_11target_archE4294967295ELNS1_3gpuE0ELNS1_3repE0EEENS1_30default_config_static_selectorELNS0_4arch9wavefront6targetE0EEEvSY_.num_vgpr, 0
	.set _ZN7rocprim17ROCPRIM_400000_NS6detail17trampoline_kernelINS0_14default_configENS1_27lower_bound_config_selectorIxlEEZNS1_14transform_implILb0ES3_S5_N6thrust23THRUST_200600_302600_NS6detail15normal_iteratorINS8_7pointerIxNS8_11hip_rocprim5par_tENS8_11use_defaultESE_EEEENSA_INSB_IlSD_SE_SE_EEEEZNS1_13binary_searchIS3_S5_NSA_INS8_10device_ptrIxEEEESG_SI_NS1_21lower_bound_search_opENS9_16wrapped_functionINS8_6system6detail7generic6detail18binary_search_lessEbEEEE10hipError_tPvRmT1_T2_T3_mmT4_T5_P12ihipStream_tbEUlRKxE_EESV_SZ_S10_mS11_S14_bEUlT_E_NS1_11comp_targetILNS1_3genE0ELNS1_11target_archE4294967295ELNS1_3gpuE0ELNS1_3repE0EEENS1_30default_config_static_selectorELNS0_4arch9wavefront6targetE0EEEvSY_.num_agpr, 0
	.set _ZN7rocprim17ROCPRIM_400000_NS6detail17trampoline_kernelINS0_14default_configENS1_27lower_bound_config_selectorIxlEEZNS1_14transform_implILb0ES3_S5_N6thrust23THRUST_200600_302600_NS6detail15normal_iteratorINS8_7pointerIxNS8_11hip_rocprim5par_tENS8_11use_defaultESE_EEEENSA_INSB_IlSD_SE_SE_EEEEZNS1_13binary_searchIS3_S5_NSA_INS8_10device_ptrIxEEEESG_SI_NS1_21lower_bound_search_opENS9_16wrapped_functionINS8_6system6detail7generic6detail18binary_search_lessEbEEEE10hipError_tPvRmT1_T2_T3_mmT4_T5_P12ihipStream_tbEUlRKxE_EESV_SZ_S10_mS11_S14_bEUlT_E_NS1_11comp_targetILNS1_3genE0ELNS1_11target_archE4294967295ELNS1_3gpuE0ELNS1_3repE0EEENS1_30default_config_static_selectorELNS0_4arch9wavefront6targetE0EEEvSY_.numbered_sgpr, 0
	.set _ZN7rocprim17ROCPRIM_400000_NS6detail17trampoline_kernelINS0_14default_configENS1_27lower_bound_config_selectorIxlEEZNS1_14transform_implILb0ES3_S5_N6thrust23THRUST_200600_302600_NS6detail15normal_iteratorINS8_7pointerIxNS8_11hip_rocprim5par_tENS8_11use_defaultESE_EEEENSA_INSB_IlSD_SE_SE_EEEEZNS1_13binary_searchIS3_S5_NSA_INS8_10device_ptrIxEEEESG_SI_NS1_21lower_bound_search_opENS9_16wrapped_functionINS8_6system6detail7generic6detail18binary_search_lessEbEEEE10hipError_tPvRmT1_T2_T3_mmT4_T5_P12ihipStream_tbEUlRKxE_EESV_SZ_S10_mS11_S14_bEUlT_E_NS1_11comp_targetILNS1_3genE0ELNS1_11target_archE4294967295ELNS1_3gpuE0ELNS1_3repE0EEENS1_30default_config_static_selectorELNS0_4arch9wavefront6targetE0EEEvSY_.num_named_barrier, 0
	.set _ZN7rocprim17ROCPRIM_400000_NS6detail17trampoline_kernelINS0_14default_configENS1_27lower_bound_config_selectorIxlEEZNS1_14transform_implILb0ES3_S5_N6thrust23THRUST_200600_302600_NS6detail15normal_iteratorINS8_7pointerIxNS8_11hip_rocprim5par_tENS8_11use_defaultESE_EEEENSA_INSB_IlSD_SE_SE_EEEEZNS1_13binary_searchIS3_S5_NSA_INS8_10device_ptrIxEEEESG_SI_NS1_21lower_bound_search_opENS9_16wrapped_functionINS8_6system6detail7generic6detail18binary_search_lessEbEEEE10hipError_tPvRmT1_T2_T3_mmT4_T5_P12ihipStream_tbEUlRKxE_EESV_SZ_S10_mS11_S14_bEUlT_E_NS1_11comp_targetILNS1_3genE0ELNS1_11target_archE4294967295ELNS1_3gpuE0ELNS1_3repE0EEENS1_30default_config_static_selectorELNS0_4arch9wavefront6targetE0EEEvSY_.private_seg_size, 0
	.set _ZN7rocprim17ROCPRIM_400000_NS6detail17trampoline_kernelINS0_14default_configENS1_27lower_bound_config_selectorIxlEEZNS1_14transform_implILb0ES3_S5_N6thrust23THRUST_200600_302600_NS6detail15normal_iteratorINS8_7pointerIxNS8_11hip_rocprim5par_tENS8_11use_defaultESE_EEEENSA_INSB_IlSD_SE_SE_EEEEZNS1_13binary_searchIS3_S5_NSA_INS8_10device_ptrIxEEEESG_SI_NS1_21lower_bound_search_opENS9_16wrapped_functionINS8_6system6detail7generic6detail18binary_search_lessEbEEEE10hipError_tPvRmT1_T2_T3_mmT4_T5_P12ihipStream_tbEUlRKxE_EESV_SZ_S10_mS11_S14_bEUlT_E_NS1_11comp_targetILNS1_3genE0ELNS1_11target_archE4294967295ELNS1_3gpuE0ELNS1_3repE0EEENS1_30default_config_static_selectorELNS0_4arch9wavefront6targetE0EEEvSY_.uses_vcc, 0
	.set _ZN7rocprim17ROCPRIM_400000_NS6detail17trampoline_kernelINS0_14default_configENS1_27lower_bound_config_selectorIxlEEZNS1_14transform_implILb0ES3_S5_N6thrust23THRUST_200600_302600_NS6detail15normal_iteratorINS8_7pointerIxNS8_11hip_rocprim5par_tENS8_11use_defaultESE_EEEENSA_INSB_IlSD_SE_SE_EEEEZNS1_13binary_searchIS3_S5_NSA_INS8_10device_ptrIxEEEESG_SI_NS1_21lower_bound_search_opENS9_16wrapped_functionINS8_6system6detail7generic6detail18binary_search_lessEbEEEE10hipError_tPvRmT1_T2_T3_mmT4_T5_P12ihipStream_tbEUlRKxE_EESV_SZ_S10_mS11_S14_bEUlT_E_NS1_11comp_targetILNS1_3genE0ELNS1_11target_archE4294967295ELNS1_3gpuE0ELNS1_3repE0EEENS1_30default_config_static_selectorELNS0_4arch9wavefront6targetE0EEEvSY_.uses_flat_scratch, 0
	.set _ZN7rocprim17ROCPRIM_400000_NS6detail17trampoline_kernelINS0_14default_configENS1_27lower_bound_config_selectorIxlEEZNS1_14transform_implILb0ES3_S5_N6thrust23THRUST_200600_302600_NS6detail15normal_iteratorINS8_7pointerIxNS8_11hip_rocprim5par_tENS8_11use_defaultESE_EEEENSA_INSB_IlSD_SE_SE_EEEEZNS1_13binary_searchIS3_S5_NSA_INS8_10device_ptrIxEEEESG_SI_NS1_21lower_bound_search_opENS9_16wrapped_functionINS8_6system6detail7generic6detail18binary_search_lessEbEEEE10hipError_tPvRmT1_T2_T3_mmT4_T5_P12ihipStream_tbEUlRKxE_EESV_SZ_S10_mS11_S14_bEUlT_E_NS1_11comp_targetILNS1_3genE0ELNS1_11target_archE4294967295ELNS1_3gpuE0ELNS1_3repE0EEENS1_30default_config_static_selectorELNS0_4arch9wavefront6targetE0EEEvSY_.has_dyn_sized_stack, 0
	.set _ZN7rocprim17ROCPRIM_400000_NS6detail17trampoline_kernelINS0_14default_configENS1_27lower_bound_config_selectorIxlEEZNS1_14transform_implILb0ES3_S5_N6thrust23THRUST_200600_302600_NS6detail15normal_iteratorINS8_7pointerIxNS8_11hip_rocprim5par_tENS8_11use_defaultESE_EEEENSA_INSB_IlSD_SE_SE_EEEEZNS1_13binary_searchIS3_S5_NSA_INS8_10device_ptrIxEEEESG_SI_NS1_21lower_bound_search_opENS9_16wrapped_functionINS8_6system6detail7generic6detail18binary_search_lessEbEEEE10hipError_tPvRmT1_T2_T3_mmT4_T5_P12ihipStream_tbEUlRKxE_EESV_SZ_S10_mS11_S14_bEUlT_E_NS1_11comp_targetILNS1_3genE0ELNS1_11target_archE4294967295ELNS1_3gpuE0ELNS1_3repE0EEENS1_30default_config_static_selectorELNS0_4arch9wavefront6targetE0EEEvSY_.has_recursion, 0
	.set _ZN7rocprim17ROCPRIM_400000_NS6detail17trampoline_kernelINS0_14default_configENS1_27lower_bound_config_selectorIxlEEZNS1_14transform_implILb0ES3_S5_N6thrust23THRUST_200600_302600_NS6detail15normal_iteratorINS8_7pointerIxNS8_11hip_rocprim5par_tENS8_11use_defaultESE_EEEENSA_INSB_IlSD_SE_SE_EEEEZNS1_13binary_searchIS3_S5_NSA_INS8_10device_ptrIxEEEESG_SI_NS1_21lower_bound_search_opENS9_16wrapped_functionINS8_6system6detail7generic6detail18binary_search_lessEbEEEE10hipError_tPvRmT1_T2_T3_mmT4_T5_P12ihipStream_tbEUlRKxE_EESV_SZ_S10_mS11_S14_bEUlT_E_NS1_11comp_targetILNS1_3genE0ELNS1_11target_archE4294967295ELNS1_3gpuE0ELNS1_3repE0EEENS1_30default_config_static_selectorELNS0_4arch9wavefront6targetE0EEEvSY_.has_indirect_call, 0
	.section	.AMDGPU.csdata,"",@progbits
; Kernel info:
; codeLenInByte = 0
; TotalNumSgprs: 0
; NumVgprs: 0
; ScratchSize: 0
; MemoryBound: 0
; FloatMode: 240
; IeeeMode: 1
; LDSByteSize: 0 bytes/workgroup (compile time only)
; SGPRBlocks: 0
; VGPRBlocks: 0
; NumSGPRsForWavesPerEU: 1
; NumVGPRsForWavesPerEU: 1
; Occupancy: 16
; WaveLimiterHint : 0
; COMPUTE_PGM_RSRC2:SCRATCH_EN: 0
; COMPUTE_PGM_RSRC2:USER_SGPR: 6
; COMPUTE_PGM_RSRC2:TRAP_HANDLER: 0
; COMPUTE_PGM_RSRC2:TGID_X_EN: 1
; COMPUTE_PGM_RSRC2:TGID_Y_EN: 0
; COMPUTE_PGM_RSRC2:TGID_Z_EN: 0
; COMPUTE_PGM_RSRC2:TIDIG_COMP_CNT: 0
	.section	.text._ZN7rocprim17ROCPRIM_400000_NS6detail17trampoline_kernelINS0_14default_configENS1_27lower_bound_config_selectorIxlEEZNS1_14transform_implILb0ES3_S5_N6thrust23THRUST_200600_302600_NS6detail15normal_iteratorINS8_7pointerIxNS8_11hip_rocprim5par_tENS8_11use_defaultESE_EEEENSA_INSB_IlSD_SE_SE_EEEEZNS1_13binary_searchIS3_S5_NSA_INS8_10device_ptrIxEEEESG_SI_NS1_21lower_bound_search_opENS9_16wrapped_functionINS8_6system6detail7generic6detail18binary_search_lessEbEEEE10hipError_tPvRmT1_T2_T3_mmT4_T5_P12ihipStream_tbEUlRKxE_EESV_SZ_S10_mS11_S14_bEUlT_E_NS1_11comp_targetILNS1_3genE5ELNS1_11target_archE942ELNS1_3gpuE9ELNS1_3repE0EEENS1_30default_config_static_selectorELNS0_4arch9wavefront6targetE0EEEvSY_,"axG",@progbits,_ZN7rocprim17ROCPRIM_400000_NS6detail17trampoline_kernelINS0_14default_configENS1_27lower_bound_config_selectorIxlEEZNS1_14transform_implILb0ES3_S5_N6thrust23THRUST_200600_302600_NS6detail15normal_iteratorINS8_7pointerIxNS8_11hip_rocprim5par_tENS8_11use_defaultESE_EEEENSA_INSB_IlSD_SE_SE_EEEEZNS1_13binary_searchIS3_S5_NSA_INS8_10device_ptrIxEEEESG_SI_NS1_21lower_bound_search_opENS9_16wrapped_functionINS8_6system6detail7generic6detail18binary_search_lessEbEEEE10hipError_tPvRmT1_T2_T3_mmT4_T5_P12ihipStream_tbEUlRKxE_EESV_SZ_S10_mS11_S14_bEUlT_E_NS1_11comp_targetILNS1_3genE5ELNS1_11target_archE942ELNS1_3gpuE9ELNS1_3repE0EEENS1_30default_config_static_selectorELNS0_4arch9wavefront6targetE0EEEvSY_,comdat
	.protected	_ZN7rocprim17ROCPRIM_400000_NS6detail17trampoline_kernelINS0_14default_configENS1_27lower_bound_config_selectorIxlEEZNS1_14transform_implILb0ES3_S5_N6thrust23THRUST_200600_302600_NS6detail15normal_iteratorINS8_7pointerIxNS8_11hip_rocprim5par_tENS8_11use_defaultESE_EEEENSA_INSB_IlSD_SE_SE_EEEEZNS1_13binary_searchIS3_S5_NSA_INS8_10device_ptrIxEEEESG_SI_NS1_21lower_bound_search_opENS9_16wrapped_functionINS8_6system6detail7generic6detail18binary_search_lessEbEEEE10hipError_tPvRmT1_T2_T3_mmT4_T5_P12ihipStream_tbEUlRKxE_EESV_SZ_S10_mS11_S14_bEUlT_E_NS1_11comp_targetILNS1_3genE5ELNS1_11target_archE942ELNS1_3gpuE9ELNS1_3repE0EEENS1_30default_config_static_selectorELNS0_4arch9wavefront6targetE0EEEvSY_ ; -- Begin function _ZN7rocprim17ROCPRIM_400000_NS6detail17trampoline_kernelINS0_14default_configENS1_27lower_bound_config_selectorIxlEEZNS1_14transform_implILb0ES3_S5_N6thrust23THRUST_200600_302600_NS6detail15normal_iteratorINS8_7pointerIxNS8_11hip_rocprim5par_tENS8_11use_defaultESE_EEEENSA_INSB_IlSD_SE_SE_EEEEZNS1_13binary_searchIS3_S5_NSA_INS8_10device_ptrIxEEEESG_SI_NS1_21lower_bound_search_opENS9_16wrapped_functionINS8_6system6detail7generic6detail18binary_search_lessEbEEEE10hipError_tPvRmT1_T2_T3_mmT4_T5_P12ihipStream_tbEUlRKxE_EESV_SZ_S10_mS11_S14_bEUlT_E_NS1_11comp_targetILNS1_3genE5ELNS1_11target_archE942ELNS1_3gpuE9ELNS1_3repE0EEENS1_30default_config_static_selectorELNS0_4arch9wavefront6targetE0EEEvSY_
	.globl	_ZN7rocprim17ROCPRIM_400000_NS6detail17trampoline_kernelINS0_14default_configENS1_27lower_bound_config_selectorIxlEEZNS1_14transform_implILb0ES3_S5_N6thrust23THRUST_200600_302600_NS6detail15normal_iteratorINS8_7pointerIxNS8_11hip_rocprim5par_tENS8_11use_defaultESE_EEEENSA_INSB_IlSD_SE_SE_EEEEZNS1_13binary_searchIS3_S5_NSA_INS8_10device_ptrIxEEEESG_SI_NS1_21lower_bound_search_opENS9_16wrapped_functionINS8_6system6detail7generic6detail18binary_search_lessEbEEEE10hipError_tPvRmT1_T2_T3_mmT4_T5_P12ihipStream_tbEUlRKxE_EESV_SZ_S10_mS11_S14_bEUlT_E_NS1_11comp_targetILNS1_3genE5ELNS1_11target_archE942ELNS1_3gpuE9ELNS1_3repE0EEENS1_30default_config_static_selectorELNS0_4arch9wavefront6targetE0EEEvSY_
	.p2align	8
	.type	_ZN7rocprim17ROCPRIM_400000_NS6detail17trampoline_kernelINS0_14default_configENS1_27lower_bound_config_selectorIxlEEZNS1_14transform_implILb0ES3_S5_N6thrust23THRUST_200600_302600_NS6detail15normal_iteratorINS8_7pointerIxNS8_11hip_rocprim5par_tENS8_11use_defaultESE_EEEENSA_INSB_IlSD_SE_SE_EEEEZNS1_13binary_searchIS3_S5_NSA_INS8_10device_ptrIxEEEESG_SI_NS1_21lower_bound_search_opENS9_16wrapped_functionINS8_6system6detail7generic6detail18binary_search_lessEbEEEE10hipError_tPvRmT1_T2_T3_mmT4_T5_P12ihipStream_tbEUlRKxE_EESV_SZ_S10_mS11_S14_bEUlT_E_NS1_11comp_targetILNS1_3genE5ELNS1_11target_archE942ELNS1_3gpuE9ELNS1_3repE0EEENS1_30default_config_static_selectorELNS0_4arch9wavefront6targetE0EEEvSY_,@function
_ZN7rocprim17ROCPRIM_400000_NS6detail17trampoline_kernelINS0_14default_configENS1_27lower_bound_config_selectorIxlEEZNS1_14transform_implILb0ES3_S5_N6thrust23THRUST_200600_302600_NS6detail15normal_iteratorINS8_7pointerIxNS8_11hip_rocprim5par_tENS8_11use_defaultESE_EEEENSA_INSB_IlSD_SE_SE_EEEEZNS1_13binary_searchIS3_S5_NSA_INS8_10device_ptrIxEEEESG_SI_NS1_21lower_bound_search_opENS9_16wrapped_functionINS8_6system6detail7generic6detail18binary_search_lessEbEEEE10hipError_tPvRmT1_T2_T3_mmT4_T5_P12ihipStream_tbEUlRKxE_EESV_SZ_S10_mS11_S14_bEUlT_E_NS1_11comp_targetILNS1_3genE5ELNS1_11target_archE942ELNS1_3gpuE9ELNS1_3repE0EEENS1_30default_config_static_selectorELNS0_4arch9wavefront6targetE0EEEvSY_: ; @_ZN7rocprim17ROCPRIM_400000_NS6detail17trampoline_kernelINS0_14default_configENS1_27lower_bound_config_selectorIxlEEZNS1_14transform_implILb0ES3_S5_N6thrust23THRUST_200600_302600_NS6detail15normal_iteratorINS8_7pointerIxNS8_11hip_rocprim5par_tENS8_11use_defaultESE_EEEENSA_INSB_IlSD_SE_SE_EEEEZNS1_13binary_searchIS3_S5_NSA_INS8_10device_ptrIxEEEESG_SI_NS1_21lower_bound_search_opENS9_16wrapped_functionINS8_6system6detail7generic6detail18binary_search_lessEbEEEE10hipError_tPvRmT1_T2_T3_mmT4_T5_P12ihipStream_tbEUlRKxE_EESV_SZ_S10_mS11_S14_bEUlT_E_NS1_11comp_targetILNS1_3genE5ELNS1_11target_archE942ELNS1_3gpuE9ELNS1_3repE0EEENS1_30default_config_static_selectorELNS0_4arch9wavefront6targetE0EEEvSY_
; %bb.0:
	.section	.rodata,"a",@progbits
	.p2align	6, 0x0
	.amdhsa_kernel _ZN7rocprim17ROCPRIM_400000_NS6detail17trampoline_kernelINS0_14default_configENS1_27lower_bound_config_selectorIxlEEZNS1_14transform_implILb0ES3_S5_N6thrust23THRUST_200600_302600_NS6detail15normal_iteratorINS8_7pointerIxNS8_11hip_rocprim5par_tENS8_11use_defaultESE_EEEENSA_INSB_IlSD_SE_SE_EEEEZNS1_13binary_searchIS3_S5_NSA_INS8_10device_ptrIxEEEESG_SI_NS1_21lower_bound_search_opENS9_16wrapped_functionINS8_6system6detail7generic6detail18binary_search_lessEbEEEE10hipError_tPvRmT1_T2_T3_mmT4_T5_P12ihipStream_tbEUlRKxE_EESV_SZ_S10_mS11_S14_bEUlT_E_NS1_11comp_targetILNS1_3genE5ELNS1_11target_archE942ELNS1_3gpuE9ELNS1_3repE0EEENS1_30default_config_static_selectorELNS0_4arch9wavefront6targetE0EEEvSY_
		.amdhsa_group_segment_fixed_size 0
		.amdhsa_private_segment_fixed_size 0
		.amdhsa_kernarg_size 56
		.amdhsa_user_sgpr_count 6
		.amdhsa_user_sgpr_private_segment_buffer 1
		.amdhsa_user_sgpr_dispatch_ptr 0
		.amdhsa_user_sgpr_queue_ptr 0
		.amdhsa_user_sgpr_kernarg_segment_ptr 1
		.amdhsa_user_sgpr_dispatch_id 0
		.amdhsa_user_sgpr_flat_scratch_init 0
		.amdhsa_user_sgpr_private_segment_size 0
		.amdhsa_wavefront_size32 1
		.amdhsa_uses_dynamic_stack 0
		.amdhsa_system_sgpr_private_segment_wavefront_offset 0
		.amdhsa_system_sgpr_workgroup_id_x 1
		.amdhsa_system_sgpr_workgroup_id_y 0
		.amdhsa_system_sgpr_workgroup_id_z 0
		.amdhsa_system_sgpr_workgroup_info 0
		.amdhsa_system_vgpr_workitem_id 0
		.amdhsa_next_free_vgpr 1
		.amdhsa_next_free_sgpr 1
		.amdhsa_reserve_vcc 0
		.amdhsa_reserve_flat_scratch 0
		.amdhsa_float_round_mode_32 0
		.amdhsa_float_round_mode_16_64 0
		.amdhsa_float_denorm_mode_32 3
		.amdhsa_float_denorm_mode_16_64 3
		.amdhsa_dx10_clamp 1
		.amdhsa_ieee_mode 1
		.amdhsa_fp16_overflow 0
		.amdhsa_workgroup_processor_mode 1
		.amdhsa_memory_ordered 1
		.amdhsa_forward_progress 1
		.amdhsa_shared_vgpr_count 0
		.amdhsa_exception_fp_ieee_invalid_op 0
		.amdhsa_exception_fp_denorm_src 0
		.amdhsa_exception_fp_ieee_div_zero 0
		.amdhsa_exception_fp_ieee_overflow 0
		.amdhsa_exception_fp_ieee_underflow 0
		.amdhsa_exception_fp_ieee_inexact 0
		.amdhsa_exception_int_div_zero 0
	.end_amdhsa_kernel
	.section	.text._ZN7rocprim17ROCPRIM_400000_NS6detail17trampoline_kernelINS0_14default_configENS1_27lower_bound_config_selectorIxlEEZNS1_14transform_implILb0ES3_S5_N6thrust23THRUST_200600_302600_NS6detail15normal_iteratorINS8_7pointerIxNS8_11hip_rocprim5par_tENS8_11use_defaultESE_EEEENSA_INSB_IlSD_SE_SE_EEEEZNS1_13binary_searchIS3_S5_NSA_INS8_10device_ptrIxEEEESG_SI_NS1_21lower_bound_search_opENS9_16wrapped_functionINS8_6system6detail7generic6detail18binary_search_lessEbEEEE10hipError_tPvRmT1_T2_T3_mmT4_T5_P12ihipStream_tbEUlRKxE_EESV_SZ_S10_mS11_S14_bEUlT_E_NS1_11comp_targetILNS1_3genE5ELNS1_11target_archE942ELNS1_3gpuE9ELNS1_3repE0EEENS1_30default_config_static_selectorELNS0_4arch9wavefront6targetE0EEEvSY_,"axG",@progbits,_ZN7rocprim17ROCPRIM_400000_NS6detail17trampoline_kernelINS0_14default_configENS1_27lower_bound_config_selectorIxlEEZNS1_14transform_implILb0ES3_S5_N6thrust23THRUST_200600_302600_NS6detail15normal_iteratorINS8_7pointerIxNS8_11hip_rocprim5par_tENS8_11use_defaultESE_EEEENSA_INSB_IlSD_SE_SE_EEEEZNS1_13binary_searchIS3_S5_NSA_INS8_10device_ptrIxEEEESG_SI_NS1_21lower_bound_search_opENS9_16wrapped_functionINS8_6system6detail7generic6detail18binary_search_lessEbEEEE10hipError_tPvRmT1_T2_T3_mmT4_T5_P12ihipStream_tbEUlRKxE_EESV_SZ_S10_mS11_S14_bEUlT_E_NS1_11comp_targetILNS1_3genE5ELNS1_11target_archE942ELNS1_3gpuE9ELNS1_3repE0EEENS1_30default_config_static_selectorELNS0_4arch9wavefront6targetE0EEEvSY_,comdat
.Lfunc_end386:
	.size	_ZN7rocprim17ROCPRIM_400000_NS6detail17trampoline_kernelINS0_14default_configENS1_27lower_bound_config_selectorIxlEEZNS1_14transform_implILb0ES3_S5_N6thrust23THRUST_200600_302600_NS6detail15normal_iteratorINS8_7pointerIxNS8_11hip_rocprim5par_tENS8_11use_defaultESE_EEEENSA_INSB_IlSD_SE_SE_EEEEZNS1_13binary_searchIS3_S5_NSA_INS8_10device_ptrIxEEEESG_SI_NS1_21lower_bound_search_opENS9_16wrapped_functionINS8_6system6detail7generic6detail18binary_search_lessEbEEEE10hipError_tPvRmT1_T2_T3_mmT4_T5_P12ihipStream_tbEUlRKxE_EESV_SZ_S10_mS11_S14_bEUlT_E_NS1_11comp_targetILNS1_3genE5ELNS1_11target_archE942ELNS1_3gpuE9ELNS1_3repE0EEENS1_30default_config_static_selectorELNS0_4arch9wavefront6targetE0EEEvSY_, .Lfunc_end386-_ZN7rocprim17ROCPRIM_400000_NS6detail17trampoline_kernelINS0_14default_configENS1_27lower_bound_config_selectorIxlEEZNS1_14transform_implILb0ES3_S5_N6thrust23THRUST_200600_302600_NS6detail15normal_iteratorINS8_7pointerIxNS8_11hip_rocprim5par_tENS8_11use_defaultESE_EEEENSA_INSB_IlSD_SE_SE_EEEEZNS1_13binary_searchIS3_S5_NSA_INS8_10device_ptrIxEEEESG_SI_NS1_21lower_bound_search_opENS9_16wrapped_functionINS8_6system6detail7generic6detail18binary_search_lessEbEEEE10hipError_tPvRmT1_T2_T3_mmT4_T5_P12ihipStream_tbEUlRKxE_EESV_SZ_S10_mS11_S14_bEUlT_E_NS1_11comp_targetILNS1_3genE5ELNS1_11target_archE942ELNS1_3gpuE9ELNS1_3repE0EEENS1_30default_config_static_selectorELNS0_4arch9wavefront6targetE0EEEvSY_
                                        ; -- End function
	.set _ZN7rocprim17ROCPRIM_400000_NS6detail17trampoline_kernelINS0_14default_configENS1_27lower_bound_config_selectorIxlEEZNS1_14transform_implILb0ES3_S5_N6thrust23THRUST_200600_302600_NS6detail15normal_iteratorINS8_7pointerIxNS8_11hip_rocprim5par_tENS8_11use_defaultESE_EEEENSA_INSB_IlSD_SE_SE_EEEEZNS1_13binary_searchIS3_S5_NSA_INS8_10device_ptrIxEEEESG_SI_NS1_21lower_bound_search_opENS9_16wrapped_functionINS8_6system6detail7generic6detail18binary_search_lessEbEEEE10hipError_tPvRmT1_T2_T3_mmT4_T5_P12ihipStream_tbEUlRKxE_EESV_SZ_S10_mS11_S14_bEUlT_E_NS1_11comp_targetILNS1_3genE5ELNS1_11target_archE942ELNS1_3gpuE9ELNS1_3repE0EEENS1_30default_config_static_selectorELNS0_4arch9wavefront6targetE0EEEvSY_.num_vgpr, 0
	.set _ZN7rocprim17ROCPRIM_400000_NS6detail17trampoline_kernelINS0_14default_configENS1_27lower_bound_config_selectorIxlEEZNS1_14transform_implILb0ES3_S5_N6thrust23THRUST_200600_302600_NS6detail15normal_iteratorINS8_7pointerIxNS8_11hip_rocprim5par_tENS8_11use_defaultESE_EEEENSA_INSB_IlSD_SE_SE_EEEEZNS1_13binary_searchIS3_S5_NSA_INS8_10device_ptrIxEEEESG_SI_NS1_21lower_bound_search_opENS9_16wrapped_functionINS8_6system6detail7generic6detail18binary_search_lessEbEEEE10hipError_tPvRmT1_T2_T3_mmT4_T5_P12ihipStream_tbEUlRKxE_EESV_SZ_S10_mS11_S14_bEUlT_E_NS1_11comp_targetILNS1_3genE5ELNS1_11target_archE942ELNS1_3gpuE9ELNS1_3repE0EEENS1_30default_config_static_selectorELNS0_4arch9wavefront6targetE0EEEvSY_.num_agpr, 0
	.set _ZN7rocprim17ROCPRIM_400000_NS6detail17trampoline_kernelINS0_14default_configENS1_27lower_bound_config_selectorIxlEEZNS1_14transform_implILb0ES3_S5_N6thrust23THRUST_200600_302600_NS6detail15normal_iteratorINS8_7pointerIxNS8_11hip_rocprim5par_tENS8_11use_defaultESE_EEEENSA_INSB_IlSD_SE_SE_EEEEZNS1_13binary_searchIS3_S5_NSA_INS8_10device_ptrIxEEEESG_SI_NS1_21lower_bound_search_opENS9_16wrapped_functionINS8_6system6detail7generic6detail18binary_search_lessEbEEEE10hipError_tPvRmT1_T2_T3_mmT4_T5_P12ihipStream_tbEUlRKxE_EESV_SZ_S10_mS11_S14_bEUlT_E_NS1_11comp_targetILNS1_3genE5ELNS1_11target_archE942ELNS1_3gpuE9ELNS1_3repE0EEENS1_30default_config_static_selectorELNS0_4arch9wavefront6targetE0EEEvSY_.numbered_sgpr, 0
	.set _ZN7rocprim17ROCPRIM_400000_NS6detail17trampoline_kernelINS0_14default_configENS1_27lower_bound_config_selectorIxlEEZNS1_14transform_implILb0ES3_S5_N6thrust23THRUST_200600_302600_NS6detail15normal_iteratorINS8_7pointerIxNS8_11hip_rocprim5par_tENS8_11use_defaultESE_EEEENSA_INSB_IlSD_SE_SE_EEEEZNS1_13binary_searchIS3_S5_NSA_INS8_10device_ptrIxEEEESG_SI_NS1_21lower_bound_search_opENS9_16wrapped_functionINS8_6system6detail7generic6detail18binary_search_lessEbEEEE10hipError_tPvRmT1_T2_T3_mmT4_T5_P12ihipStream_tbEUlRKxE_EESV_SZ_S10_mS11_S14_bEUlT_E_NS1_11comp_targetILNS1_3genE5ELNS1_11target_archE942ELNS1_3gpuE9ELNS1_3repE0EEENS1_30default_config_static_selectorELNS0_4arch9wavefront6targetE0EEEvSY_.num_named_barrier, 0
	.set _ZN7rocprim17ROCPRIM_400000_NS6detail17trampoline_kernelINS0_14default_configENS1_27lower_bound_config_selectorIxlEEZNS1_14transform_implILb0ES3_S5_N6thrust23THRUST_200600_302600_NS6detail15normal_iteratorINS8_7pointerIxNS8_11hip_rocprim5par_tENS8_11use_defaultESE_EEEENSA_INSB_IlSD_SE_SE_EEEEZNS1_13binary_searchIS3_S5_NSA_INS8_10device_ptrIxEEEESG_SI_NS1_21lower_bound_search_opENS9_16wrapped_functionINS8_6system6detail7generic6detail18binary_search_lessEbEEEE10hipError_tPvRmT1_T2_T3_mmT4_T5_P12ihipStream_tbEUlRKxE_EESV_SZ_S10_mS11_S14_bEUlT_E_NS1_11comp_targetILNS1_3genE5ELNS1_11target_archE942ELNS1_3gpuE9ELNS1_3repE0EEENS1_30default_config_static_selectorELNS0_4arch9wavefront6targetE0EEEvSY_.private_seg_size, 0
	.set _ZN7rocprim17ROCPRIM_400000_NS6detail17trampoline_kernelINS0_14default_configENS1_27lower_bound_config_selectorIxlEEZNS1_14transform_implILb0ES3_S5_N6thrust23THRUST_200600_302600_NS6detail15normal_iteratorINS8_7pointerIxNS8_11hip_rocprim5par_tENS8_11use_defaultESE_EEEENSA_INSB_IlSD_SE_SE_EEEEZNS1_13binary_searchIS3_S5_NSA_INS8_10device_ptrIxEEEESG_SI_NS1_21lower_bound_search_opENS9_16wrapped_functionINS8_6system6detail7generic6detail18binary_search_lessEbEEEE10hipError_tPvRmT1_T2_T3_mmT4_T5_P12ihipStream_tbEUlRKxE_EESV_SZ_S10_mS11_S14_bEUlT_E_NS1_11comp_targetILNS1_3genE5ELNS1_11target_archE942ELNS1_3gpuE9ELNS1_3repE0EEENS1_30default_config_static_selectorELNS0_4arch9wavefront6targetE0EEEvSY_.uses_vcc, 0
	.set _ZN7rocprim17ROCPRIM_400000_NS6detail17trampoline_kernelINS0_14default_configENS1_27lower_bound_config_selectorIxlEEZNS1_14transform_implILb0ES3_S5_N6thrust23THRUST_200600_302600_NS6detail15normal_iteratorINS8_7pointerIxNS8_11hip_rocprim5par_tENS8_11use_defaultESE_EEEENSA_INSB_IlSD_SE_SE_EEEEZNS1_13binary_searchIS3_S5_NSA_INS8_10device_ptrIxEEEESG_SI_NS1_21lower_bound_search_opENS9_16wrapped_functionINS8_6system6detail7generic6detail18binary_search_lessEbEEEE10hipError_tPvRmT1_T2_T3_mmT4_T5_P12ihipStream_tbEUlRKxE_EESV_SZ_S10_mS11_S14_bEUlT_E_NS1_11comp_targetILNS1_3genE5ELNS1_11target_archE942ELNS1_3gpuE9ELNS1_3repE0EEENS1_30default_config_static_selectorELNS0_4arch9wavefront6targetE0EEEvSY_.uses_flat_scratch, 0
	.set _ZN7rocprim17ROCPRIM_400000_NS6detail17trampoline_kernelINS0_14default_configENS1_27lower_bound_config_selectorIxlEEZNS1_14transform_implILb0ES3_S5_N6thrust23THRUST_200600_302600_NS6detail15normal_iteratorINS8_7pointerIxNS8_11hip_rocprim5par_tENS8_11use_defaultESE_EEEENSA_INSB_IlSD_SE_SE_EEEEZNS1_13binary_searchIS3_S5_NSA_INS8_10device_ptrIxEEEESG_SI_NS1_21lower_bound_search_opENS9_16wrapped_functionINS8_6system6detail7generic6detail18binary_search_lessEbEEEE10hipError_tPvRmT1_T2_T3_mmT4_T5_P12ihipStream_tbEUlRKxE_EESV_SZ_S10_mS11_S14_bEUlT_E_NS1_11comp_targetILNS1_3genE5ELNS1_11target_archE942ELNS1_3gpuE9ELNS1_3repE0EEENS1_30default_config_static_selectorELNS0_4arch9wavefront6targetE0EEEvSY_.has_dyn_sized_stack, 0
	.set _ZN7rocprim17ROCPRIM_400000_NS6detail17trampoline_kernelINS0_14default_configENS1_27lower_bound_config_selectorIxlEEZNS1_14transform_implILb0ES3_S5_N6thrust23THRUST_200600_302600_NS6detail15normal_iteratorINS8_7pointerIxNS8_11hip_rocprim5par_tENS8_11use_defaultESE_EEEENSA_INSB_IlSD_SE_SE_EEEEZNS1_13binary_searchIS3_S5_NSA_INS8_10device_ptrIxEEEESG_SI_NS1_21lower_bound_search_opENS9_16wrapped_functionINS8_6system6detail7generic6detail18binary_search_lessEbEEEE10hipError_tPvRmT1_T2_T3_mmT4_T5_P12ihipStream_tbEUlRKxE_EESV_SZ_S10_mS11_S14_bEUlT_E_NS1_11comp_targetILNS1_3genE5ELNS1_11target_archE942ELNS1_3gpuE9ELNS1_3repE0EEENS1_30default_config_static_selectorELNS0_4arch9wavefront6targetE0EEEvSY_.has_recursion, 0
	.set _ZN7rocprim17ROCPRIM_400000_NS6detail17trampoline_kernelINS0_14default_configENS1_27lower_bound_config_selectorIxlEEZNS1_14transform_implILb0ES3_S5_N6thrust23THRUST_200600_302600_NS6detail15normal_iteratorINS8_7pointerIxNS8_11hip_rocprim5par_tENS8_11use_defaultESE_EEEENSA_INSB_IlSD_SE_SE_EEEEZNS1_13binary_searchIS3_S5_NSA_INS8_10device_ptrIxEEEESG_SI_NS1_21lower_bound_search_opENS9_16wrapped_functionINS8_6system6detail7generic6detail18binary_search_lessEbEEEE10hipError_tPvRmT1_T2_T3_mmT4_T5_P12ihipStream_tbEUlRKxE_EESV_SZ_S10_mS11_S14_bEUlT_E_NS1_11comp_targetILNS1_3genE5ELNS1_11target_archE942ELNS1_3gpuE9ELNS1_3repE0EEENS1_30default_config_static_selectorELNS0_4arch9wavefront6targetE0EEEvSY_.has_indirect_call, 0
	.section	.AMDGPU.csdata,"",@progbits
; Kernel info:
; codeLenInByte = 0
; TotalNumSgprs: 0
; NumVgprs: 0
; ScratchSize: 0
; MemoryBound: 0
; FloatMode: 240
; IeeeMode: 1
; LDSByteSize: 0 bytes/workgroup (compile time only)
; SGPRBlocks: 0
; VGPRBlocks: 0
; NumSGPRsForWavesPerEU: 1
; NumVGPRsForWavesPerEU: 1
; Occupancy: 16
; WaveLimiterHint : 0
; COMPUTE_PGM_RSRC2:SCRATCH_EN: 0
; COMPUTE_PGM_RSRC2:USER_SGPR: 6
; COMPUTE_PGM_RSRC2:TRAP_HANDLER: 0
; COMPUTE_PGM_RSRC2:TGID_X_EN: 1
; COMPUTE_PGM_RSRC2:TGID_Y_EN: 0
; COMPUTE_PGM_RSRC2:TGID_Z_EN: 0
; COMPUTE_PGM_RSRC2:TIDIG_COMP_CNT: 0
	.section	.text._ZN7rocprim17ROCPRIM_400000_NS6detail17trampoline_kernelINS0_14default_configENS1_27lower_bound_config_selectorIxlEEZNS1_14transform_implILb0ES3_S5_N6thrust23THRUST_200600_302600_NS6detail15normal_iteratorINS8_7pointerIxNS8_11hip_rocprim5par_tENS8_11use_defaultESE_EEEENSA_INSB_IlSD_SE_SE_EEEEZNS1_13binary_searchIS3_S5_NSA_INS8_10device_ptrIxEEEESG_SI_NS1_21lower_bound_search_opENS9_16wrapped_functionINS8_6system6detail7generic6detail18binary_search_lessEbEEEE10hipError_tPvRmT1_T2_T3_mmT4_T5_P12ihipStream_tbEUlRKxE_EESV_SZ_S10_mS11_S14_bEUlT_E_NS1_11comp_targetILNS1_3genE4ELNS1_11target_archE910ELNS1_3gpuE8ELNS1_3repE0EEENS1_30default_config_static_selectorELNS0_4arch9wavefront6targetE0EEEvSY_,"axG",@progbits,_ZN7rocprim17ROCPRIM_400000_NS6detail17trampoline_kernelINS0_14default_configENS1_27lower_bound_config_selectorIxlEEZNS1_14transform_implILb0ES3_S5_N6thrust23THRUST_200600_302600_NS6detail15normal_iteratorINS8_7pointerIxNS8_11hip_rocprim5par_tENS8_11use_defaultESE_EEEENSA_INSB_IlSD_SE_SE_EEEEZNS1_13binary_searchIS3_S5_NSA_INS8_10device_ptrIxEEEESG_SI_NS1_21lower_bound_search_opENS9_16wrapped_functionINS8_6system6detail7generic6detail18binary_search_lessEbEEEE10hipError_tPvRmT1_T2_T3_mmT4_T5_P12ihipStream_tbEUlRKxE_EESV_SZ_S10_mS11_S14_bEUlT_E_NS1_11comp_targetILNS1_3genE4ELNS1_11target_archE910ELNS1_3gpuE8ELNS1_3repE0EEENS1_30default_config_static_selectorELNS0_4arch9wavefront6targetE0EEEvSY_,comdat
	.protected	_ZN7rocprim17ROCPRIM_400000_NS6detail17trampoline_kernelINS0_14default_configENS1_27lower_bound_config_selectorIxlEEZNS1_14transform_implILb0ES3_S5_N6thrust23THRUST_200600_302600_NS6detail15normal_iteratorINS8_7pointerIxNS8_11hip_rocprim5par_tENS8_11use_defaultESE_EEEENSA_INSB_IlSD_SE_SE_EEEEZNS1_13binary_searchIS3_S5_NSA_INS8_10device_ptrIxEEEESG_SI_NS1_21lower_bound_search_opENS9_16wrapped_functionINS8_6system6detail7generic6detail18binary_search_lessEbEEEE10hipError_tPvRmT1_T2_T3_mmT4_T5_P12ihipStream_tbEUlRKxE_EESV_SZ_S10_mS11_S14_bEUlT_E_NS1_11comp_targetILNS1_3genE4ELNS1_11target_archE910ELNS1_3gpuE8ELNS1_3repE0EEENS1_30default_config_static_selectorELNS0_4arch9wavefront6targetE0EEEvSY_ ; -- Begin function _ZN7rocprim17ROCPRIM_400000_NS6detail17trampoline_kernelINS0_14default_configENS1_27lower_bound_config_selectorIxlEEZNS1_14transform_implILb0ES3_S5_N6thrust23THRUST_200600_302600_NS6detail15normal_iteratorINS8_7pointerIxNS8_11hip_rocprim5par_tENS8_11use_defaultESE_EEEENSA_INSB_IlSD_SE_SE_EEEEZNS1_13binary_searchIS3_S5_NSA_INS8_10device_ptrIxEEEESG_SI_NS1_21lower_bound_search_opENS9_16wrapped_functionINS8_6system6detail7generic6detail18binary_search_lessEbEEEE10hipError_tPvRmT1_T2_T3_mmT4_T5_P12ihipStream_tbEUlRKxE_EESV_SZ_S10_mS11_S14_bEUlT_E_NS1_11comp_targetILNS1_3genE4ELNS1_11target_archE910ELNS1_3gpuE8ELNS1_3repE0EEENS1_30default_config_static_selectorELNS0_4arch9wavefront6targetE0EEEvSY_
	.globl	_ZN7rocprim17ROCPRIM_400000_NS6detail17trampoline_kernelINS0_14default_configENS1_27lower_bound_config_selectorIxlEEZNS1_14transform_implILb0ES3_S5_N6thrust23THRUST_200600_302600_NS6detail15normal_iteratorINS8_7pointerIxNS8_11hip_rocprim5par_tENS8_11use_defaultESE_EEEENSA_INSB_IlSD_SE_SE_EEEEZNS1_13binary_searchIS3_S5_NSA_INS8_10device_ptrIxEEEESG_SI_NS1_21lower_bound_search_opENS9_16wrapped_functionINS8_6system6detail7generic6detail18binary_search_lessEbEEEE10hipError_tPvRmT1_T2_T3_mmT4_T5_P12ihipStream_tbEUlRKxE_EESV_SZ_S10_mS11_S14_bEUlT_E_NS1_11comp_targetILNS1_3genE4ELNS1_11target_archE910ELNS1_3gpuE8ELNS1_3repE0EEENS1_30default_config_static_selectorELNS0_4arch9wavefront6targetE0EEEvSY_
	.p2align	8
	.type	_ZN7rocprim17ROCPRIM_400000_NS6detail17trampoline_kernelINS0_14default_configENS1_27lower_bound_config_selectorIxlEEZNS1_14transform_implILb0ES3_S5_N6thrust23THRUST_200600_302600_NS6detail15normal_iteratorINS8_7pointerIxNS8_11hip_rocprim5par_tENS8_11use_defaultESE_EEEENSA_INSB_IlSD_SE_SE_EEEEZNS1_13binary_searchIS3_S5_NSA_INS8_10device_ptrIxEEEESG_SI_NS1_21lower_bound_search_opENS9_16wrapped_functionINS8_6system6detail7generic6detail18binary_search_lessEbEEEE10hipError_tPvRmT1_T2_T3_mmT4_T5_P12ihipStream_tbEUlRKxE_EESV_SZ_S10_mS11_S14_bEUlT_E_NS1_11comp_targetILNS1_3genE4ELNS1_11target_archE910ELNS1_3gpuE8ELNS1_3repE0EEENS1_30default_config_static_selectorELNS0_4arch9wavefront6targetE0EEEvSY_,@function
_ZN7rocprim17ROCPRIM_400000_NS6detail17trampoline_kernelINS0_14default_configENS1_27lower_bound_config_selectorIxlEEZNS1_14transform_implILb0ES3_S5_N6thrust23THRUST_200600_302600_NS6detail15normal_iteratorINS8_7pointerIxNS8_11hip_rocprim5par_tENS8_11use_defaultESE_EEEENSA_INSB_IlSD_SE_SE_EEEEZNS1_13binary_searchIS3_S5_NSA_INS8_10device_ptrIxEEEESG_SI_NS1_21lower_bound_search_opENS9_16wrapped_functionINS8_6system6detail7generic6detail18binary_search_lessEbEEEE10hipError_tPvRmT1_T2_T3_mmT4_T5_P12ihipStream_tbEUlRKxE_EESV_SZ_S10_mS11_S14_bEUlT_E_NS1_11comp_targetILNS1_3genE4ELNS1_11target_archE910ELNS1_3gpuE8ELNS1_3repE0EEENS1_30default_config_static_selectorELNS0_4arch9wavefront6targetE0EEEvSY_: ; @_ZN7rocprim17ROCPRIM_400000_NS6detail17trampoline_kernelINS0_14default_configENS1_27lower_bound_config_selectorIxlEEZNS1_14transform_implILb0ES3_S5_N6thrust23THRUST_200600_302600_NS6detail15normal_iteratorINS8_7pointerIxNS8_11hip_rocprim5par_tENS8_11use_defaultESE_EEEENSA_INSB_IlSD_SE_SE_EEEEZNS1_13binary_searchIS3_S5_NSA_INS8_10device_ptrIxEEEESG_SI_NS1_21lower_bound_search_opENS9_16wrapped_functionINS8_6system6detail7generic6detail18binary_search_lessEbEEEE10hipError_tPvRmT1_T2_T3_mmT4_T5_P12ihipStream_tbEUlRKxE_EESV_SZ_S10_mS11_S14_bEUlT_E_NS1_11comp_targetILNS1_3genE4ELNS1_11target_archE910ELNS1_3gpuE8ELNS1_3repE0EEENS1_30default_config_static_selectorELNS0_4arch9wavefront6targetE0EEEvSY_
; %bb.0:
	.section	.rodata,"a",@progbits
	.p2align	6, 0x0
	.amdhsa_kernel _ZN7rocprim17ROCPRIM_400000_NS6detail17trampoline_kernelINS0_14default_configENS1_27lower_bound_config_selectorIxlEEZNS1_14transform_implILb0ES3_S5_N6thrust23THRUST_200600_302600_NS6detail15normal_iteratorINS8_7pointerIxNS8_11hip_rocprim5par_tENS8_11use_defaultESE_EEEENSA_INSB_IlSD_SE_SE_EEEEZNS1_13binary_searchIS3_S5_NSA_INS8_10device_ptrIxEEEESG_SI_NS1_21lower_bound_search_opENS9_16wrapped_functionINS8_6system6detail7generic6detail18binary_search_lessEbEEEE10hipError_tPvRmT1_T2_T3_mmT4_T5_P12ihipStream_tbEUlRKxE_EESV_SZ_S10_mS11_S14_bEUlT_E_NS1_11comp_targetILNS1_3genE4ELNS1_11target_archE910ELNS1_3gpuE8ELNS1_3repE0EEENS1_30default_config_static_selectorELNS0_4arch9wavefront6targetE0EEEvSY_
		.amdhsa_group_segment_fixed_size 0
		.amdhsa_private_segment_fixed_size 0
		.amdhsa_kernarg_size 56
		.amdhsa_user_sgpr_count 6
		.amdhsa_user_sgpr_private_segment_buffer 1
		.amdhsa_user_sgpr_dispatch_ptr 0
		.amdhsa_user_sgpr_queue_ptr 0
		.amdhsa_user_sgpr_kernarg_segment_ptr 1
		.amdhsa_user_sgpr_dispatch_id 0
		.amdhsa_user_sgpr_flat_scratch_init 0
		.amdhsa_user_sgpr_private_segment_size 0
		.amdhsa_wavefront_size32 1
		.amdhsa_uses_dynamic_stack 0
		.amdhsa_system_sgpr_private_segment_wavefront_offset 0
		.amdhsa_system_sgpr_workgroup_id_x 1
		.amdhsa_system_sgpr_workgroup_id_y 0
		.amdhsa_system_sgpr_workgroup_id_z 0
		.amdhsa_system_sgpr_workgroup_info 0
		.amdhsa_system_vgpr_workitem_id 0
		.amdhsa_next_free_vgpr 1
		.amdhsa_next_free_sgpr 1
		.amdhsa_reserve_vcc 0
		.amdhsa_reserve_flat_scratch 0
		.amdhsa_float_round_mode_32 0
		.amdhsa_float_round_mode_16_64 0
		.amdhsa_float_denorm_mode_32 3
		.amdhsa_float_denorm_mode_16_64 3
		.amdhsa_dx10_clamp 1
		.amdhsa_ieee_mode 1
		.amdhsa_fp16_overflow 0
		.amdhsa_workgroup_processor_mode 1
		.amdhsa_memory_ordered 1
		.amdhsa_forward_progress 1
		.amdhsa_shared_vgpr_count 0
		.amdhsa_exception_fp_ieee_invalid_op 0
		.amdhsa_exception_fp_denorm_src 0
		.amdhsa_exception_fp_ieee_div_zero 0
		.amdhsa_exception_fp_ieee_overflow 0
		.amdhsa_exception_fp_ieee_underflow 0
		.amdhsa_exception_fp_ieee_inexact 0
		.amdhsa_exception_int_div_zero 0
	.end_amdhsa_kernel
	.section	.text._ZN7rocprim17ROCPRIM_400000_NS6detail17trampoline_kernelINS0_14default_configENS1_27lower_bound_config_selectorIxlEEZNS1_14transform_implILb0ES3_S5_N6thrust23THRUST_200600_302600_NS6detail15normal_iteratorINS8_7pointerIxNS8_11hip_rocprim5par_tENS8_11use_defaultESE_EEEENSA_INSB_IlSD_SE_SE_EEEEZNS1_13binary_searchIS3_S5_NSA_INS8_10device_ptrIxEEEESG_SI_NS1_21lower_bound_search_opENS9_16wrapped_functionINS8_6system6detail7generic6detail18binary_search_lessEbEEEE10hipError_tPvRmT1_T2_T3_mmT4_T5_P12ihipStream_tbEUlRKxE_EESV_SZ_S10_mS11_S14_bEUlT_E_NS1_11comp_targetILNS1_3genE4ELNS1_11target_archE910ELNS1_3gpuE8ELNS1_3repE0EEENS1_30default_config_static_selectorELNS0_4arch9wavefront6targetE0EEEvSY_,"axG",@progbits,_ZN7rocprim17ROCPRIM_400000_NS6detail17trampoline_kernelINS0_14default_configENS1_27lower_bound_config_selectorIxlEEZNS1_14transform_implILb0ES3_S5_N6thrust23THRUST_200600_302600_NS6detail15normal_iteratorINS8_7pointerIxNS8_11hip_rocprim5par_tENS8_11use_defaultESE_EEEENSA_INSB_IlSD_SE_SE_EEEEZNS1_13binary_searchIS3_S5_NSA_INS8_10device_ptrIxEEEESG_SI_NS1_21lower_bound_search_opENS9_16wrapped_functionINS8_6system6detail7generic6detail18binary_search_lessEbEEEE10hipError_tPvRmT1_T2_T3_mmT4_T5_P12ihipStream_tbEUlRKxE_EESV_SZ_S10_mS11_S14_bEUlT_E_NS1_11comp_targetILNS1_3genE4ELNS1_11target_archE910ELNS1_3gpuE8ELNS1_3repE0EEENS1_30default_config_static_selectorELNS0_4arch9wavefront6targetE0EEEvSY_,comdat
.Lfunc_end387:
	.size	_ZN7rocprim17ROCPRIM_400000_NS6detail17trampoline_kernelINS0_14default_configENS1_27lower_bound_config_selectorIxlEEZNS1_14transform_implILb0ES3_S5_N6thrust23THRUST_200600_302600_NS6detail15normal_iteratorINS8_7pointerIxNS8_11hip_rocprim5par_tENS8_11use_defaultESE_EEEENSA_INSB_IlSD_SE_SE_EEEEZNS1_13binary_searchIS3_S5_NSA_INS8_10device_ptrIxEEEESG_SI_NS1_21lower_bound_search_opENS9_16wrapped_functionINS8_6system6detail7generic6detail18binary_search_lessEbEEEE10hipError_tPvRmT1_T2_T3_mmT4_T5_P12ihipStream_tbEUlRKxE_EESV_SZ_S10_mS11_S14_bEUlT_E_NS1_11comp_targetILNS1_3genE4ELNS1_11target_archE910ELNS1_3gpuE8ELNS1_3repE0EEENS1_30default_config_static_selectorELNS0_4arch9wavefront6targetE0EEEvSY_, .Lfunc_end387-_ZN7rocprim17ROCPRIM_400000_NS6detail17trampoline_kernelINS0_14default_configENS1_27lower_bound_config_selectorIxlEEZNS1_14transform_implILb0ES3_S5_N6thrust23THRUST_200600_302600_NS6detail15normal_iteratorINS8_7pointerIxNS8_11hip_rocprim5par_tENS8_11use_defaultESE_EEEENSA_INSB_IlSD_SE_SE_EEEEZNS1_13binary_searchIS3_S5_NSA_INS8_10device_ptrIxEEEESG_SI_NS1_21lower_bound_search_opENS9_16wrapped_functionINS8_6system6detail7generic6detail18binary_search_lessEbEEEE10hipError_tPvRmT1_T2_T3_mmT4_T5_P12ihipStream_tbEUlRKxE_EESV_SZ_S10_mS11_S14_bEUlT_E_NS1_11comp_targetILNS1_3genE4ELNS1_11target_archE910ELNS1_3gpuE8ELNS1_3repE0EEENS1_30default_config_static_selectorELNS0_4arch9wavefront6targetE0EEEvSY_
                                        ; -- End function
	.set _ZN7rocprim17ROCPRIM_400000_NS6detail17trampoline_kernelINS0_14default_configENS1_27lower_bound_config_selectorIxlEEZNS1_14transform_implILb0ES3_S5_N6thrust23THRUST_200600_302600_NS6detail15normal_iteratorINS8_7pointerIxNS8_11hip_rocprim5par_tENS8_11use_defaultESE_EEEENSA_INSB_IlSD_SE_SE_EEEEZNS1_13binary_searchIS3_S5_NSA_INS8_10device_ptrIxEEEESG_SI_NS1_21lower_bound_search_opENS9_16wrapped_functionINS8_6system6detail7generic6detail18binary_search_lessEbEEEE10hipError_tPvRmT1_T2_T3_mmT4_T5_P12ihipStream_tbEUlRKxE_EESV_SZ_S10_mS11_S14_bEUlT_E_NS1_11comp_targetILNS1_3genE4ELNS1_11target_archE910ELNS1_3gpuE8ELNS1_3repE0EEENS1_30default_config_static_selectorELNS0_4arch9wavefront6targetE0EEEvSY_.num_vgpr, 0
	.set _ZN7rocprim17ROCPRIM_400000_NS6detail17trampoline_kernelINS0_14default_configENS1_27lower_bound_config_selectorIxlEEZNS1_14transform_implILb0ES3_S5_N6thrust23THRUST_200600_302600_NS6detail15normal_iteratorINS8_7pointerIxNS8_11hip_rocprim5par_tENS8_11use_defaultESE_EEEENSA_INSB_IlSD_SE_SE_EEEEZNS1_13binary_searchIS3_S5_NSA_INS8_10device_ptrIxEEEESG_SI_NS1_21lower_bound_search_opENS9_16wrapped_functionINS8_6system6detail7generic6detail18binary_search_lessEbEEEE10hipError_tPvRmT1_T2_T3_mmT4_T5_P12ihipStream_tbEUlRKxE_EESV_SZ_S10_mS11_S14_bEUlT_E_NS1_11comp_targetILNS1_3genE4ELNS1_11target_archE910ELNS1_3gpuE8ELNS1_3repE0EEENS1_30default_config_static_selectorELNS0_4arch9wavefront6targetE0EEEvSY_.num_agpr, 0
	.set _ZN7rocprim17ROCPRIM_400000_NS6detail17trampoline_kernelINS0_14default_configENS1_27lower_bound_config_selectorIxlEEZNS1_14transform_implILb0ES3_S5_N6thrust23THRUST_200600_302600_NS6detail15normal_iteratorINS8_7pointerIxNS8_11hip_rocprim5par_tENS8_11use_defaultESE_EEEENSA_INSB_IlSD_SE_SE_EEEEZNS1_13binary_searchIS3_S5_NSA_INS8_10device_ptrIxEEEESG_SI_NS1_21lower_bound_search_opENS9_16wrapped_functionINS8_6system6detail7generic6detail18binary_search_lessEbEEEE10hipError_tPvRmT1_T2_T3_mmT4_T5_P12ihipStream_tbEUlRKxE_EESV_SZ_S10_mS11_S14_bEUlT_E_NS1_11comp_targetILNS1_3genE4ELNS1_11target_archE910ELNS1_3gpuE8ELNS1_3repE0EEENS1_30default_config_static_selectorELNS0_4arch9wavefront6targetE0EEEvSY_.numbered_sgpr, 0
	.set _ZN7rocprim17ROCPRIM_400000_NS6detail17trampoline_kernelINS0_14default_configENS1_27lower_bound_config_selectorIxlEEZNS1_14transform_implILb0ES3_S5_N6thrust23THRUST_200600_302600_NS6detail15normal_iteratorINS8_7pointerIxNS8_11hip_rocprim5par_tENS8_11use_defaultESE_EEEENSA_INSB_IlSD_SE_SE_EEEEZNS1_13binary_searchIS3_S5_NSA_INS8_10device_ptrIxEEEESG_SI_NS1_21lower_bound_search_opENS9_16wrapped_functionINS8_6system6detail7generic6detail18binary_search_lessEbEEEE10hipError_tPvRmT1_T2_T3_mmT4_T5_P12ihipStream_tbEUlRKxE_EESV_SZ_S10_mS11_S14_bEUlT_E_NS1_11comp_targetILNS1_3genE4ELNS1_11target_archE910ELNS1_3gpuE8ELNS1_3repE0EEENS1_30default_config_static_selectorELNS0_4arch9wavefront6targetE0EEEvSY_.num_named_barrier, 0
	.set _ZN7rocprim17ROCPRIM_400000_NS6detail17trampoline_kernelINS0_14default_configENS1_27lower_bound_config_selectorIxlEEZNS1_14transform_implILb0ES3_S5_N6thrust23THRUST_200600_302600_NS6detail15normal_iteratorINS8_7pointerIxNS8_11hip_rocprim5par_tENS8_11use_defaultESE_EEEENSA_INSB_IlSD_SE_SE_EEEEZNS1_13binary_searchIS3_S5_NSA_INS8_10device_ptrIxEEEESG_SI_NS1_21lower_bound_search_opENS9_16wrapped_functionINS8_6system6detail7generic6detail18binary_search_lessEbEEEE10hipError_tPvRmT1_T2_T3_mmT4_T5_P12ihipStream_tbEUlRKxE_EESV_SZ_S10_mS11_S14_bEUlT_E_NS1_11comp_targetILNS1_3genE4ELNS1_11target_archE910ELNS1_3gpuE8ELNS1_3repE0EEENS1_30default_config_static_selectorELNS0_4arch9wavefront6targetE0EEEvSY_.private_seg_size, 0
	.set _ZN7rocprim17ROCPRIM_400000_NS6detail17trampoline_kernelINS0_14default_configENS1_27lower_bound_config_selectorIxlEEZNS1_14transform_implILb0ES3_S5_N6thrust23THRUST_200600_302600_NS6detail15normal_iteratorINS8_7pointerIxNS8_11hip_rocprim5par_tENS8_11use_defaultESE_EEEENSA_INSB_IlSD_SE_SE_EEEEZNS1_13binary_searchIS3_S5_NSA_INS8_10device_ptrIxEEEESG_SI_NS1_21lower_bound_search_opENS9_16wrapped_functionINS8_6system6detail7generic6detail18binary_search_lessEbEEEE10hipError_tPvRmT1_T2_T3_mmT4_T5_P12ihipStream_tbEUlRKxE_EESV_SZ_S10_mS11_S14_bEUlT_E_NS1_11comp_targetILNS1_3genE4ELNS1_11target_archE910ELNS1_3gpuE8ELNS1_3repE0EEENS1_30default_config_static_selectorELNS0_4arch9wavefront6targetE0EEEvSY_.uses_vcc, 0
	.set _ZN7rocprim17ROCPRIM_400000_NS6detail17trampoline_kernelINS0_14default_configENS1_27lower_bound_config_selectorIxlEEZNS1_14transform_implILb0ES3_S5_N6thrust23THRUST_200600_302600_NS6detail15normal_iteratorINS8_7pointerIxNS8_11hip_rocprim5par_tENS8_11use_defaultESE_EEEENSA_INSB_IlSD_SE_SE_EEEEZNS1_13binary_searchIS3_S5_NSA_INS8_10device_ptrIxEEEESG_SI_NS1_21lower_bound_search_opENS9_16wrapped_functionINS8_6system6detail7generic6detail18binary_search_lessEbEEEE10hipError_tPvRmT1_T2_T3_mmT4_T5_P12ihipStream_tbEUlRKxE_EESV_SZ_S10_mS11_S14_bEUlT_E_NS1_11comp_targetILNS1_3genE4ELNS1_11target_archE910ELNS1_3gpuE8ELNS1_3repE0EEENS1_30default_config_static_selectorELNS0_4arch9wavefront6targetE0EEEvSY_.uses_flat_scratch, 0
	.set _ZN7rocprim17ROCPRIM_400000_NS6detail17trampoline_kernelINS0_14default_configENS1_27lower_bound_config_selectorIxlEEZNS1_14transform_implILb0ES3_S5_N6thrust23THRUST_200600_302600_NS6detail15normal_iteratorINS8_7pointerIxNS8_11hip_rocprim5par_tENS8_11use_defaultESE_EEEENSA_INSB_IlSD_SE_SE_EEEEZNS1_13binary_searchIS3_S5_NSA_INS8_10device_ptrIxEEEESG_SI_NS1_21lower_bound_search_opENS9_16wrapped_functionINS8_6system6detail7generic6detail18binary_search_lessEbEEEE10hipError_tPvRmT1_T2_T3_mmT4_T5_P12ihipStream_tbEUlRKxE_EESV_SZ_S10_mS11_S14_bEUlT_E_NS1_11comp_targetILNS1_3genE4ELNS1_11target_archE910ELNS1_3gpuE8ELNS1_3repE0EEENS1_30default_config_static_selectorELNS0_4arch9wavefront6targetE0EEEvSY_.has_dyn_sized_stack, 0
	.set _ZN7rocprim17ROCPRIM_400000_NS6detail17trampoline_kernelINS0_14default_configENS1_27lower_bound_config_selectorIxlEEZNS1_14transform_implILb0ES3_S5_N6thrust23THRUST_200600_302600_NS6detail15normal_iteratorINS8_7pointerIxNS8_11hip_rocprim5par_tENS8_11use_defaultESE_EEEENSA_INSB_IlSD_SE_SE_EEEEZNS1_13binary_searchIS3_S5_NSA_INS8_10device_ptrIxEEEESG_SI_NS1_21lower_bound_search_opENS9_16wrapped_functionINS8_6system6detail7generic6detail18binary_search_lessEbEEEE10hipError_tPvRmT1_T2_T3_mmT4_T5_P12ihipStream_tbEUlRKxE_EESV_SZ_S10_mS11_S14_bEUlT_E_NS1_11comp_targetILNS1_3genE4ELNS1_11target_archE910ELNS1_3gpuE8ELNS1_3repE0EEENS1_30default_config_static_selectorELNS0_4arch9wavefront6targetE0EEEvSY_.has_recursion, 0
	.set _ZN7rocprim17ROCPRIM_400000_NS6detail17trampoline_kernelINS0_14default_configENS1_27lower_bound_config_selectorIxlEEZNS1_14transform_implILb0ES3_S5_N6thrust23THRUST_200600_302600_NS6detail15normal_iteratorINS8_7pointerIxNS8_11hip_rocprim5par_tENS8_11use_defaultESE_EEEENSA_INSB_IlSD_SE_SE_EEEEZNS1_13binary_searchIS3_S5_NSA_INS8_10device_ptrIxEEEESG_SI_NS1_21lower_bound_search_opENS9_16wrapped_functionINS8_6system6detail7generic6detail18binary_search_lessEbEEEE10hipError_tPvRmT1_T2_T3_mmT4_T5_P12ihipStream_tbEUlRKxE_EESV_SZ_S10_mS11_S14_bEUlT_E_NS1_11comp_targetILNS1_3genE4ELNS1_11target_archE910ELNS1_3gpuE8ELNS1_3repE0EEENS1_30default_config_static_selectorELNS0_4arch9wavefront6targetE0EEEvSY_.has_indirect_call, 0
	.section	.AMDGPU.csdata,"",@progbits
; Kernel info:
; codeLenInByte = 0
; TotalNumSgprs: 0
; NumVgprs: 0
; ScratchSize: 0
; MemoryBound: 0
; FloatMode: 240
; IeeeMode: 1
; LDSByteSize: 0 bytes/workgroup (compile time only)
; SGPRBlocks: 0
; VGPRBlocks: 0
; NumSGPRsForWavesPerEU: 1
; NumVGPRsForWavesPerEU: 1
; Occupancy: 16
; WaveLimiterHint : 0
; COMPUTE_PGM_RSRC2:SCRATCH_EN: 0
; COMPUTE_PGM_RSRC2:USER_SGPR: 6
; COMPUTE_PGM_RSRC2:TRAP_HANDLER: 0
; COMPUTE_PGM_RSRC2:TGID_X_EN: 1
; COMPUTE_PGM_RSRC2:TGID_Y_EN: 0
; COMPUTE_PGM_RSRC2:TGID_Z_EN: 0
; COMPUTE_PGM_RSRC2:TIDIG_COMP_CNT: 0
	.section	.text._ZN7rocprim17ROCPRIM_400000_NS6detail17trampoline_kernelINS0_14default_configENS1_27lower_bound_config_selectorIxlEEZNS1_14transform_implILb0ES3_S5_N6thrust23THRUST_200600_302600_NS6detail15normal_iteratorINS8_7pointerIxNS8_11hip_rocprim5par_tENS8_11use_defaultESE_EEEENSA_INSB_IlSD_SE_SE_EEEEZNS1_13binary_searchIS3_S5_NSA_INS8_10device_ptrIxEEEESG_SI_NS1_21lower_bound_search_opENS9_16wrapped_functionINS8_6system6detail7generic6detail18binary_search_lessEbEEEE10hipError_tPvRmT1_T2_T3_mmT4_T5_P12ihipStream_tbEUlRKxE_EESV_SZ_S10_mS11_S14_bEUlT_E_NS1_11comp_targetILNS1_3genE3ELNS1_11target_archE908ELNS1_3gpuE7ELNS1_3repE0EEENS1_30default_config_static_selectorELNS0_4arch9wavefront6targetE0EEEvSY_,"axG",@progbits,_ZN7rocprim17ROCPRIM_400000_NS6detail17trampoline_kernelINS0_14default_configENS1_27lower_bound_config_selectorIxlEEZNS1_14transform_implILb0ES3_S5_N6thrust23THRUST_200600_302600_NS6detail15normal_iteratorINS8_7pointerIxNS8_11hip_rocprim5par_tENS8_11use_defaultESE_EEEENSA_INSB_IlSD_SE_SE_EEEEZNS1_13binary_searchIS3_S5_NSA_INS8_10device_ptrIxEEEESG_SI_NS1_21lower_bound_search_opENS9_16wrapped_functionINS8_6system6detail7generic6detail18binary_search_lessEbEEEE10hipError_tPvRmT1_T2_T3_mmT4_T5_P12ihipStream_tbEUlRKxE_EESV_SZ_S10_mS11_S14_bEUlT_E_NS1_11comp_targetILNS1_3genE3ELNS1_11target_archE908ELNS1_3gpuE7ELNS1_3repE0EEENS1_30default_config_static_selectorELNS0_4arch9wavefront6targetE0EEEvSY_,comdat
	.protected	_ZN7rocprim17ROCPRIM_400000_NS6detail17trampoline_kernelINS0_14default_configENS1_27lower_bound_config_selectorIxlEEZNS1_14transform_implILb0ES3_S5_N6thrust23THRUST_200600_302600_NS6detail15normal_iteratorINS8_7pointerIxNS8_11hip_rocprim5par_tENS8_11use_defaultESE_EEEENSA_INSB_IlSD_SE_SE_EEEEZNS1_13binary_searchIS3_S5_NSA_INS8_10device_ptrIxEEEESG_SI_NS1_21lower_bound_search_opENS9_16wrapped_functionINS8_6system6detail7generic6detail18binary_search_lessEbEEEE10hipError_tPvRmT1_T2_T3_mmT4_T5_P12ihipStream_tbEUlRKxE_EESV_SZ_S10_mS11_S14_bEUlT_E_NS1_11comp_targetILNS1_3genE3ELNS1_11target_archE908ELNS1_3gpuE7ELNS1_3repE0EEENS1_30default_config_static_selectorELNS0_4arch9wavefront6targetE0EEEvSY_ ; -- Begin function _ZN7rocprim17ROCPRIM_400000_NS6detail17trampoline_kernelINS0_14default_configENS1_27lower_bound_config_selectorIxlEEZNS1_14transform_implILb0ES3_S5_N6thrust23THRUST_200600_302600_NS6detail15normal_iteratorINS8_7pointerIxNS8_11hip_rocprim5par_tENS8_11use_defaultESE_EEEENSA_INSB_IlSD_SE_SE_EEEEZNS1_13binary_searchIS3_S5_NSA_INS8_10device_ptrIxEEEESG_SI_NS1_21lower_bound_search_opENS9_16wrapped_functionINS8_6system6detail7generic6detail18binary_search_lessEbEEEE10hipError_tPvRmT1_T2_T3_mmT4_T5_P12ihipStream_tbEUlRKxE_EESV_SZ_S10_mS11_S14_bEUlT_E_NS1_11comp_targetILNS1_3genE3ELNS1_11target_archE908ELNS1_3gpuE7ELNS1_3repE0EEENS1_30default_config_static_selectorELNS0_4arch9wavefront6targetE0EEEvSY_
	.globl	_ZN7rocprim17ROCPRIM_400000_NS6detail17trampoline_kernelINS0_14default_configENS1_27lower_bound_config_selectorIxlEEZNS1_14transform_implILb0ES3_S5_N6thrust23THRUST_200600_302600_NS6detail15normal_iteratorINS8_7pointerIxNS8_11hip_rocprim5par_tENS8_11use_defaultESE_EEEENSA_INSB_IlSD_SE_SE_EEEEZNS1_13binary_searchIS3_S5_NSA_INS8_10device_ptrIxEEEESG_SI_NS1_21lower_bound_search_opENS9_16wrapped_functionINS8_6system6detail7generic6detail18binary_search_lessEbEEEE10hipError_tPvRmT1_T2_T3_mmT4_T5_P12ihipStream_tbEUlRKxE_EESV_SZ_S10_mS11_S14_bEUlT_E_NS1_11comp_targetILNS1_3genE3ELNS1_11target_archE908ELNS1_3gpuE7ELNS1_3repE0EEENS1_30default_config_static_selectorELNS0_4arch9wavefront6targetE0EEEvSY_
	.p2align	8
	.type	_ZN7rocprim17ROCPRIM_400000_NS6detail17trampoline_kernelINS0_14default_configENS1_27lower_bound_config_selectorIxlEEZNS1_14transform_implILb0ES3_S5_N6thrust23THRUST_200600_302600_NS6detail15normal_iteratorINS8_7pointerIxNS8_11hip_rocprim5par_tENS8_11use_defaultESE_EEEENSA_INSB_IlSD_SE_SE_EEEEZNS1_13binary_searchIS3_S5_NSA_INS8_10device_ptrIxEEEESG_SI_NS1_21lower_bound_search_opENS9_16wrapped_functionINS8_6system6detail7generic6detail18binary_search_lessEbEEEE10hipError_tPvRmT1_T2_T3_mmT4_T5_P12ihipStream_tbEUlRKxE_EESV_SZ_S10_mS11_S14_bEUlT_E_NS1_11comp_targetILNS1_3genE3ELNS1_11target_archE908ELNS1_3gpuE7ELNS1_3repE0EEENS1_30default_config_static_selectorELNS0_4arch9wavefront6targetE0EEEvSY_,@function
_ZN7rocprim17ROCPRIM_400000_NS6detail17trampoline_kernelINS0_14default_configENS1_27lower_bound_config_selectorIxlEEZNS1_14transform_implILb0ES3_S5_N6thrust23THRUST_200600_302600_NS6detail15normal_iteratorINS8_7pointerIxNS8_11hip_rocprim5par_tENS8_11use_defaultESE_EEEENSA_INSB_IlSD_SE_SE_EEEEZNS1_13binary_searchIS3_S5_NSA_INS8_10device_ptrIxEEEESG_SI_NS1_21lower_bound_search_opENS9_16wrapped_functionINS8_6system6detail7generic6detail18binary_search_lessEbEEEE10hipError_tPvRmT1_T2_T3_mmT4_T5_P12ihipStream_tbEUlRKxE_EESV_SZ_S10_mS11_S14_bEUlT_E_NS1_11comp_targetILNS1_3genE3ELNS1_11target_archE908ELNS1_3gpuE7ELNS1_3repE0EEENS1_30default_config_static_selectorELNS0_4arch9wavefront6targetE0EEEvSY_: ; @_ZN7rocprim17ROCPRIM_400000_NS6detail17trampoline_kernelINS0_14default_configENS1_27lower_bound_config_selectorIxlEEZNS1_14transform_implILb0ES3_S5_N6thrust23THRUST_200600_302600_NS6detail15normal_iteratorINS8_7pointerIxNS8_11hip_rocprim5par_tENS8_11use_defaultESE_EEEENSA_INSB_IlSD_SE_SE_EEEEZNS1_13binary_searchIS3_S5_NSA_INS8_10device_ptrIxEEEESG_SI_NS1_21lower_bound_search_opENS9_16wrapped_functionINS8_6system6detail7generic6detail18binary_search_lessEbEEEE10hipError_tPvRmT1_T2_T3_mmT4_T5_P12ihipStream_tbEUlRKxE_EESV_SZ_S10_mS11_S14_bEUlT_E_NS1_11comp_targetILNS1_3genE3ELNS1_11target_archE908ELNS1_3gpuE7ELNS1_3repE0EEENS1_30default_config_static_selectorELNS0_4arch9wavefront6targetE0EEEvSY_
; %bb.0:
	.section	.rodata,"a",@progbits
	.p2align	6, 0x0
	.amdhsa_kernel _ZN7rocprim17ROCPRIM_400000_NS6detail17trampoline_kernelINS0_14default_configENS1_27lower_bound_config_selectorIxlEEZNS1_14transform_implILb0ES3_S5_N6thrust23THRUST_200600_302600_NS6detail15normal_iteratorINS8_7pointerIxNS8_11hip_rocprim5par_tENS8_11use_defaultESE_EEEENSA_INSB_IlSD_SE_SE_EEEEZNS1_13binary_searchIS3_S5_NSA_INS8_10device_ptrIxEEEESG_SI_NS1_21lower_bound_search_opENS9_16wrapped_functionINS8_6system6detail7generic6detail18binary_search_lessEbEEEE10hipError_tPvRmT1_T2_T3_mmT4_T5_P12ihipStream_tbEUlRKxE_EESV_SZ_S10_mS11_S14_bEUlT_E_NS1_11comp_targetILNS1_3genE3ELNS1_11target_archE908ELNS1_3gpuE7ELNS1_3repE0EEENS1_30default_config_static_selectorELNS0_4arch9wavefront6targetE0EEEvSY_
		.amdhsa_group_segment_fixed_size 0
		.amdhsa_private_segment_fixed_size 0
		.amdhsa_kernarg_size 56
		.amdhsa_user_sgpr_count 6
		.amdhsa_user_sgpr_private_segment_buffer 1
		.amdhsa_user_sgpr_dispatch_ptr 0
		.amdhsa_user_sgpr_queue_ptr 0
		.amdhsa_user_sgpr_kernarg_segment_ptr 1
		.amdhsa_user_sgpr_dispatch_id 0
		.amdhsa_user_sgpr_flat_scratch_init 0
		.amdhsa_user_sgpr_private_segment_size 0
		.amdhsa_wavefront_size32 1
		.amdhsa_uses_dynamic_stack 0
		.amdhsa_system_sgpr_private_segment_wavefront_offset 0
		.amdhsa_system_sgpr_workgroup_id_x 1
		.amdhsa_system_sgpr_workgroup_id_y 0
		.amdhsa_system_sgpr_workgroup_id_z 0
		.amdhsa_system_sgpr_workgroup_info 0
		.amdhsa_system_vgpr_workitem_id 0
		.amdhsa_next_free_vgpr 1
		.amdhsa_next_free_sgpr 1
		.amdhsa_reserve_vcc 0
		.amdhsa_reserve_flat_scratch 0
		.amdhsa_float_round_mode_32 0
		.amdhsa_float_round_mode_16_64 0
		.amdhsa_float_denorm_mode_32 3
		.amdhsa_float_denorm_mode_16_64 3
		.amdhsa_dx10_clamp 1
		.amdhsa_ieee_mode 1
		.amdhsa_fp16_overflow 0
		.amdhsa_workgroup_processor_mode 1
		.amdhsa_memory_ordered 1
		.amdhsa_forward_progress 1
		.amdhsa_shared_vgpr_count 0
		.amdhsa_exception_fp_ieee_invalid_op 0
		.amdhsa_exception_fp_denorm_src 0
		.amdhsa_exception_fp_ieee_div_zero 0
		.amdhsa_exception_fp_ieee_overflow 0
		.amdhsa_exception_fp_ieee_underflow 0
		.amdhsa_exception_fp_ieee_inexact 0
		.amdhsa_exception_int_div_zero 0
	.end_amdhsa_kernel
	.section	.text._ZN7rocprim17ROCPRIM_400000_NS6detail17trampoline_kernelINS0_14default_configENS1_27lower_bound_config_selectorIxlEEZNS1_14transform_implILb0ES3_S5_N6thrust23THRUST_200600_302600_NS6detail15normal_iteratorINS8_7pointerIxNS8_11hip_rocprim5par_tENS8_11use_defaultESE_EEEENSA_INSB_IlSD_SE_SE_EEEEZNS1_13binary_searchIS3_S5_NSA_INS8_10device_ptrIxEEEESG_SI_NS1_21lower_bound_search_opENS9_16wrapped_functionINS8_6system6detail7generic6detail18binary_search_lessEbEEEE10hipError_tPvRmT1_T2_T3_mmT4_T5_P12ihipStream_tbEUlRKxE_EESV_SZ_S10_mS11_S14_bEUlT_E_NS1_11comp_targetILNS1_3genE3ELNS1_11target_archE908ELNS1_3gpuE7ELNS1_3repE0EEENS1_30default_config_static_selectorELNS0_4arch9wavefront6targetE0EEEvSY_,"axG",@progbits,_ZN7rocprim17ROCPRIM_400000_NS6detail17trampoline_kernelINS0_14default_configENS1_27lower_bound_config_selectorIxlEEZNS1_14transform_implILb0ES3_S5_N6thrust23THRUST_200600_302600_NS6detail15normal_iteratorINS8_7pointerIxNS8_11hip_rocprim5par_tENS8_11use_defaultESE_EEEENSA_INSB_IlSD_SE_SE_EEEEZNS1_13binary_searchIS3_S5_NSA_INS8_10device_ptrIxEEEESG_SI_NS1_21lower_bound_search_opENS9_16wrapped_functionINS8_6system6detail7generic6detail18binary_search_lessEbEEEE10hipError_tPvRmT1_T2_T3_mmT4_T5_P12ihipStream_tbEUlRKxE_EESV_SZ_S10_mS11_S14_bEUlT_E_NS1_11comp_targetILNS1_3genE3ELNS1_11target_archE908ELNS1_3gpuE7ELNS1_3repE0EEENS1_30default_config_static_selectorELNS0_4arch9wavefront6targetE0EEEvSY_,comdat
.Lfunc_end388:
	.size	_ZN7rocprim17ROCPRIM_400000_NS6detail17trampoline_kernelINS0_14default_configENS1_27lower_bound_config_selectorIxlEEZNS1_14transform_implILb0ES3_S5_N6thrust23THRUST_200600_302600_NS6detail15normal_iteratorINS8_7pointerIxNS8_11hip_rocprim5par_tENS8_11use_defaultESE_EEEENSA_INSB_IlSD_SE_SE_EEEEZNS1_13binary_searchIS3_S5_NSA_INS8_10device_ptrIxEEEESG_SI_NS1_21lower_bound_search_opENS9_16wrapped_functionINS8_6system6detail7generic6detail18binary_search_lessEbEEEE10hipError_tPvRmT1_T2_T3_mmT4_T5_P12ihipStream_tbEUlRKxE_EESV_SZ_S10_mS11_S14_bEUlT_E_NS1_11comp_targetILNS1_3genE3ELNS1_11target_archE908ELNS1_3gpuE7ELNS1_3repE0EEENS1_30default_config_static_selectorELNS0_4arch9wavefront6targetE0EEEvSY_, .Lfunc_end388-_ZN7rocprim17ROCPRIM_400000_NS6detail17trampoline_kernelINS0_14default_configENS1_27lower_bound_config_selectorIxlEEZNS1_14transform_implILb0ES3_S5_N6thrust23THRUST_200600_302600_NS6detail15normal_iteratorINS8_7pointerIxNS8_11hip_rocprim5par_tENS8_11use_defaultESE_EEEENSA_INSB_IlSD_SE_SE_EEEEZNS1_13binary_searchIS3_S5_NSA_INS8_10device_ptrIxEEEESG_SI_NS1_21lower_bound_search_opENS9_16wrapped_functionINS8_6system6detail7generic6detail18binary_search_lessEbEEEE10hipError_tPvRmT1_T2_T3_mmT4_T5_P12ihipStream_tbEUlRKxE_EESV_SZ_S10_mS11_S14_bEUlT_E_NS1_11comp_targetILNS1_3genE3ELNS1_11target_archE908ELNS1_3gpuE7ELNS1_3repE0EEENS1_30default_config_static_selectorELNS0_4arch9wavefront6targetE0EEEvSY_
                                        ; -- End function
	.set _ZN7rocprim17ROCPRIM_400000_NS6detail17trampoline_kernelINS0_14default_configENS1_27lower_bound_config_selectorIxlEEZNS1_14transform_implILb0ES3_S5_N6thrust23THRUST_200600_302600_NS6detail15normal_iteratorINS8_7pointerIxNS8_11hip_rocprim5par_tENS8_11use_defaultESE_EEEENSA_INSB_IlSD_SE_SE_EEEEZNS1_13binary_searchIS3_S5_NSA_INS8_10device_ptrIxEEEESG_SI_NS1_21lower_bound_search_opENS9_16wrapped_functionINS8_6system6detail7generic6detail18binary_search_lessEbEEEE10hipError_tPvRmT1_T2_T3_mmT4_T5_P12ihipStream_tbEUlRKxE_EESV_SZ_S10_mS11_S14_bEUlT_E_NS1_11comp_targetILNS1_3genE3ELNS1_11target_archE908ELNS1_3gpuE7ELNS1_3repE0EEENS1_30default_config_static_selectorELNS0_4arch9wavefront6targetE0EEEvSY_.num_vgpr, 0
	.set _ZN7rocprim17ROCPRIM_400000_NS6detail17trampoline_kernelINS0_14default_configENS1_27lower_bound_config_selectorIxlEEZNS1_14transform_implILb0ES3_S5_N6thrust23THRUST_200600_302600_NS6detail15normal_iteratorINS8_7pointerIxNS8_11hip_rocprim5par_tENS8_11use_defaultESE_EEEENSA_INSB_IlSD_SE_SE_EEEEZNS1_13binary_searchIS3_S5_NSA_INS8_10device_ptrIxEEEESG_SI_NS1_21lower_bound_search_opENS9_16wrapped_functionINS8_6system6detail7generic6detail18binary_search_lessEbEEEE10hipError_tPvRmT1_T2_T3_mmT4_T5_P12ihipStream_tbEUlRKxE_EESV_SZ_S10_mS11_S14_bEUlT_E_NS1_11comp_targetILNS1_3genE3ELNS1_11target_archE908ELNS1_3gpuE7ELNS1_3repE0EEENS1_30default_config_static_selectorELNS0_4arch9wavefront6targetE0EEEvSY_.num_agpr, 0
	.set _ZN7rocprim17ROCPRIM_400000_NS6detail17trampoline_kernelINS0_14default_configENS1_27lower_bound_config_selectorIxlEEZNS1_14transform_implILb0ES3_S5_N6thrust23THRUST_200600_302600_NS6detail15normal_iteratorINS8_7pointerIxNS8_11hip_rocprim5par_tENS8_11use_defaultESE_EEEENSA_INSB_IlSD_SE_SE_EEEEZNS1_13binary_searchIS3_S5_NSA_INS8_10device_ptrIxEEEESG_SI_NS1_21lower_bound_search_opENS9_16wrapped_functionINS8_6system6detail7generic6detail18binary_search_lessEbEEEE10hipError_tPvRmT1_T2_T3_mmT4_T5_P12ihipStream_tbEUlRKxE_EESV_SZ_S10_mS11_S14_bEUlT_E_NS1_11comp_targetILNS1_3genE3ELNS1_11target_archE908ELNS1_3gpuE7ELNS1_3repE0EEENS1_30default_config_static_selectorELNS0_4arch9wavefront6targetE0EEEvSY_.numbered_sgpr, 0
	.set _ZN7rocprim17ROCPRIM_400000_NS6detail17trampoline_kernelINS0_14default_configENS1_27lower_bound_config_selectorIxlEEZNS1_14transform_implILb0ES3_S5_N6thrust23THRUST_200600_302600_NS6detail15normal_iteratorINS8_7pointerIxNS8_11hip_rocprim5par_tENS8_11use_defaultESE_EEEENSA_INSB_IlSD_SE_SE_EEEEZNS1_13binary_searchIS3_S5_NSA_INS8_10device_ptrIxEEEESG_SI_NS1_21lower_bound_search_opENS9_16wrapped_functionINS8_6system6detail7generic6detail18binary_search_lessEbEEEE10hipError_tPvRmT1_T2_T3_mmT4_T5_P12ihipStream_tbEUlRKxE_EESV_SZ_S10_mS11_S14_bEUlT_E_NS1_11comp_targetILNS1_3genE3ELNS1_11target_archE908ELNS1_3gpuE7ELNS1_3repE0EEENS1_30default_config_static_selectorELNS0_4arch9wavefront6targetE0EEEvSY_.num_named_barrier, 0
	.set _ZN7rocprim17ROCPRIM_400000_NS6detail17trampoline_kernelINS0_14default_configENS1_27lower_bound_config_selectorIxlEEZNS1_14transform_implILb0ES3_S5_N6thrust23THRUST_200600_302600_NS6detail15normal_iteratorINS8_7pointerIxNS8_11hip_rocprim5par_tENS8_11use_defaultESE_EEEENSA_INSB_IlSD_SE_SE_EEEEZNS1_13binary_searchIS3_S5_NSA_INS8_10device_ptrIxEEEESG_SI_NS1_21lower_bound_search_opENS9_16wrapped_functionINS8_6system6detail7generic6detail18binary_search_lessEbEEEE10hipError_tPvRmT1_T2_T3_mmT4_T5_P12ihipStream_tbEUlRKxE_EESV_SZ_S10_mS11_S14_bEUlT_E_NS1_11comp_targetILNS1_3genE3ELNS1_11target_archE908ELNS1_3gpuE7ELNS1_3repE0EEENS1_30default_config_static_selectorELNS0_4arch9wavefront6targetE0EEEvSY_.private_seg_size, 0
	.set _ZN7rocprim17ROCPRIM_400000_NS6detail17trampoline_kernelINS0_14default_configENS1_27lower_bound_config_selectorIxlEEZNS1_14transform_implILb0ES3_S5_N6thrust23THRUST_200600_302600_NS6detail15normal_iteratorINS8_7pointerIxNS8_11hip_rocprim5par_tENS8_11use_defaultESE_EEEENSA_INSB_IlSD_SE_SE_EEEEZNS1_13binary_searchIS3_S5_NSA_INS8_10device_ptrIxEEEESG_SI_NS1_21lower_bound_search_opENS9_16wrapped_functionINS8_6system6detail7generic6detail18binary_search_lessEbEEEE10hipError_tPvRmT1_T2_T3_mmT4_T5_P12ihipStream_tbEUlRKxE_EESV_SZ_S10_mS11_S14_bEUlT_E_NS1_11comp_targetILNS1_3genE3ELNS1_11target_archE908ELNS1_3gpuE7ELNS1_3repE0EEENS1_30default_config_static_selectorELNS0_4arch9wavefront6targetE0EEEvSY_.uses_vcc, 0
	.set _ZN7rocprim17ROCPRIM_400000_NS6detail17trampoline_kernelINS0_14default_configENS1_27lower_bound_config_selectorIxlEEZNS1_14transform_implILb0ES3_S5_N6thrust23THRUST_200600_302600_NS6detail15normal_iteratorINS8_7pointerIxNS8_11hip_rocprim5par_tENS8_11use_defaultESE_EEEENSA_INSB_IlSD_SE_SE_EEEEZNS1_13binary_searchIS3_S5_NSA_INS8_10device_ptrIxEEEESG_SI_NS1_21lower_bound_search_opENS9_16wrapped_functionINS8_6system6detail7generic6detail18binary_search_lessEbEEEE10hipError_tPvRmT1_T2_T3_mmT4_T5_P12ihipStream_tbEUlRKxE_EESV_SZ_S10_mS11_S14_bEUlT_E_NS1_11comp_targetILNS1_3genE3ELNS1_11target_archE908ELNS1_3gpuE7ELNS1_3repE0EEENS1_30default_config_static_selectorELNS0_4arch9wavefront6targetE0EEEvSY_.uses_flat_scratch, 0
	.set _ZN7rocprim17ROCPRIM_400000_NS6detail17trampoline_kernelINS0_14default_configENS1_27lower_bound_config_selectorIxlEEZNS1_14transform_implILb0ES3_S5_N6thrust23THRUST_200600_302600_NS6detail15normal_iteratorINS8_7pointerIxNS8_11hip_rocprim5par_tENS8_11use_defaultESE_EEEENSA_INSB_IlSD_SE_SE_EEEEZNS1_13binary_searchIS3_S5_NSA_INS8_10device_ptrIxEEEESG_SI_NS1_21lower_bound_search_opENS9_16wrapped_functionINS8_6system6detail7generic6detail18binary_search_lessEbEEEE10hipError_tPvRmT1_T2_T3_mmT4_T5_P12ihipStream_tbEUlRKxE_EESV_SZ_S10_mS11_S14_bEUlT_E_NS1_11comp_targetILNS1_3genE3ELNS1_11target_archE908ELNS1_3gpuE7ELNS1_3repE0EEENS1_30default_config_static_selectorELNS0_4arch9wavefront6targetE0EEEvSY_.has_dyn_sized_stack, 0
	.set _ZN7rocprim17ROCPRIM_400000_NS6detail17trampoline_kernelINS0_14default_configENS1_27lower_bound_config_selectorIxlEEZNS1_14transform_implILb0ES3_S5_N6thrust23THRUST_200600_302600_NS6detail15normal_iteratorINS8_7pointerIxNS8_11hip_rocprim5par_tENS8_11use_defaultESE_EEEENSA_INSB_IlSD_SE_SE_EEEEZNS1_13binary_searchIS3_S5_NSA_INS8_10device_ptrIxEEEESG_SI_NS1_21lower_bound_search_opENS9_16wrapped_functionINS8_6system6detail7generic6detail18binary_search_lessEbEEEE10hipError_tPvRmT1_T2_T3_mmT4_T5_P12ihipStream_tbEUlRKxE_EESV_SZ_S10_mS11_S14_bEUlT_E_NS1_11comp_targetILNS1_3genE3ELNS1_11target_archE908ELNS1_3gpuE7ELNS1_3repE0EEENS1_30default_config_static_selectorELNS0_4arch9wavefront6targetE0EEEvSY_.has_recursion, 0
	.set _ZN7rocprim17ROCPRIM_400000_NS6detail17trampoline_kernelINS0_14default_configENS1_27lower_bound_config_selectorIxlEEZNS1_14transform_implILb0ES3_S5_N6thrust23THRUST_200600_302600_NS6detail15normal_iteratorINS8_7pointerIxNS8_11hip_rocprim5par_tENS8_11use_defaultESE_EEEENSA_INSB_IlSD_SE_SE_EEEEZNS1_13binary_searchIS3_S5_NSA_INS8_10device_ptrIxEEEESG_SI_NS1_21lower_bound_search_opENS9_16wrapped_functionINS8_6system6detail7generic6detail18binary_search_lessEbEEEE10hipError_tPvRmT1_T2_T3_mmT4_T5_P12ihipStream_tbEUlRKxE_EESV_SZ_S10_mS11_S14_bEUlT_E_NS1_11comp_targetILNS1_3genE3ELNS1_11target_archE908ELNS1_3gpuE7ELNS1_3repE0EEENS1_30default_config_static_selectorELNS0_4arch9wavefront6targetE0EEEvSY_.has_indirect_call, 0
	.section	.AMDGPU.csdata,"",@progbits
; Kernel info:
; codeLenInByte = 0
; TotalNumSgprs: 0
; NumVgprs: 0
; ScratchSize: 0
; MemoryBound: 0
; FloatMode: 240
; IeeeMode: 1
; LDSByteSize: 0 bytes/workgroup (compile time only)
; SGPRBlocks: 0
; VGPRBlocks: 0
; NumSGPRsForWavesPerEU: 1
; NumVGPRsForWavesPerEU: 1
; Occupancy: 16
; WaveLimiterHint : 0
; COMPUTE_PGM_RSRC2:SCRATCH_EN: 0
; COMPUTE_PGM_RSRC2:USER_SGPR: 6
; COMPUTE_PGM_RSRC2:TRAP_HANDLER: 0
; COMPUTE_PGM_RSRC2:TGID_X_EN: 1
; COMPUTE_PGM_RSRC2:TGID_Y_EN: 0
; COMPUTE_PGM_RSRC2:TGID_Z_EN: 0
; COMPUTE_PGM_RSRC2:TIDIG_COMP_CNT: 0
	.section	.text._ZN7rocprim17ROCPRIM_400000_NS6detail17trampoline_kernelINS0_14default_configENS1_27lower_bound_config_selectorIxlEEZNS1_14transform_implILb0ES3_S5_N6thrust23THRUST_200600_302600_NS6detail15normal_iteratorINS8_7pointerIxNS8_11hip_rocprim5par_tENS8_11use_defaultESE_EEEENSA_INSB_IlSD_SE_SE_EEEEZNS1_13binary_searchIS3_S5_NSA_INS8_10device_ptrIxEEEESG_SI_NS1_21lower_bound_search_opENS9_16wrapped_functionINS8_6system6detail7generic6detail18binary_search_lessEbEEEE10hipError_tPvRmT1_T2_T3_mmT4_T5_P12ihipStream_tbEUlRKxE_EESV_SZ_S10_mS11_S14_bEUlT_E_NS1_11comp_targetILNS1_3genE2ELNS1_11target_archE906ELNS1_3gpuE6ELNS1_3repE0EEENS1_30default_config_static_selectorELNS0_4arch9wavefront6targetE0EEEvSY_,"axG",@progbits,_ZN7rocprim17ROCPRIM_400000_NS6detail17trampoline_kernelINS0_14default_configENS1_27lower_bound_config_selectorIxlEEZNS1_14transform_implILb0ES3_S5_N6thrust23THRUST_200600_302600_NS6detail15normal_iteratorINS8_7pointerIxNS8_11hip_rocprim5par_tENS8_11use_defaultESE_EEEENSA_INSB_IlSD_SE_SE_EEEEZNS1_13binary_searchIS3_S5_NSA_INS8_10device_ptrIxEEEESG_SI_NS1_21lower_bound_search_opENS9_16wrapped_functionINS8_6system6detail7generic6detail18binary_search_lessEbEEEE10hipError_tPvRmT1_T2_T3_mmT4_T5_P12ihipStream_tbEUlRKxE_EESV_SZ_S10_mS11_S14_bEUlT_E_NS1_11comp_targetILNS1_3genE2ELNS1_11target_archE906ELNS1_3gpuE6ELNS1_3repE0EEENS1_30default_config_static_selectorELNS0_4arch9wavefront6targetE0EEEvSY_,comdat
	.protected	_ZN7rocprim17ROCPRIM_400000_NS6detail17trampoline_kernelINS0_14default_configENS1_27lower_bound_config_selectorIxlEEZNS1_14transform_implILb0ES3_S5_N6thrust23THRUST_200600_302600_NS6detail15normal_iteratorINS8_7pointerIxNS8_11hip_rocprim5par_tENS8_11use_defaultESE_EEEENSA_INSB_IlSD_SE_SE_EEEEZNS1_13binary_searchIS3_S5_NSA_INS8_10device_ptrIxEEEESG_SI_NS1_21lower_bound_search_opENS9_16wrapped_functionINS8_6system6detail7generic6detail18binary_search_lessEbEEEE10hipError_tPvRmT1_T2_T3_mmT4_T5_P12ihipStream_tbEUlRKxE_EESV_SZ_S10_mS11_S14_bEUlT_E_NS1_11comp_targetILNS1_3genE2ELNS1_11target_archE906ELNS1_3gpuE6ELNS1_3repE0EEENS1_30default_config_static_selectorELNS0_4arch9wavefront6targetE0EEEvSY_ ; -- Begin function _ZN7rocprim17ROCPRIM_400000_NS6detail17trampoline_kernelINS0_14default_configENS1_27lower_bound_config_selectorIxlEEZNS1_14transform_implILb0ES3_S5_N6thrust23THRUST_200600_302600_NS6detail15normal_iteratorINS8_7pointerIxNS8_11hip_rocprim5par_tENS8_11use_defaultESE_EEEENSA_INSB_IlSD_SE_SE_EEEEZNS1_13binary_searchIS3_S5_NSA_INS8_10device_ptrIxEEEESG_SI_NS1_21lower_bound_search_opENS9_16wrapped_functionINS8_6system6detail7generic6detail18binary_search_lessEbEEEE10hipError_tPvRmT1_T2_T3_mmT4_T5_P12ihipStream_tbEUlRKxE_EESV_SZ_S10_mS11_S14_bEUlT_E_NS1_11comp_targetILNS1_3genE2ELNS1_11target_archE906ELNS1_3gpuE6ELNS1_3repE0EEENS1_30default_config_static_selectorELNS0_4arch9wavefront6targetE0EEEvSY_
	.globl	_ZN7rocprim17ROCPRIM_400000_NS6detail17trampoline_kernelINS0_14default_configENS1_27lower_bound_config_selectorIxlEEZNS1_14transform_implILb0ES3_S5_N6thrust23THRUST_200600_302600_NS6detail15normal_iteratorINS8_7pointerIxNS8_11hip_rocprim5par_tENS8_11use_defaultESE_EEEENSA_INSB_IlSD_SE_SE_EEEEZNS1_13binary_searchIS3_S5_NSA_INS8_10device_ptrIxEEEESG_SI_NS1_21lower_bound_search_opENS9_16wrapped_functionINS8_6system6detail7generic6detail18binary_search_lessEbEEEE10hipError_tPvRmT1_T2_T3_mmT4_T5_P12ihipStream_tbEUlRKxE_EESV_SZ_S10_mS11_S14_bEUlT_E_NS1_11comp_targetILNS1_3genE2ELNS1_11target_archE906ELNS1_3gpuE6ELNS1_3repE0EEENS1_30default_config_static_selectorELNS0_4arch9wavefront6targetE0EEEvSY_
	.p2align	8
	.type	_ZN7rocprim17ROCPRIM_400000_NS6detail17trampoline_kernelINS0_14default_configENS1_27lower_bound_config_selectorIxlEEZNS1_14transform_implILb0ES3_S5_N6thrust23THRUST_200600_302600_NS6detail15normal_iteratorINS8_7pointerIxNS8_11hip_rocprim5par_tENS8_11use_defaultESE_EEEENSA_INSB_IlSD_SE_SE_EEEEZNS1_13binary_searchIS3_S5_NSA_INS8_10device_ptrIxEEEESG_SI_NS1_21lower_bound_search_opENS9_16wrapped_functionINS8_6system6detail7generic6detail18binary_search_lessEbEEEE10hipError_tPvRmT1_T2_T3_mmT4_T5_P12ihipStream_tbEUlRKxE_EESV_SZ_S10_mS11_S14_bEUlT_E_NS1_11comp_targetILNS1_3genE2ELNS1_11target_archE906ELNS1_3gpuE6ELNS1_3repE0EEENS1_30default_config_static_selectorELNS0_4arch9wavefront6targetE0EEEvSY_,@function
_ZN7rocprim17ROCPRIM_400000_NS6detail17trampoline_kernelINS0_14default_configENS1_27lower_bound_config_selectorIxlEEZNS1_14transform_implILb0ES3_S5_N6thrust23THRUST_200600_302600_NS6detail15normal_iteratorINS8_7pointerIxNS8_11hip_rocprim5par_tENS8_11use_defaultESE_EEEENSA_INSB_IlSD_SE_SE_EEEEZNS1_13binary_searchIS3_S5_NSA_INS8_10device_ptrIxEEEESG_SI_NS1_21lower_bound_search_opENS9_16wrapped_functionINS8_6system6detail7generic6detail18binary_search_lessEbEEEE10hipError_tPvRmT1_T2_T3_mmT4_T5_P12ihipStream_tbEUlRKxE_EESV_SZ_S10_mS11_S14_bEUlT_E_NS1_11comp_targetILNS1_3genE2ELNS1_11target_archE906ELNS1_3gpuE6ELNS1_3repE0EEENS1_30default_config_static_selectorELNS0_4arch9wavefront6targetE0EEEvSY_: ; @_ZN7rocprim17ROCPRIM_400000_NS6detail17trampoline_kernelINS0_14default_configENS1_27lower_bound_config_selectorIxlEEZNS1_14transform_implILb0ES3_S5_N6thrust23THRUST_200600_302600_NS6detail15normal_iteratorINS8_7pointerIxNS8_11hip_rocprim5par_tENS8_11use_defaultESE_EEEENSA_INSB_IlSD_SE_SE_EEEEZNS1_13binary_searchIS3_S5_NSA_INS8_10device_ptrIxEEEESG_SI_NS1_21lower_bound_search_opENS9_16wrapped_functionINS8_6system6detail7generic6detail18binary_search_lessEbEEEE10hipError_tPvRmT1_T2_T3_mmT4_T5_P12ihipStream_tbEUlRKxE_EESV_SZ_S10_mS11_S14_bEUlT_E_NS1_11comp_targetILNS1_3genE2ELNS1_11target_archE906ELNS1_3gpuE6ELNS1_3repE0EEENS1_30default_config_static_selectorELNS0_4arch9wavefront6targetE0EEEvSY_
; %bb.0:
	.section	.rodata,"a",@progbits
	.p2align	6, 0x0
	.amdhsa_kernel _ZN7rocprim17ROCPRIM_400000_NS6detail17trampoline_kernelINS0_14default_configENS1_27lower_bound_config_selectorIxlEEZNS1_14transform_implILb0ES3_S5_N6thrust23THRUST_200600_302600_NS6detail15normal_iteratorINS8_7pointerIxNS8_11hip_rocprim5par_tENS8_11use_defaultESE_EEEENSA_INSB_IlSD_SE_SE_EEEEZNS1_13binary_searchIS3_S5_NSA_INS8_10device_ptrIxEEEESG_SI_NS1_21lower_bound_search_opENS9_16wrapped_functionINS8_6system6detail7generic6detail18binary_search_lessEbEEEE10hipError_tPvRmT1_T2_T3_mmT4_T5_P12ihipStream_tbEUlRKxE_EESV_SZ_S10_mS11_S14_bEUlT_E_NS1_11comp_targetILNS1_3genE2ELNS1_11target_archE906ELNS1_3gpuE6ELNS1_3repE0EEENS1_30default_config_static_selectorELNS0_4arch9wavefront6targetE0EEEvSY_
		.amdhsa_group_segment_fixed_size 0
		.amdhsa_private_segment_fixed_size 0
		.amdhsa_kernarg_size 56
		.amdhsa_user_sgpr_count 6
		.amdhsa_user_sgpr_private_segment_buffer 1
		.amdhsa_user_sgpr_dispatch_ptr 0
		.amdhsa_user_sgpr_queue_ptr 0
		.amdhsa_user_sgpr_kernarg_segment_ptr 1
		.amdhsa_user_sgpr_dispatch_id 0
		.amdhsa_user_sgpr_flat_scratch_init 0
		.amdhsa_user_sgpr_private_segment_size 0
		.amdhsa_wavefront_size32 1
		.amdhsa_uses_dynamic_stack 0
		.amdhsa_system_sgpr_private_segment_wavefront_offset 0
		.amdhsa_system_sgpr_workgroup_id_x 1
		.amdhsa_system_sgpr_workgroup_id_y 0
		.amdhsa_system_sgpr_workgroup_id_z 0
		.amdhsa_system_sgpr_workgroup_info 0
		.amdhsa_system_vgpr_workitem_id 0
		.amdhsa_next_free_vgpr 1
		.amdhsa_next_free_sgpr 1
		.amdhsa_reserve_vcc 0
		.amdhsa_reserve_flat_scratch 0
		.amdhsa_float_round_mode_32 0
		.amdhsa_float_round_mode_16_64 0
		.amdhsa_float_denorm_mode_32 3
		.amdhsa_float_denorm_mode_16_64 3
		.amdhsa_dx10_clamp 1
		.amdhsa_ieee_mode 1
		.amdhsa_fp16_overflow 0
		.amdhsa_workgroup_processor_mode 1
		.amdhsa_memory_ordered 1
		.amdhsa_forward_progress 1
		.amdhsa_shared_vgpr_count 0
		.amdhsa_exception_fp_ieee_invalid_op 0
		.amdhsa_exception_fp_denorm_src 0
		.amdhsa_exception_fp_ieee_div_zero 0
		.amdhsa_exception_fp_ieee_overflow 0
		.amdhsa_exception_fp_ieee_underflow 0
		.amdhsa_exception_fp_ieee_inexact 0
		.amdhsa_exception_int_div_zero 0
	.end_amdhsa_kernel
	.section	.text._ZN7rocprim17ROCPRIM_400000_NS6detail17trampoline_kernelINS0_14default_configENS1_27lower_bound_config_selectorIxlEEZNS1_14transform_implILb0ES3_S5_N6thrust23THRUST_200600_302600_NS6detail15normal_iteratorINS8_7pointerIxNS8_11hip_rocprim5par_tENS8_11use_defaultESE_EEEENSA_INSB_IlSD_SE_SE_EEEEZNS1_13binary_searchIS3_S5_NSA_INS8_10device_ptrIxEEEESG_SI_NS1_21lower_bound_search_opENS9_16wrapped_functionINS8_6system6detail7generic6detail18binary_search_lessEbEEEE10hipError_tPvRmT1_T2_T3_mmT4_T5_P12ihipStream_tbEUlRKxE_EESV_SZ_S10_mS11_S14_bEUlT_E_NS1_11comp_targetILNS1_3genE2ELNS1_11target_archE906ELNS1_3gpuE6ELNS1_3repE0EEENS1_30default_config_static_selectorELNS0_4arch9wavefront6targetE0EEEvSY_,"axG",@progbits,_ZN7rocprim17ROCPRIM_400000_NS6detail17trampoline_kernelINS0_14default_configENS1_27lower_bound_config_selectorIxlEEZNS1_14transform_implILb0ES3_S5_N6thrust23THRUST_200600_302600_NS6detail15normal_iteratorINS8_7pointerIxNS8_11hip_rocprim5par_tENS8_11use_defaultESE_EEEENSA_INSB_IlSD_SE_SE_EEEEZNS1_13binary_searchIS3_S5_NSA_INS8_10device_ptrIxEEEESG_SI_NS1_21lower_bound_search_opENS9_16wrapped_functionINS8_6system6detail7generic6detail18binary_search_lessEbEEEE10hipError_tPvRmT1_T2_T3_mmT4_T5_P12ihipStream_tbEUlRKxE_EESV_SZ_S10_mS11_S14_bEUlT_E_NS1_11comp_targetILNS1_3genE2ELNS1_11target_archE906ELNS1_3gpuE6ELNS1_3repE0EEENS1_30default_config_static_selectorELNS0_4arch9wavefront6targetE0EEEvSY_,comdat
.Lfunc_end389:
	.size	_ZN7rocprim17ROCPRIM_400000_NS6detail17trampoline_kernelINS0_14default_configENS1_27lower_bound_config_selectorIxlEEZNS1_14transform_implILb0ES3_S5_N6thrust23THRUST_200600_302600_NS6detail15normal_iteratorINS8_7pointerIxNS8_11hip_rocprim5par_tENS8_11use_defaultESE_EEEENSA_INSB_IlSD_SE_SE_EEEEZNS1_13binary_searchIS3_S5_NSA_INS8_10device_ptrIxEEEESG_SI_NS1_21lower_bound_search_opENS9_16wrapped_functionINS8_6system6detail7generic6detail18binary_search_lessEbEEEE10hipError_tPvRmT1_T2_T3_mmT4_T5_P12ihipStream_tbEUlRKxE_EESV_SZ_S10_mS11_S14_bEUlT_E_NS1_11comp_targetILNS1_3genE2ELNS1_11target_archE906ELNS1_3gpuE6ELNS1_3repE0EEENS1_30default_config_static_selectorELNS0_4arch9wavefront6targetE0EEEvSY_, .Lfunc_end389-_ZN7rocprim17ROCPRIM_400000_NS6detail17trampoline_kernelINS0_14default_configENS1_27lower_bound_config_selectorIxlEEZNS1_14transform_implILb0ES3_S5_N6thrust23THRUST_200600_302600_NS6detail15normal_iteratorINS8_7pointerIxNS8_11hip_rocprim5par_tENS8_11use_defaultESE_EEEENSA_INSB_IlSD_SE_SE_EEEEZNS1_13binary_searchIS3_S5_NSA_INS8_10device_ptrIxEEEESG_SI_NS1_21lower_bound_search_opENS9_16wrapped_functionINS8_6system6detail7generic6detail18binary_search_lessEbEEEE10hipError_tPvRmT1_T2_T3_mmT4_T5_P12ihipStream_tbEUlRKxE_EESV_SZ_S10_mS11_S14_bEUlT_E_NS1_11comp_targetILNS1_3genE2ELNS1_11target_archE906ELNS1_3gpuE6ELNS1_3repE0EEENS1_30default_config_static_selectorELNS0_4arch9wavefront6targetE0EEEvSY_
                                        ; -- End function
	.set _ZN7rocprim17ROCPRIM_400000_NS6detail17trampoline_kernelINS0_14default_configENS1_27lower_bound_config_selectorIxlEEZNS1_14transform_implILb0ES3_S5_N6thrust23THRUST_200600_302600_NS6detail15normal_iteratorINS8_7pointerIxNS8_11hip_rocprim5par_tENS8_11use_defaultESE_EEEENSA_INSB_IlSD_SE_SE_EEEEZNS1_13binary_searchIS3_S5_NSA_INS8_10device_ptrIxEEEESG_SI_NS1_21lower_bound_search_opENS9_16wrapped_functionINS8_6system6detail7generic6detail18binary_search_lessEbEEEE10hipError_tPvRmT1_T2_T3_mmT4_T5_P12ihipStream_tbEUlRKxE_EESV_SZ_S10_mS11_S14_bEUlT_E_NS1_11comp_targetILNS1_3genE2ELNS1_11target_archE906ELNS1_3gpuE6ELNS1_3repE0EEENS1_30default_config_static_selectorELNS0_4arch9wavefront6targetE0EEEvSY_.num_vgpr, 0
	.set _ZN7rocprim17ROCPRIM_400000_NS6detail17trampoline_kernelINS0_14default_configENS1_27lower_bound_config_selectorIxlEEZNS1_14transform_implILb0ES3_S5_N6thrust23THRUST_200600_302600_NS6detail15normal_iteratorINS8_7pointerIxNS8_11hip_rocprim5par_tENS8_11use_defaultESE_EEEENSA_INSB_IlSD_SE_SE_EEEEZNS1_13binary_searchIS3_S5_NSA_INS8_10device_ptrIxEEEESG_SI_NS1_21lower_bound_search_opENS9_16wrapped_functionINS8_6system6detail7generic6detail18binary_search_lessEbEEEE10hipError_tPvRmT1_T2_T3_mmT4_T5_P12ihipStream_tbEUlRKxE_EESV_SZ_S10_mS11_S14_bEUlT_E_NS1_11comp_targetILNS1_3genE2ELNS1_11target_archE906ELNS1_3gpuE6ELNS1_3repE0EEENS1_30default_config_static_selectorELNS0_4arch9wavefront6targetE0EEEvSY_.num_agpr, 0
	.set _ZN7rocprim17ROCPRIM_400000_NS6detail17trampoline_kernelINS0_14default_configENS1_27lower_bound_config_selectorIxlEEZNS1_14transform_implILb0ES3_S5_N6thrust23THRUST_200600_302600_NS6detail15normal_iteratorINS8_7pointerIxNS8_11hip_rocprim5par_tENS8_11use_defaultESE_EEEENSA_INSB_IlSD_SE_SE_EEEEZNS1_13binary_searchIS3_S5_NSA_INS8_10device_ptrIxEEEESG_SI_NS1_21lower_bound_search_opENS9_16wrapped_functionINS8_6system6detail7generic6detail18binary_search_lessEbEEEE10hipError_tPvRmT1_T2_T3_mmT4_T5_P12ihipStream_tbEUlRKxE_EESV_SZ_S10_mS11_S14_bEUlT_E_NS1_11comp_targetILNS1_3genE2ELNS1_11target_archE906ELNS1_3gpuE6ELNS1_3repE0EEENS1_30default_config_static_selectorELNS0_4arch9wavefront6targetE0EEEvSY_.numbered_sgpr, 0
	.set _ZN7rocprim17ROCPRIM_400000_NS6detail17trampoline_kernelINS0_14default_configENS1_27lower_bound_config_selectorIxlEEZNS1_14transform_implILb0ES3_S5_N6thrust23THRUST_200600_302600_NS6detail15normal_iteratorINS8_7pointerIxNS8_11hip_rocprim5par_tENS8_11use_defaultESE_EEEENSA_INSB_IlSD_SE_SE_EEEEZNS1_13binary_searchIS3_S5_NSA_INS8_10device_ptrIxEEEESG_SI_NS1_21lower_bound_search_opENS9_16wrapped_functionINS8_6system6detail7generic6detail18binary_search_lessEbEEEE10hipError_tPvRmT1_T2_T3_mmT4_T5_P12ihipStream_tbEUlRKxE_EESV_SZ_S10_mS11_S14_bEUlT_E_NS1_11comp_targetILNS1_3genE2ELNS1_11target_archE906ELNS1_3gpuE6ELNS1_3repE0EEENS1_30default_config_static_selectorELNS0_4arch9wavefront6targetE0EEEvSY_.num_named_barrier, 0
	.set _ZN7rocprim17ROCPRIM_400000_NS6detail17trampoline_kernelINS0_14default_configENS1_27lower_bound_config_selectorIxlEEZNS1_14transform_implILb0ES3_S5_N6thrust23THRUST_200600_302600_NS6detail15normal_iteratorINS8_7pointerIxNS8_11hip_rocprim5par_tENS8_11use_defaultESE_EEEENSA_INSB_IlSD_SE_SE_EEEEZNS1_13binary_searchIS3_S5_NSA_INS8_10device_ptrIxEEEESG_SI_NS1_21lower_bound_search_opENS9_16wrapped_functionINS8_6system6detail7generic6detail18binary_search_lessEbEEEE10hipError_tPvRmT1_T2_T3_mmT4_T5_P12ihipStream_tbEUlRKxE_EESV_SZ_S10_mS11_S14_bEUlT_E_NS1_11comp_targetILNS1_3genE2ELNS1_11target_archE906ELNS1_3gpuE6ELNS1_3repE0EEENS1_30default_config_static_selectorELNS0_4arch9wavefront6targetE0EEEvSY_.private_seg_size, 0
	.set _ZN7rocprim17ROCPRIM_400000_NS6detail17trampoline_kernelINS0_14default_configENS1_27lower_bound_config_selectorIxlEEZNS1_14transform_implILb0ES3_S5_N6thrust23THRUST_200600_302600_NS6detail15normal_iteratorINS8_7pointerIxNS8_11hip_rocprim5par_tENS8_11use_defaultESE_EEEENSA_INSB_IlSD_SE_SE_EEEEZNS1_13binary_searchIS3_S5_NSA_INS8_10device_ptrIxEEEESG_SI_NS1_21lower_bound_search_opENS9_16wrapped_functionINS8_6system6detail7generic6detail18binary_search_lessEbEEEE10hipError_tPvRmT1_T2_T3_mmT4_T5_P12ihipStream_tbEUlRKxE_EESV_SZ_S10_mS11_S14_bEUlT_E_NS1_11comp_targetILNS1_3genE2ELNS1_11target_archE906ELNS1_3gpuE6ELNS1_3repE0EEENS1_30default_config_static_selectorELNS0_4arch9wavefront6targetE0EEEvSY_.uses_vcc, 0
	.set _ZN7rocprim17ROCPRIM_400000_NS6detail17trampoline_kernelINS0_14default_configENS1_27lower_bound_config_selectorIxlEEZNS1_14transform_implILb0ES3_S5_N6thrust23THRUST_200600_302600_NS6detail15normal_iteratorINS8_7pointerIxNS8_11hip_rocprim5par_tENS8_11use_defaultESE_EEEENSA_INSB_IlSD_SE_SE_EEEEZNS1_13binary_searchIS3_S5_NSA_INS8_10device_ptrIxEEEESG_SI_NS1_21lower_bound_search_opENS9_16wrapped_functionINS8_6system6detail7generic6detail18binary_search_lessEbEEEE10hipError_tPvRmT1_T2_T3_mmT4_T5_P12ihipStream_tbEUlRKxE_EESV_SZ_S10_mS11_S14_bEUlT_E_NS1_11comp_targetILNS1_3genE2ELNS1_11target_archE906ELNS1_3gpuE6ELNS1_3repE0EEENS1_30default_config_static_selectorELNS0_4arch9wavefront6targetE0EEEvSY_.uses_flat_scratch, 0
	.set _ZN7rocprim17ROCPRIM_400000_NS6detail17trampoline_kernelINS0_14default_configENS1_27lower_bound_config_selectorIxlEEZNS1_14transform_implILb0ES3_S5_N6thrust23THRUST_200600_302600_NS6detail15normal_iteratorINS8_7pointerIxNS8_11hip_rocprim5par_tENS8_11use_defaultESE_EEEENSA_INSB_IlSD_SE_SE_EEEEZNS1_13binary_searchIS3_S5_NSA_INS8_10device_ptrIxEEEESG_SI_NS1_21lower_bound_search_opENS9_16wrapped_functionINS8_6system6detail7generic6detail18binary_search_lessEbEEEE10hipError_tPvRmT1_T2_T3_mmT4_T5_P12ihipStream_tbEUlRKxE_EESV_SZ_S10_mS11_S14_bEUlT_E_NS1_11comp_targetILNS1_3genE2ELNS1_11target_archE906ELNS1_3gpuE6ELNS1_3repE0EEENS1_30default_config_static_selectorELNS0_4arch9wavefront6targetE0EEEvSY_.has_dyn_sized_stack, 0
	.set _ZN7rocprim17ROCPRIM_400000_NS6detail17trampoline_kernelINS0_14default_configENS1_27lower_bound_config_selectorIxlEEZNS1_14transform_implILb0ES3_S5_N6thrust23THRUST_200600_302600_NS6detail15normal_iteratorINS8_7pointerIxNS8_11hip_rocprim5par_tENS8_11use_defaultESE_EEEENSA_INSB_IlSD_SE_SE_EEEEZNS1_13binary_searchIS3_S5_NSA_INS8_10device_ptrIxEEEESG_SI_NS1_21lower_bound_search_opENS9_16wrapped_functionINS8_6system6detail7generic6detail18binary_search_lessEbEEEE10hipError_tPvRmT1_T2_T3_mmT4_T5_P12ihipStream_tbEUlRKxE_EESV_SZ_S10_mS11_S14_bEUlT_E_NS1_11comp_targetILNS1_3genE2ELNS1_11target_archE906ELNS1_3gpuE6ELNS1_3repE0EEENS1_30default_config_static_selectorELNS0_4arch9wavefront6targetE0EEEvSY_.has_recursion, 0
	.set _ZN7rocprim17ROCPRIM_400000_NS6detail17trampoline_kernelINS0_14default_configENS1_27lower_bound_config_selectorIxlEEZNS1_14transform_implILb0ES3_S5_N6thrust23THRUST_200600_302600_NS6detail15normal_iteratorINS8_7pointerIxNS8_11hip_rocprim5par_tENS8_11use_defaultESE_EEEENSA_INSB_IlSD_SE_SE_EEEEZNS1_13binary_searchIS3_S5_NSA_INS8_10device_ptrIxEEEESG_SI_NS1_21lower_bound_search_opENS9_16wrapped_functionINS8_6system6detail7generic6detail18binary_search_lessEbEEEE10hipError_tPvRmT1_T2_T3_mmT4_T5_P12ihipStream_tbEUlRKxE_EESV_SZ_S10_mS11_S14_bEUlT_E_NS1_11comp_targetILNS1_3genE2ELNS1_11target_archE906ELNS1_3gpuE6ELNS1_3repE0EEENS1_30default_config_static_selectorELNS0_4arch9wavefront6targetE0EEEvSY_.has_indirect_call, 0
	.section	.AMDGPU.csdata,"",@progbits
; Kernel info:
; codeLenInByte = 0
; TotalNumSgprs: 0
; NumVgprs: 0
; ScratchSize: 0
; MemoryBound: 0
; FloatMode: 240
; IeeeMode: 1
; LDSByteSize: 0 bytes/workgroup (compile time only)
; SGPRBlocks: 0
; VGPRBlocks: 0
; NumSGPRsForWavesPerEU: 1
; NumVGPRsForWavesPerEU: 1
; Occupancy: 16
; WaveLimiterHint : 0
; COMPUTE_PGM_RSRC2:SCRATCH_EN: 0
; COMPUTE_PGM_RSRC2:USER_SGPR: 6
; COMPUTE_PGM_RSRC2:TRAP_HANDLER: 0
; COMPUTE_PGM_RSRC2:TGID_X_EN: 1
; COMPUTE_PGM_RSRC2:TGID_Y_EN: 0
; COMPUTE_PGM_RSRC2:TGID_Z_EN: 0
; COMPUTE_PGM_RSRC2:TIDIG_COMP_CNT: 0
	.section	.text._ZN7rocprim17ROCPRIM_400000_NS6detail17trampoline_kernelINS0_14default_configENS1_27lower_bound_config_selectorIxlEEZNS1_14transform_implILb0ES3_S5_N6thrust23THRUST_200600_302600_NS6detail15normal_iteratorINS8_7pointerIxNS8_11hip_rocprim5par_tENS8_11use_defaultESE_EEEENSA_INSB_IlSD_SE_SE_EEEEZNS1_13binary_searchIS3_S5_NSA_INS8_10device_ptrIxEEEESG_SI_NS1_21lower_bound_search_opENS9_16wrapped_functionINS8_6system6detail7generic6detail18binary_search_lessEbEEEE10hipError_tPvRmT1_T2_T3_mmT4_T5_P12ihipStream_tbEUlRKxE_EESV_SZ_S10_mS11_S14_bEUlT_E_NS1_11comp_targetILNS1_3genE10ELNS1_11target_archE1201ELNS1_3gpuE5ELNS1_3repE0EEENS1_30default_config_static_selectorELNS0_4arch9wavefront6targetE0EEEvSY_,"axG",@progbits,_ZN7rocprim17ROCPRIM_400000_NS6detail17trampoline_kernelINS0_14default_configENS1_27lower_bound_config_selectorIxlEEZNS1_14transform_implILb0ES3_S5_N6thrust23THRUST_200600_302600_NS6detail15normal_iteratorINS8_7pointerIxNS8_11hip_rocprim5par_tENS8_11use_defaultESE_EEEENSA_INSB_IlSD_SE_SE_EEEEZNS1_13binary_searchIS3_S5_NSA_INS8_10device_ptrIxEEEESG_SI_NS1_21lower_bound_search_opENS9_16wrapped_functionINS8_6system6detail7generic6detail18binary_search_lessEbEEEE10hipError_tPvRmT1_T2_T3_mmT4_T5_P12ihipStream_tbEUlRKxE_EESV_SZ_S10_mS11_S14_bEUlT_E_NS1_11comp_targetILNS1_3genE10ELNS1_11target_archE1201ELNS1_3gpuE5ELNS1_3repE0EEENS1_30default_config_static_selectorELNS0_4arch9wavefront6targetE0EEEvSY_,comdat
	.protected	_ZN7rocprim17ROCPRIM_400000_NS6detail17trampoline_kernelINS0_14default_configENS1_27lower_bound_config_selectorIxlEEZNS1_14transform_implILb0ES3_S5_N6thrust23THRUST_200600_302600_NS6detail15normal_iteratorINS8_7pointerIxNS8_11hip_rocprim5par_tENS8_11use_defaultESE_EEEENSA_INSB_IlSD_SE_SE_EEEEZNS1_13binary_searchIS3_S5_NSA_INS8_10device_ptrIxEEEESG_SI_NS1_21lower_bound_search_opENS9_16wrapped_functionINS8_6system6detail7generic6detail18binary_search_lessEbEEEE10hipError_tPvRmT1_T2_T3_mmT4_T5_P12ihipStream_tbEUlRKxE_EESV_SZ_S10_mS11_S14_bEUlT_E_NS1_11comp_targetILNS1_3genE10ELNS1_11target_archE1201ELNS1_3gpuE5ELNS1_3repE0EEENS1_30default_config_static_selectorELNS0_4arch9wavefront6targetE0EEEvSY_ ; -- Begin function _ZN7rocprim17ROCPRIM_400000_NS6detail17trampoline_kernelINS0_14default_configENS1_27lower_bound_config_selectorIxlEEZNS1_14transform_implILb0ES3_S5_N6thrust23THRUST_200600_302600_NS6detail15normal_iteratorINS8_7pointerIxNS8_11hip_rocprim5par_tENS8_11use_defaultESE_EEEENSA_INSB_IlSD_SE_SE_EEEEZNS1_13binary_searchIS3_S5_NSA_INS8_10device_ptrIxEEEESG_SI_NS1_21lower_bound_search_opENS9_16wrapped_functionINS8_6system6detail7generic6detail18binary_search_lessEbEEEE10hipError_tPvRmT1_T2_T3_mmT4_T5_P12ihipStream_tbEUlRKxE_EESV_SZ_S10_mS11_S14_bEUlT_E_NS1_11comp_targetILNS1_3genE10ELNS1_11target_archE1201ELNS1_3gpuE5ELNS1_3repE0EEENS1_30default_config_static_selectorELNS0_4arch9wavefront6targetE0EEEvSY_
	.globl	_ZN7rocprim17ROCPRIM_400000_NS6detail17trampoline_kernelINS0_14default_configENS1_27lower_bound_config_selectorIxlEEZNS1_14transform_implILb0ES3_S5_N6thrust23THRUST_200600_302600_NS6detail15normal_iteratorINS8_7pointerIxNS8_11hip_rocprim5par_tENS8_11use_defaultESE_EEEENSA_INSB_IlSD_SE_SE_EEEEZNS1_13binary_searchIS3_S5_NSA_INS8_10device_ptrIxEEEESG_SI_NS1_21lower_bound_search_opENS9_16wrapped_functionINS8_6system6detail7generic6detail18binary_search_lessEbEEEE10hipError_tPvRmT1_T2_T3_mmT4_T5_P12ihipStream_tbEUlRKxE_EESV_SZ_S10_mS11_S14_bEUlT_E_NS1_11comp_targetILNS1_3genE10ELNS1_11target_archE1201ELNS1_3gpuE5ELNS1_3repE0EEENS1_30default_config_static_selectorELNS0_4arch9wavefront6targetE0EEEvSY_
	.p2align	8
	.type	_ZN7rocprim17ROCPRIM_400000_NS6detail17trampoline_kernelINS0_14default_configENS1_27lower_bound_config_selectorIxlEEZNS1_14transform_implILb0ES3_S5_N6thrust23THRUST_200600_302600_NS6detail15normal_iteratorINS8_7pointerIxNS8_11hip_rocprim5par_tENS8_11use_defaultESE_EEEENSA_INSB_IlSD_SE_SE_EEEEZNS1_13binary_searchIS3_S5_NSA_INS8_10device_ptrIxEEEESG_SI_NS1_21lower_bound_search_opENS9_16wrapped_functionINS8_6system6detail7generic6detail18binary_search_lessEbEEEE10hipError_tPvRmT1_T2_T3_mmT4_T5_P12ihipStream_tbEUlRKxE_EESV_SZ_S10_mS11_S14_bEUlT_E_NS1_11comp_targetILNS1_3genE10ELNS1_11target_archE1201ELNS1_3gpuE5ELNS1_3repE0EEENS1_30default_config_static_selectorELNS0_4arch9wavefront6targetE0EEEvSY_,@function
_ZN7rocprim17ROCPRIM_400000_NS6detail17trampoline_kernelINS0_14default_configENS1_27lower_bound_config_selectorIxlEEZNS1_14transform_implILb0ES3_S5_N6thrust23THRUST_200600_302600_NS6detail15normal_iteratorINS8_7pointerIxNS8_11hip_rocprim5par_tENS8_11use_defaultESE_EEEENSA_INSB_IlSD_SE_SE_EEEEZNS1_13binary_searchIS3_S5_NSA_INS8_10device_ptrIxEEEESG_SI_NS1_21lower_bound_search_opENS9_16wrapped_functionINS8_6system6detail7generic6detail18binary_search_lessEbEEEE10hipError_tPvRmT1_T2_T3_mmT4_T5_P12ihipStream_tbEUlRKxE_EESV_SZ_S10_mS11_S14_bEUlT_E_NS1_11comp_targetILNS1_3genE10ELNS1_11target_archE1201ELNS1_3gpuE5ELNS1_3repE0EEENS1_30default_config_static_selectorELNS0_4arch9wavefront6targetE0EEEvSY_: ; @_ZN7rocprim17ROCPRIM_400000_NS6detail17trampoline_kernelINS0_14default_configENS1_27lower_bound_config_selectorIxlEEZNS1_14transform_implILb0ES3_S5_N6thrust23THRUST_200600_302600_NS6detail15normal_iteratorINS8_7pointerIxNS8_11hip_rocprim5par_tENS8_11use_defaultESE_EEEENSA_INSB_IlSD_SE_SE_EEEEZNS1_13binary_searchIS3_S5_NSA_INS8_10device_ptrIxEEEESG_SI_NS1_21lower_bound_search_opENS9_16wrapped_functionINS8_6system6detail7generic6detail18binary_search_lessEbEEEE10hipError_tPvRmT1_T2_T3_mmT4_T5_P12ihipStream_tbEUlRKxE_EESV_SZ_S10_mS11_S14_bEUlT_E_NS1_11comp_targetILNS1_3genE10ELNS1_11target_archE1201ELNS1_3gpuE5ELNS1_3repE0EEENS1_30default_config_static_selectorELNS0_4arch9wavefront6targetE0EEEvSY_
; %bb.0:
	.section	.rodata,"a",@progbits
	.p2align	6, 0x0
	.amdhsa_kernel _ZN7rocprim17ROCPRIM_400000_NS6detail17trampoline_kernelINS0_14default_configENS1_27lower_bound_config_selectorIxlEEZNS1_14transform_implILb0ES3_S5_N6thrust23THRUST_200600_302600_NS6detail15normal_iteratorINS8_7pointerIxNS8_11hip_rocprim5par_tENS8_11use_defaultESE_EEEENSA_INSB_IlSD_SE_SE_EEEEZNS1_13binary_searchIS3_S5_NSA_INS8_10device_ptrIxEEEESG_SI_NS1_21lower_bound_search_opENS9_16wrapped_functionINS8_6system6detail7generic6detail18binary_search_lessEbEEEE10hipError_tPvRmT1_T2_T3_mmT4_T5_P12ihipStream_tbEUlRKxE_EESV_SZ_S10_mS11_S14_bEUlT_E_NS1_11comp_targetILNS1_3genE10ELNS1_11target_archE1201ELNS1_3gpuE5ELNS1_3repE0EEENS1_30default_config_static_selectorELNS0_4arch9wavefront6targetE0EEEvSY_
		.amdhsa_group_segment_fixed_size 0
		.amdhsa_private_segment_fixed_size 0
		.amdhsa_kernarg_size 56
		.amdhsa_user_sgpr_count 6
		.amdhsa_user_sgpr_private_segment_buffer 1
		.amdhsa_user_sgpr_dispatch_ptr 0
		.amdhsa_user_sgpr_queue_ptr 0
		.amdhsa_user_sgpr_kernarg_segment_ptr 1
		.amdhsa_user_sgpr_dispatch_id 0
		.amdhsa_user_sgpr_flat_scratch_init 0
		.amdhsa_user_sgpr_private_segment_size 0
		.amdhsa_wavefront_size32 1
		.amdhsa_uses_dynamic_stack 0
		.amdhsa_system_sgpr_private_segment_wavefront_offset 0
		.amdhsa_system_sgpr_workgroup_id_x 1
		.amdhsa_system_sgpr_workgroup_id_y 0
		.amdhsa_system_sgpr_workgroup_id_z 0
		.amdhsa_system_sgpr_workgroup_info 0
		.amdhsa_system_vgpr_workitem_id 0
		.amdhsa_next_free_vgpr 1
		.amdhsa_next_free_sgpr 1
		.amdhsa_reserve_vcc 0
		.amdhsa_reserve_flat_scratch 0
		.amdhsa_float_round_mode_32 0
		.amdhsa_float_round_mode_16_64 0
		.amdhsa_float_denorm_mode_32 3
		.amdhsa_float_denorm_mode_16_64 3
		.amdhsa_dx10_clamp 1
		.amdhsa_ieee_mode 1
		.amdhsa_fp16_overflow 0
		.amdhsa_workgroup_processor_mode 1
		.amdhsa_memory_ordered 1
		.amdhsa_forward_progress 1
		.amdhsa_shared_vgpr_count 0
		.amdhsa_exception_fp_ieee_invalid_op 0
		.amdhsa_exception_fp_denorm_src 0
		.amdhsa_exception_fp_ieee_div_zero 0
		.amdhsa_exception_fp_ieee_overflow 0
		.amdhsa_exception_fp_ieee_underflow 0
		.amdhsa_exception_fp_ieee_inexact 0
		.amdhsa_exception_int_div_zero 0
	.end_amdhsa_kernel
	.section	.text._ZN7rocprim17ROCPRIM_400000_NS6detail17trampoline_kernelINS0_14default_configENS1_27lower_bound_config_selectorIxlEEZNS1_14transform_implILb0ES3_S5_N6thrust23THRUST_200600_302600_NS6detail15normal_iteratorINS8_7pointerIxNS8_11hip_rocprim5par_tENS8_11use_defaultESE_EEEENSA_INSB_IlSD_SE_SE_EEEEZNS1_13binary_searchIS3_S5_NSA_INS8_10device_ptrIxEEEESG_SI_NS1_21lower_bound_search_opENS9_16wrapped_functionINS8_6system6detail7generic6detail18binary_search_lessEbEEEE10hipError_tPvRmT1_T2_T3_mmT4_T5_P12ihipStream_tbEUlRKxE_EESV_SZ_S10_mS11_S14_bEUlT_E_NS1_11comp_targetILNS1_3genE10ELNS1_11target_archE1201ELNS1_3gpuE5ELNS1_3repE0EEENS1_30default_config_static_selectorELNS0_4arch9wavefront6targetE0EEEvSY_,"axG",@progbits,_ZN7rocprim17ROCPRIM_400000_NS6detail17trampoline_kernelINS0_14default_configENS1_27lower_bound_config_selectorIxlEEZNS1_14transform_implILb0ES3_S5_N6thrust23THRUST_200600_302600_NS6detail15normal_iteratorINS8_7pointerIxNS8_11hip_rocprim5par_tENS8_11use_defaultESE_EEEENSA_INSB_IlSD_SE_SE_EEEEZNS1_13binary_searchIS3_S5_NSA_INS8_10device_ptrIxEEEESG_SI_NS1_21lower_bound_search_opENS9_16wrapped_functionINS8_6system6detail7generic6detail18binary_search_lessEbEEEE10hipError_tPvRmT1_T2_T3_mmT4_T5_P12ihipStream_tbEUlRKxE_EESV_SZ_S10_mS11_S14_bEUlT_E_NS1_11comp_targetILNS1_3genE10ELNS1_11target_archE1201ELNS1_3gpuE5ELNS1_3repE0EEENS1_30default_config_static_selectorELNS0_4arch9wavefront6targetE0EEEvSY_,comdat
.Lfunc_end390:
	.size	_ZN7rocprim17ROCPRIM_400000_NS6detail17trampoline_kernelINS0_14default_configENS1_27lower_bound_config_selectorIxlEEZNS1_14transform_implILb0ES3_S5_N6thrust23THRUST_200600_302600_NS6detail15normal_iteratorINS8_7pointerIxNS8_11hip_rocprim5par_tENS8_11use_defaultESE_EEEENSA_INSB_IlSD_SE_SE_EEEEZNS1_13binary_searchIS3_S5_NSA_INS8_10device_ptrIxEEEESG_SI_NS1_21lower_bound_search_opENS9_16wrapped_functionINS8_6system6detail7generic6detail18binary_search_lessEbEEEE10hipError_tPvRmT1_T2_T3_mmT4_T5_P12ihipStream_tbEUlRKxE_EESV_SZ_S10_mS11_S14_bEUlT_E_NS1_11comp_targetILNS1_3genE10ELNS1_11target_archE1201ELNS1_3gpuE5ELNS1_3repE0EEENS1_30default_config_static_selectorELNS0_4arch9wavefront6targetE0EEEvSY_, .Lfunc_end390-_ZN7rocprim17ROCPRIM_400000_NS6detail17trampoline_kernelINS0_14default_configENS1_27lower_bound_config_selectorIxlEEZNS1_14transform_implILb0ES3_S5_N6thrust23THRUST_200600_302600_NS6detail15normal_iteratorINS8_7pointerIxNS8_11hip_rocprim5par_tENS8_11use_defaultESE_EEEENSA_INSB_IlSD_SE_SE_EEEEZNS1_13binary_searchIS3_S5_NSA_INS8_10device_ptrIxEEEESG_SI_NS1_21lower_bound_search_opENS9_16wrapped_functionINS8_6system6detail7generic6detail18binary_search_lessEbEEEE10hipError_tPvRmT1_T2_T3_mmT4_T5_P12ihipStream_tbEUlRKxE_EESV_SZ_S10_mS11_S14_bEUlT_E_NS1_11comp_targetILNS1_3genE10ELNS1_11target_archE1201ELNS1_3gpuE5ELNS1_3repE0EEENS1_30default_config_static_selectorELNS0_4arch9wavefront6targetE0EEEvSY_
                                        ; -- End function
	.set _ZN7rocprim17ROCPRIM_400000_NS6detail17trampoline_kernelINS0_14default_configENS1_27lower_bound_config_selectorIxlEEZNS1_14transform_implILb0ES3_S5_N6thrust23THRUST_200600_302600_NS6detail15normal_iteratorINS8_7pointerIxNS8_11hip_rocprim5par_tENS8_11use_defaultESE_EEEENSA_INSB_IlSD_SE_SE_EEEEZNS1_13binary_searchIS3_S5_NSA_INS8_10device_ptrIxEEEESG_SI_NS1_21lower_bound_search_opENS9_16wrapped_functionINS8_6system6detail7generic6detail18binary_search_lessEbEEEE10hipError_tPvRmT1_T2_T3_mmT4_T5_P12ihipStream_tbEUlRKxE_EESV_SZ_S10_mS11_S14_bEUlT_E_NS1_11comp_targetILNS1_3genE10ELNS1_11target_archE1201ELNS1_3gpuE5ELNS1_3repE0EEENS1_30default_config_static_selectorELNS0_4arch9wavefront6targetE0EEEvSY_.num_vgpr, 0
	.set _ZN7rocprim17ROCPRIM_400000_NS6detail17trampoline_kernelINS0_14default_configENS1_27lower_bound_config_selectorIxlEEZNS1_14transform_implILb0ES3_S5_N6thrust23THRUST_200600_302600_NS6detail15normal_iteratorINS8_7pointerIxNS8_11hip_rocprim5par_tENS8_11use_defaultESE_EEEENSA_INSB_IlSD_SE_SE_EEEEZNS1_13binary_searchIS3_S5_NSA_INS8_10device_ptrIxEEEESG_SI_NS1_21lower_bound_search_opENS9_16wrapped_functionINS8_6system6detail7generic6detail18binary_search_lessEbEEEE10hipError_tPvRmT1_T2_T3_mmT4_T5_P12ihipStream_tbEUlRKxE_EESV_SZ_S10_mS11_S14_bEUlT_E_NS1_11comp_targetILNS1_3genE10ELNS1_11target_archE1201ELNS1_3gpuE5ELNS1_3repE0EEENS1_30default_config_static_selectorELNS0_4arch9wavefront6targetE0EEEvSY_.num_agpr, 0
	.set _ZN7rocprim17ROCPRIM_400000_NS6detail17trampoline_kernelINS0_14default_configENS1_27lower_bound_config_selectorIxlEEZNS1_14transform_implILb0ES3_S5_N6thrust23THRUST_200600_302600_NS6detail15normal_iteratorINS8_7pointerIxNS8_11hip_rocprim5par_tENS8_11use_defaultESE_EEEENSA_INSB_IlSD_SE_SE_EEEEZNS1_13binary_searchIS3_S5_NSA_INS8_10device_ptrIxEEEESG_SI_NS1_21lower_bound_search_opENS9_16wrapped_functionINS8_6system6detail7generic6detail18binary_search_lessEbEEEE10hipError_tPvRmT1_T2_T3_mmT4_T5_P12ihipStream_tbEUlRKxE_EESV_SZ_S10_mS11_S14_bEUlT_E_NS1_11comp_targetILNS1_3genE10ELNS1_11target_archE1201ELNS1_3gpuE5ELNS1_3repE0EEENS1_30default_config_static_selectorELNS0_4arch9wavefront6targetE0EEEvSY_.numbered_sgpr, 0
	.set _ZN7rocprim17ROCPRIM_400000_NS6detail17trampoline_kernelINS0_14default_configENS1_27lower_bound_config_selectorIxlEEZNS1_14transform_implILb0ES3_S5_N6thrust23THRUST_200600_302600_NS6detail15normal_iteratorINS8_7pointerIxNS8_11hip_rocprim5par_tENS8_11use_defaultESE_EEEENSA_INSB_IlSD_SE_SE_EEEEZNS1_13binary_searchIS3_S5_NSA_INS8_10device_ptrIxEEEESG_SI_NS1_21lower_bound_search_opENS9_16wrapped_functionINS8_6system6detail7generic6detail18binary_search_lessEbEEEE10hipError_tPvRmT1_T2_T3_mmT4_T5_P12ihipStream_tbEUlRKxE_EESV_SZ_S10_mS11_S14_bEUlT_E_NS1_11comp_targetILNS1_3genE10ELNS1_11target_archE1201ELNS1_3gpuE5ELNS1_3repE0EEENS1_30default_config_static_selectorELNS0_4arch9wavefront6targetE0EEEvSY_.num_named_barrier, 0
	.set _ZN7rocprim17ROCPRIM_400000_NS6detail17trampoline_kernelINS0_14default_configENS1_27lower_bound_config_selectorIxlEEZNS1_14transform_implILb0ES3_S5_N6thrust23THRUST_200600_302600_NS6detail15normal_iteratorINS8_7pointerIxNS8_11hip_rocprim5par_tENS8_11use_defaultESE_EEEENSA_INSB_IlSD_SE_SE_EEEEZNS1_13binary_searchIS3_S5_NSA_INS8_10device_ptrIxEEEESG_SI_NS1_21lower_bound_search_opENS9_16wrapped_functionINS8_6system6detail7generic6detail18binary_search_lessEbEEEE10hipError_tPvRmT1_T2_T3_mmT4_T5_P12ihipStream_tbEUlRKxE_EESV_SZ_S10_mS11_S14_bEUlT_E_NS1_11comp_targetILNS1_3genE10ELNS1_11target_archE1201ELNS1_3gpuE5ELNS1_3repE0EEENS1_30default_config_static_selectorELNS0_4arch9wavefront6targetE0EEEvSY_.private_seg_size, 0
	.set _ZN7rocprim17ROCPRIM_400000_NS6detail17trampoline_kernelINS0_14default_configENS1_27lower_bound_config_selectorIxlEEZNS1_14transform_implILb0ES3_S5_N6thrust23THRUST_200600_302600_NS6detail15normal_iteratorINS8_7pointerIxNS8_11hip_rocprim5par_tENS8_11use_defaultESE_EEEENSA_INSB_IlSD_SE_SE_EEEEZNS1_13binary_searchIS3_S5_NSA_INS8_10device_ptrIxEEEESG_SI_NS1_21lower_bound_search_opENS9_16wrapped_functionINS8_6system6detail7generic6detail18binary_search_lessEbEEEE10hipError_tPvRmT1_T2_T3_mmT4_T5_P12ihipStream_tbEUlRKxE_EESV_SZ_S10_mS11_S14_bEUlT_E_NS1_11comp_targetILNS1_3genE10ELNS1_11target_archE1201ELNS1_3gpuE5ELNS1_3repE0EEENS1_30default_config_static_selectorELNS0_4arch9wavefront6targetE0EEEvSY_.uses_vcc, 0
	.set _ZN7rocprim17ROCPRIM_400000_NS6detail17trampoline_kernelINS0_14default_configENS1_27lower_bound_config_selectorIxlEEZNS1_14transform_implILb0ES3_S5_N6thrust23THRUST_200600_302600_NS6detail15normal_iteratorINS8_7pointerIxNS8_11hip_rocprim5par_tENS8_11use_defaultESE_EEEENSA_INSB_IlSD_SE_SE_EEEEZNS1_13binary_searchIS3_S5_NSA_INS8_10device_ptrIxEEEESG_SI_NS1_21lower_bound_search_opENS9_16wrapped_functionINS8_6system6detail7generic6detail18binary_search_lessEbEEEE10hipError_tPvRmT1_T2_T3_mmT4_T5_P12ihipStream_tbEUlRKxE_EESV_SZ_S10_mS11_S14_bEUlT_E_NS1_11comp_targetILNS1_3genE10ELNS1_11target_archE1201ELNS1_3gpuE5ELNS1_3repE0EEENS1_30default_config_static_selectorELNS0_4arch9wavefront6targetE0EEEvSY_.uses_flat_scratch, 0
	.set _ZN7rocprim17ROCPRIM_400000_NS6detail17trampoline_kernelINS0_14default_configENS1_27lower_bound_config_selectorIxlEEZNS1_14transform_implILb0ES3_S5_N6thrust23THRUST_200600_302600_NS6detail15normal_iteratorINS8_7pointerIxNS8_11hip_rocprim5par_tENS8_11use_defaultESE_EEEENSA_INSB_IlSD_SE_SE_EEEEZNS1_13binary_searchIS3_S5_NSA_INS8_10device_ptrIxEEEESG_SI_NS1_21lower_bound_search_opENS9_16wrapped_functionINS8_6system6detail7generic6detail18binary_search_lessEbEEEE10hipError_tPvRmT1_T2_T3_mmT4_T5_P12ihipStream_tbEUlRKxE_EESV_SZ_S10_mS11_S14_bEUlT_E_NS1_11comp_targetILNS1_3genE10ELNS1_11target_archE1201ELNS1_3gpuE5ELNS1_3repE0EEENS1_30default_config_static_selectorELNS0_4arch9wavefront6targetE0EEEvSY_.has_dyn_sized_stack, 0
	.set _ZN7rocprim17ROCPRIM_400000_NS6detail17trampoline_kernelINS0_14default_configENS1_27lower_bound_config_selectorIxlEEZNS1_14transform_implILb0ES3_S5_N6thrust23THRUST_200600_302600_NS6detail15normal_iteratorINS8_7pointerIxNS8_11hip_rocprim5par_tENS8_11use_defaultESE_EEEENSA_INSB_IlSD_SE_SE_EEEEZNS1_13binary_searchIS3_S5_NSA_INS8_10device_ptrIxEEEESG_SI_NS1_21lower_bound_search_opENS9_16wrapped_functionINS8_6system6detail7generic6detail18binary_search_lessEbEEEE10hipError_tPvRmT1_T2_T3_mmT4_T5_P12ihipStream_tbEUlRKxE_EESV_SZ_S10_mS11_S14_bEUlT_E_NS1_11comp_targetILNS1_3genE10ELNS1_11target_archE1201ELNS1_3gpuE5ELNS1_3repE0EEENS1_30default_config_static_selectorELNS0_4arch9wavefront6targetE0EEEvSY_.has_recursion, 0
	.set _ZN7rocprim17ROCPRIM_400000_NS6detail17trampoline_kernelINS0_14default_configENS1_27lower_bound_config_selectorIxlEEZNS1_14transform_implILb0ES3_S5_N6thrust23THRUST_200600_302600_NS6detail15normal_iteratorINS8_7pointerIxNS8_11hip_rocprim5par_tENS8_11use_defaultESE_EEEENSA_INSB_IlSD_SE_SE_EEEEZNS1_13binary_searchIS3_S5_NSA_INS8_10device_ptrIxEEEESG_SI_NS1_21lower_bound_search_opENS9_16wrapped_functionINS8_6system6detail7generic6detail18binary_search_lessEbEEEE10hipError_tPvRmT1_T2_T3_mmT4_T5_P12ihipStream_tbEUlRKxE_EESV_SZ_S10_mS11_S14_bEUlT_E_NS1_11comp_targetILNS1_3genE10ELNS1_11target_archE1201ELNS1_3gpuE5ELNS1_3repE0EEENS1_30default_config_static_selectorELNS0_4arch9wavefront6targetE0EEEvSY_.has_indirect_call, 0
	.section	.AMDGPU.csdata,"",@progbits
; Kernel info:
; codeLenInByte = 0
; TotalNumSgprs: 0
; NumVgprs: 0
; ScratchSize: 0
; MemoryBound: 0
; FloatMode: 240
; IeeeMode: 1
; LDSByteSize: 0 bytes/workgroup (compile time only)
; SGPRBlocks: 0
; VGPRBlocks: 0
; NumSGPRsForWavesPerEU: 1
; NumVGPRsForWavesPerEU: 1
; Occupancy: 16
; WaveLimiterHint : 0
; COMPUTE_PGM_RSRC2:SCRATCH_EN: 0
; COMPUTE_PGM_RSRC2:USER_SGPR: 6
; COMPUTE_PGM_RSRC2:TRAP_HANDLER: 0
; COMPUTE_PGM_RSRC2:TGID_X_EN: 1
; COMPUTE_PGM_RSRC2:TGID_Y_EN: 0
; COMPUTE_PGM_RSRC2:TGID_Z_EN: 0
; COMPUTE_PGM_RSRC2:TIDIG_COMP_CNT: 0
	.section	.text._ZN7rocprim17ROCPRIM_400000_NS6detail17trampoline_kernelINS0_14default_configENS1_27lower_bound_config_selectorIxlEEZNS1_14transform_implILb0ES3_S5_N6thrust23THRUST_200600_302600_NS6detail15normal_iteratorINS8_7pointerIxNS8_11hip_rocprim5par_tENS8_11use_defaultESE_EEEENSA_INSB_IlSD_SE_SE_EEEEZNS1_13binary_searchIS3_S5_NSA_INS8_10device_ptrIxEEEESG_SI_NS1_21lower_bound_search_opENS9_16wrapped_functionINS8_6system6detail7generic6detail18binary_search_lessEbEEEE10hipError_tPvRmT1_T2_T3_mmT4_T5_P12ihipStream_tbEUlRKxE_EESV_SZ_S10_mS11_S14_bEUlT_E_NS1_11comp_targetILNS1_3genE10ELNS1_11target_archE1200ELNS1_3gpuE4ELNS1_3repE0EEENS1_30default_config_static_selectorELNS0_4arch9wavefront6targetE0EEEvSY_,"axG",@progbits,_ZN7rocprim17ROCPRIM_400000_NS6detail17trampoline_kernelINS0_14default_configENS1_27lower_bound_config_selectorIxlEEZNS1_14transform_implILb0ES3_S5_N6thrust23THRUST_200600_302600_NS6detail15normal_iteratorINS8_7pointerIxNS8_11hip_rocprim5par_tENS8_11use_defaultESE_EEEENSA_INSB_IlSD_SE_SE_EEEEZNS1_13binary_searchIS3_S5_NSA_INS8_10device_ptrIxEEEESG_SI_NS1_21lower_bound_search_opENS9_16wrapped_functionINS8_6system6detail7generic6detail18binary_search_lessEbEEEE10hipError_tPvRmT1_T2_T3_mmT4_T5_P12ihipStream_tbEUlRKxE_EESV_SZ_S10_mS11_S14_bEUlT_E_NS1_11comp_targetILNS1_3genE10ELNS1_11target_archE1200ELNS1_3gpuE4ELNS1_3repE0EEENS1_30default_config_static_selectorELNS0_4arch9wavefront6targetE0EEEvSY_,comdat
	.protected	_ZN7rocprim17ROCPRIM_400000_NS6detail17trampoline_kernelINS0_14default_configENS1_27lower_bound_config_selectorIxlEEZNS1_14transform_implILb0ES3_S5_N6thrust23THRUST_200600_302600_NS6detail15normal_iteratorINS8_7pointerIxNS8_11hip_rocprim5par_tENS8_11use_defaultESE_EEEENSA_INSB_IlSD_SE_SE_EEEEZNS1_13binary_searchIS3_S5_NSA_INS8_10device_ptrIxEEEESG_SI_NS1_21lower_bound_search_opENS9_16wrapped_functionINS8_6system6detail7generic6detail18binary_search_lessEbEEEE10hipError_tPvRmT1_T2_T3_mmT4_T5_P12ihipStream_tbEUlRKxE_EESV_SZ_S10_mS11_S14_bEUlT_E_NS1_11comp_targetILNS1_3genE10ELNS1_11target_archE1200ELNS1_3gpuE4ELNS1_3repE0EEENS1_30default_config_static_selectorELNS0_4arch9wavefront6targetE0EEEvSY_ ; -- Begin function _ZN7rocprim17ROCPRIM_400000_NS6detail17trampoline_kernelINS0_14default_configENS1_27lower_bound_config_selectorIxlEEZNS1_14transform_implILb0ES3_S5_N6thrust23THRUST_200600_302600_NS6detail15normal_iteratorINS8_7pointerIxNS8_11hip_rocprim5par_tENS8_11use_defaultESE_EEEENSA_INSB_IlSD_SE_SE_EEEEZNS1_13binary_searchIS3_S5_NSA_INS8_10device_ptrIxEEEESG_SI_NS1_21lower_bound_search_opENS9_16wrapped_functionINS8_6system6detail7generic6detail18binary_search_lessEbEEEE10hipError_tPvRmT1_T2_T3_mmT4_T5_P12ihipStream_tbEUlRKxE_EESV_SZ_S10_mS11_S14_bEUlT_E_NS1_11comp_targetILNS1_3genE10ELNS1_11target_archE1200ELNS1_3gpuE4ELNS1_3repE0EEENS1_30default_config_static_selectorELNS0_4arch9wavefront6targetE0EEEvSY_
	.globl	_ZN7rocprim17ROCPRIM_400000_NS6detail17trampoline_kernelINS0_14default_configENS1_27lower_bound_config_selectorIxlEEZNS1_14transform_implILb0ES3_S5_N6thrust23THRUST_200600_302600_NS6detail15normal_iteratorINS8_7pointerIxNS8_11hip_rocprim5par_tENS8_11use_defaultESE_EEEENSA_INSB_IlSD_SE_SE_EEEEZNS1_13binary_searchIS3_S5_NSA_INS8_10device_ptrIxEEEESG_SI_NS1_21lower_bound_search_opENS9_16wrapped_functionINS8_6system6detail7generic6detail18binary_search_lessEbEEEE10hipError_tPvRmT1_T2_T3_mmT4_T5_P12ihipStream_tbEUlRKxE_EESV_SZ_S10_mS11_S14_bEUlT_E_NS1_11comp_targetILNS1_3genE10ELNS1_11target_archE1200ELNS1_3gpuE4ELNS1_3repE0EEENS1_30default_config_static_selectorELNS0_4arch9wavefront6targetE0EEEvSY_
	.p2align	8
	.type	_ZN7rocprim17ROCPRIM_400000_NS6detail17trampoline_kernelINS0_14default_configENS1_27lower_bound_config_selectorIxlEEZNS1_14transform_implILb0ES3_S5_N6thrust23THRUST_200600_302600_NS6detail15normal_iteratorINS8_7pointerIxNS8_11hip_rocprim5par_tENS8_11use_defaultESE_EEEENSA_INSB_IlSD_SE_SE_EEEEZNS1_13binary_searchIS3_S5_NSA_INS8_10device_ptrIxEEEESG_SI_NS1_21lower_bound_search_opENS9_16wrapped_functionINS8_6system6detail7generic6detail18binary_search_lessEbEEEE10hipError_tPvRmT1_T2_T3_mmT4_T5_P12ihipStream_tbEUlRKxE_EESV_SZ_S10_mS11_S14_bEUlT_E_NS1_11comp_targetILNS1_3genE10ELNS1_11target_archE1200ELNS1_3gpuE4ELNS1_3repE0EEENS1_30default_config_static_selectorELNS0_4arch9wavefront6targetE0EEEvSY_,@function
_ZN7rocprim17ROCPRIM_400000_NS6detail17trampoline_kernelINS0_14default_configENS1_27lower_bound_config_selectorIxlEEZNS1_14transform_implILb0ES3_S5_N6thrust23THRUST_200600_302600_NS6detail15normal_iteratorINS8_7pointerIxNS8_11hip_rocprim5par_tENS8_11use_defaultESE_EEEENSA_INSB_IlSD_SE_SE_EEEEZNS1_13binary_searchIS3_S5_NSA_INS8_10device_ptrIxEEEESG_SI_NS1_21lower_bound_search_opENS9_16wrapped_functionINS8_6system6detail7generic6detail18binary_search_lessEbEEEE10hipError_tPvRmT1_T2_T3_mmT4_T5_P12ihipStream_tbEUlRKxE_EESV_SZ_S10_mS11_S14_bEUlT_E_NS1_11comp_targetILNS1_3genE10ELNS1_11target_archE1200ELNS1_3gpuE4ELNS1_3repE0EEENS1_30default_config_static_selectorELNS0_4arch9wavefront6targetE0EEEvSY_: ; @_ZN7rocprim17ROCPRIM_400000_NS6detail17trampoline_kernelINS0_14default_configENS1_27lower_bound_config_selectorIxlEEZNS1_14transform_implILb0ES3_S5_N6thrust23THRUST_200600_302600_NS6detail15normal_iteratorINS8_7pointerIxNS8_11hip_rocprim5par_tENS8_11use_defaultESE_EEEENSA_INSB_IlSD_SE_SE_EEEEZNS1_13binary_searchIS3_S5_NSA_INS8_10device_ptrIxEEEESG_SI_NS1_21lower_bound_search_opENS9_16wrapped_functionINS8_6system6detail7generic6detail18binary_search_lessEbEEEE10hipError_tPvRmT1_T2_T3_mmT4_T5_P12ihipStream_tbEUlRKxE_EESV_SZ_S10_mS11_S14_bEUlT_E_NS1_11comp_targetILNS1_3genE10ELNS1_11target_archE1200ELNS1_3gpuE4ELNS1_3repE0EEENS1_30default_config_static_selectorELNS0_4arch9wavefront6targetE0EEEvSY_
; %bb.0:
	.section	.rodata,"a",@progbits
	.p2align	6, 0x0
	.amdhsa_kernel _ZN7rocprim17ROCPRIM_400000_NS6detail17trampoline_kernelINS0_14default_configENS1_27lower_bound_config_selectorIxlEEZNS1_14transform_implILb0ES3_S5_N6thrust23THRUST_200600_302600_NS6detail15normal_iteratorINS8_7pointerIxNS8_11hip_rocprim5par_tENS8_11use_defaultESE_EEEENSA_INSB_IlSD_SE_SE_EEEEZNS1_13binary_searchIS3_S5_NSA_INS8_10device_ptrIxEEEESG_SI_NS1_21lower_bound_search_opENS9_16wrapped_functionINS8_6system6detail7generic6detail18binary_search_lessEbEEEE10hipError_tPvRmT1_T2_T3_mmT4_T5_P12ihipStream_tbEUlRKxE_EESV_SZ_S10_mS11_S14_bEUlT_E_NS1_11comp_targetILNS1_3genE10ELNS1_11target_archE1200ELNS1_3gpuE4ELNS1_3repE0EEENS1_30default_config_static_selectorELNS0_4arch9wavefront6targetE0EEEvSY_
		.amdhsa_group_segment_fixed_size 0
		.amdhsa_private_segment_fixed_size 0
		.amdhsa_kernarg_size 56
		.amdhsa_user_sgpr_count 6
		.amdhsa_user_sgpr_private_segment_buffer 1
		.amdhsa_user_sgpr_dispatch_ptr 0
		.amdhsa_user_sgpr_queue_ptr 0
		.amdhsa_user_sgpr_kernarg_segment_ptr 1
		.amdhsa_user_sgpr_dispatch_id 0
		.amdhsa_user_sgpr_flat_scratch_init 0
		.amdhsa_user_sgpr_private_segment_size 0
		.amdhsa_wavefront_size32 1
		.amdhsa_uses_dynamic_stack 0
		.amdhsa_system_sgpr_private_segment_wavefront_offset 0
		.amdhsa_system_sgpr_workgroup_id_x 1
		.amdhsa_system_sgpr_workgroup_id_y 0
		.amdhsa_system_sgpr_workgroup_id_z 0
		.amdhsa_system_sgpr_workgroup_info 0
		.amdhsa_system_vgpr_workitem_id 0
		.amdhsa_next_free_vgpr 1
		.amdhsa_next_free_sgpr 1
		.amdhsa_reserve_vcc 0
		.amdhsa_reserve_flat_scratch 0
		.amdhsa_float_round_mode_32 0
		.amdhsa_float_round_mode_16_64 0
		.amdhsa_float_denorm_mode_32 3
		.amdhsa_float_denorm_mode_16_64 3
		.amdhsa_dx10_clamp 1
		.amdhsa_ieee_mode 1
		.amdhsa_fp16_overflow 0
		.amdhsa_workgroup_processor_mode 1
		.amdhsa_memory_ordered 1
		.amdhsa_forward_progress 1
		.amdhsa_shared_vgpr_count 0
		.amdhsa_exception_fp_ieee_invalid_op 0
		.amdhsa_exception_fp_denorm_src 0
		.amdhsa_exception_fp_ieee_div_zero 0
		.amdhsa_exception_fp_ieee_overflow 0
		.amdhsa_exception_fp_ieee_underflow 0
		.amdhsa_exception_fp_ieee_inexact 0
		.amdhsa_exception_int_div_zero 0
	.end_amdhsa_kernel
	.section	.text._ZN7rocprim17ROCPRIM_400000_NS6detail17trampoline_kernelINS0_14default_configENS1_27lower_bound_config_selectorIxlEEZNS1_14transform_implILb0ES3_S5_N6thrust23THRUST_200600_302600_NS6detail15normal_iteratorINS8_7pointerIxNS8_11hip_rocprim5par_tENS8_11use_defaultESE_EEEENSA_INSB_IlSD_SE_SE_EEEEZNS1_13binary_searchIS3_S5_NSA_INS8_10device_ptrIxEEEESG_SI_NS1_21lower_bound_search_opENS9_16wrapped_functionINS8_6system6detail7generic6detail18binary_search_lessEbEEEE10hipError_tPvRmT1_T2_T3_mmT4_T5_P12ihipStream_tbEUlRKxE_EESV_SZ_S10_mS11_S14_bEUlT_E_NS1_11comp_targetILNS1_3genE10ELNS1_11target_archE1200ELNS1_3gpuE4ELNS1_3repE0EEENS1_30default_config_static_selectorELNS0_4arch9wavefront6targetE0EEEvSY_,"axG",@progbits,_ZN7rocprim17ROCPRIM_400000_NS6detail17trampoline_kernelINS0_14default_configENS1_27lower_bound_config_selectorIxlEEZNS1_14transform_implILb0ES3_S5_N6thrust23THRUST_200600_302600_NS6detail15normal_iteratorINS8_7pointerIxNS8_11hip_rocprim5par_tENS8_11use_defaultESE_EEEENSA_INSB_IlSD_SE_SE_EEEEZNS1_13binary_searchIS3_S5_NSA_INS8_10device_ptrIxEEEESG_SI_NS1_21lower_bound_search_opENS9_16wrapped_functionINS8_6system6detail7generic6detail18binary_search_lessEbEEEE10hipError_tPvRmT1_T2_T3_mmT4_T5_P12ihipStream_tbEUlRKxE_EESV_SZ_S10_mS11_S14_bEUlT_E_NS1_11comp_targetILNS1_3genE10ELNS1_11target_archE1200ELNS1_3gpuE4ELNS1_3repE0EEENS1_30default_config_static_selectorELNS0_4arch9wavefront6targetE0EEEvSY_,comdat
.Lfunc_end391:
	.size	_ZN7rocprim17ROCPRIM_400000_NS6detail17trampoline_kernelINS0_14default_configENS1_27lower_bound_config_selectorIxlEEZNS1_14transform_implILb0ES3_S5_N6thrust23THRUST_200600_302600_NS6detail15normal_iteratorINS8_7pointerIxNS8_11hip_rocprim5par_tENS8_11use_defaultESE_EEEENSA_INSB_IlSD_SE_SE_EEEEZNS1_13binary_searchIS3_S5_NSA_INS8_10device_ptrIxEEEESG_SI_NS1_21lower_bound_search_opENS9_16wrapped_functionINS8_6system6detail7generic6detail18binary_search_lessEbEEEE10hipError_tPvRmT1_T2_T3_mmT4_T5_P12ihipStream_tbEUlRKxE_EESV_SZ_S10_mS11_S14_bEUlT_E_NS1_11comp_targetILNS1_3genE10ELNS1_11target_archE1200ELNS1_3gpuE4ELNS1_3repE0EEENS1_30default_config_static_selectorELNS0_4arch9wavefront6targetE0EEEvSY_, .Lfunc_end391-_ZN7rocprim17ROCPRIM_400000_NS6detail17trampoline_kernelINS0_14default_configENS1_27lower_bound_config_selectorIxlEEZNS1_14transform_implILb0ES3_S5_N6thrust23THRUST_200600_302600_NS6detail15normal_iteratorINS8_7pointerIxNS8_11hip_rocprim5par_tENS8_11use_defaultESE_EEEENSA_INSB_IlSD_SE_SE_EEEEZNS1_13binary_searchIS3_S5_NSA_INS8_10device_ptrIxEEEESG_SI_NS1_21lower_bound_search_opENS9_16wrapped_functionINS8_6system6detail7generic6detail18binary_search_lessEbEEEE10hipError_tPvRmT1_T2_T3_mmT4_T5_P12ihipStream_tbEUlRKxE_EESV_SZ_S10_mS11_S14_bEUlT_E_NS1_11comp_targetILNS1_3genE10ELNS1_11target_archE1200ELNS1_3gpuE4ELNS1_3repE0EEENS1_30default_config_static_selectorELNS0_4arch9wavefront6targetE0EEEvSY_
                                        ; -- End function
	.set _ZN7rocprim17ROCPRIM_400000_NS6detail17trampoline_kernelINS0_14default_configENS1_27lower_bound_config_selectorIxlEEZNS1_14transform_implILb0ES3_S5_N6thrust23THRUST_200600_302600_NS6detail15normal_iteratorINS8_7pointerIxNS8_11hip_rocprim5par_tENS8_11use_defaultESE_EEEENSA_INSB_IlSD_SE_SE_EEEEZNS1_13binary_searchIS3_S5_NSA_INS8_10device_ptrIxEEEESG_SI_NS1_21lower_bound_search_opENS9_16wrapped_functionINS8_6system6detail7generic6detail18binary_search_lessEbEEEE10hipError_tPvRmT1_T2_T3_mmT4_T5_P12ihipStream_tbEUlRKxE_EESV_SZ_S10_mS11_S14_bEUlT_E_NS1_11comp_targetILNS1_3genE10ELNS1_11target_archE1200ELNS1_3gpuE4ELNS1_3repE0EEENS1_30default_config_static_selectorELNS0_4arch9wavefront6targetE0EEEvSY_.num_vgpr, 0
	.set _ZN7rocprim17ROCPRIM_400000_NS6detail17trampoline_kernelINS0_14default_configENS1_27lower_bound_config_selectorIxlEEZNS1_14transform_implILb0ES3_S5_N6thrust23THRUST_200600_302600_NS6detail15normal_iteratorINS8_7pointerIxNS8_11hip_rocprim5par_tENS8_11use_defaultESE_EEEENSA_INSB_IlSD_SE_SE_EEEEZNS1_13binary_searchIS3_S5_NSA_INS8_10device_ptrIxEEEESG_SI_NS1_21lower_bound_search_opENS9_16wrapped_functionINS8_6system6detail7generic6detail18binary_search_lessEbEEEE10hipError_tPvRmT1_T2_T3_mmT4_T5_P12ihipStream_tbEUlRKxE_EESV_SZ_S10_mS11_S14_bEUlT_E_NS1_11comp_targetILNS1_3genE10ELNS1_11target_archE1200ELNS1_3gpuE4ELNS1_3repE0EEENS1_30default_config_static_selectorELNS0_4arch9wavefront6targetE0EEEvSY_.num_agpr, 0
	.set _ZN7rocprim17ROCPRIM_400000_NS6detail17trampoline_kernelINS0_14default_configENS1_27lower_bound_config_selectorIxlEEZNS1_14transform_implILb0ES3_S5_N6thrust23THRUST_200600_302600_NS6detail15normal_iteratorINS8_7pointerIxNS8_11hip_rocprim5par_tENS8_11use_defaultESE_EEEENSA_INSB_IlSD_SE_SE_EEEEZNS1_13binary_searchIS3_S5_NSA_INS8_10device_ptrIxEEEESG_SI_NS1_21lower_bound_search_opENS9_16wrapped_functionINS8_6system6detail7generic6detail18binary_search_lessEbEEEE10hipError_tPvRmT1_T2_T3_mmT4_T5_P12ihipStream_tbEUlRKxE_EESV_SZ_S10_mS11_S14_bEUlT_E_NS1_11comp_targetILNS1_3genE10ELNS1_11target_archE1200ELNS1_3gpuE4ELNS1_3repE0EEENS1_30default_config_static_selectorELNS0_4arch9wavefront6targetE0EEEvSY_.numbered_sgpr, 0
	.set _ZN7rocprim17ROCPRIM_400000_NS6detail17trampoline_kernelINS0_14default_configENS1_27lower_bound_config_selectorIxlEEZNS1_14transform_implILb0ES3_S5_N6thrust23THRUST_200600_302600_NS6detail15normal_iteratorINS8_7pointerIxNS8_11hip_rocprim5par_tENS8_11use_defaultESE_EEEENSA_INSB_IlSD_SE_SE_EEEEZNS1_13binary_searchIS3_S5_NSA_INS8_10device_ptrIxEEEESG_SI_NS1_21lower_bound_search_opENS9_16wrapped_functionINS8_6system6detail7generic6detail18binary_search_lessEbEEEE10hipError_tPvRmT1_T2_T3_mmT4_T5_P12ihipStream_tbEUlRKxE_EESV_SZ_S10_mS11_S14_bEUlT_E_NS1_11comp_targetILNS1_3genE10ELNS1_11target_archE1200ELNS1_3gpuE4ELNS1_3repE0EEENS1_30default_config_static_selectorELNS0_4arch9wavefront6targetE0EEEvSY_.num_named_barrier, 0
	.set _ZN7rocprim17ROCPRIM_400000_NS6detail17trampoline_kernelINS0_14default_configENS1_27lower_bound_config_selectorIxlEEZNS1_14transform_implILb0ES3_S5_N6thrust23THRUST_200600_302600_NS6detail15normal_iteratorINS8_7pointerIxNS8_11hip_rocprim5par_tENS8_11use_defaultESE_EEEENSA_INSB_IlSD_SE_SE_EEEEZNS1_13binary_searchIS3_S5_NSA_INS8_10device_ptrIxEEEESG_SI_NS1_21lower_bound_search_opENS9_16wrapped_functionINS8_6system6detail7generic6detail18binary_search_lessEbEEEE10hipError_tPvRmT1_T2_T3_mmT4_T5_P12ihipStream_tbEUlRKxE_EESV_SZ_S10_mS11_S14_bEUlT_E_NS1_11comp_targetILNS1_3genE10ELNS1_11target_archE1200ELNS1_3gpuE4ELNS1_3repE0EEENS1_30default_config_static_selectorELNS0_4arch9wavefront6targetE0EEEvSY_.private_seg_size, 0
	.set _ZN7rocprim17ROCPRIM_400000_NS6detail17trampoline_kernelINS0_14default_configENS1_27lower_bound_config_selectorIxlEEZNS1_14transform_implILb0ES3_S5_N6thrust23THRUST_200600_302600_NS6detail15normal_iteratorINS8_7pointerIxNS8_11hip_rocprim5par_tENS8_11use_defaultESE_EEEENSA_INSB_IlSD_SE_SE_EEEEZNS1_13binary_searchIS3_S5_NSA_INS8_10device_ptrIxEEEESG_SI_NS1_21lower_bound_search_opENS9_16wrapped_functionINS8_6system6detail7generic6detail18binary_search_lessEbEEEE10hipError_tPvRmT1_T2_T3_mmT4_T5_P12ihipStream_tbEUlRKxE_EESV_SZ_S10_mS11_S14_bEUlT_E_NS1_11comp_targetILNS1_3genE10ELNS1_11target_archE1200ELNS1_3gpuE4ELNS1_3repE0EEENS1_30default_config_static_selectorELNS0_4arch9wavefront6targetE0EEEvSY_.uses_vcc, 0
	.set _ZN7rocprim17ROCPRIM_400000_NS6detail17trampoline_kernelINS0_14default_configENS1_27lower_bound_config_selectorIxlEEZNS1_14transform_implILb0ES3_S5_N6thrust23THRUST_200600_302600_NS6detail15normal_iteratorINS8_7pointerIxNS8_11hip_rocprim5par_tENS8_11use_defaultESE_EEEENSA_INSB_IlSD_SE_SE_EEEEZNS1_13binary_searchIS3_S5_NSA_INS8_10device_ptrIxEEEESG_SI_NS1_21lower_bound_search_opENS9_16wrapped_functionINS8_6system6detail7generic6detail18binary_search_lessEbEEEE10hipError_tPvRmT1_T2_T3_mmT4_T5_P12ihipStream_tbEUlRKxE_EESV_SZ_S10_mS11_S14_bEUlT_E_NS1_11comp_targetILNS1_3genE10ELNS1_11target_archE1200ELNS1_3gpuE4ELNS1_3repE0EEENS1_30default_config_static_selectorELNS0_4arch9wavefront6targetE0EEEvSY_.uses_flat_scratch, 0
	.set _ZN7rocprim17ROCPRIM_400000_NS6detail17trampoline_kernelINS0_14default_configENS1_27lower_bound_config_selectorIxlEEZNS1_14transform_implILb0ES3_S5_N6thrust23THRUST_200600_302600_NS6detail15normal_iteratorINS8_7pointerIxNS8_11hip_rocprim5par_tENS8_11use_defaultESE_EEEENSA_INSB_IlSD_SE_SE_EEEEZNS1_13binary_searchIS3_S5_NSA_INS8_10device_ptrIxEEEESG_SI_NS1_21lower_bound_search_opENS9_16wrapped_functionINS8_6system6detail7generic6detail18binary_search_lessEbEEEE10hipError_tPvRmT1_T2_T3_mmT4_T5_P12ihipStream_tbEUlRKxE_EESV_SZ_S10_mS11_S14_bEUlT_E_NS1_11comp_targetILNS1_3genE10ELNS1_11target_archE1200ELNS1_3gpuE4ELNS1_3repE0EEENS1_30default_config_static_selectorELNS0_4arch9wavefront6targetE0EEEvSY_.has_dyn_sized_stack, 0
	.set _ZN7rocprim17ROCPRIM_400000_NS6detail17trampoline_kernelINS0_14default_configENS1_27lower_bound_config_selectorIxlEEZNS1_14transform_implILb0ES3_S5_N6thrust23THRUST_200600_302600_NS6detail15normal_iteratorINS8_7pointerIxNS8_11hip_rocprim5par_tENS8_11use_defaultESE_EEEENSA_INSB_IlSD_SE_SE_EEEEZNS1_13binary_searchIS3_S5_NSA_INS8_10device_ptrIxEEEESG_SI_NS1_21lower_bound_search_opENS9_16wrapped_functionINS8_6system6detail7generic6detail18binary_search_lessEbEEEE10hipError_tPvRmT1_T2_T3_mmT4_T5_P12ihipStream_tbEUlRKxE_EESV_SZ_S10_mS11_S14_bEUlT_E_NS1_11comp_targetILNS1_3genE10ELNS1_11target_archE1200ELNS1_3gpuE4ELNS1_3repE0EEENS1_30default_config_static_selectorELNS0_4arch9wavefront6targetE0EEEvSY_.has_recursion, 0
	.set _ZN7rocprim17ROCPRIM_400000_NS6detail17trampoline_kernelINS0_14default_configENS1_27lower_bound_config_selectorIxlEEZNS1_14transform_implILb0ES3_S5_N6thrust23THRUST_200600_302600_NS6detail15normal_iteratorINS8_7pointerIxNS8_11hip_rocprim5par_tENS8_11use_defaultESE_EEEENSA_INSB_IlSD_SE_SE_EEEEZNS1_13binary_searchIS3_S5_NSA_INS8_10device_ptrIxEEEESG_SI_NS1_21lower_bound_search_opENS9_16wrapped_functionINS8_6system6detail7generic6detail18binary_search_lessEbEEEE10hipError_tPvRmT1_T2_T3_mmT4_T5_P12ihipStream_tbEUlRKxE_EESV_SZ_S10_mS11_S14_bEUlT_E_NS1_11comp_targetILNS1_3genE10ELNS1_11target_archE1200ELNS1_3gpuE4ELNS1_3repE0EEENS1_30default_config_static_selectorELNS0_4arch9wavefront6targetE0EEEvSY_.has_indirect_call, 0
	.section	.AMDGPU.csdata,"",@progbits
; Kernel info:
; codeLenInByte = 0
; TotalNumSgprs: 0
; NumVgprs: 0
; ScratchSize: 0
; MemoryBound: 0
; FloatMode: 240
; IeeeMode: 1
; LDSByteSize: 0 bytes/workgroup (compile time only)
; SGPRBlocks: 0
; VGPRBlocks: 0
; NumSGPRsForWavesPerEU: 1
; NumVGPRsForWavesPerEU: 1
; Occupancy: 16
; WaveLimiterHint : 0
; COMPUTE_PGM_RSRC2:SCRATCH_EN: 0
; COMPUTE_PGM_RSRC2:USER_SGPR: 6
; COMPUTE_PGM_RSRC2:TRAP_HANDLER: 0
; COMPUTE_PGM_RSRC2:TGID_X_EN: 1
; COMPUTE_PGM_RSRC2:TGID_Y_EN: 0
; COMPUTE_PGM_RSRC2:TGID_Z_EN: 0
; COMPUTE_PGM_RSRC2:TIDIG_COMP_CNT: 0
	.section	.text._ZN7rocprim17ROCPRIM_400000_NS6detail17trampoline_kernelINS0_14default_configENS1_27lower_bound_config_selectorIxlEEZNS1_14transform_implILb0ES3_S5_N6thrust23THRUST_200600_302600_NS6detail15normal_iteratorINS8_7pointerIxNS8_11hip_rocprim5par_tENS8_11use_defaultESE_EEEENSA_INSB_IlSD_SE_SE_EEEEZNS1_13binary_searchIS3_S5_NSA_INS8_10device_ptrIxEEEESG_SI_NS1_21lower_bound_search_opENS9_16wrapped_functionINS8_6system6detail7generic6detail18binary_search_lessEbEEEE10hipError_tPvRmT1_T2_T3_mmT4_T5_P12ihipStream_tbEUlRKxE_EESV_SZ_S10_mS11_S14_bEUlT_E_NS1_11comp_targetILNS1_3genE9ELNS1_11target_archE1100ELNS1_3gpuE3ELNS1_3repE0EEENS1_30default_config_static_selectorELNS0_4arch9wavefront6targetE0EEEvSY_,"axG",@progbits,_ZN7rocprim17ROCPRIM_400000_NS6detail17trampoline_kernelINS0_14default_configENS1_27lower_bound_config_selectorIxlEEZNS1_14transform_implILb0ES3_S5_N6thrust23THRUST_200600_302600_NS6detail15normal_iteratorINS8_7pointerIxNS8_11hip_rocprim5par_tENS8_11use_defaultESE_EEEENSA_INSB_IlSD_SE_SE_EEEEZNS1_13binary_searchIS3_S5_NSA_INS8_10device_ptrIxEEEESG_SI_NS1_21lower_bound_search_opENS9_16wrapped_functionINS8_6system6detail7generic6detail18binary_search_lessEbEEEE10hipError_tPvRmT1_T2_T3_mmT4_T5_P12ihipStream_tbEUlRKxE_EESV_SZ_S10_mS11_S14_bEUlT_E_NS1_11comp_targetILNS1_3genE9ELNS1_11target_archE1100ELNS1_3gpuE3ELNS1_3repE0EEENS1_30default_config_static_selectorELNS0_4arch9wavefront6targetE0EEEvSY_,comdat
	.protected	_ZN7rocprim17ROCPRIM_400000_NS6detail17trampoline_kernelINS0_14default_configENS1_27lower_bound_config_selectorIxlEEZNS1_14transform_implILb0ES3_S5_N6thrust23THRUST_200600_302600_NS6detail15normal_iteratorINS8_7pointerIxNS8_11hip_rocprim5par_tENS8_11use_defaultESE_EEEENSA_INSB_IlSD_SE_SE_EEEEZNS1_13binary_searchIS3_S5_NSA_INS8_10device_ptrIxEEEESG_SI_NS1_21lower_bound_search_opENS9_16wrapped_functionINS8_6system6detail7generic6detail18binary_search_lessEbEEEE10hipError_tPvRmT1_T2_T3_mmT4_T5_P12ihipStream_tbEUlRKxE_EESV_SZ_S10_mS11_S14_bEUlT_E_NS1_11comp_targetILNS1_3genE9ELNS1_11target_archE1100ELNS1_3gpuE3ELNS1_3repE0EEENS1_30default_config_static_selectorELNS0_4arch9wavefront6targetE0EEEvSY_ ; -- Begin function _ZN7rocprim17ROCPRIM_400000_NS6detail17trampoline_kernelINS0_14default_configENS1_27lower_bound_config_selectorIxlEEZNS1_14transform_implILb0ES3_S5_N6thrust23THRUST_200600_302600_NS6detail15normal_iteratorINS8_7pointerIxNS8_11hip_rocprim5par_tENS8_11use_defaultESE_EEEENSA_INSB_IlSD_SE_SE_EEEEZNS1_13binary_searchIS3_S5_NSA_INS8_10device_ptrIxEEEESG_SI_NS1_21lower_bound_search_opENS9_16wrapped_functionINS8_6system6detail7generic6detail18binary_search_lessEbEEEE10hipError_tPvRmT1_T2_T3_mmT4_T5_P12ihipStream_tbEUlRKxE_EESV_SZ_S10_mS11_S14_bEUlT_E_NS1_11comp_targetILNS1_3genE9ELNS1_11target_archE1100ELNS1_3gpuE3ELNS1_3repE0EEENS1_30default_config_static_selectorELNS0_4arch9wavefront6targetE0EEEvSY_
	.globl	_ZN7rocprim17ROCPRIM_400000_NS6detail17trampoline_kernelINS0_14default_configENS1_27lower_bound_config_selectorIxlEEZNS1_14transform_implILb0ES3_S5_N6thrust23THRUST_200600_302600_NS6detail15normal_iteratorINS8_7pointerIxNS8_11hip_rocprim5par_tENS8_11use_defaultESE_EEEENSA_INSB_IlSD_SE_SE_EEEEZNS1_13binary_searchIS3_S5_NSA_INS8_10device_ptrIxEEEESG_SI_NS1_21lower_bound_search_opENS9_16wrapped_functionINS8_6system6detail7generic6detail18binary_search_lessEbEEEE10hipError_tPvRmT1_T2_T3_mmT4_T5_P12ihipStream_tbEUlRKxE_EESV_SZ_S10_mS11_S14_bEUlT_E_NS1_11comp_targetILNS1_3genE9ELNS1_11target_archE1100ELNS1_3gpuE3ELNS1_3repE0EEENS1_30default_config_static_selectorELNS0_4arch9wavefront6targetE0EEEvSY_
	.p2align	8
	.type	_ZN7rocprim17ROCPRIM_400000_NS6detail17trampoline_kernelINS0_14default_configENS1_27lower_bound_config_selectorIxlEEZNS1_14transform_implILb0ES3_S5_N6thrust23THRUST_200600_302600_NS6detail15normal_iteratorINS8_7pointerIxNS8_11hip_rocprim5par_tENS8_11use_defaultESE_EEEENSA_INSB_IlSD_SE_SE_EEEEZNS1_13binary_searchIS3_S5_NSA_INS8_10device_ptrIxEEEESG_SI_NS1_21lower_bound_search_opENS9_16wrapped_functionINS8_6system6detail7generic6detail18binary_search_lessEbEEEE10hipError_tPvRmT1_T2_T3_mmT4_T5_P12ihipStream_tbEUlRKxE_EESV_SZ_S10_mS11_S14_bEUlT_E_NS1_11comp_targetILNS1_3genE9ELNS1_11target_archE1100ELNS1_3gpuE3ELNS1_3repE0EEENS1_30default_config_static_selectorELNS0_4arch9wavefront6targetE0EEEvSY_,@function
_ZN7rocprim17ROCPRIM_400000_NS6detail17trampoline_kernelINS0_14default_configENS1_27lower_bound_config_selectorIxlEEZNS1_14transform_implILb0ES3_S5_N6thrust23THRUST_200600_302600_NS6detail15normal_iteratorINS8_7pointerIxNS8_11hip_rocprim5par_tENS8_11use_defaultESE_EEEENSA_INSB_IlSD_SE_SE_EEEEZNS1_13binary_searchIS3_S5_NSA_INS8_10device_ptrIxEEEESG_SI_NS1_21lower_bound_search_opENS9_16wrapped_functionINS8_6system6detail7generic6detail18binary_search_lessEbEEEE10hipError_tPvRmT1_T2_T3_mmT4_T5_P12ihipStream_tbEUlRKxE_EESV_SZ_S10_mS11_S14_bEUlT_E_NS1_11comp_targetILNS1_3genE9ELNS1_11target_archE1100ELNS1_3gpuE3ELNS1_3repE0EEENS1_30default_config_static_selectorELNS0_4arch9wavefront6targetE0EEEvSY_: ; @_ZN7rocprim17ROCPRIM_400000_NS6detail17trampoline_kernelINS0_14default_configENS1_27lower_bound_config_selectorIxlEEZNS1_14transform_implILb0ES3_S5_N6thrust23THRUST_200600_302600_NS6detail15normal_iteratorINS8_7pointerIxNS8_11hip_rocprim5par_tENS8_11use_defaultESE_EEEENSA_INSB_IlSD_SE_SE_EEEEZNS1_13binary_searchIS3_S5_NSA_INS8_10device_ptrIxEEEESG_SI_NS1_21lower_bound_search_opENS9_16wrapped_functionINS8_6system6detail7generic6detail18binary_search_lessEbEEEE10hipError_tPvRmT1_T2_T3_mmT4_T5_P12ihipStream_tbEUlRKxE_EESV_SZ_S10_mS11_S14_bEUlT_E_NS1_11comp_targetILNS1_3genE9ELNS1_11target_archE1100ELNS1_3gpuE3ELNS1_3repE0EEENS1_30default_config_static_selectorELNS0_4arch9wavefront6targetE0EEEvSY_
; %bb.0:
	.section	.rodata,"a",@progbits
	.p2align	6, 0x0
	.amdhsa_kernel _ZN7rocprim17ROCPRIM_400000_NS6detail17trampoline_kernelINS0_14default_configENS1_27lower_bound_config_selectorIxlEEZNS1_14transform_implILb0ES3_S5_N6thrust23THRUST_200600_302600_NS6detail15normal_iteratorINS8_7pointerIxNS8_11hip_rocprim5par_tENS8_11use_defaultESE_EEEENSA_INSB_IlSD_SE_SE_EEEEZNS1_13binary_searchIS3_S5_NSA_INS8_10device_ptrIxEEEESG_SI_NS1_21lower_bound_search_opENS9_16wrapped_functionINS8_6system6detail7generic6detail18binary_search_lessEbEEEE10hipError_tPvRmT1_T2_T3_mmT4_T5_P12ihipStream_tbEUlRKxE_EESV_SZ_S10_mS11_S14_bEUlT_E_NS1_11comp_targetILNS1_3genE9ELNS1_11target_archE1100ELNS1_3gpuE3ELNS1_3repE0EEENS1_30default_config_static_selectorELNS0_4arch9wavefront6targetE0EEEvSY_
		.amdhsa_group_segment_fixed_size 0
		.amdhsa_private_segment_fixed_size 0
		.amdhsa_kernarg_size 56
		.amdhsa_user_sgpr_count 6
		.amdhsa_user_sgpr_private_segment_buffer 1
		.amdhsa_user_sgpr_dispatch_ptr 0
		.amdhsa_user_sgpr_queue_ptr 0
		.amdhsa_user_sgpr_kernarg_segment_ptr 1
		.amdhsa_user_sgpr_dispatch_id 0
		.amdhsa_user_sgpr_flat_scratch_init 0
		.amdhsa_user_sgpr_private_segment_size 0
		.amdhsa_wavefront_size32 1
		.amdhsa_uses_dynamic_stack 0
		.amdhsa_system_sgpr_private_segment_wavefront_offset 0
		.amdhsa_system_sgpr_workgroup_id_x 1
		.amdhsa_system_sgpr_workgroup_id_y 0
		.amdhsa_system_sgpr_workgroup_id_z 0
		.amdhsa_system_sgpr_workgroup_info 0
		.amdhsa_system_vgpr_workitem_id 0
		.amdhsa_next_free_vgpr 1
		.amdhsa_next_free_sgpr 1
		.amdhsa_reserve_vcc 0
		.amdhsa_reserve_flat_scratch 0
		.amdhsa_float_round_mode_32 0
		.amdhsa_float_round_mode_16_64 0
		.amdhsa_float_denorm_mode_32 3
		.amdhsa_float_denorm_mode_16_64 3
		.amdhsa_dx10_clamp 1
		.amdhsa_ieee_mode 1
		.amdhsa_fp16_overflow 0
		.amdhsa_workgroup_processor_mode 1
		.amdhsa_memory_ordered 1
		.amdhsa_forward_progress 1
		.amdhsa_shared_vgpr_count 0
		.amdhsa_exception_fp_ieee_invalid_op 0
		.amdhsa_exception_fp_denorm_src 0
		.amdhsa_exception_fp_ieee_div_zero 0
		.amdhsa_exception_fp_ieee_overflow 0
		.amdhsa_exception_fp_ieee_underflow 0
		.amdhsa_exception_fp_ieee_inexact 0
		.amdhsa_exception_int_div_zero 0
	.end_amdhsa_kernel
	.section	.text._ZN7rocprim17ROCPRIM_400000_NS6detail17trampoline_kernelINS0_14default_configENS1_27lower_bound_config_selectorIxlEEZNS1_14transform_implILb0ES3_S5_N6thrust23THRUST_200600_302600_NS6detail15normal_iteratorINS8_7pointerIxNS8_11hip_rocprim5par_tENS8_11use_defaultESE_EEEENSA_INSB_IlSD_SE_SE_EEEEZNS1_13binary_searchIS3_S5_NSA_INS8_10device_ptrIxEEEESG_SI_NS1_21lower_bound_search_opENS9_16wrapped_functionINS8_6system6detail7generic6detail18binary_search_lessEbEEEE10hipError_tPvRmT1_T2_T3_mmT4_T5_P12ihipStream_tbEUlRKxE_EESV_SZ_S10_mS11_S14_bEUlT_E_NS1_11comp_targetILNS1_3genE9ELNS1_11target_archE1100ELNS1_3gpuE3ELNS1_3repE0EEENS1_30default_config_static_selectorELNS0_4arch9wavefront6targetE0EEEvSY_,"axG",@progbits,_ZN7rocprim17ROCPRIM_400000_NS6detail17trampoline_kernelINS0_14default_configENS1_27lower_bound_config_selectorIxlEEZNS1_14transform_implILb0ES3_S5_N6thrust23THRUST_200600_302600_NS6detail15normal_iteratorINS8_7pointerIxNS8_11hip_rocprim5par_tENS8_11use_defaultESE_EEEENSA_INSB_IlSD_SE_SE_EEEEZNS1_13binary_searchIS3_S5_NSA_INS8_10device_ptrIxEEEESG_SI_NS1_21lower_bound_search_opENS9_16wrapped_functionINS8_6system6detail7generic6detail18binary_search_lessEbEEEE10hipError_tPvRmT1_T2_T3_mmT4_T5_P12ihipStream_tbEUlRKxE_EESV_SZ_S10_mS11_S14_bEUlT_E_NS1_11comp_targetILNS1_3genE9ELNS1_11target_archE1100ELNS1_3gpuE3ELNS1_3repE0EEENS1_30default_config_static_selectorELNS0_4arch9wavefront6targetE0EEEvSY_,comdat
.Lfunc_end392:
	.size	_ZN7rocprim17ROCPRIM_400000_NS6detail17trampoline_kernelINS0_14default_configENS1_27lower_bound_config_selectorIxlEEZNS1_14transform_implILb0ES3_S5_N6thrust23THRUST_200600_302600_NS6detail15normal_iteratorINS8_7pointerIxNS8_11hip_rocprim5par_tENS8_11use_defaultESE_EEEENSA_INSB_IlSD_SE_SE_EEEEZNS1_13binary_searchIS3_S5_NSA_INS8_10device_ptrIxEEEESG_SI_NS1_21lower_bound_search_opENS9_16wrapped_functionINS8_6system6detail7generic6detail18binary_search_lessEbEEEE10hipError_tPvRmT1_T2_T3_mmT4_T5_P12ihipStream_tbEUlRKxE_EESV_SZ_S10_mS11_S14_bEUlT_E_NS1_11comp_targetILNS1_3genE9ELNS1_11target_archE1100ELNS1_3gpuE3ELNS1_3repE0EEENS1_30default_config_static_selectorELNS0_4arch9wavefront6targetE0EEEvSY_, .Lfunc_end392-_ZN7rocprim17ROCPRIM_400000_NS6detail17trampoline_kernelINS0_14default_configENS1_27lower_bound_config_selectorIxlEEZNS1_14transform_implILb0ES3_S5_N6thrust23THRUST_200600_302600_NS6detail15normal_iteratorINS8_7pointerIxNS8_11hip_rocprim5par_tENS8_11use_defaultESE_EEEENSA_INSB_IlSD_SE_SE_EEEEZNS1_13binary_searchIS3_S5_NSA_INS8_10device_ptrIxEEEESG_SI_NS1_21lower_bound_search_opENS9_16wrapped_functionINS8_6system6detail7generic6detail18binary_search_lessEbEEEE10hipError_tPvRmT1_T2_T3_mmT4_T5_P12ihipStream_tbEUlRKxE_EESV_SZ_S10_mS11_S14_bEUlT_E_NS1_11comp_targetILNS1_3genE9ELNS1_11target_archE1100ELNS1_3gpuE3ELNS1_3repE0EEENS1_30default_config_static_selectorELNS0_4arch9wavefront6targetE0EEEvSY_
                                        ; -- End function
	.set _ZN7rocprim17ROCPRIM_400000_NS6detail17trampoline_kernelINS0_14default_configENS1_27lower_bound_config_selectorIxlEEZNS1_14transform_implILb0ES3_S5_N6thrust23THRUST_200600_302600_NS6detail15normal_iteratorINS8_7pointerIxNS8_11hip_rocprim5par_tENS8_11use_defaultESE_EEEENSA_INSB_IlSD_SE_SE_EEEEZNS1_13binary_searchIS3_S5_NSA_INS8_10device_ptrIxEEEESG_SI_NS1_21lower_bound_search_opENS9_16wrapped_functionINS8_6system6detail7generic6detail18binary_search_lessEbEEEE10hipError_tPvRmT1_T2_T3_mmT4_T5_P12ihipStream_tbEUlRKxE_EESV_SZ_S10_mS11_S14_bEUlT_E_NS1_11comp_targetILNS1_3genE9ELNS1_11target_archE1100ELNS1_3gpuE3ELNS1_3repE0EEENS1_30default_config_static_selectorELNS0_4arch9wavefront6targetE0EEEvSY_.num_vgpr, 0
	.set _ZN7rocprim17ROCPRIM_400000_NS6detail17trampoline_kernelINS0_14default_configENS1_27lower_bound_config_selectorIxlEEZNS1_14transform_implILb0ES3_S5_N6thrust23THRUST_200600_302600_NS6detail15normal_iteratorINS8_7pointerIxNS8_11hip_rocprim5par_tENS8_11use_defaultESE_EEEENSA_INSB_IlSD_SE_SE_EEEEZNS1_13binary_searchIS3_S5_NSA_INS8_10device_ptrIxEEEESG_SI_NS1_21lower_bound_search_opENS9_16wrapped_functionINS8_6system6detail7generic6detail18binary_search_lessEbEEEE10hipError_tPvRmT1_T2_T3_mmT4_T5_P12ihipStream_tbEUlRKxE_EESV_SZ_S10_mS11_S14_bEUlT_E_NS1_11comp_targetILNS1_3genE9ELNS1_11target_archE1100ELNS1_3gpuE3ELNS1_3repE0EEENS1_30default_config_static_selectorELNS0_4arch9wavefront6targetE0EEEvSY_.num_agpr, 0
	.set _ZN7rocprim17ROCPRIM_400000_NS6detail17trampoline_kernelINS0_14default_configENS1_27lower_bound_config_selectorIxlEEZNS1_14transform_implILb0ES3_S5_N6thrust23THRUST_200600_302600_NS6detail15normal_iteratorINS8_7pointerIxNS8_11hip_rocprim5par_tENS8_11use_defaultESE_EEEENSA_INSB_IlSD_SE_SE_EEEEZNS1_13binary_searchIS3_S5_NSA_INS8_10device_ptrIxEEEESG_SI_NS1_21lower_bound_search_opENS9_16wrapped_functionINS8_6system6detail7generic6detail18binary_search_lessEbEEEE10hipError_tPvRmT1_T2_T3_mmT4_T5_P12ihipStream_tbEUlRKxE_EESV_SZ_S10_mS11_S14_bEUlT_E_NS1_11comp_targetILNS1_3genE9ELNS1_11target_archE1100ELNS1_3gpuE3ELNS1_3repE0EEENS1_30default_config_static_selectorELNS0_4arch9wavefront6targetE0EEEvSY_.numbered_sgpr, 0
	.set _ZN7rocprim17ROCPRIM_400000_NS6detail17trampoline_kernelINS0_14default_configENS1_27lower_bound_config_selectorIxlEEZNS1_14transform_implILb0ES3_S5_N6thrust23THRUST_200600_302600_NS6detail15normal_iteratorINS8_7pointerIxNS8_11hip_rocprim5par_tENS8_11use_defaultESE_EEEENSA_INSB_IlSD_SE_SE_EEEEZNS1_13binary_searchIS3_S5_NSA_INS8_10device_ptrIxEEEESG_SI_NS1_21lower_bound_search_opENS9_16wrapped_functionINS8_6system6detail7generic6detail18binary_search_lessEbEEEE10hipError_tPvRmT1_T2_T3_mmT4_T5_P12ihipStream_tbEUlRKxE_EESV_SZ_S10_mS11_S14_bEUlT_E_NS1_11comp_targetILNS1_3genE9ELNS1_11target_archE1100ELNS1_3gpuE3ELNS1_3repE0EEENS1_30default_config_static_selectorELNS0_4arch9wavefront6targetE0EEEvSY_.num_named_barrier, 0
	.set _ZN7rocprim17ROCPRIM_400000_NS6detail17trampoline_kernelINS0_14default_configENS1_27lower_bound_config_selectorIxlEEZNS1_14transform_implILb0ES3_S5_N6thrust23THRUST_200600_302600_NS6detail15normal_iteratorINS8_7pointerIxNS8_11hip_rocprim5par_tENS8_11use_defaultESE_EEEENSA_INSB_IlSD_SE_SE_EEEEZNS1_13binary_searchIS3_S5_NSA_INS8_10device_ptrIxEEEESG_SI_NS1_21lower_bound_search_opENS9_16wrapped_functionINS8_6system6detail7generic6detail18binary_search_lessEbEEEE10hipError_tPvRmT1_T2_T3_mmT4_T5_P12ihipStream_tbEUlRKxE_EESV_SZ_S10_mS11_S14_bEUlT_E_NS1_11comp_targetILNS1_3genE9ELNS1_11target_archE1100ELNS1_3gpuE3ELNS1_3repE0EEENS1_30default_config_static_selectorELNS0_4arch9wavefront6targetE0EEEvSY_.private_seg_size, 0
	.set _ZN7rocprim17ROCPRIM_400000_NS6detail17trampoline_kernelINS0_14default_configENS1_27lower_bound_config_selectorIxlEEZNS1_14transform_implILb0ES3_S5_N6thrust23THRUST_200600_302600_NS6detail15normal_iteratorINS8_7pointerIxNS8_11hip_rocprim5par_tENS8_11use_defaultESE_EEEENSA_INSB_IlSD_SE_SE_EEEEZNS1_13binary_searchIS3_S5_NSA_INS8_10device_ptrIxEEEESG_SI_NS1_21lower_bound_search_opENS9_16wrapped_functionINS8_6system6detail7generic6detail18binary_search_lessEbEEEE10hipError_tPvRmT1_T2_T3_mmT4_T5_P12ihipStream_tbEUlRKxE_EESV_SZ_S10_mS11_S14_bEUlT_E_NS1_11comp_targetILNS1_3genE9ELNS1_11target_archE1100ELNS1_3gpuE3ELNS1_3repE0EEENS1_30default_config_static_selectorELNS0_4arch9wavefront6targetE0EEEvSY_.uses_vcc, 0
	.set _ZN7rocprim17ROCPRIM_400000_NS6detail17trampoline_kernelINS0_14default_configENS1_27lower_bound_config_selectorIxlEEZNS1_14transform_implILb0ES3_S5_N6thrust23THRUST_200600_302600_NS6detail15normal_iteratorINS8_7pointerIxNS8_11hip_rocprim5par_tENS8_11use_defaultESE_EEEENSA_INSB_IlSD_SE_SE_EEEEZNS1_13binary_searchIS3_S5_NSA_INS8_10device_ptrIxEEEESG_SI_NS1_21lower_bound_search_opENS9_16wrapped_functionINS8_6system6detail7generic6detail18binary_search_lessEbEEEE10hipError_tPvRmT1_T2_T3_mmT4_T5_P12ihipStream_tbEUlRKxE_EESV_SZ_S10_mS11_S14_bEUlT_E_NS1_11comp_targetILNS1_3genE9ELNS1_11target_archE1100ELNS1_3gpuE3ELNS1_3repE0EEENS1_30default_config_static_selectorELNS0_4arch9wavefront6targetE0EEEvSY_.uses_flat_scratch, 0
	.set _ZN7rocprim17ROCPRIM_400000_NS6detail17trampoline_kernelINS0_14default_configENS1_27lower_bound_config_selectorIxlEEZNS1_14transform_implILb0ES3_S5_N6thrust23THRUST_200600_302600_NS6detail15normal_iteratorINS8_7pointerIxNS8_11hip_rocprim5par_tENS8_11use_defaultESE_EEEENSA_INSB_IlSD_SE_SE_EEEEZNS1_13binary_searchIS3_S5_NSA_INS8_10device_ptrIxEEEESG_SI_NS1_21lower_bound_search_opENS9_16wrapped_functionINS8_6system6detail7generic6detail18binary_search_lessEbEEEE10hipError_tPvRmT1_T2_T3_mmT4_T5_P12ihipStream_tbEUlRKxE_EESV_SZ_S10_mS11_S14_bEUlT_E_NS1_11comp_targetILNS1_3genE9ELNS1_11target_archE1100ELNS1_3gpuE3ELNS1_3repE0EEENS1_30default_config_static_selectorELNS0_4arch9wavefront6targetE0EEEvSY_.has_dyn_sized_stack, 0
	.set _ZN7rocprim17ROCPRIM_400000_NS6detail17trampoline_kernelINS0_14default_configENS1_27lower_bound_config_selectorIxlEEZNS1_14transform_implILb0ES3_S5_N6thrust23THRUST_200600_302600_NS6detail15normal_iteratorINS8_7pointerIxNS8_11hip_rocprim5par_tENS8_11use_defaultESE_EEEENSA_INSB_IlSD_SE_SE_EEEEZNS1_13binary_searchIS3_S5_NSA_INS8_10device_ptrIxEEEESG_SI_NS1_21lower_bound_search_opENS9_16wrapped_functionINS8_6system6detail7generic6detail18binary_search_lessEbEEEE10hipError_tPvRmT1_T2_T3_mmT4_T5_P12ihipStream_tbEUlRKxE_EESV_SZ_S10_mS11_S14_bEUlT_E_NS1_11comp_targetILNS1_3genE9ELNS1_11target_archE1100ELNS1_3gpuE3ELNS1_3repE0EEENS1_30default_config_static_selectorELNS0_4arch9wavefront6targetE0EEEvSY_.has_recursion, 0
	.set _ZN7rocprim17ROCPRIM_400000_NS6detail17trampoline_kernelINS0_14default_configENS1_27lower_bound_config_selectorIxlEEZNS1_14transform_implILb0ES3_S5_N6thrust23THRUST_200600_302600_NS6detail15normal_iteratorINS8_7pointerIxNS8_11hip_rocprim5par_tENS8_11use_defaultESE_EEEENSA_INSB_IlSD_SE_SE_EEEEZNS1_13binary_searchIS3_S5_NSA_INS8_10device_ptrIxEEEESG_SI_NS1_21lower_bound_search_opENS9_16wrapped_functionINS8_6system6detail7generic6detail18binary_search_lessEbEEEE10hipError_tPvRmT1_T2_T3_mmT4_T5_P12ihipStream_tbEUlRKxE_EESV_SZ_S10_mS11_S14_bEUlT_E_NS1_11comp_targetILNS1_3genE9ELNS1_11target_archE1100ELNS1_3gpuE3ELNS1_3repE0EEENS1_30default_config_static_selectorELNS0_4arch9wavefront6targetE0EEEvSY_.has_indirect_call, 0
	.section	.AMDGPU.csdata,"",@progbits
; Kernel info:
; codeLenInByte = 0
; TotalNumSgprs: 0
; NumVgprs: 0
; ScratchSize: 0
; MemoryBound: 0
; FloatMode: 240
; IeeeMode: 1
; LDSByteSize: 0 bytes/workgroup (compile time only)
; SGPRBlocks: 0
; VGPRBlocks: 0
; NumSGPRsForWavesPerEU: 1
; NumVGPRsForWavesPerEU: 1
; Occupancy: 16
; WaveLimiterHint : 0
; COMPUTE_PGM_RSRC2:SCRATCH_EN: 0
; COMPUTE_PGM_RSRC2:USER_SGPR: 6
; COMPUTE_PGM_RSRC2:TRAP_HANDLER: 0
; COMPUTE_PGM_RSRC2:TGID_X_EN: 1
; COMPUTE_PGM_RSRC2:TGID_Y_EN: 0
; COMPUTE_PGM_RSRC2:TGID_Z_EN: 0
; COMPUTE_PGM_RSRC2:TIDIG_COMP_CNT: 0
	.section	.text._ZN7rocprim17ROCPRIM_400000_NS6detail17trampoline_kernelINS0_14default_configENS1_27lower_bound_config_selectorIxlEEZNS1_14transform_implILb0ES3_S5_N6thrust23THRUST_200600_302600_NS6detail15normal_iteratorINS8_7pointerIxNS8_11hip_rocprim5par_tENS8_11use_defaultESE_EEEENSA_INSB_IlSD_SE_SE_EEEEZNS1_13binary_searchIS3_S5_NSA_INS8_10device_ptrIxEEEESG_SI_NS1_21lower_bound_search_opENS9_16wrapped_functionINS8_6system6detail7generic6detail18binary_search_lessEbEEEE10hipError_tPvRmT1_T2_T3_mmT4_T5_P12ihipStream_tbEUlRKxE_EESV_SZ_S10_mS11_S14_bEUlT_E_NS1_11comp_targetILNS1_3genE8ELNS1_11target_archE1030ELNS1_3gpuE2ELNS1_3repE0EEENS1_30default_config_static_selectorELNS0_4arch9wavefront6targetE0EEEvSY_,"axG",@progbits,_ZN7rocprim17ROCPRIM_400000_NS6detail17trampoline_kernelINS0_14default_configENS1_27lower_bound_config_selectorIxlEEZNS1_14transform_implILb0ES3_S5_N6thrust23THRUST_200600_302600_NS6detail15normal_iteratorINS8_7pointerIxNS8_11hip_rocprim5par_tENS8_11use_defaultESE_EEEENSA_INSB_IlSD_SE_SE_EEEEZNS1_13binary_searchIS3_S5_NSA_INS8_10device_ptrIxEEEESG_SI_NS1_21lower_bound_search_opENS9_16wrapped_functionINS8_6system6detail7generic6detail18binary_search_lessEbEEEE10hipError_tPvRmT1_T2_T3_mmT4_T5_P12ihipStream_tbEUlRKxE_EESV_SZ_S10_mS11_S14_bEUlT_E_NS1_11comp_targetILNS1_3genE8ELNS1_11target_archE1030ELNS1_3gpuE2ELNS1_3repE0EEENS1_30default_config_static_selectorELNS0_4arch9wavefront6targetE0EEEvSY_,comdat
	.protected	_ZN7rocprim17ROCPRIM_400000_NS6detail17trampoline_kernelINS0_14default_configENS1_27lower_bound_config_selectorIxlEEZNS1_14transform_implILb0ES3_S5_N6thrust23THRUST_200600_302600_NS6detail15normal_iteratorINS8_7pointerIxNS8_11hip_rocprim5par_tENS8_11use_defaultESE_EEEENSA_INSB_IlSD_SE_SE_EEEEZNS1_13binary_searchIS3_S5_NSA_INS8_10device_ptrIxEEEESG_SI_NS1_21lower_bound_search_opENS9_16wrapped_functionINS8_6system6detail7generic6detail18binary_search_lessEbEEEE10hipError_tPvRmT1_T2_T3_mmT4_T5_P12ihipStream_tbEUlRKxE_EESV_SZ_S10_mS11_S14_bEUlT_E_NS1_11comp_targetILNS1_3genE8ELNS1_11target_archE1030ELNS1_3gpuE2ELNS1_3repE0EEENS1_30default_config_static_selectorELNS0_4arch9wavefront6targetE0EEEvSY_ ; -- Begin function _ZN7rocprim17ROCPRIM_400000_NS6detail17trampoline_kernelINS0_14default_configENS1_27lower_bound_config_selectorIxlEEZNS1_14transform_implILb0ES3_S5_N6thrust23THRUST_200600_302600_NS6detail15normal_iteratorINS8_7pointerIxNS8_11hip_rocprim5par_tENS8_11use_defaultESE_EEEENSA_INSB_IlSD_SE_SE_EEEEZNS1_13binary_searchIS3_S5_NSA_INS8_10device_ptrIxEEEESG_SI_NS1_21lower_bound_search_opENS9_16wrapped_functionINS8_6system6detail7generic6detail18binary_search_lessEbEEEE10hipError_tPvRmT1_T2_T3_mmT4_T5_P12ihipStream_tbEUlRKxE_EESV_SZ_S10_mS11_S14_bEUlT_E_NS1_11comp_targetILNS1_3genE8ELNS1_11target_archE1030ELNS1_3gpuE2ELNS1_3repE0EEENS1_30default_config_static_selectorELNS0_4arch9wavefront6targetE0EEEvSY_
	.globl	_ZN7rocprim17ROCPRIM_400000_NS6detail17trampoline_kernelINS0_14default_configENS1_27lower_bound_config_selectorIxlEEZNS1_14transform_implILb0ES3_S5_N6thrust23THRUST_200600_302600_NS6detail15normal_iteratorINS8_7pointerIxNS8_11hip_rocprim5par_tENS8_11use_defaultESE_EEEENSA_INSB_IlSD_SE_SE_EEEEZNS1_13binary_searchIS3_S5_NSA_INS8_10device_ptrIxEEEESG_SI_NS1_21lower_bound_search_opENS9_16wrapped_functionINS8_6system6detail7generic6detail18binary_search_lessEbEEEE10hipError_tPvRmT1_T2_T3_mmT4_T5_P12ihipStream_tbEUlRKxE_EESV_SZ_S10_mS11_S14_bEUlT_E_NS1_11comp_targetILNS1_3genE8ELNS1_11target_archE1030ELNS1_3gpuE2ELNS1_3repE0EEENS1_30default_config_static_selectorELNS0_4arch9wavefront6targetE0EEEvSY_
	.p2align	8
	.type	_ZN7rocprim17ROCPRIM_400000_NS6detail17trampoline_kernelINS0_14default_configENS1_27lower_bound_config_selectorIxlEEZNS1_14transform_implILb0ES3_S5_N6thrust23THRUST_200600_302600_NS6detail15normal_iteratorINS8_7pointerIxNS8_11hip_rocprim5par_tENS8_11use_defaultESE_EEEENSA_INSB_IlSD_SE_SE_EEEEZNS1_13binary_searchIS3_S5_NSA_INS8_10device_ptrIxEEEESG_SI_NS1_21lower_bound_search_opENS9_16wrapped_functionINS8_6system6detail7generic6detail18binary_search_lessEbEEEE10hipError_tPvRmT1_T2_T3_mmT4_T5_P12ihipStream_tbEUlRKxE_EESV_SZ_S10_mS11_S14_bEUlT_E_NS1_11comp_targetILNS1_3genE8ELNS1_11target_archE1030ELNS1_3gpuE2ELNS1_3repE0EEENS1_30default_config_static_selectorELNS0_4arch9wavefront6targetE0EEEvSY_,@function
_ZN7rocprim17ROCPRIM_400000_NS6detail17trampoline_kernelINS0_14default_configENS1_27lower_bound_config_selectorIxlEEZNS1_14transform_implILb0ES3_S5_N6thrust23THRUST_200600_302600_NS6detail15normal_iteratorINS8_7pointerIxNS8_11hip_rocprim5par_tENS8_11use_defaultESE_EEEENSA_INSB_IlSD_SE_SE_EEEEZNS1_13binary_searchIS3_S5_NSA_INS8_10device_ptrIxEEEESG_SI_NS1_21lower_bound_search_opENS9_16wrapped_functionINS8_6system6detail7generic6detail18binary_search_lessEbEEEE10hipError_tPvRmT1_T2_T3_mmT4_T5_P12ihipStream_tbEUlRKxE_EESV_SZ_S10_mS11_S14_bEUlT_E_NS1_11comp_targetILNS1_3genE8ELNS1_11target_archE1030ELNS1_3gpuE2ELNS1_3repE0EEENS1_30default_config_static_selectorELNS0_4arch9wavefront6targetE0EEEvSY_: ; @_ZN7rocprim17ROCPRIM_400000_NS6detail17trampoline_kernelINS0_14default_configENS1_27lower_bound_config_selectorIxlEEZNS1_14transform_implILb0ES3_S5_N6thrust23THRUST_200600_302600_NS6detail15normal_iteratorINS8_7pointerIxNS8_11hip_rocprim5par_tENS8_11use_defaultESE_EEEENSA_INSB_IlSD_SE_SE_EEEEZNS1_13binary_searchIS3_S5_NSA_INS8_10device_ptrIxEEEESG_SI_NS1_21lower_bound_search_opENS9_16wrapped_functionINS8_6system6detail7generic6detail18binary_search_lessEbEEEE10hipError_tPvRmT1_T2_T3_mmT4_T5_P12ihipStream_tbEUlRKxE_EESV_SZ_S10_mS11_S14_bEUlT_E_NS1_11comp_targetILNS1_3genE8ELNS1_11target_archE1030ELNS1_3gpuE2ELNS1_3repE0EEENS1_30default_config_static_selectorELNS0_4arch9wavefront6targetE0EEEvSY_
; %bb.0:
	s_clause 0x3
	s_load_dwordx4 s[16:19], s[4:5], 0x0
	s_load_dwordx4 s[0:3], s[4:5], 0x18
	s_load_dword s15, s[4:5], 0x38
	s_load_dwordx2 s[10:11], s[4:5], 0x28
	s_waitcnt lgkmcnt(0)
	s_lshl_b64 s[8:9], s[18:19], 3
	s_add_u32 s13, s16, s8
	s_addc_u32 s14, s17, s9
	s_add_u32 s7, s0, s8
	s_addc_u32 s12, s1, s9
	s_add_i32 s15, s15, -1
	s_lshl_b32 s8, s6, 8
	s_mov_b32 s9, 0
	s_cmp_lg_u32 s6, s15
	s_mov_b32 s0, -1
	s_cbranch_scc0 .LBB393_7
; %bb.1:
	s_cmp_eq_u64 s[10:11], 0
	s_cbranch_scc1 .LBB393_5
; %bb.2:
	v_lshlrev_b32_e32 v1, 3, v0
	s_lshl_b64 s[0:1], s[8:9], 3
	v_mov_b32_e32 v5, s10
	s_add_u32 s0, s13, s0
	s_addc_u32 s1, s14, s1
	v_add_co_u32 v1, s0, s0, v1
	v_add_co_ci_u32_e64 v2, null, s1, 0, s0
	v_mov_b32_e32 v6, s11
	s_mov_b32 s1, 0
	flat_load_dwordx2 v[3:4], v[1:2]
	v_mov_b32_e32 v1, 0
	v_mov_b32_e32 v2, 0
	s_inst_prefetch 0x1
	.p2align	6
.LBB393_3:                              ; =>This Inner Loop Header: Depth=1
	v_sub_co_u32 v7, vcc_lo, v5, v1
	v_sub_co_ci_u32_e64 v8, null, v6, v2, vcc_lo
	v_lshrrev_b64 v[9:10], 1, v[7:8]
	v_lshrrev_b64 v[7:8], 6, v[7:8]
	v_add_co_u32 v9, vcc_lo, v9, v1
	v_add_co_ci_u32_e64 v10, null, v10, v2, vcc_lo
	v_add_co_u32 v7, vcc_lo, v9, v7
	v_add_co_ci_u32_e64 v8, null, v10, v8, vcc_lo
	v_lshlrev_b64 v[9:10], 3, v[7:8]
	v_add_co_u32 v9, vcc_lo, s2, v9
	v_add_co_ci_u32_e64 v10, null, s3, v10, vcc_lo
	v_add_co_u32 v11, vcc_lo, v7, 1
	global_load_dwordx2 v[9:10], v[9:10], off
	s_waitcnt vmcnt(0) lgkmcnt(0)
	v_cmp_lt_i64_e64 s0, v[9:10], v[3:4]
	v_add_co_ci_u32_e64 v9, null, 0, v8, vcc_lo
	v_cndmask_b32_e64 v6, v8, v6, s0
	v_cndmask_b32_e64 v5, v7, v5, s0
	;; [unrolled: 1-line block ×4, first 2 shown]
	v_cmp_ge_u64_e32 vcc_lo, v[1:2], v[5:6]
	s_or_b32 s1, vcc_lo, s1
	s_andn2_b32 exec_lo, exec_lo, s1
	s_cbranch_execnz .LBB393_3
; %bb.4:
	s_inst_prefetch 0x2
	s_or_b32 exec_lo, exec_lo, s1
	s_branch .LBB393_6
.LBB393_5:
	v_mov_b32_e32 v1, 0
	v_mov_b32_e32 v2, 0
.LBB393_6:
	v_lshlrev_b32_e32 v3, 3, v0
	s_lshl_b64 s[0:1], s[8:9], 3
	s_add_u32 s0, s7, s0
	s_addc_u32 s1, s12, s1
	v_add_co_u32 v3, s0, s0, v3
	v_add_co_ci_u32_e64 v4, null, s1, 0, s0
	s_mov_b32 s0, 0
	flat_store_dwordx2 v[3:4], v[1:2]
.LBB393_7:
	s_and_b32 vcc_lo, exec_lo, s0
	s_cbranch_vccz .LBB393_16
; %bb.8:
	s_load_dword s0, s[4:5], 0x10
                                        ; implicit-def: $vgpr3_vgpr4
	s_waitcnt lgkmcnt(0)
	s_sub_i32 s1, s0, s8
	v_cmp_le_u32_e64 s0, s1, v0
	v_cmp_gt_u32_e32 vcc_lo, s1, v0
	s_and_saveexec_b32 s1, vcc_lo
	s_cbranch_execz .LBB393_10
; %bb.9:
	v_lshlrev_b32_e32 v1, 3, v0
	s_lshl_b64 s[4:5], s[8:9], 3
	s_add_u32 s4, s13, s4
	s_addc_u32 s5, s14, s5
	v_add_co_u32 v1, s4, s4, v1
	v_add_co_ci_u32_e64 v2, null, s5, 0, s4
	flat_load_dwordx2 v[3:4], v[1:2]
.LBB393_10:
	s_or_b32 exec_lo, exec_lo, s1
	s_cmp_lg_u64 s[10:11], 0
	v_mov_b32_e32 v1, 0
	v_mov_b32_e32 v2, 0
	s_cselect_b32 s1, -1, 0
	s_xor_b32 s0, s0, -1
	s_and_b32 s0, s0, s1
	s_and_saveexec_b32 s4, s0
	s_cbranch_execz .LBB393_14
; %bb.11:
	v_mov_b32_e32 v1, 0
	v_mov_b32_e32 v5, s10
	;; [unrolled: 1-line block ×4, first 2 shown]
	s_mov_b32 s5, 0
	s_inst_prefetch 0x1
	.p2align	6
.LBB393_12:                             ; =>This Inner Loop Header: Depth=1
	v_sub_co_u32 v7, s0, v5, v1
	v_sub_co_ci_u32_e64 v8, null, v6, v2, s0
	v_lshrrev_b64 v[9:10], 1, v[7:8]
	v_lshrrev_b64 v[7:8], 6, v[7:8]
	v_add_co_u32 v9, s0, v9, v1
	v_add_co_ci_u32_e64 v10, null, v10, v2, s0
	v_add_co_u32 v7, s0, v9, v7
	v_add_co_ci_u32_e64 v8, null, v10, v8, s0
	v_lshlrev_b64 v[9:10], 3, v[7:8]
	v_add_co_u32 v9, s0, s2, v9
	v_add_co_ci_u32_e64 v10, null, s3, v10, s0
	v_add_co_u32 v11, s0, v7, 1
	global_load_dwordx2 v[9:10], v[9:10], off
	s_waitcnt vmcnt(0) lgkmcnt(0)
	v_cmp_lt_i64_e64 s1, v[9:10], v[3:4]
	v_add_co_ci_u32_e64 v9, null, 0, v8, s0
	v_cndmask_b32_e64 v6, v8, v6, s1
	v_cndmask_b32_e64 v5, v7, v5, s1
	;; [unrolled: 1-line block ×4, first 2 shown]
	v_cmp_ge_u64_e64 s0, v[1:2], v[5:6]
	s_or_b32 s5, s0, s5
	s_andn2_b32 exec_lo, exec_lo, s5
	s_cbranch_execnz .LBB393_12
; %bb.13:
	s_inst_prefetch 0x2
	s_or_b32 exec_lo, exec_lo, s5
.LBB393_14:
	s_or_b32 exec_lo, exec_lo, s4
	s_and_saveexec_b32 s0, vcc_lo
	s_cbranch_execz .LBB393_16
; %bb.15:
	v_lshlrev_b32_e32 v0, 3, v0
	s_lshl_b64 s[0:1], s[8:9], 3
	s_add_u32 s0, s7, s0
	s_addc_u32 s1, s12, s1
	s_waitcnt vmcnt(0) lgkmcnt(0)
	v_add_co_u32 v3, s0, s0, v0
	v_add_co_ci_u32_e64 v4, null, s1, 0, s0
	flat_store_dwordx2 v[3:4], v[1:2]
.LBB393_16:
	s_endpgm
	.section	.rodata,"a",@progbits
	.p2align	6, 0x0
	.amdhsa_kernel _ZN7rocprim17ROCPRIM_400000_NS6detail17trampoline_kernelINS0_14default_configENS1_27lower_bound_config_selectorIxlEEZNS1_14transform_implILb0ES3_S5_N6thrust23THRUST_200600_302600_NS6detail15normal_iteratorINS8_7pointerIxNS8_11hip_rocprim5par_tENS8_11use_defaultESE_EEEENSA_INSB_IlSD_SE_SE_EEEEZNS1_13binary_searchIS3_S5_NSA_INS8_10device_ptrIxEEEESG_SI_NS1_21lower_bound_search_opENS9_16wrapped_functionINS8_6system6detail7generic6detail18binary_search_lessEbEEEE10hipError_tPvRmT1_T2_T3_mmT4_T5_P12ihipStream_tbEUlRKxE_EESV_SZ_S10_mS11_S14_bEUlT_E_NS1_11comp_targetILNS1_3genE8ELNS1_11target_archE1030ELNS1_3gpuE2ELNS1_3repE0EEENS1_30default_config_static_selectorELNS0_4arch9wavefront6targetE0EEEvSY_
		.amdhsa_group_segment_fixed_size 0
		.amdhsa_private_segment_fixed_size 0
		.amdhsa_kernarg_size 312
		.amdhsa_user_sgpr_count 6
		.amdhsa_user_sgpr_private_segment_buffer 1
		.amdhsa_user_sgpr_dispatch_ptr 0
		.amdhsa_user_sgpr_queue_ptr 0
		.amdhsa_user_sgpr_kernarg_segment_ptr 1
		.amdhsa_user_sgpr_dispatch_id 0
		.amdhsa_user_sgpr_flat_scratch_init 0
		.amdhsa_user_sgpr_private_segment_size 0
		.amdhsa_wavefront_size32 1
		.amdhsa_uses_dynamic_stack 0
		.amdhsa_system_sgpr_private_segment_wavefront_offset 0
		.amdhsa_system_sgpr_workgroup_id_x 1
		.amdhsa_system_sgpr_workgroup_id_y 0
		.amdhsa_system_sgpr_workgroup_id_z 0
		.amdhsa_system_sgpr_workgroup_info 0
		.amdhsa_system_vgpr_workitem_id 0
		.amdhsa_next_free_vgpr 12
		.amdhsa_next_free_sgpr 20
		.amdhsa_reserve_vcc 1
		.amdhsa_reserve_flat_scratch 0
		.amdhsa_float_round_mode_32 0
		.amdhsa_float_round_mode_16_64 0
		.amdhsa_float_denorm_mode_32 3
		.amdhsa_float_denorm_mode_16_64 3
		.amdhsa_dx10_clamp 1
		.amdhsa_ieee_mode 1
		.amdhsa_fp16_overflow 0
		.amdhsa_workgroup_processor_mode 1
		.amdhsa_memory_ordered 1
		.amdhsa_forward_progress 1
		.amdhsa_shared_vgpr_count 0
		.amdhsa_exception_fp_ieee_invalid_op 0
		.amdhsa_exception_fp_denorm_src 0
		.amdhsa_exception_fp_ieee_div_zero 0
		.amdhsa_exception_fp_ieee_overflow 0
		.amdhsa_exception_fp_ieee_underflow 0
		.amdhsa_exception_fp_ieee_inexact 0
		.amdhsa_exception_int_div_zero 0
	.end_amdhsa_kernel
	.section	.text._ZN7rocprim17ROCPRIM_400000_NS6detail17trampoline_kernelINS0_14default_configENS1_27lower_bound_config_selectorIxlEEZNS1_14transform_implILb0ES3_S5_N6thrust23THRUST_200600_302600_NS6detail15normal_iteratorINS8_7pointerIxNS8_11hip_rocprim5par_tENS8_11use_defaultESE_EEEENSA_INSB_IlSD_SE_SE_EEEEZNS1_13binary_searchIS3_S5_NSA_INS8_10device_ptrIxEEEESG_SI_NS1_21lower_bound_search_opENS9_16wrapped_functionINS8_6system6detail7generic6detail18binary_search_lessEbEEEE10hipError_tPvRmT1_T2_T3_mmT4_T5_P12ihipStream_tbEUlRKxE_EESV_SZ_S10_mS11_S14_bEUlT_E_NS1_11comp_targetILNS1_3genE8ELNS1_11target_archE1030ELNS1_3gpuE2ELNS1_3repE0EEENS1_30default_config_static_selectorELNS0_4arch9wavefront6targetE0EEEvSY_,"axG",@progbits,_ZN7rocprim17ROCPRIM_400000_NS6detail17trampoline_kernelINS0_14default_configENS1_27lower_bound_config_selectorIxlEEZNS1_14transform_implILb0ES3_S5_N6thrust23THRUST_200600_302600_NS6detail15normal_iteratorINS8_7pointerIxNS8_11hip_rocprim5par_tENS8_11use_defaultESE_EEEENSA_INSB_IlSD_SE_SE_EEEEZNS1_13binary_searchIS3_S5_NSA_INS8_10device_ptrIxEEEESG_SI_NS1_21lower_bound_search_opENS9_16wrapped_functionINS8_6system6detail7generic6detail18binary_search_lessEbEEEE10hipError_tPvRmT1_T2_T3_mmT4_T5_P12ihipStream_tbEUlRKxE_EESV_SZ_S10_mS11_S14_bEUlT_E_NS1_11comp_targetILNS1_3genE8ELNS1_11target_archE1030ELNS1_3gpuE2ELNS1_3repE0EEENS1_30default_config_static_selectorELNS0_4arch9wavefront6targetE0EEEvSY_,comdat
.Lfunc_end393:
	.size	_ZN7rocprim17ROCPRIM_400000_NS6detail17trampoline_kernelINS0_14default_configENS1_27lower_bound_config_selectorIxlEEZNS1_14transform_implILb0ES3_S5_N6thrust23THRUST_200600_302600_NS6detail15normal_iteratorINS8_7pointerIxNS8_11hip_rocprim5par_tENS8_11use_defaultESE_EEEENSA_INSB_IlSD_SE_SE_EEEEZNS1_13binary_searchIS3_S5_NSA_INS8_10device_ptrIxEEEESG_SI_NS1_21lower_bound_search_opENS9_16wrapped_functionINS8_6system6detail7generic6detail18binary_search_lessEbEEEE10hipError_tPvRmT1_T2_T3_mmT4_T5_P12ihipStream_tbEUlRKxE_EESV_SZ_S10_mS11_S14_bEUlT_E_NS1_11comp_targetILNS1_3genE8ELNS1_11target_archE1030ELNS1_3gpuE2ELNS1_3repE0EEENS1_30default_config_static_selectorELNS0_4arch9wavefront6targetE0EEEvSY_, .Lfunc_end393-_ZN7rocprim17ROCPRIM_400000_NS6detail17trampoline_kernelINS0_14default_configENS1_27lower_bound_config_selectorIxlEEZNS1_14transform_implILb0ES3_S5_N6thrust23THRUST_200600_302600_NS6detail15normal_iteratorINS8_7pointerIxNS8_11hip_rocprim5par_tENS8_11use_defaultESE_EEEENSA_INSB_IlSD_SE_SE_EEEEZNS1_13binary_searchIS3_S5_NSA_INS8_10device_ptrIxEEEESG_SI_NS1_21lower_bound_search_opENS9_16wrapped_functionINS8_6system6detail7generic6detail18binary_search_lessEbEEEE10hipError_tPvRmT1_T2_T3_mmT4_T5_P12ihipStream_tbEUlRKxE_EESV_SZ_S10_mS11_S14_bEUlT_E_NS1_11comp_targetILNS1_3genE8ELNS1_11target_archE1030ELNS1_3gpuE2ELNS1_3repE0EEENS1_30default_config_static_selectorELNS0_4arch9wavefront6targetE0EEEvSY_
                                        ; -- End function
	.set _ZN7rocprim17ROCPRIM_400000_NS6detail17trampoline_kernelINS0_14default_configENS1_27lower_bound_config_selectorIxlEEZNS1_14transform_implILb0ES3_S5_N6thrust23THRUST_200600_302600_NS6detail15normal_iteratorINS8_7pointerIxNS8_11hip_rocprim5par_tENS8_11use_defaultESE_EEEENSA_INSB_IlSD_SE_SE_EEEEZNS1_13binary_searchIS3_S5_NSA_INS8_10device_ptrIxEEEESG_SI_NS1_21lower_bound_search_opENS9_16wrapped_functionINS8_6system6detail7generic6detail18binary_search_lessEbEEEE10hipError_tPvRmT1_T2_T3_mmT4_T5_P12ihipStream_tbEUlRKxE_EESV_SZ_S10_mS11_S14_bEUlT_E_NS1_11comp_targetILNS1_3genE8ELNS1_11target_archE1030ELNS1_3gpuE2ELNS1_3repE0EEENS1_30default_config_static_selectorELNS0_4arch9wavefront6targetE0EEEvSY_.num_vgpr, 12
	.set _ZN7rocprim17ROCPRIM_400000_NS6detail17trampoline_kernelINS0_14default_configENS1_27lower_bound_config_selectorIxlEEZNS1_14transform_implILb0ES3_S5_N6thrust23THRUST_200600_302600_NS6detail15normal_iteratorINS8_7pointerIxNS8_11hip_rocprim5par_tENS8_11use_defaultESE_EEEENSA_INSB_IlSD_SE_SE_EEEEZNS1_13binary_searchIS3_S5_NSA_INS8_10device_ptrIxEEEESG_SI_NS1_21lower_bound_search_opENS9_16wrapped_functionINS8_6system6detail7generic6detail18binary_search_lessEbEEEE10hipError_tPvRmT1_T2_T3_mmT4_T5_P12ihipStream_tbEUlRKxE_EESV_SZ_S10_mS11_S14_bEUlT_E_NS1_11comp_targetILNS1_3genE8ELNS1_11target_archE1030ELNS1_3gpuE2ELNS1_3repE0EEENS1_30default_config_static_selectorELNS0_4arch9wavefront6targetE0EEEvSY_.num_agpr, 0
	.set _ZN7rocprim17ROCPRIM_400000_NS6detail17trampoline_kernelINS0_14default_configENS1_27lower_bound_config_selectorIxlEEZNS1_14transform_implILb0ES3_S5_N6thrust23THRUST_200600_302600_NS6detail15normal_iteratorINS8_7pointerIxNS8_11hip_rocprim5par_tENS8_11use_defaultESE_EEEENSA_INSB_IlSD_SE_SE_EEEEZNS1_13binary_searchIS3_S5_NSA_INS8_10device_ptrIxEEEESG_SI_NS1_21lower_bound_search_opENS9_16wrapped_functionINS8_6system6detail7generic6detail18binary_search_lessEbEEEE10hipError_tPvRmT1_T2_T3_mmT4_T5_P12ihipStream_tbEUlRKxE_EESV_SZ_S10_mS11_S14_bEUlT_E_NS1_11comp_targetILNS1_3genE8ELNS1_11target_archE1030ELNS1_3gpuE2ELNS1_3repE0EEENS1_30default_config_static_selectorELNS0_4arch9wavefront6targetE0EEEvSY_.numbered_sgpr, 20
	.set _ZN7rocprim17ROCPRIM_400000_NS6detail17trampoline_kernelINS0_14default_configENS1_27lower_bound_config_selectorIxlEEZNS1_14transform_implILb0ES3_S5_N6thrust23THRUST_200600_302600_NS6detail15normal_iteratorINS8_7pointerIxNS8_11hip_rocprim5par_tENS8_11use_defaultESE_EEEENSA_INSB_IlSD_SE_SE_EEEEZNS1_13binary_searchIS3_S5_NSA_INS8_10device_ptrIxEEEESG_SI_NS1_21lower_bound_search_opENS9_16wrapped_functionINS8_6system6detail7generic6detail18binary_search_lessEbEEEE10hipError_tPvRmT1_T2_T3_mmT4_T5_P12ihipStream_tbEUlRKxE_EESV_SZ_S10_mS11_S14_bEUlT_E_NS1_11comp_targetILNS1_3genE8ELNS1_11target_archE1030ELNS1_3gpuE2ELNS1_3repE0EEENS1_30default_config_static_selectorELNS0_4arch9wavefront6targetE0EEEvSY_.num_named_barrier, 0
	.set _ZN7rocprim17ROCPRIM_400000_NS6detail17trampoline_kernelINS0_14default_configENS1_27lower_bound_config_selectorIxlEEZNS1_14transform_implILb0ES3_S5_N6thrust23THRUST_200600_302600_NS6detail15normal_iteratorINS8_7pointerIxNS8_11hip_rocprim5par_tENS8_11use_defaultESE_EEEENSA_INSB_IlSD_SE_SE_EEEEZNS1_13binary_searchIS3_S5_NSA_INS8_10device_ptrIxEEEESG_SI_NS1_21lower_bound_search_opENS9_16wrapped_functionINS8_6system6detail7generic6detail18binary_search_lessEbEEEE10hipError_tPvRmT1_T2_T3_mmT4_T5_P12ihipStream_tbEUlRKxE_EESV_SZ_S10_mS11_S14_bEUlT_E_NS1_11comp_targetILNS1_3genE8ELNS1_11target_archE1030ELNS1_3gpuE2ELNS1_3repE0EEENS1_30default_config_static_selectorELNS0_4arch9wavefront6targetE0EEEvSY_.private_seg_size, 0
	.set _ZN7rocprim17ROCPRIM_400000_NS6detail17trampoline_kernelINS0_14default_configENS1_27lower_bound_config_selectorIxlEEZNS1_14transform_implILb0ES3_S5_N6thrust23THRUST_200600_302600_NS6detail15normal_iteratorINS8_7pointerIxNS8_11hip_rocprim5par_tENS8_11use_defaultESE_EEEENSA_INSB_IlSD_SE_SE_EEEEZNS1_13binary_searchIS3_S5_NSA_INS8_10device_ptrIxEEEESG_SI_NS1_21lower_bound_search_opENS9_16wrapped_functionINS8_6system6detail7generic6detail18binary_search_lessEbEEEE10hipError_tPvRmT1_T2_T3_mmT4_T5_P12ihipStream_tbEUlRKxE_EESV_SZ_S10_mS11_S14_bEUlT_E_NS1_11comp_targetILNS1_3genE8ELNS1_11target_archE1030ELNS1_3gpuE2ELNS1_3repE0EEENS1_30default_config_static_selectorELNS0_4arch9wavefront6targetE0EEEvSY_.uses_vcc, 1
	.set _ZN7rocprim17ROCPRIM_400000_NS6detail17trampoline_kernelINS0_14default_configENS1_27lower_bound_config_selectorIxlEEZNS1_14transform_implILb0ES3_S5_N6thrust23THRUST_200600_302600_NS6detail15normal_iteratorINS8_7pointerIxNS8_11hip_rocprim5par_tENS8_11use_defaultESE_EEEENSA_INSB_IlSD_SE_SE_EEEEZNS1_13binary_searchIS3_S5_NSA_INS8_10device_ptrIxEEEESG_SI_NS1_21lower_bound_search_opENS9_16wrapped_functionINS8_6system6detail7generic6detail18binary_search_lessEbEEEE10hipError_tPvRmT1_T2_T3_mmT4_T5_P12ihipStream_tbEUlRKxE_EESV_SZ_S10_mS11_S14_bEUlT_E_NS1_11comp_targetILNS1_3genE8ELNS1_11target_archE1030ELNS1_3gpuE2ELNS1_3repE0EEENS1_30default_config_static_selectorELNS0_4arch9wavefront6targetE0EEEvSY_.uses_flat_scratch, 0
	.set _ZN7rocprim17ROCPRIM_400000_NS6detail17trampoline_kernelINS0_14default_configENS1_27lower_bound_config_selectorIxlEEZNS1_14transform_implILb0ES3_S5_N6thrust23THRUST_200600_302600_NS6detail15normal_iteratorINS8_7pointerIxNS8_11hip_rocprim5par_tENS8_11use_defaultESE_EEEENSA_INSB_IlSD_SE_SE_EEEEZNS1_13binary_searchIS3_S5_NSA_INS8_10device_ptrIxEEEESG_SI_NS1_21lower_bound_search_opENS9_16wrapped_functionINS8_6system6detail7generic6detail18binary_search_lessEbEEEE10hipError_tPvRmT1_T2_T3_mmT4_T5_P12ihipStream_tbEUlRKxE_EESV_SZ_S10_mS11_S14_bEUlT_E_NS1_11comp_targetILNS1_3genE8ELNS1_11target_archE1030ELNS1_3gpuE2ELNS1_3repE0EEENS1_30default_config_static_selectorELNS0_4arch9wavefront6targetE0EEEvSY_.has_dyn_sized_stack, 0
	.set _ZN7rocprim17ROCPRIM_400000_NS6detail17trampoline_kernelINS0_14default_configENS1_27lower_bound_config_selectorIxlEEZNS1_14transform_implILb0ES3_S5_N6thrust23THRUST_200600_302600_NS6detail15normal_iteratorINS8_7pointerIxNS8_11hip_rocprim5par_tENS8_11use_defaultESE_EEEENSA_INSB_IlSD_SE_SE_EEEEZNS1_13binary_searchIS3_S5_NSA_INS8_10device_ptrIxEEEESG_SI_NS1_21lower_bound_search_opENS9_16wrapped_functionINS8_6system6detail7generic6detail18binary_search_lessEbEEEE10hipError_tPvRmT1_T2_T3_mmT4_T5_P12ihipStream_tbEUlRKxE_EESV_SZ_S10_mS11_S14_bEUlT_E_NS1_11comp_targetILNS1_3genE8ELNS1_11target_archE1030ELNS1_3gpuE2ELNS1_3repE0EEENS1_30default_config_static_selectorELNS0_4arch9wavefront6targetE0EEEvSY_.has_recursion, 0
	.set _ZN7rocprim17ROCPRIM_400000_NS6detail17trampoline_kernelINS0_14default_configENS1_27lower_bound_config_selectorIxlEEZNS1_14transform_implILb0ES3_S5_N6thrust23THRUST_200600_302600_NS6detail15normal_iteratorINS8_7pointerIxNS8_11hip_rocprim5par_tENS8_11use_defaultESE_EEEENSA_INSB_IlSD_SE_SE_EEEEZNS1_13binary_searchIS3_S5_NSA_INS8_10device_ptrIxEEEESG_SI_NS1_21lower_bound_search_opENS9_16wrapped_functionINS8_6system6detail7generic6detail18binary_search_lessEbEEEE10hipError_tPvRmT1_T2_T3_mmT4_T5_P12ihipStream_tbEUlRKxE_EESV_SZ_S10_mS11_S14_bEUlT_E_NS1_11comp_targetILNS1_3genE8ELNS1_11target_archE1030ELNS1_3gpuE2ELNS1_3repE0EEENS1_30default_config_static_selectorELNS0_4arch9wavefront6targetE0EEEvSY_.has_indirect_call, 0
	.section	.AMDGPU.csdata,"",@progbits
; Kernel info:
; codeLenInByte = 820
; TotalNumSgprs: 22
; NumVgprs: 12
; ScratchSize: 0
; MemoryBound: 0
; FloatMode: 240
; IeeeMode: 1
; LDSByteSize: 0 bytes/workgroup (compile time only)
; SGPRBlocks: 0
; VGPRBlocks: 1
; NumSGPRsForWavesPerEU: 22
; NumVGPRsForWavesPerEU: 12
; Occupancy: 16
; WaveLimiterHint : 0
; COMPUTE_PGM_RSRC2:SCRATCH_EN: 0
; COMPUTE_PGM_RSRC2:USER_SGPR: 6
; COMPUTE_PGM_RSRC2:TRAP_HANDLER: 0
; COMPUTE_PGM_RSRC2:TGID_X_EN: 1
; COMPUTE_PGM_RSRC2:TGID_Y_EN: 0
; COMPUTE_PGM_RSRC2:TGID_Z_EN: 0
; COMPUTE_PGM_RSRC2:TIDIG_COMP_CNT: 0
	.section	.text._ZN7rocprim17ROCPRIM_400000_NS6detail17trampoline_kernelINS0_14default_configENS1_27lower_bound_config_selectorIilEEZNS1_14transform_implILb0ES3_S5_N6thrust23THRUST_200600_302600_NS6detail15normal_iteratorINS8_7pointerIiNS8_11hip_rocprim12par_nosync_tENS8_11use_defaultESE_EEEENSA_INSB_IlSD_SE_SE_EEEEZNS1_13binary_searchIS3_S5_NSA_INS8_10device_ptrIiEEEESG_SI_NS1_21lower_bound_search_opENS9_16wrapped_functionINS8_6system6detail7generic6detail18binary_search_lessEbEEEE10hipError_tPvRmT1_T2_T3_mmT4_T5_P12ihipStream_tbEUlRKiE_EESV_SZ_S10_mS11_S14_bEUlT_E_NS1_11comp_targetILNS1_3genE0ELNS1_11target_archE4294967295ELNS1_3gpuE0ELNS1_3repE0EEENS1_30default_config_static_selectorELNS0_4arch9wavefront6targetE0EEEvSY_,"axG",@progbits,_ZN7rocprim17ROCPRIM_400000_NS6detail17trampoline_kernelINS0_14default_configENS1_27lower_bound_config_selectorIilEEZNS1_14transform_implILb0ES3_S5_N6thrust23THRUST_200600_302600_NS6detail15normal_iteratorINS8_7pointerIiNS8_11hip_rocprim12par_nosync_tENS8_11use_defaultESE_EEEENSA_INSB_IlSD_SE_SE_EEEEZNS1_13binary_searchIS3_S5_NSA_INS8_10device_ptrIiEEEESG_SI_NS1_21lower_bound_search_opENS9_16wrapped_functionINS8_6system6detail7generic6detail18binary_search_lessEbEEEE10hipError_tPvRmT1_T2_T3_mmT4_T5_P12ihipStream_tbEUlRKiE_EESV_SZ_S10_mS11_S14_bEUlT_E_NS1_11comp_targetILNS1_3genE0ELNS1_11target_archE4294967295ELNS1_3gpuE0ELNS1_3repE0EEENS1_30default_config_static_selectorELNS0_4arch9wavefront6targetE0EEEvSY_,comdat
	.protected	_ZN7rocprim17ROCPRIM_400000_NS6detail17trampoline_kernelINS0_14default_configENS1_27lower_bound_config_selectorIilEEZNS1_14transform_implILb0ES3_S5_N6thrust23THRUST_200600_302600_NS6detail15normal_iteratorINS8_7pointerIiNS8_11hip_rocprim12par_nosync_tENS8_11use_defaultESE_EEEENSA_INSB_IlSD_SE_SE_EEEEZNS1_13binary_searchIS3_S5_NSA_INS8_10device_ptrIiEEEESG_SI_NS1_21lower_bound_search_opENS9_16wrapped_functionINS8_6system6detail7generic6detail18binary_search_lessEbEEEE10hipError_tPvRmT1_T2_T3_mmT4_T5_P12ihipStream_tbEUlRKiE_EESV_SZ_S10_mS11_S14_bEUlT_E_NS1_11comp_targetILNS1_3genE0ELNS1_11target_archE4294967295ELNS1_3gpuE0ELNS1_3repE0EEENS1_30default_config_static_selectorELNS0_4arch9wavefront6targetE0EEEvSY_ ; -- Begin function _ZN7rocprim17ROCPRIM_400000_NS6detail17trampoline_kernelINS0_14default_configENS1_27lower_bound_config_selectorIilEEZNS1_14transform_implILb0ES3_S5_N6thrust23THRUST_200600_302600_NS6detail15normal_iteratorINS8_7pointerIiNS8_11hip_rocprim12par_nosync_tENS8_11use_defaultESE_EEEENSA_INSB_IlSD_SE_SE_EEEEZNS1_13binary_searchIS3_S5_NSA_INS8_10device_ptrIiEEEESG_SI_NS1_21lower_bound_search_opENS9_16wrapped_functionINS8_6system6detail7generic6detail18binary_search_lessEbEEEE10hipError_tPvRmT1_T2_T3_mmT4_T5_P12ihipStream_tbEUlRKiE_EESV_SZ_S10_mS11_S14_bEUlT_E_NS1_11comp_targetILNS1_3genE0ELNS1_11target_archE4294967295ELNS1_3gpuE0ELNS1_3repE0EEENS1_30default_config_static_selectorELNS0_4arch9wavefront6targetE0EEEvSY_
	.globl	_ZN7rocprim17ROCPRIM_400000_NS6detail17trampoline_kernelINS0_14default_configENS1_27lower_bound_config_selectorIilEEZNS1_14transform_implILb0ES3_S5_N6thrust23THRUST_200600_302600_NS6detail15normal_iteratorINS8_7pointerIiNS8_11hip_rocprim12par_nosync_tENS8_11use_defaultESE_EEEENSA_INSB_IlSD_SE_SE_EEEEZNS1_13binary_searchIS3_S5_NSA_INS8_10device_ptrIiEEEESG_SI_NS1_21lower_bound_search_opENS9_16wrapped_functionINS8_6system6detail7generic6detail18binary_search_lessEbEEEE10hipError_tPvRmT1_T2_T3_mmT4_T5_P12ihipStream_tbEUlRKiE_EESV_SZ_S10_mS11_S14_bEUlT_E_NS1_11comp_targetILNS1_3genE0ELNS1_11target_archE4294967295ELNS1_3gpuE0ELNS1_3repE0EEENS1_30default_config_static_selectorELNS0_4arch9wavefront6targetE0EEEvSY_
	.p2align	8
	.type	_ZN7rocprim17ROCPRIM_400000_NS6detail17trampoline_kernelINS0_14default_configENS1_27lower_bound_config_selectorIilEEZNS1_14transform_implILb0ES3_S5_N6thrust23THRUST_200600_302600_NS6detail15normal_iteratorINS8_7pointerIiNS8_11hip_rocprim12par_nosync_tENS8_11use_defaultESE_EEEENSA_INSB_IlSD_SE_SE_EEEEZNS1_13binary_searchIS3_S5_NSA_INS8_10device_ptrIiEEEESG_SI_NS1_21lower_bound_search_opENS9_16wrapped_functionINS8_6system6detail7generic6detail18binary_search_lessEbEEEE10hipError_tPvRmT1_T2_T3_mmT4_T5_P12ihipStream_tbEUlRKiE_EESV_SZ_S10_mS11_S14_bEUlT_E_NS1_11comp_targetILNS1_3genE0ELNS1_11target_archE4294967295ELNS1_3gpuE0ELNS1_3repE0EEENS1_30default_config_static_selectorELNS0_4arch9wavefront6targetE0EEEvSY_,@function
_ZN7rocprim17ROCPRIM_400000_NS6detail17trampoline_kernelINS0_14default_configENS1_27lower_bound_config_selectorIilEEZNS1_14transform_implILb0ES3_S5_N6thrust23THRUST_200600_302600_NS6detail15normal_iteratorINS8_7pointerIiNS8_11hip_rocprim12par_nosync_tENS8_11use_defaultESE_EEEENSA_INSB_IlSD_SE_SE_EEEEZNS1_13binary_searchIS3_S5_NSA_INS8_10device_ptrIiEEEESG_SI_NS1_21lower_bound_search_opENS9_16wrapped_functionINS8_6system6detail7generic6detail18binary_search_lessEbEEEE10hipError_tPvRmT1_T2_T3_mmT4_T5_P12ihipStream_tbEUlRKiE_EESV_SZ_S10_mS11_S14_bEUlT_E_NS1_11comp_targetILNS1_3genE0ELNS1_11target_archE4294967295ELNS1_3gpuE0ELNS1_3repE0EEENS1_30default_config_static_selectorELNS0_4arch9wavefront6targetE0EEEvSY_: ; @_ZN7rocprim17ROCPRIM_400000_NS6detail17trampoline_kernelINS0_14default_configENS1_27lower_bound_config_selectorIilEEZNS1_14transform_implILb0ES3_S5_N6thrust23THRUST_200600_302600_NS6detail15normal_iteratorINS8_7pointerIiNS8_11hip_rocprim12par_nosync_tENS8_11use_defaultESE_EEEENSA_INSB_IlSD_SE_SE_EEEEZNS1_13binary_searchIS3_S5_NSA_INS8_10device_ptrIiEEEESG_SI_NS1_21lower_bound_search_opENS9_16wrapped_functionINS8_6system6detail7generic6detail18binary_search_lessEbEEEE10hipError_tPvRmT1_T2_T3_mmT4_T5_P12ihipStream_tbEUlRKiE_EESV_SZ_S10_mS11_S14_bEUlT_E_NS1_11comp_targetILNS1_3genE0ELNS1_11target_archE4294967295ELNS1_3gpuE0ELNS1_3repE0EEENS1_30default_config_static_selectorELNS0_4arch9wavefront6targetE0EEEvSY_
; %bb.0:
	.section	.rodata,"a",@progbits
	.p2align	6, 0x0
	.amdhsa_kernel _ZN7rocprim17ROCPRIM_400000_NS6detail17trampoline_kernelINS0_14default_configENS1_27lower_bound_config_selectorIilEEZNS1_14transform_implILb0ES3_S5_N6thrust23THRUST_200600_302600_NS6detail15normal_iteratorINS8_7pointerIiNS8_11hip_rocprim12par_nosync_tENS8_11use_defaultESE_EEEENSA_INSB_IlSD_SE_SE_EEEEZNS1_13binary_searchIS3_S5_NSA_INS8_10device_ptrIiEEEESG_SI_NS1_21lower_bound_search_opENS9_16wrapped_functionINS8_6system6detail7generic6detail18binary_search_lessEbEEEE10hipError_tPvRmT1_T2_T3_mmT4_T5_P12ihipStream_tbEUlRKiE_EESV_SZ_S10_mS11_S14_bEUlT_E_NS1_11comp_targetILNS1_3genE0ELNS1_11target_archE4294967295ELNS1_3gpuE0ELNS1_3repE0EEENS1_30default_config_static_selectorELNS0_4arch9wavefront6targetE0EEEvSY_
		.amdhsa_group_segment_fixed_size 0
		.amdhsa_private_segment_fixed_size 0
		.amdhsa_kernarg_size 56
		.amdhsa_user_sgpr_count 6
		.amdhsa_user_sgpr_private_segment_buffer 1
		.amdhsa_user_sgpr_dispatch_ptr 0
		.amdhsa_user_sgpr_queue_ptr 0
		.amdhsa_user_sgpr_kernarg_segment_ptr 1
		.amdhsa_user_sgpr_dispatch_id 0
		.amdhsa_user_sgpr_flat_scratch_init 0
		.amdhsa_user_sgpr_private_segment_size 0
		.amdhsa_wavefront_size32 1
		.amdhsa_uses_dynamic_stack 0
		.amdhsa_system_sgpr_private_segment_wavefront_offset 0
		.amdhsa_system_sgpr_workgroup_id_x 1
		.amdhsa_system_sgpr_workgroup_id_y 0
		.amdhsa_system_sgpr_workgroup_id_z 0
		.amdhsa_system_sgpr_workgroup_info 0
		.amdhsa_system_vgpr_workitem_id 0
		.amdhsa_next_free_vgpr 1
		.amdhsa_next_free_sgpr 1
		.amdhsa_reserve_vcc 0
		.amdhsa_reserve_flat_scratch 0
		.amdhsa_float_round_mode_32 0
		.amdhsa_float_round_mode_16_64 0
		.amdhsa_float_denorm_mode_32 3
		.amdhsa_float_denorm_mode_16_64 3
		.amdhsa_dx10_clamp 1
		.amdhsa_ieee_mode 1
		.amdhsa_fp16_overflow 0
		.amdhsa_workgroup_processor_mode 1
		.amdhsa_memory_ordered 1
		.amdhsa_forward_progress 1
		.amdhsa_shared_vgpr_count 0
		.amdhsa_exception_fp_ieee_invalid_op 0
		.amdhsa_exception_fp_denorm_src 0
		.amdhsa_exception_fp_ieee_div_zero 0
		.amdhsa_exception_fp_ieee_overflow 0
		.amdhsa_exception_fp_ieee_underflow 0
		.amdhsa_exception_fp_ieee_inexact 0
		.amdhsa_exception_int_div_zero 0
	.end_amdhsa_kernel
	.section	.text._ZN7rocprim17ROCPRIM_400000_NS6detail17trampoline_kernelINS0_14default_configENS1_27lower_bound_config_selectorIilEEZNS1_14transform_implILb0ES3_S5_N6thrust23THRUST_200600_302600_NS6detail15normal_iteratorINS8_7pointerIiNS8_11hip_rocprim12par_nosync_tENS8_11use_defaultESE_EEEENSA_INSB_IlSD_SE_SE_EEEEZNS1_13binary_searchIS3_S5_NSA_INS8_10device_ptrIiEEEESG_SI_NS1_21lower_bound_search_opENS9_16wrapped_functionINS8_6system6detail7generic6detail18binary_search_lessEbEEEE10hipError_tPvRmT1_T2_T3_mmT4_T5_P12ihipStream_tbEUlRKiE_EESV_SZ_S10_mS11_S14_bEUlT_E_NS1_11comp_targetILNS1_3genE0ELNS1_11target_archE4294967295ELNS1_3gpuE0ELNS1_3repE0EEENS1_30default_config_static_selectorELNS0_4arch9wavefront6targetE0EEEvSY_,"axG",@progbits,_ZN7rocprim17ROCPRIM_400000_NS6detail17trampoline_kernelINS0_14default_configENS1_27lower_bound_config_selectorIilEEZNS1_14transform_implILb0ES3_S5_N6thrust23THRUST_200600_302600_NS6detail15normal_iteratorINS8_7pointerIiNS8_11hip_rocprim12par_nosync_tENS8_11use_defaultESE_EEEENSA_INSB_IlSD_SE_SE_EEEEZNS1_13binary_searchIS3_S5_NSA_INS8_10device_ptrIiEEEESG_SI_NS1_21lower_bound_search_opENS9_16wrapped_functionINS8_6system6detail7generic6detail18binary_search_lessEbEEEE10hipError_tPvRmT1_T2_T3_mmT4_T5_P12ihipStream_tbEUlRKiE_EESV_SZ_S10_mS11_S14_bEUlT_E_NS1_11comp_targetILNS1_3genE0ELNS1_11target_archE4294967295ELNS1_3gpuE0ELNS1_3repE0EEENS1_30default_config_static_selectorELNS0_4arch9wavefront6targetE0EEEvSY_,comdat
.Lfunc_end394:
	.size	_ZN7rocprim17ROCPRIM_400000_NS6detail17trampoline_kernelINS0_14default_configENS1_27lower_bound_config_selectorIilEEZNS1_14transform_implILb0ES3_S5_N6thrust23THRUST_200600_302600_NS6detail15normal_iteratorINS8_7pointerIiNS8_11hip_rocprim12par_nosync_tENS8_11use_defaultESE_EEEENSA_INSB_IlSD_SE_SE_EEEEZNS1_13binary_searchIS3_S5_NSA_INS8_10device_ptrIiEEEESG_SI_NS1_21lower_bound_search_opENS9_16wrapped_functionINS8_6system6detail7generic6detail18binary_search_lessEbEEEE10hipError_tPvRmT1_T2_T3_mmT4_T5_P12ihipStream_tbEUlRKiE_EESV_SZ_S10_mS11_S14_bEUlT_E_NS1_11comp_targetILNS1_3genE0ELNS1_11target_archE4294967295ELNS1_3gpuE0ELNS1_3repE0EEENS1_30default_config_static_selectorELNS0_4arch9wavefront6targetE0EEEvSY_, .Lfunc_end394-_ZN7rocprim17ROCPRIM_400000_NS6detail17trampoline_kernelINS0_14default_configENS1_27lower_bound_config_selectorIilEEZNS1_14transform_implILb0ES3_S5_N6thrust23THRUST_200600_302600_NS6detail15normal_iteratorINS8_7pointerIiNS8_11hip_rocprim12par_nosync_tENS8_11use_defaultESE_EEEENSA_INSB_IlSD_SE_SE_EEEEZNS1_13binary_searchIS3_S5_NSA_INS8_10device_ptrIiEEEESG_SI_NS1_21lower_bound_search_opENS9_16wrapped_functionINS8_6system6detail7generic6detail18binary_search_lessEbEEEE10hipError_tPvRmT1_T2_T3_mmT4_T5_P12ihipStream_tbEUlRKiE_EESV_SZ_S10_mS11_S14_bEUlT_E_NS1_11comp_targetILNS1_3genE0ELNS1_11target_archE4294967295ELNS1_3gpuE0ELNS1_3repE0EEENS1_30default_config_static_selectorELNS0_4arch9wavefront6targetE0EEEvSY_
                                        ; -- End function
	.set _ZN7rocprim17ROCPRIM_400000_NS6detail17trampoline_kernelINS0_14default_configENS1_27lower_bound_config_selectorIilEEZNS1_14transform_implILb0ES3_S5_N6thrust23THRUST_200600_302600_NS6detail15normal_iteratorINS8_7pointerIiNS8_11hip_rocprim12par_nosync_tENS8_11use_defaultESE_EEEENSA_INSB_IlSD_SE_SE_EEEEZNS1_13binary_searchIS3_S5_NSA_INS8_10device_ptrIiEEEESG_SI_NS1_21lower_bound_search_opENS9_16wrapped_functionINS8_6system6detail7generic6detail18binary_search_lessEbEEEE10hipError_tPvRmT1_T2_T3_mmT4_T5_P12ihipStream_tbEUlRKiE_EESV_SZ_S10_mS11_S14_bEUlT_E_NS1_11comp_targetILNS1_3genE0ELNS1_11target_archE4294967295ELNS1_3gpuE0ELNS1_3repE0EEENS1_30default_config_static_selectorELNS0_4arch9wavefront6targetE0EEEvSY_.num_vgpr, 0
	.set _ZN7rocprim17ROCPRIM_400000_NS6detail17trampoline_kernelINS0_14default_configENS1_27lower_bound_config_selectorIilEEZNS1_14transform_implILb0ES3_S5_N6thrust23THRUST_200600_302600_NS6detail15normal_iteratorINS8_7pointerIiNS8_11hip_rocprim12par_nosync_tENS8_11use_defaultESE_EEEENSA_INSB_IlSD_SE_SE_EEEEZNS1_13binary_searchIS3_S5_NSA_INS8_10device_ptrIiEEEESG_SI_NS1_21lower_bound_search_opENS9_16wrapped_functionINS8_6system6detail7generic6detail18binary_search_lessEbEEEE10hipError_tPvRmT1_T2_T3_mmT4_T5_P12ihipStream_tbEUlRKiE_EESV_SZ_S10_mS11_S14_bEUlT_E_NS1_11comp_targetILNS1_3genE0ELNS1_11target_archE4294967295ELNS1_3gpuE0ELNS1_3repE0EEENS1_30default_config_static_selectorELNS0_4arch9wavefront6targetE0EEEvSY_.num_agpr, 0
	.set _ZN7rocprim17ROCPRIM_400000_NS6detail17trampoline_kernelINS0_14default_configENS1_27lower_bound_config_selectorIilEEZNS1_14transform_implILb0ES3_S5_N6thrust23THRUST_200600_302600_NS6detail15normal_iteratorINS8_7pointerIiNS8_11hip_rocprim12par_nosync_tENS8_11use_defaultESE_EEEENSA_INSB_IlSD_SE_SE_EEEEZNS1_13binary_searchIS3_S5_NSA_INS8_10device_ptrIiEEEESG_SI_NS1_21lower_bound_search_opENS9_16wrapped_functionINS8_6system6detail7generic6detail18binary_search_lessEbEEEE10hipError_tPvRmT1_T2_T3_mmT4_T5_P12ihipStream_tbEUlRKiE_EESV_SZ_S10_mS11_S14_bEUlT_E_NS1_11comp_targetILNS1_3genE0ELNS1_11target_archE4294967295ELNS1_3gpuE0ELNS1_3repE0EEENS1_30default_config_static_selectorELNS0_4arch9wavefront6targetE0EEEvSY_.numbered_sgpr, 0
	.set _ZN7rocprim17ROCPRIM_400000_NS6detail17trampoline_kernelINS0_14default_configENS1_27lower_bound_config_selectorIilEEZNS1_14transform_implILb0ES3_S5_N6thrust23THRUST_200600_302600_NS6detail15normal_iteratorINS8_7pointerIiNS8_11hip_rocprim12par_nosync_tENS8_11use_defaultESE_EEEENSA_INSB_IlSD_SE_SE_EEEEZNS1_13binary_searchIS3_S5_NSA_INS8_10device_ptrIiEEEESG_SI_NS1_21lower_bound_search_opENS9_16wrapped_functionINS8_6system6detail7generic6detail18binary_search_lessEbEEEE10hipError_tPvRmT1_T2_T3_mmT4_T5_P12ihipStream_tbEUlRKiE_EESV_SZ_S10_mS11_S14_bEUlT_E_NS1_11comp_targetILNS1_3genE0ELNS1_11target_archE4294967295ELNS1_3gpuE0ELNS1_3repE0EEENS1_30default_config_static_selectorELNS0_4arch9wavefront6targetE0EEEvSY_.num_named_barrier, 0
	.set _ZN7rocprim17ROCPRIM_400000_NS6detail17trampoline_kernelINS0_14default_configENS1_27lower_bound_config_selectorIilEEZNS1_14transform_implILb0ES3_S5_N6thrust23THRUST_200600_302600_NS6detail15normal_iteratorINS8_7pointerIiNS8_11hip_rocprim12par_nosync_tENS8_11use_defaultESE_EEEENSA_INSB_IlSD_SE_SE_EEEEZNS1_13binary_searchIS3_S5_NSA_INS8_10device_ptrIiEEEESG_SI_NS1_21lower_bound_search_opENS9_16wrapped_functionINS8_6system6detail7generic6detail18binary_search_lessEbEEEE10hipError_tPvRmT1_T2_T3_mmT4_T5_P12ihipStream_tbEUlRKiE_EESV_SZ_S10_mS11_S14_bEUlT_E_NS1_11comp_targetILNS1_3genE0ELNS1_11target_archE4294967295ELNS1_3gpuE0ELNS1_3repE0EEENS1_30default_config_static_selectorELNS0_4arch9wavefront6targetE0EEEvSY_.private_seg_size, 0
	.set _ZN7rocprim17ROCPRIM_400000_NS6detail17trampoline_kernelINS0_14default_configENS1_27lower_bound_config_selectorIilEEZNS1_14transform_implILb0ES3_S5_N6thrust23THRUST_200600_302600_NS6detail15normal_iteratorINS8_7pointerIiNS8_11hip_rocprim12par_nosync_tENS8_11use_defaultESE_EEEENSA_INSB_IlSD_SE_SE_EEEEZNS1_13binary_searchIS3_S5_NSA_INS8_10device_ptrIiEEEESG_SI_NS1_21lower_bound_search_opENS9_16wrapped_functionINS8_6system6detail7generic6detail18binary_search_lessEbEEEE10hipError_tPvRmT1_T2_T3_mmT4_T5_P12ihipStream_tbEUlRKiE_EESV_SZ_S10_mS11_S14_bEUlT_E_NS1_11comp_targetILNS1_3genE0ELNS1_11target_archE4294967295ELNS1_3gpuE0ELNS1_3repE0EEENS1_30default_config_static_selectorELNS0_4arch9wavefront6targetE0EEEvSY_.uses_vcc, 0
	.set _ZN7rocprim17ROCPRIM_400000_NS6detail17trampoline_kernelINS0_14default_configENS1_27lower_bound_config_selectorIilEEZNS1_14transform_implILb0ES3_S5_N6thrust23THRUST_200600_302600_NS6detail15normal_iteratorINS8_7pointerIiNS8_11hip_rocprim12par_nosync_tENS8_11use_defaultESE_EEEENSA_INSB_IlSD_SE_SE_EEEEZNS1_13binary_searchIS3_S5_NSA_INS8_10device_ptrIiEEEESG_SI_NS1_21lower_bound_search_opENS9_16wrapped_functionINS8_6system6detail7generic6detail18binary_search_lessEbEEEE10hipError_tPvRmT1_T2_T3_mmT4_T5_P12ihipStream_tbEUlRKiE_EESV_SZ_S10_mS11_S14_bEUlT_E_NS1_11comp_targetILNS1_3genE0ELNS1_11target_archE4294967295ELNS1_3gpuE0ELNS1_3repE0EEENS1_30default_config_static_selectorELNS0_4arch9wavefront6targetE0EEEvSY_.uses_flat_scratch, 0
	.set _ZN7rocprim17ROCPRIM_400000_NS6detail17trampoline_kernelINS0_14default_configENS1_27lower_bound_config_selectorIilEEZNS1_14transform_implILb0ES3_S5_N6thrust23THRUST_200600_302600_NS6detail15normal_iteratorINS8_7pointerIiNS8_11hip_rocprim12par_nosync_tENS8_11use_defaultESE_EEEENSA_INSB_IlSD_SE_SE_EEEEZNS1_13binary_searchIS3_S5_NSA_INS8_10device_ptrIiEEEESG_SI_NS1_21lower_bound_search_opENS9_16wrapped_functionINS8_6system6detail7generic6detail18binary_search_lessEbEEEE10hipError_tPvRmT1_T2_T3_mmT4_T5_P12ihipStream_tbEUlRKiE_EESV_SZ_S10_mS11_S14_bEUlT_E_NS1_11comp_targetILNS1_3genE0ELNS1_11target_archE4294967295ELNS1_3gpuE0ELNS1_3repE0EEENS1_30default_config_static_selectorELNS0_4arch9wavefront6targetE0EEEvSY_.has_dyn_sized_stack, 0
	.set _ZN7rocprim17ROCPRIM_400000_NS6detail17trampoline_kernelINS0_14default_configENS1_27lower_bound_config_selectorIilEEZNS1_14transform_implILb0ES3_S5_N6thrust23THRUST_200600_302600_NS6detail15normal_iteratorINS8_7pointerIiNS8_11hip_rocprim12par_nosync_tENS8_11use_defaultESE_EEEENSA_INSB_IlSD_SE_SE_EEEEZNS1_13binary_searchIS3_S5_NSA_INS8_10device_ptrIiEEEESG_SI_NS1_21lower_bound_search_opENS9_16wrapped_functionINS8_6system6detail7generic6detail18binary_search_lessEbEEEE10hipError_tPvRmT1_T2_T3_mmT4_T5_P12ihipStream_tbEUlRKiE_EESV_SZ_S10_mS11_S14_bEUlT_E_NS1_11comp_targetILNS1_3genE0ELNS1_11target_archE4294967295ELNS1_3gpuE0ELNS1_3repE0EEENS1_30default_config_static_selectorELNS0_4arch9wavefront6targetE0EEEvSY_.has_recursion, 0
	.set _ZN7rocprim17ROCPRIM_400000_NS6detail17trampoline_kernelINS0_14default_configENS1_27lower_bound_config_selectorIilEEZNS1_14transform_implILb0ES3_S5_N6thrust23THRUST_200600_302600_NS6detail15normal_iteratorINS8_7pointerIiNS8_11hip_rocprim12par_nosync_tENS8_11use_defaultESE_EEEENSA_INSB_IlSD_SE_SE_EEEEZNS1_13binary_searchIS3_S5_NSA_INS8_10device_ptrIiEEEESG_SI_NS1_21lower_bound_search_opENS9_16wrapped_functionINS8_6system6detail7generic6detail18binary_search_lessEbEEEE10hipError_tPvRmT1_T2_T3_mmT4_T5_P12ihipStream_tbEUlRKiE_EESV_SZ_S10_mS11_S14_bEUlT_E_NS1_11comp_targetILNS1_3genE0ELNS1_11target_archE4294967295ELNS1_3gpuE0ELNS1_3repE0EEENS1_30default_config_static_selectorELNS0_4arch9wavefront6targetE0EEEvSY_.has_indirect_call, 0
	.section	.AMDGPU.csdata,"",@progbits
; Kernel info:
; codeLenInByte = 0
; TotalNumSgprs: 0
; NumVgprs: 0
; ScratchSize: 0
; MemoryBound: 0
; FloatMode: 240
; IeeeMode: 1
; LDSByteSize: 0 bytes/workgroup (compile time only)
; SGPRBlocks: 0
; VGPRBlocks: 0
; NumSGPRsForWavesPerEU: 1
; NumVGPRsForWavesPerEU: 1
; Occupancy: 16
; WaveLimiterHint : 0
; COMPUTE_PGM_RSRC2:SCRATCH_EN: 0
; COMPUTE_PGM_RSRC2:USER_SGPR: 6
; COMPUTE_PGM_RSRC2:TRAP_HANDLER: 0
; COMPUTE_PGM_RSRC2:TGID_X_EN: 1
; COMPUTE_PGM_RSRC2:TGID_Y_EN: 0
; COMPUTE_PGM_RSRC2:TGID_Z_EN: 0
; COMPUTE_PGM_RSRC2:TIDIG_COMP_CNT: 0
	.section	.text._ZN7rocprim17ROCPRIM_400000_NS6detail17trampoline_kernelINS0_14default_configENS1_27lower_bound_config_selectorIilEEZNS1_14transform_implILb0ES3_S5_N6thrust23THRUST_200600_302600_NS6detail15normal_iteratorINS8_7pointerIiNS8_11hip_rocprim12par_nosync_tENS8_11use_defaultESE_EEEENSA_INSB_IlSD_SE_SE_EEEEZNS1_13binary_searchIS3_S5_NSA_INS8_10device_ptrIiEEEESG_SI_NS1_21lower_bound_search_opENS9_16wrapped_functionINS8_6system6detail7generic6detail18binary_search_lessEbEEEE10hipError_tPvRmT1_T2_T3_mmT4_T5_P12ihipStream_tbEUlRKiE_EESV_SZ_S10_mS11_S14_bEUlT_E_NS1_11comp_targetILNS1_3genE5ELNS1_11target_archE942ELNS1_3gpuE9ELNS1_3repE0EEENS1_30default_config_static_selectorELNS0_4arch9wavefront6targetE0EEEvSY_,"axG",@progbits,_ZN7rocprim17ROCPRIM_400000_NS6detail17trampoline_kernelINS0_14default_configENS1_27lower_bound_config_selectorIilEEZNS1_14transform_implILb0ES3_S5_N6thrust23THRUST_200600_302600_NS6detail15normal_iteratorINS8_7pointerIiNS8_11hip_rocprim12par_nosync_tENS8_11use_defaultESE_EEEENSA_INSB_IlSD_SE_SE_EEEEZNS1_13binary_searchIS3_S5_NSA_INS8_10device_ptrIiEEEESG_SI_NS1_21lower_bound_search_opENS9_16wrapped_functionINS8_6system6detail7generic6detail18binary_search_lessEbEEEE10hipError_tPvRmT1_T2_T3_mmT4_T5_P12ihipStream_tbEUlRKiE_EESV_SZ_S10_mS11_S14_bEUlT_E_NS1_11comp_targetILNS1_3genE5ELNS1_11target_archE942ELNS1_3gpuE9ELNS1_3repE0EEENS1_30default_config_static_selectorELNS0_4arch9wavefront6targetE0EEEvSY_,comdat
	.protected	_ZN7rocprim17ROCPRIM_400000_NS6detail17trampoline_kernelINS0_14default_configENS1_27lower_bound_config_selectorIilEEZNS1_14transform_implILb0ES3_S5_N6thrust23THRUST_200600_302600_NS6detail15normal_iteratorINS8_7pointerIiNS8_11hip_rocprim12par_nosync_tENS8_11use_defaultESE_EEEENSA_INSB_IlSD_SE_SE_EEEEZNS1_13binary_searchIS3_S5_NSA_INS8_10device_ptrIiEEEESG_SI_NS1_21lower_bound_search_opENS9_16wrapped_functionINS8_6system6detail7generic6detail18binary_search_lessEbEEEE10hipError_tPvRmT1_T2_T3_mmT4_T5_P12ihipStream_tbEUlRKiE_EESV_SZ_S10_mS11_S14_bEUlT_E_NS1_11comp_targetILNS1_3genE5ELNS1_11target_archE942ELNS1_3gpuE9ELNS1_3repE0EEENS1_30default_config_static_selectorELNS0_4arch9wavefront6targetE0EEEvSY_ ; -- Begin function _ZN7rocprim17ROCPRIM_400000_NS6detail17trampoline_kernelINS0_14default_configENS1_27lower_bound_config_selectorIilEEZNS1_14transform_implILb0ES3_S5_N6thrust23THRUST_200600_302600_NS6detail15normal_iteratorINS8_7pointerIiNS8_11hip_rocprim12par_nosync_tENS8_11use_defaultESE_EEEENSA_INSB_IlSD_SE_SE_EEEEZNS1_13binary_searchIS3_S5_NSA_INS8_10device_ptrIiEEEESG_SI_NS1_21lower_bound_search_opENS9_16wrapped_functionINS8_6system6detail7generic6detail18binary_search_lessEbEEEE10hipError_tPvRmT1_T2_T3_mmT4_T5_P12ihipStream_tbEUlRKiE_EESV_SZ_S10_mS11_S14_bEUlT_E_NS1_11comp_targetILNS1_3genE5ELNS1_11target_archE942ELNS1_3gpuE9ELNS1_3repE0EEENS1_30default_config_static_selectorELNS0_4arch9wavefront6targetE0EEEvSY_
	.globl	_ZN7rocprim17ROCPRIM_400000_NS6detail17trampoline_kernelINS0_14default_configENS1_27lower_bound_config_selectorIilEEZNS1_14transform_implILb0ES3_S5_N6thrust23THRUST_200600_302600_NS6detail15normal_iteratorINS8_7pointerIiNS8_11hip_rocprim12par_nosync_tENS8_11use_defaultESE_EEEENSA_INSB_IlSD_SE_SE_EEEEZNS1_13binary_searchIS3_S5_NSA_INS8_10device_ptrIiEEEESG_SI_NS1_21lower_bound_search_opENS9_16wrapped_functionINS8_6system6detail7generic6detail18binary_search_lessEbEEEE10hipError_tPvRmT1_T2_T3_mmT4_T5_P12ihipStream_tbEUlRKiE_EESV_SZ_S10_mS11_S14_bEUlT_E_NS1_11comp_targetILNS1_3genE5ELNS1_11target_archE942ELNS1_3gpuE9ELNS1_3repE0EEENS1_30default_config_static_selectorELNS0_4arch9wavefront6targetE0EEEvSY_
	.p2align	8
	.type	_ZN7rocprim17ROCPRIM_400000_NS6detail17trampoline_kernelINS0_14default_configENS1_27lower_bound_config_selectorIilEEZNS1_14transform_implILb0ES3_S5_N6thrust23THRUST_200600_302600_NS6detail15normal_iteratorINS8_7pointerIiNS8_11hip_rocprim12par_nosync_tENS8_11use_defaultESE_EEEENSA_INSB_IlSD_SE_SE_EEEEZNS1_13binary_searchIS3_S5_NSA_INS8_10device_ptrIiEEEESG_SI_NS1_21lower_bound_search_opENS9_16wrapped_functionINS8_6system6detail7generic6detail18binary_search_lessEbEEEE10hipError_tPvRmT1_T2_T3_mmT4_T5_P12ihipStream_tbEUlRKiE_EESV_SZ_S10_mS11_S14_bEUlT_E_NS1_11comp_targetILNS1_3genE5ELNS1_11target_archE942ELNS1_3gpuE9ELNS1_3repE0EEENS1_30default_config_static_selectorELNS0_4arch9wavefront6targetE0EEEvSY_,@function
_ZN7rocprim17ROCPRIM_400000_NS6detail17trampoline_kernelINS0_14default_configENS1_27lower_bound_config_selectorIilEEZNS1_14transform_implILb0ES3_S5_N6thrust23THRUST_200600_302600_NS6detail15normal_iteratorINS8_7pointerIiNS8_11hip_rocprim12par_nosync_tENS8_11use_defaultESE_EEEENSA_INSB_IlSD_SE_SE_EEEEZNS1_13binary_searchIS3_S5_NSA_INS8_10device_ptrIiEEEESG_SI_NS1_21lower_bound_search_opENS9_16wrapped_functionINS8_6system6detail7generic6detail18binary_search_lessEbEEEE10hipError_tPvRmT1_T2_T3_mmT4_T5_P12ihipStream_tbEUlRKiE_EESV_SZ_S10_mS11_S14_bEUlT_E_NS1_11comp_targetILNS1_3genE5ELNS1_11target_archE942ELNS1_3gpuE9ELNS1_3repE0EEENS1_30default_config_static_selectorELNS0_4arch9wavefront6targetE0EEEvSY_: ; @_ZN7rocprim17ROCPRIM_400000_NS6detail17trampoline_kernelINS0_14default_configENS1_27lower_bound_config_selectorIilEEZNS1_14transform_implILb0ES3_S5_N6thrust23THRUST_200600_302600_NS6detail15normal_iteratorINS8_7pointerIiNS8_11hip_rocprim12par_nosync_tENS8_11use_defaultESE_EEEENSA_INSB_IlSD_SE_SE_EEEEZNS1_13binary_searchIS3_S5_NSA_INS8_10device_ptrIiEEEESG_SI_NS1_21lower_bound_search_opENS9_16wrapped_functionINS8_6system6detail7generic6detail18binary_search_lessEbEEEE10hipError_tPvRmT1_T2_T3_mmT4_T5_P12ihipStream_tbEUlRKiE_EESV_SZ_S10_mS11_S14_bEUlT_E_NS1_11comp_targetILNS1_3genE5ELNS1_11target_archE942ELNS1_3gpuE9ELNS1_3repE0EEENS1_30default_config_static_selectorELNS0_4arch9wavefront6targetE0EEEvSY_
; %bb.0:
	.section	.rodata,"a",@progbits
	.p2align	6, 0x0
	.amdhsa_kernel _ZN7rocprim17ROCPRIM_400000_NS6detail17trampoline_kernelINS0_14default_configENS1_27lower_bound_config_selectorIilEEZNS1_14transform_implILb0ES3_S5_N6thrust23THRUST_200600_302600_NS6detail15normal_iteratorINS8_7pointerIiNS8_11hip_rocprim12par_nosync_tENS8_11use_defaultESE_EEEENSA_INSB_IlSD_SE_SE_EEEEZNS1_13binary_searchIS3_S5_NSA_INS8_10device_ptrIiEEEESG_SI_NS1_21lower_bound_search_opENS9_16wrapped_functionINS8_6system6detail7generic6detail18binary_search_lessEbEEEE10hipError_tPvRmT1_T2_T3_mmT4_T5_P12ihipStream_tbEUlRKiE_EESV_SZ_S10_mS11_S14_bEUlT_E_NS1_11comp_targetILNS1_3genE5ELNS1_11target_archE942ELNS1_3gpuE9ELNS1_3repE0EEENS1_30default_config_static_selectorELNS0_4arch9wavefront6targetE0EEEvSY_
		.amdhsa_group_segment_fixed_size 0
		.amdhsa_private_segment_fixed_size 0
		.amdhsa_kernarg_size 56
		.amdhsa_user_sgpr_count 6
		.amdhsa_user_sgpr_private_segment_buffer 1
		.amdhsa_user_sgpr_dispatch_ptr 0
		.amdhsa_user_sgpr_queue_ptr 0
		.amdhsa_user_sgpr_kernarg_segment_ptr 1
		.amdhsa_user_sgpr_dispatch_id 0
		.amdhsa_user_sgpr_flat_scratch_init 0
		.amdhsa_user_sgpr_private_segment_size 0
		.amdhsa_wavefront_size32 1
		.amdhsa_uses_dynamic_stack 0
		.amdhsa_system_sgpr_private_segment_wavefront_offset 0
		.amdhsa_system_sgpr_workgroup_id_x 1
		.amdhsa_system_sgpr_workgroup_id_y 0
		.amdhsa_system_sgpr_workgroup_id_z 0
		.amdhsa_system_sgpr_workgroup_info 0
		.amdhsa_system_vgpr_workitem_id 0
		.amdhsa_next_free_vgpr 1
		.amdhsa_next_free_sgpr 1
		.amdhsa_reserve_vcc 0
		.amdhsa_reserve_flat_scratch 0
		.amdhsa_float_round_mode_32 0
		.amdhsa_float_round_mode_16_64 0
		.amdhsa_float_denorm_mode_32 3
		.amdhsa_float_denorm_mode_16_64 3
		.amdhsa_dx10_clamp 1
		.amdhsa_ieee_mode 1
		.amdhsa_fp16_overflow 0
		.amdhsa_workgroup_processor_mode 1
		.amdhsa_memory_ordered 1
		.amdhsa_forward_progress 1
		.amdhsa_shared_vgpr_count 0
		.amdhsa_exception_fp_ieee_invalid_op 0
		.amdhsa_exception_fp_denorm_src 0
		.amdhsa_exception_fp_ieee_div_zero 0
		.amdhsa_exception_fp_ieee_overflow 0
		.amdhsa_exception_fp_ieee_underflow 0
		.amdhsa_exception_fp_ieee_inexact 0
		.amdhsa_exception_int_div_zero 0
	.end_amdhsa_kernel
	.section	.text._ZN7rocprim17ROCPRIM_400000_NS6detail17trampoline_kernelINS0_14default_configENS1_27lower_bound_config_selectorIilEEZNS1_14transform_implILb0ES3_S5_N6thrust23THRUST_200600_302600_NS6detail15normal_iteratorINS8_7pointerIiNS8_11hip_rocprim12par_nosync_tENS8_11use_defaultESE_EEEENSA_INSB_IlSD_SE_SE_EEEEZNS1_13binary_searchIS3_S5_NSA_INS8_10device_ptrIiEEEESG_SI_NS1_21lower_bound_search_opENS9_16wrapped_functionINS8_6system6detail7generic6detail18binary_search_lessEbEEEE10hipError_tPvRmT1_T2_T3_mmT4_T5_P12ihipStream_tbEUlRKiE_EESV_SZ_S10_mS11_S14_bEUlT_E_NS1_11comp_targetILNS1_3genE5ELNS1_11target_archE942ELNS1_3gpuE9ELNS1_3repE0EEENS1_30default_config_static_selectorELNS0_4arch9wavefront6targetE0EEEvSY_,"axG",@progbits,_ZN7rocprim17ROCPRIM_400000_NS6detail17trampoline_kernelINS0_14default_configENS1_27lower_bound_config_selectorIilEEZNS1_14transform_implILb0ES3_S5_N6thrust23THRUST_200600_302600_NS6detail15normal_iteratorINS8_7pointerIiNS8_11hip_rocprim12par_nosync_tENS8_11use_defaultESE_EEEENSA_INSB_IlSD_SE_SE_EEEEZNS1_13binary_searchIS3_S5_NSA_INS8_10device_ptrIiEEEESG_SI_NS1_21lower_bound_search_opENS9_16wrapped_functionINS8_6system6detail7generic6detail18binary_search_lessEbEEEE10hipError_tPvRmT1_T2_T3_mmT4_T5_P12ihipStream_tbEUlRKiE_EESV_SZ_S10_mS11_S14_bEUlT_E_NS1_11comp_targetILNS1_3genE5ELNS1_11target_archE942ELNS1_3gpuE9ELNS1_3repE0EEENS1_30default_config_static_selectorELNS0_4arch9wavefront6targetE0EEEvSY_,comdat
.Lfunc_end395:
	.size	_ZN7rocprim17ROCPRIM_400000_NS6detail17trampoline_kernelINS0_14default_configENS1_27lower_bound_config_selectorIilEEZNS1_14transform_implILb0ES3_S5_N6thrust23THRUST_200600_302600_NS6detail15normal_iteratorINS8_7pointerIiNS8_11hip_rocprim12par_nosync_tENS8_11use_defaultESE_EEEENSA_INSB_IlSD_SE_SE_EEEEZNS1_13binary_searchIS3_S5_NSA_INS8_10device_ptrIiEEEESG_SI_NS1_21lower_bound_search_opENS9_16wrapped_functionINS8_6system6detail7generic6detail18binary_search_lessEbEEEE10hipError_tPvRmT1_T2_T3_mmT4_T5_P12ihipStream_tbEUlRKiE_EESV_SZ_S10_mS11_S14_bEUlT_E_NS1_11comp_targetILNS1_3genE5ELNS1_11target_archE942ELNS1_3gpuE9ELNS1_3repE0EEENS1_30default_config_static_selectorELNS0_4arch9wavefront6targetE0EEEvSY_, .Lfunc_end395-_ZN7rocprim17ROCPRIM_400000_NS6detail17trampoline_kernelINS0_14default_configENS1_27lower_bound_config_selectorIilEEZNS1_14transform_implILb0ES3_S5_N6thrust23THRUST_200600_302600_NS6detail15normal_iteratorINS8_7pointerIiNS8_11hip_rocprim12par_nosync_tENS8_11use_defaultESE_EEEENSA_INSB_IlSD_SE_SE_EEEEZNS1_13binary_searchIS3_S5_NSA_INS8_10device_ptrIiEEEESG_SI_NS1_21lower_bound_search_opENS9_16wrapped_functionINS8_6system6detail7generic6detail18binary_search_lessEbEEEE10hipError_tPvRmT1_T2_T3_mmT4_T5_P12ihipStream_tbEUlRKiE_EESV_SZ_S10_mS11_S14_bEUlT_E_NS1_11comp_targetILNS1_3genE5ELNS1_11target_archE942ELNS1_3gpuE9ELNS1_3repE0EEENS1_30default_config_static_selectorELNS0_4arch9wavefront6targetE0EEEvSY_
                                        ; -- End function
	.set _ZN7rocprim17ROCPRIM_400000_NS6detail17trampoline_kernelINS0_14default_configENS1_27lower_bound_config_selectorIilEEZNS1_14transform_implILb0ES3_S5_N6thrust23THRUST_200600_302600_NS6detail15normal_iteratorINS8_7pointerIiNS8_11hip_rocprim12par_nosync_tENS8_11use_defaultESE_EEEENSA_INSB_IlSD_SE_SE_EEEEZNS1_13binary_searchIS3_S5_NSA_INS8_10device_ptrIiEEEESG_SI_NS1_21lower_bound_search_opENS9_16wrapped_functionINS8_6system6detail7generic6detail18binary_search_lessEbEEEE10hipError_tPvRmT1_T2_T3_mmT4_T5_P12ihipStream_tbEUlRKiE_EESV_SZ_S10_mS11_S14_bEUlT_E_NS1_11comp_targetILNS1_3genE5ELNS1_11target_archE942ELNS1_3gpuE9ELNS1_3repE0EEENS1_30default_config_static_selectorELNS0_4arch9wavefront6targetE0EEEvSY_.num_vgpr, 0
	.set _ZN7rocprim17ROCPRIM_400000_NS6detail17trampoline_kernelINS0_14default_configENS1_27lower_bound_config_selectorIilEEZNS1_14transform_implILb0ES3_S5_N6thrust23THRUST_200600_302600_NS6detail15normal_iteratorINS8_7pointerIiNS8_11hip_rocprim12par_nosync_tENS8_11use_defaultESE_EEEENSA_INSB_IlSD_SE_SE_EEEEZNS1_13binary_searchIS3_S5_NSA_INS8_10device_ptrIiEEEESG_SI_NS1_21lower_bound_search_opENS9_16wrapped_functionINS8_6system6detail7generic6detail18binary_search_lessEbEEEE10hipError_tPvRmT1_T2_T3_mmT4_T5_P12ihipStream_tbEUlRKiE_EESV_SZ_S10_mS11_S14_bEUlT_E_NS1_11comp_targetILNS1_3genE5ELNS1_11target_archE942ELNS1_3gpuE9ELNS1_3repE0EEENS1_30default_config_static_selectorELNS0_4arch9wavefront6targetE0EEEvSY_.num_agpr, 0
	.set _ZN7rocprim17ROCPRIM_400000_NS6detail17trampoline_kernelINS0_14default_configENS1_27lower_bound_config_selectorIilEEZNS1_14transform_implILb0ES3_S5_N6thrust23THRUST_200600_302600_NS6detail15normal_iteratorINS8_7pointerIiNS8_11hip_rocprim12par_nosync_tENS8_11use_defaultESE_EEEENSA_INSB_IlSD_SE_SE_EEEEZNS1_13binary_searchIS3_S5_NSA_INS8_10device_ptrIiEEEESG_SI_NS1_21lower_bound_search_opENS9_16wrapped_functionINS8_6system6detail7generic6detail18binary_search_lessEbEEEE10hipError_tPvRmT1_T2_T3_mmT4_T5_P12ihipStream_tbEUlRKiE_EESV_SZ_S10_mS11_S14_bEUlT_E_NS1_11comp_targetILNS1_3genE5ELNS1_11target_archE942ELNS1_3gpuE9ELNS1_3repE0EEENS1_30default_config_static_selectorELNS0_4arch9wavefront6targetE0EEEvSY_.numbered_sgpr, 0
	.set _ZN7rocprim17ROCPRIM_400000_NS6detail17trampoline_kernelINS0_14default_configENS1_27lower_bound_config_selectorIilEEZNS1_14transform_implILb0ES3_S5_N6thrust23THRUST_200600_302600_NS6detail15normal_iteratorINS8_7pointerIiNS8_11hip_rocprim12par_nosync_tENS8_11use_defaultESE_EEEENSA_INSB_IlSD_SE_SE_EEEEZNS1_13binary_searchIS3_S5_NSA_INS8_10device_ptrIiEEEESG_SI_NS1_21lower_bound_search_opENS9_16wrapped_functionINS8_6system6detail7generic6detail18binary_search_lessEbEEEE10hipError_tPvRmT1_T2_T3_mmT4_T5_P12ihipStream_tbEUlRKiE_EESV_SZ_S10_mS11_S14_bEUlT_E_NS1_11comp_targetILNS1_3genE5ELNS1_11target_archE942ELNS1_3gpuE9ELNS1_3repE0EEENS1_30default_config_static_selectorELNS0_4arch9wavefront6targetE0EEEvSY_.num_named_barrier, 0
	.set _ZN7rocprim17ROCPRIM_400000_NS6detail17trampoline_kernelINS0_14default_configENS1_27lower_bound_config_selectorIilEEZNS1_14transform_implILb0ES3_S5_N6thrust23THRUST_200600_302600_NS6detail15normal_iteratorINS8_7pointerIiNS8_11hip_rocprim12par_nosync_tENS8_11use_defaultESE_EEEENSA_INSB_IlSD_SE_SE_EEEEZNS1_13binary_searchIS3_S5_NSA_INS8_10device_ptrIiEEEESG_SI_NS1_21lower_bound_search_opENS9_16wrapped_functionINS8_6system6detail7generic6detail18binary_search_lessEbEEEE10hipError_tPvRmT1_T2_T3_mmT4_T5_P12ihipStream_tbEUlRKiE_EESV_SZ_S10_mS11_S14_bEUlT_E_NS1_11comp_targetILNS1_3genE5ELNS1_11target_archE942ELNS1_3gpuE9ELNS1_3repE0EEENS1_30default_config_static_selectorELNS0_4arch9wavefront6targetE0EEEvSY_.private_seg_size, 0
	.set _ZN7rocprim17ROCPRIM_400000_NS6detail17trampoline_kernelINS0_14default_configENS1_27lower_bound_config_selectorIilEEZNS1_14transform_implILb0ES3_S5_N6thrust23THRUST_200600_302600_NS6detail15normal_iteratorINS8_7pointerIiNS8_11hip_rocprim12par_nosync_tENS8_11use_defaultESE_EEEENSA_INSB_IlSD_SE_SE_EEEEZNS1_13binary_searchIS3_S5_NSA_INS8_10device_ptrIiEEEESG_SI_NS1_21lower_bound_search_opENS9_16wrapped_functionINS8_6system6detail7generic6detail18binary_search_lessEbEEEE10hipError_tPvRmT1_T2_T3_mmT4_T5_P12ihipStream_tbEUlRKiE_EESV_SZ_S10_mS11_S14_bEUlT_E_NS1_11comp_targetILNS1_3genE5ELNS1_11target_archE942ELNS1_3gpuE9ELNS1_3repE0EEENS1_30default_config_static_selectorELNS0_4arch9wavefront6targetE0EEEvSY_.uses_vcc, 0
	.set _ZN7rocprim17ROCPRIM_400000_NS6detail17trampoline_kernelINS0_14default_configENS1_27lower_bound_config_selectorIilEEZNS1_14transform_implILb0ES3_S5_N6thrust23THRUST_200600_302600_NS6detail15normal_iteratorINS8_7pointerIiNS8_11hip_rocprim12par_nosync_tENS8_11use_defaultESE_EEEENSA_INSB_IlSD_SE_SE_EEEEZNS1_13binary_searchIS3_S5_NSA_INS8_10device_ptrIiEEEESG_SI_NS1_21lower_bound_search_opENS9_16wrapped_functionINS8_6system6detail7generic6detail18binary_search_lessEbEEEE10hipError_tPvRmT1_T2_T3_mmT4_T5_P12ihipStream_tbEUlRKiE_EESV_SZ_S10_mS11_S14_bEUlT_E_NS1_11comp_targetILNS1_3genE5ELNS1_11target_archE942ELNS1_3gpuE9ELNS1_3repE0EEENS1_30default_config_static_selectorELNS0_4arch9wavefront6targetE0EEEvSY_.uses_flat_scratch, 0
	.set _ZN7rocprim17ROCPRIM_400000_NS6detail17trampoline_kernelINS0_14default_configENS1_27lower_bound_config_selectorIilEEZNS1_14transform_implILb0ES3_S5_N6thrust23THRUST_200600_302600_NS6detail15normal_iteratorINS8_7pointerIiNS8_11hip_rocprim12par_nosync_tENS8_11use_defaultESE_EEEENSA_INSB_IlSD_SE_SE_EEEEZNS1_13binary_searchIS3_S5_NSA_INS8_10device_ptrIiEEEESG_SI_NS1_21lower_bound_search_opENS9_16wrapped_functionINS8_6system6detail7generic6detail18binary_search_lessEbEEEE10hipError_tPvRmT1_T2_T3_mmT4_T5_P12ihipStream_tbEUlRKiE_EESV_SZ_S10_mS11_S14_bEUlT_E_NS1_11comp_targetILNS1_3genE5ELNS1_11target_archE942ELNS1_3gpuE9ELNS1_3repE0EEENS1_30default_config_static_selectorELNS0_4arch9wavefront6targetE0EEEvSY_.has_dyn_sized_stack, 0
	.set _ZN7rocprim17ROCPRIM_400000_NS6detail17trampoline_kernelINS0_14default_configENS1_27lower_bound_config_selectorIilEEZNS1_14transform_implILb0ES3_S5_N6thrust23THRUST_200600_302600_NS6detail15normal_iteratorINS8_7pointerIiNS8_11hip_rocprim12par_nosync_tENS8_11use_defaultESE_EEEENSA_INSB_IlSD_SE_SE_EEEEZNS1_13binary_searchIS3_S5_NSA_INS8_10device_ptrIiEEEESG_SI_NS1_21lower_bound_search_opENS9_16wrapped_functionINS8_6system6detail7generic6detail18binary_search_lessEbEEEE10hipError_tPvRmT1_T2_T3_mmT4_T5_P12ihipStream_tbEUlRKiE_EESV_SZ_S10_mS11_S14_bEUlT_E_NS1_11comp_targetILNS1_3genE5ELNS1_11target_archE942ELNS1_3gpuE9ELNS1_3repE0EEENS1_30default_config_static_selectorELNS0_4arch9wavefront6targetE0EEEvSY_.has_recursion, 0
	.set _ZN7rocprim17ROCPRIM_400000_NS6detail17trampoline_kernelINS0_14default_configENS1_27lower_bound_config_selectorIilEEZNS1_14transform_implILb0ES3_S5_N6thrust23THRUST_200600_302600_NS6detail15normal_iteratorINS8_7pointerIiNS8_11hip_rocprim12par_nosync_tENS8_11use_defaultESE_EEEENSA_INSB_IlSD_SE_SE_EEEEZNS1_13binary_searchIS3_S5_NSA_INS8_10device_ptrIiEEEESG_SI_NS1_21lower_bound_search_opENS9_16wrapped_functionINS8_6system6detail7generic6detail18binary_search_lessEbEEEE10hipError_tPvRmT1_T2_T3_mmT4_T5_P12ihipStream_tbEUlRKiE_EESV_SZ_S10_mS11_S14_bEUlT_E_NS1_11comp_targetILNS1_3genE5ELNS1_11target_archE942ELNS1_3gpuE9ELNS1_3repE0EEENS1_30default_config_static_selectorELNS0_4arch9wavefront6targetE0EEEvSY_.has_indirect_call, 0
	.section	.AMDGPU.csdata,"",@progbits
; Kernel info:
; codeLenInByte = 0
; TotalNumSgprs: 0
; NumVgprs: 0
; ScratchSize: 0
; MemoryBound: 0
; FloatMode: 240
; IeeeMode: 1
; LDSByteSize: 0 bytes/workgroup (compile time only)
; SGPRBlocks: 0
; VGPRBlocks: 0
; NumSGPRsForWavesPerEU: 1
; NumVGPRsForWavesPerEU: 1
; Occupancy: 16
; WaveLimiterHint : 0
; COMPUTE_PGM_RSRC2:SCRATCH_EN: 0
; COMPUTE_PGM_RSRC2:USER_SGPR: 6
; COMPUTE_PGM_RSRC2:TRAP_HANDLER: 0
; COMPUTE_PGM_RSRC2:TGID_X_EN: 1
; COMPUTE_PGM_RSRC2:TGID_Y_EN: 0
; COMPUTE_PGM_RSRC2:TGID_Z_EN: 0
; COMPUTE_PGM_RSRC2:TIDIG_COMP_CNT: 0
	.section	.text._ZN7rocprim17ROCPRIM_400000_NS6detail17trampoline_kernelINS0_14default_configENS1_27lower_bound_config_selectorIilEEZNS1_14transform_implILb0ES3_S5_N6thrust23THRUST_200600_302600_NS6detail15normal_iteratorINS8_7pointerIiNS8_11hip_rocprim12par_nosync_tENS8_11use_defaultESE_EEEENSA_INSB_IlSD_SE_SE_EEEEZNS1_13binary_searchIS3_S5_NSA_INS8_10device_ptrIiEEEESG_SI_NS1_21lower_bound_search_opENS9_16wrapped_functionINS8_6system6detail7generic6detail18binary_search_lessEbEEEE10hipError_tPvRmT1_T2_T3_mmT4_T5_P12ihipStream_tbEUlRKiE_EESV_SZ_S10_mS11_S14_bEUlT_E_NS1_11comp_targetILNS1_3genE4ELNS1_11target_archE910ELNS1_3gpuE8ELNS1_3repE0EEENS1_30default_config_static_selectorELNS0_4arch9wavefront6targetE0EEEvSY_,"axG",@progbits,_ZN7rocprim17ROCPRIM_400000_NS6detail17trampoline_kernelINS0_14default_configENS1_27lower_bound_config_selectorIilEEZNS1_14transform_implILb0ES3_S5_N6thrust23THRUST_200600_302600_NS6detail15normal_iteratorINS8_7pointerIiNS8_11hip_rocprim12par_nosync_tENS8_11use_defaultESE_EEEENSA_INSB_IlSD_SE_SE_EEEEZNS1_13binary_searchIS3_S5_NSA_INS8_10device_ptrIiEEEESG_SI_NS1_21lower_bound_search_opENS9_16wrapped_functionINS8_6system6detail7generic6detail18binary_search_lessEbEEEE10hipError_tPvRmT1_T2_T3_mmT4_T5_P12ihipStream_tbEUlRKiE_EESV_SZ_S10_mS11_S14_bEUlT_E_NS1_11comp_targetILNS1_3genE4ELNS1_11target_archE910ELNS1_3gpuE8ELNS1_3repE0EEENS1_30default_config_static_selectorELNS0_4arch9wavefront6targetE0EEEvSY_,comdat
	.protected	_ZN7rocprim17ROCPRIM_400000_NS6detail17trampoline_kernelINS0_14default_configENS1_27lower_bound_config_selectorIilEEZNS1_14transform_implILb0ES3_S5_N6thrust23THRUST_200600_302600_NS6detail15normal_iteratorINS8_7pointerIiNS8_11hip_rocprim12par_nosync_tENS8_11use_defaultESE_EEEENSA_INSB_IlSD_SE_SE_EEEEZNS1_13binary_searchIS3_S5_NSA_INS8_10device_ptrIiEEEESG_SI_NS1_21lower_bound_search_opENS9_16wrapped_functionINS8_6system6detail7generic6detail18binary_search_lessEbEEEE10hipError_tPvRmT1_T2_T3_mmT4_T5_P12ihipStream_tbEUlRKiE_EESV_SZ_S10_mS11_S14_bEUlT_E_NS1_11comp_targetILNS1_3genE4ELNS1_11target_archE910ELNS1_3gpuE8ELNS1_3repE0EEENS1_30default_config_static_selectorELNS0_4arch9wavefront6targetE0EEEvSY_ ; -- Begin function _ZN7rocprim17ROCPRIM_400000_NS6detail17trampoline_kernelINS0_14default_configENS1_27lower_bound_config_selectorIilEEZNS1_14transform_implILb0ES3_S5_N6thrust23THRUST_200600_302600_NS6detail15normal_iteratorINS8_7pointerIiNS8_11hip_rocprim12par_nosync_tENS8_11use_defaultESE_EEEENSA_INSB_IlSD_SE_SE_EEEEZNS1_13binary_searchIS3_S5_NSA_INS8_10device_ptrIiEEEESG_SI_NS1_21lower_bound_search_opENS9_16wrapped_functionINS8_6system6detail7generic6detail18binary_search_lessEbEEEE10hipError_tPvRmT1_T2_T3_mmT4_T5_P12ihipStream_tbEUlRKiE_EESV_SZ_S10_mS11_S14_bEUlT_E_NS1_11comp_targetILNS1_3genE4ELNS1_11target_archE910ELNS1_3gpuE8ELNS1_3repE0EEENS1_30default_config_static_selectorELNS0_4arch9wavefront6targetE0EEEvSY_
	.globl	_ZN7rocprim17ROCPRIM_400000_NS6detail17trampoline_kernelINS0_14default_configENS1_27lower_bound_config_selectorIilEEZNS1_14transform_implILb0ES3_S5_N6thrust23THRUST_200600_302600_NS6detail15normal_iteratorINS8_7pointerIiNS8_11hip_rocprim12par_nosync_tENS8_11use_defaultESE_EEEENSA_INSB_IlSD_SE_SE_EEEEZNS1_13binary_searchIS3_S5_NSA_INS8_10device_ptrIiEEEESG_SI_NS1_21lower_bound_search_opENS9_16wrapped_functionINS8_6system6detail7generic6detail18binary_search_lessEbEEEE10hipError_tPvRmT1_T2_T3_mmT4_T5_P12ihipStream_tbEUlRKiE_EESV_SZ_S10_mS11_S14_bEUlT_E_NS1_11comp_targetILNS1_3genE4ELNS1_11target_archE910ELNS1_3gpuE8ELNS1_3repE0EEENS1_30default_config_static_selectorELNS0_4arch9wavefront6targetE0EEEvSY_
	.p2align	8
	.type	_ZN7rocprim17ROCPRIM_400000_NS6detail17trampoline_kernelINS0_14default_configENS1_27lower_bound_config_selectorIilEEZNS1_14transform_implILb0ES3_S5_N6thrust23THRUST_200600_302600_NS6detail15normal_iteratorINS8_7pointerIiNS8_11hip_rocprim12par_nosync_tENS8_11use_defaultESE_EEEENSA_INSB_IlSD_SE_SE_EEEEZNS1_13binary_searchIS3_S5_NSA_INS8_10device_ptrIiEEEESG_SI_NS1_21lower_bound_search_opENS9_16wrapped_functionINS8_6system6detail7generic6detail18binary_search_lessEbEEEE10hipError_tPvRmT1_T2_T3_mmT4_T5_P12ihipStream_tbEUlRKiE_EESV_SZ_S10_mS11_S14_bEUlT_E_NS1_11comp_targetILNS1_3genE4ELNS1_11target_archE910ELNS1_3gpuE8ELNS1_3repE0EEENS1_30default_config_static_selectorELNS0_4arch9wavefront6targetE0EEEvSY_,@function
_ZN7rocprim17ROCPRIM_400000_NS6detail17trampoline_kernelINS0_14default_configENS1_27lower_bound_config_selectorIilEEZNS1_14transform_implILb0ES3_S5_N6thrust23THRUST_200600_302600_NS6detail15normal_iteratorINS8_7pointerIiNS8_11hip_rocprim12par_nosync_tENS8_11use_defaultESE_EEEENSA_INSB_IlSD_SE_SE_EEEEZNS1_13binary_searchIS3_S5_NSA_INS8_10device_ptrIiEEEESG_SI_NS1_21lower_bound_search_opENS9_16wrapped_functionINS8_6system6detail7generic6detail18binary_search_lessEbEEEE10hipError_tPvRmT1_T2_T3_mmT4_T5_P12ihipStream_tbEUlRKiE_EESV_SZ_S10_mS11_S14_bEUlT_E_NS1_11comp_targetILNS1_3genE4ELNS1_11target_archE910ELNS1_3gpuE8ELNS1_3repE0EEENS1_30default_config_static_selectorELNS0_4arch9wavefront6targetE0EEEvSY_: ; @_ZN7rocprim17ROCPRIM_400000_NS6detail17trampoline_kernelINS0_14default_configENS1_27lower_bound_config_selectorIilEEZNS1_14transform_implILb0ES3_S5_N6thrust23THRUST_200600_302600_NS6detail15normal_iteratorINS8_7pointerIiNS8_11hip_rocprim12par_nosync_tENS8_11use_defaultESE_EEEENSA_INSB_IlSD_SE_SE_EEEEZNS1_13binary_searchIS3_S5_NSA_INS8_10device_ptrIiEEEESG_SI_NS1_21lower_bound_search_opENS9_16wrapped_functionINS8_6system6detail7generic6detail18binary_search_lessEbEEEE10hipError_tPvRmT1_T2_T3_mmT4_T5_P12ihipStream_tbEUlRKiE_EESV_SZ_S10_mS11_S14_bEUlT_E_NS1_11comp_targetILNS1_3genE4ELNS1_11target_archE910ELNS1_3gpuE8ELNS1_3repE0EEENS1_30default_config_static_selectorELNS0_4arch9wavefront6targetE0EEEvSY_
; %bb.0:
	.section	.rodata,"a",@progbits
	.p2align	6, 0x0
	.amdhsa_kernel _ZN7rocprim17ROCPRIM_400000_NS6detail17trampoline_kernelINS0_14default_configENS1_27lower_bound_config_selectorIilEEZNS1_14transform_implILb0ES3_S5_N6thrust23THRUST_200600_302600_NS6detail15normal_iteratorINS8_7pointerIiNS8_11hip_rocprim12par_nosync_tENS8_11use_defaultESE_EEEENSA_INSB_IlSD_SE_SE_EEEEZNS1_13binary_searchIS3_S5_NSA_INS8_10device_ptrIiEEEESG_SI_NS1_21lower_bound_search_opENS9_16wrapped_functionINS8_6system6detail7generic6detail18binary_search_lessEbEEEE10hipError_tPvRmT1_T2_T3_mmT4_T5_P12ihipStream_tbEUlRKiE_EESV_SZ_S10_mS11_S14_bEUlT_E_NS1_11comp_targetILNS1_3genE4ELNS1_11target_archE910ELNS1_3gpuE8ELNS1_3repE0EEENS1_30default_config_static_selectorELNS0_4arch9wavefront6targetE0EEEvSY_
		.amdhsa_group_segment_fixed_size 0
		.amdhsa_private_segment_fixed_size 0
		.amdhsa_kernarg_size 56
		.amdhsa_user_sgpr_count 6
		.amdhsa_user_sgpr_private_segment_buffer 1
		.amdhsa_user_sgpr_dispatch_ptr 0
		.amdhsa_user_sgpr_queue_ptr 0
		.amdhsa_user_sgpr_kernarg_segment_ptr 1
		.amdhsa_user_sgpr_dispatch_id 0
		.amdhsa_user_sgpr_flat_scratch_init 0
		.amdhsa_user_sgpr_private_segment_size 0
		.amdhsa_wavefront_size32 1
		.amdhsa_uses_dynamic_stack 0
		.amdhsa_system_sgpr_private_segment_wavefront_offset 0
		.amdhsa_system_sgpr_workgroup_id_x 1
		.amdhsa_system_sgpr_workgroup_id_y 0
		.amdhsa_system_sgpr_workgroup_id_z 0
		.amdhsa_system_sgpr_workgroup_info 0
		.amdhsa_system_vgpr_workitem_id 0
		.amdhsa_next_free_vgpr 1
		.amdhsa_next_free_sgpr 1
		.amdhsa_reserve_vcc 0
		.amdhsa_reserve_flat_scratch 0
		.amdhsa_float_round_mode_32 0
		.amdhsa_float_round_mode_16_64 0
		.amdhsa_float_denorm_mode_32 3
		.amdhsa_float_denorm_mode_16_64 3
		.amdhsa_dx10_clamp 1
		.amdhsa_ieee_mode 1
		.amdhsa_fp16_overflow 0
		.amdhsa_workgroup_processor_mode 1
		.amdhsa_memory_ordered 1
		.amdhsa_forward_progress 1
		.amdhsa_shared_vgpr_count 0
		.amdhsa_exception_fp_ieee_invalid_op 0
		.amdhsa_exception_fp_denorm_src 0
		.amdhsa_exception_fp_ieee_div_zero 0
		.amdhsa_exception_fp_ieee_overflow 0
		.amdhsa_exception_fp_ieee_underflow 0
		.amdhsa_exception_fp_ieee_inexact 0
		.amdhsa_exception_int_div_zero 0
	.end_amdhsa_kernel
	.section	.text._ZN7rocprim17ROCPRIM_400000_NS6detail17trampoline_kernelINS0_14default_configENS1_27lower_bound_config_selectorIilEEZNS1_14transform_implILb0ES3_S5_N6thrust23THRUST_200600_302600_NS6detail15normal_iteratorINS8_7pointerIiNS8_11hip_rocprim12par_nosync_tENS8_11use_defaultESE_EEEENSA_INSB_IlSD_SE_SE_EEEEZNS1_13binary_searchIS3_S5_NSA_INS8_10device_ptrIiEEEESG_SI_NS1_21lower_bound_search_opENS9_16wrapped_functionINS8_6system6detail7generic6detail18binary_search_lessEbEEEE10hipError_tPvRmT1_T2_T3_mmT4_T5_P12ihipStream_tbEUlRKiE_EESV_SZ_S10_mS11_S14_bEUlT_E_NS1_11comp_targetILNS1_3genE4ELNS1_11target_archE910ELNS1_3gpuE8ELNS1_3repE0EEENS1_30default_config_static_selectorELNS0_4arch9wavefront6targetE0EEEvSY_,"axG",@progbits,_ZN7rocprim17ROCPRIM_400000_NS6detail17trampoline_kernelINS0_14default_configENS1_27lower_bound_config_selectorIilEEZNS1_14transform_implILb0ES3_S5_N6thrust23THRUST_200600_302600_NS6detail15normal_iteratorINS8_7pointerIiNS8_11hip_rocprim12par_nosync_tENS8_11use_defaultESE_EEEENSA_INSB_IlSD_SE_SE_EEEEZNS1_13binary_searchIS3_S5_NSA_INS8_10device_ptrIiEEEESG_SI_NS1_21lower_bound_search_opENS9_16wrapped_functionINS8_6system6detail7generic6detail18binary_search_lessEbEEEE10hipError_tPvRmT1_T2_T3_mmT4_T5_P12ihipStream_tbEUlRKiE_EESV_SZ_S10_mS11_S14_bEUlT_E_NS1_11comp_targetILNS1_3genE4ELNS1_11target_archE910ELNS1_3gpuE8ELNS1_3repE0EEENS1_30default_config_static_selectorELNS0_4arch9wavefront6targetE0EEEvSY_,comdat
.Lfunc_end396:
	.size	_ZN7rocprim17ROCPRIM_400000_NS6detail17trampoline_kernelINS0_14default_configENS1_27lower_bound_config_selectorIilEEZNS1_14transform_implILb0ES3_S5_N6thrust23THRUST_200600_302600_NS6detail15normal_iteratorINS8_7pointerIiNS8_11hip_rocprim12par_nosync_tENS8_11use_defaultESE_EEEENSA_INSB_IlSD_SE_SE_EEEEZNS1_13binary_searchIS3_S5_NSA_INS8_10device_ptrIiEEEESG_SI_NS1_21lower_bound_search_opENS9_16wrapped_functionINS8_6system6detail7generic6detail18binary_search_lessEbEEEE10hipError_tPvRmT1_T2_T3_mmT4_T5_P12ihipStream_tbEUlRKiE_EESV_SZ_S10_mS11_S14_bEUlT_E_NS1_11comp_targetILNS1_3genE4ELNS1_11target_archE910ELNS1_3gpuE8ELNS1_3repE0EEENS1_30default_config_static_selectorELNS0_4arch9wavefront6targetE0EEEvSY_, .Lfunc_end396-_ZN7rocprim17ROCPRIM_400000_NS6detail17trampoline_kernelINS0_14default_configENS1_27lower_bound_config_selectorIilEEZNS1_14transform_implILb0ES3_S5_N6thrust23THRUST_200600_302600_NS6detail15normal_iteratorINS8_7pointerIiNS8_11hip_rocprim12par_nosync_tENS8_11use_defaultESE_EEEENSA_INSB_IlSD_SE_SE_EEEEZNS1_13binary_searchIS3_S5_NSA_INS8_10device_ptrIiEEEESG_SI_NS1_21lower_bound_search_opENS9_16wrapped_functionINS8_6system6detail7generic6detail18binary_search_lessEbEEEE10hipError_tPvRmT1_T2_T3_mmT4_T5_P12ihipStream_tbEUlRKiE_EESV_SZ_S10_mS11_S14_bEUlT_E_NS1_11comp_targetILNS1_3genE4ELNS1_11target_archE910ELNS1_3gpuE8ELNS1_3repE0EEENS1_30default_config_static_selectorELNS0_4arch9wavefront6targetE0EEEvSY_
                                        ; -- End function
	.set _ZN7rocprim17ROCPRIM_400000_NS6detail17trampoline_kernelINS0_14default_configENS1_27lower_bound_config_selectorIilEEZNS1_14transform_implILb0ES3_S5_N6thrust23THRUST_200600_302600_NS6detail15normal_iteratorINS8_7pointerIiNS8_11hip_rocprim12par_nosync_tENS8_11use_defaultESE_EEEENSA_INSB_IlSD_SE_SE_EEEEZNS1_13binary_searchIS3_S5_NSA_INS8_10device_ptrIiEEEESG_SI_NS1_21lower_bound_search_opENS9_16wrapped_functionINS8_6system6detail7generic6detail18binary_search_lessEbEEEE10hipError_tPvRmT1_T2_T3_mmT4_T5_P12ihipStream_tbEUlRKiE_EESV_SZ_S10_mS11_S14_bEUlT_E_NS1_11comp_targetILNS1_3genE4ELNS1_11target_archE910ELNS1_3gpuE8ELNS1_3repE0EEENS1_30default_config_static_selectorELNS0_4arch9wavefront6targetE0EEEvSY_.num_vgpr, 0
	.set _ZN7rocprim17ROCPRIM_400000_NS6detail17trampoline_kernelINS0_14default_configENS1_27lower_bound_config_selectorIilEEZNS1_14transform_implILb0ES3_S5_N6thrust23THRUST_200600_302600_NS6detail15normal_iteratorINS8_7pointerIiNS8_11hip_rocprim12par_nosync_tENS8_11use_defaultESE_EEEENSA_INSB_IlSD_SE_SE_EEEEZNS1_13binary_searchIS3_S5_NSA_INS8_10device_ptrIiEEEESG_SI_NS1_21lower_bound_search_opENS9_16wrapped_functionINS8_6system6detail7generic6detail18binary_search_lessEbEEEE10hipError_tPvRmT1_T2_T3_mmT4_T5_P12ihipStream_tbEUlRKiE_EESV_SZ_S10_mS11_S14_bEUlT_E_NS1_11comp_targetILNS1_3genE4ELNS1_11target_archE910ELNS1_3gpuE8ELNS1_3repE0EEENS1_30default_config_static_selectorELNS0_4arch9wavefront6targetE0EEEvSY_.num_agpr, 0
	.set _ZN7rocprim17ROCPRIM_400000_NS6detail17trampoline_kernelINS0_14default_configENS1_27lower_bound_config_selectorIilEEZNS1_14transform_implILb0ES3_S5_N6thrust23THRUST_200600_302600_NS6detail15normal_iteratorINS8_7pointerIiNS8_11hip_rocprim12par_nosync_tENS8_11use_defaultESE_EEEENSA_INSB_IlSD_SE_SE_EEEEZNS1_13binary_searchIS3_S5_NSA_INS8_10device_ptrIiEEEESG_SI_NS1_21lower_bound_search_opENS9_16wrapped_functionINS8_6system6detail7generic6detail18binary_search_lessEbEEEE10hipError_tPvRmT1_T2_T3_mmT4_T5_P12ihipStream_tbEUlRKiE_EESV_SZ_S10_mS11_S14_bEUlT_E_NS1_11comp_targetILNS1_3genE4ELNS1_11target_archE910ELNS1_3gpuE8ELNS1_3repE0EEENS1_30default_config_static_selectorELNS0_4arch9wavefront6targetE0EEEvSY_.numbered_sgpr, 0
	.set _ZN7rocprim17ROCPRIM_400000_NS6detail17trampoline_kernelINS0_14default_configENS1_27lower_bound_config_selectorIilEEZNS1_14transform_implILb0ES3_S5_N6thrust23THRUST_200600_302600_NS6detail15normal_iteratorINS8_7pointerIiNS8_11hip_rocprim12par_nosync_tENS8_11use_defaultESE_EEEENSA_INSB_IlSD_SE_SE_EEEEZNS1_13binary_searchIS3_S5_NSA_INS8_10device_ptrIiEEEESG_SI_NS1_21lower_bound_search_opENS9_16wrapped_functionINS8_6system6detail7generic6detail18binary_search_lessEbEEEE10hipError_tPvRmT1_T2_T3_mmT4_T5_P12ihipStream_tbEUlRKiE_EESV_SZ_S10_mS11_S14_bEUlT_E_NS1_11comp_targetILNS1_3genE4ELNS1_11target_archE910ELNS1_3gpuE8ELNS1_3repE0EEENS1_30default_config_static_selectorELNS0_4arch9wavefront6targetE0EEEvSY_.num_named_barrier, 0
	.set _ZN7rocprim17ROCPRIM_400000_NS6detail17trampoline_kernelINS0_14default_configENS1_27lower_bound_config_selectorIilEEZNS1_14transform_implILb0ES3_S5_N6thrust23THRUST_200600_302600_NS6detail15normal_iteratorINS8_7pointerIiNS8_11hip_rocprim12par_nosync_tENS8_11use_defaultESE_EEEENSA_INSB_IlSD_SE_SE_EEEEZNS1_13binary_searchIS3_S5_NSA_INS8_10device_ptrIiEEEESG_SI_NS1_21lower_bound_search_opENS9_16wrapped_functionINS8_6system6detail7generic6detail18binary_search_lessEbEEEE10hipError_tPvRmT1_T2_T3_mmT4_T5_P12ihipStream_tbEUlRKiE_EESV_SZ_S10_mS11_S14_bEUlT_E_NS1_11comp_targetILNS1_3genE4ELNS1_11target_archE910ELNS1_3gpuE8ELNS1_3repE0EEENS1_30default_config_static_selectorELNS0_4arch9wavefront6targetE0EEEvSY_.private_seg_size, 0
	.set _ZN7rocprim17ROCPRIM_400000_NS6detail17trampoline_kernelINS0_14default_configENS1_27lower_bound_config_selectorIilEEZNS1_14transform_implILb0ES3_S5_N6thrust23THRUST_200600_302600_NS6detail15normal_iteratorINS8_7pointerIiNS8_11hip_rocprim12par_nosync_tENS8_11use_defaultESE_EEEENSA_INSB_IlSD_SE_SE_EEEEZNS1_13binary_searchIS3_S5_NSA_INS8_10device_ptrIiEEEESG_SI_NS1_21lower_bound_search_opENS9_16wrapped_functionINS8_6system6detail7generic6detail18binary_search_lessEbEEEE10hipError_tPvRmT1_T2_T3_mmT4_T5_P12ihipStream_tbEUlRKiE_EESV_SZ_S10_mS11_S14_bEUlT_E_NS1_11comp_targetILNS1_3genE4ELNS1_11target_archE910ELNS1_3gpuE8ELNS1_3repE0EEENS1_30default_config_static_selectorELNS0_4arch9wavefront6targetE0EEEvSY_.uses_vcc, 0
	.set _ZN7rocprim17ROCPRIM_400000_NS6detail17trampoline_kernelINS0_14default_configENS1_27lower_bound_config_selectorIilEEZNS1_14transform_implILb0ES3_S5_N6thrust23THRUST_200600_302600_NS6detail15normal_iteratorINS8_7pointerIiNS8_11hip_rocprim12par_nosync_tENS8_11use_defaultESE_EEEENSA_INSB_IlSD_SE_SE_EEEEZNS1_13binary_searchIS3_S5_NSA_INS8_10device_ptrIiEEEESG_SI_NS1_21lower_bound_search_opENS9_16wrapped_functionINS8_6system6detail7generic6detail18binary_search_lessEbEEEE10hipError_tPvRmT1_T2_T3_mmT4_T5_P12ihipStream_tbEUlRKiE_EESV_SZ_S10_mS11_S14_bEUlT_E_NS1_11comp_targetILNS1_3genE4ELNS1_11target_archE910ELNS1_3gpuE8ELNS1_3repE0EEENS1_30default_config_static_selectorELNS0_4arch9wavefront6targetE0EEEvSY_.uses_flat_scratch, 0
	.set _ZN7rocprim17ROCPRIM_400000_NS6detail17trampoline_kernelINS0_14default_configENS1_27lower_bound_config_selectorIilEEZNS1_14transform_implILb0ES3_S5_N6thrust23THRUST_200600_302600_NS6detail15normal_iteratorINS8_7pointerIiNS8_11hip_rocprim12par_nosync_tENS8_11use_defaultESE_EEEENSA_INSB_IlSD_SE_SE_EEEEZNS1_13binary_searchIS3_S5_NSA_INS8_10device_ptrIiEEEESG_SI_NS1_21lower_bound_search_opENS9_16wrapped_functionINS8_6system6detail7generic6detail18binary_search_lessEbEEEE10hipError_tPvRmT1_T2_T3_mmT4_T5_P12ihipStream_tbEUlRKiE_EESV_SZ_S10_mS11_S14_bEUlT_E_NS1_11comp_targetILNS1_3genE4ELNS1_11target_archE910ELNS1_3gpuE8ELNS1_3repE0EEENS1_30default_config_static_selectorELNS0_4arch9wavefront6targetE0EEEvSY_.has_dyn_sized_stack, 0
	.set _ZN7rocprim17ROCPRIM_400000_NS6detail17trampoline_kernelINS0_14default_configENS1_27lower_bound_config_selectorIilEEZNS1_14transform_implILb0ES3_S5_N6thrust23THRUST_200600_302600_NS6detail15normal_iteratorINS8_7pointerIiNS8_11hip_rocprim12par_nosync_tENS8_11use_defaultESE_EEEENSA_INSB_IlSD_SE_SE_EEEEZNS1_13binary_searchIS3_S5_NSA_INS8_10device_ptrIiEEEESG_SI_NS1_21lower_bound_search_opENS9_16wrapped_functionINS8_6system6detail7generic6detail18binary_search_lessEbEEEE10hipError_tPvRmT1_T2_T3_mmT4_T5_P12ihipStream_tbEUlRKiE_EESV_SZ_S10_mS11_S14_bEUlT_E_NS1_11comp_targetILNS1_3genE4ELNS1_11target_archE910ELNS1_3gpuE8ELNS1_3repE0EEENS1_30default_config_static_selectorELNS0_4arch9wavefront6targetE0EEEvSY_.has_recursion, 0
	.set _ZN7rocprim17ROCPRIM_400000_NS6detail17trampoline_kernelINS0_14default_configENS1_27lower_bound_config_selectorIilEEZNS1_14transform_implILb0ES3_S5_N6thrust23THRUST_200600_302600_NS6detail15normal_iteratorINS8_7pointerIiNS8_11hip_rocprim12par_nosync_tENS8_11use_defaultESE_EEEENSA_INSB_IlSD_SE_SE_EEEEZNS1_13binary_searchIS3_S5_NSA_INS8_10device_ptrIiEEEESG_SI_NS1_21lower_bound_search_opENS9_16wrapped_functionINS8_6system6detail7generic6detail18binary_search_lessEbEEEE10hipError_tPvRmT1_T2_T3_mmT4_T5_P12ihipStream_tbEUlRKiE_EESV_SZ_S10_mS11_S14_bEUlT_E_NS1_11comp_targetILNS1_3genE4ELNS1_11target_archE910ELNS1_3gpuE8ELNS1_3repE0EEENS1_30default_config_static_selectorELNS0_4arch9wavefront6targetE0EEEvSY_.has_indirect_call, 0
	.section	.AMDGPU.csdata,"",@progbits
; Kernel info:
; codeLenInByte = 0
; TotalNumSgprs: 0
; NumVgprs: 0
; ScratchSize: 0
; MemoryBound: 0
; FloatMode: 240
; IeeeMode: 1
; LDSByteSize: 0 bytes/workgroup (compile time only)
; SGPRBlocks: 0
; VGPRBlocks: 0
; NumSGPRsForWavesPerEU: 1
; NumVGPRsForWavesPerEU: 1
; Occupancy: 16
; WaveLimiterHint : 0
; COMPUTE_PGM_RSRC2:SCRATCH_EN: 0
; COMPUTE_PGM_RSRC2:USER_SGPR: 6
; COMPUTE_PGM_RSRC2:TRAP_HANDLER: 0
; COMPUTE_PGM_RSRC2:TGID_X_EN: 1
; COMPUTE_PGM_RSRC2:TGID_Y_EN: 0
; COMPUTE_PGM_RSRC2:TGID_Z_EN: 0
; COMPUTE_PGM_RSRC2:TIDIG_COMP_CNT: 0
	.section	.text._ZN7rocprim17ROCPRIM_400000_NS6detail17trampoline_kernelINS0_14default_configENS1_27lower_bound_config_selectorIilEEZNS1_14transform_implILb0ES3_S5_N6thrust23THRUST_200600_302600_NS6detail15normal_iteratorINS8_7pointerIiNS8_11hip_rocprim12par_nosync_tENS8_11use_defaultESE_EEEENSA_INSB_IlSD_SE_SE_EEEEZNS1_13binary_searchIS3_S5_NSA_INS8_10device_ptrIiEEEESG_SI_NS1_21lower_bound_search_opENS9_16wrapped_functionINS8_6system6detail7generic6detail18binary_search_lessEbEEEE10hipError_tPvRmT1_T2_T3_mmT4_T5_P12ihipStream_tbEUlRKiE_EESV_SZ_S10_mS11_S14_bEUlT_E_NS1_11comp_targetILNS1_3genE3ELNS1_11target_archE908ELNS1_3gpuE7ELNS1_3repE0EEENS1_30default_config_static_selectorELNS0_4arch9wavefront6targetE0EEEvSY_,"axG",@progbits,_ZN7rocprim17ROCPRIM_400000_NS6detail17trampoline_kernelINS0_14default_configENS1_27lower_bound_config_selectorIilEEZNS1_14transform_implILb0ES3_S5_N6thrust23THRUST_200600_302600_NS6detail15normal_iteratorINS8_7pointerIiNS8_11hip_rocprim12par_nosync_tENS8_11use_defaultESE_EEEENSA_INSB_IlSD_SE_SE_EEEEZNS1_13binary_searchIS3_S5_NSA_INS8_10device_ptrIiEEEESG_SI_NS1_21lower_bound_search_opENS9_16wrapped_functionINS8_6system6detail7generic6detail18binary_search_lessEbEEEE10hipError_tPvRmT1_T2_T3_mmT4_T5_P12ihipStream_tbEUlRKiE_EESV_SZ_S10_mS11_S14_bEUlT_E_NS1_11comp_targetILNS1_3genE3ELNS1_11target_archE908ELNS1_3gpuE7ELNS1_3repE0EEENS1_30default_config_static_selectorELNS0_4arch9wavefront6targetE0EEEvSY_,comdat
	.protected	_ZN7rocprim17ROCPRIM_400000_NS6detail17trampoline_kernelINS0_14default_configENS1_27lower_bound_config_selectorIilEEZNS1_14transform_implILb0ES3_S5_N6thrust23THRUST_200600_302600_NS6detail15normal_iteratorINS8_7pointerIiNS8_11hip_rocprim12par_nosync_tENS8_11use_defaultESE_EEEENSA_INSB_IlSD_SE_SE_EEEEZNS1_13binary_searchIS3_S5_NSA_INS8_10device_ptrIiEEEESG_SI_NS1_21lower_bound_search_opENS9_16wrapped_functionINS8_6system6detail7generic6detail18binary_search_lessEbEEEE10hipError_tPvRmT1_T2_T3_mmT4_T5_P12ihipStream_tbEUlRKiE_EESV_SZ_S10_mS11_S14_bEUlT_E_NS1_11comp_targetILNS1_3genE3ELNS1_11target_archE908ELNS1_3gpuE7ELNS1_3repE0EEENS1_30default_config_static_selectorELNS0_4arch9wavefront6targetE0EEEvSY_ ; -- Begin function _ZN7rocprim17ROCPRIM_400000_NS6detail17trampoline_kernelINS0_14default_configENS1_27lower_bound_config_selectorIilEEZNS1_14transform_implILb0ES3_S5_N6thrust23THRUST_200600_302600_NS6detail15normal_iteratorINS8_7pointerIiNS8_11hip_rocprim12par_nosync_tENS8_11use_defaultESE_EEEENSA_INSB_IlSD_SE_SE_EEEEZNS1_13binary_searchIS3_S5_NSA_INS8_10device_ptrIiEEEESG_SI_NS1_21lower_bound_search_opENS9_16wrapped_functionINS8_6system6detail7generic6detail18binary_search_lessEbEEEE10hipError_tPvRmT1_T2_T3_mmT4_T5_P12ihipStream_tbEUlRKiE_EESV_SZ_S10_mS11_S14_bEUlT_E_NS1_11comp_targetILNS1_3genE3ELNS1_11target_archE908ELNS1_3gpuE7ELNS1_3repE0EEENS1_30default_config_static_selectorELNS0_4arch9wavefront6targetE0EEEvSY_
	.globl	_ZN7rocprim17ROCPRIM_400000_NS6detail17trampoline_kernelINS0_14default_configENS1_27lower_bound_config_selectorIilEEZNS1_14transform_implILb0ES3_S5_N6thrust23THRUST_200600_302600_NS6detail15normal_iteratorINS8_7pointerIiNS8_11hip_rocprim12par_nosync_tENS8_11use_defaultESE_EEEENSA_INSB_IlSD_SE_SE_EEEEZNS1_13binary_searchIS3_S5_NSA_INS8_10device_ptrIiEEEESG_SI_NS1_21lower_bound_search_opENS9_16wrapped_functionINS8_6system6detail7generic6detail18binary_search_lessEbEEEE10hipError_tPvRmT1_T2_T3_mmT4_T5_P12ihipStream_tbEUlRKiE_EESV_SZ_S10_mS11_S14_bEUlT_E_NS1_11comp_targetILNS1_3genE3ELNS1_11target_archE908ELNS1_3gpuE7ELNS1_3repE0EEENS1_30default_config_static_selectorELNS0_4arch9wavefront6targetE0EEEvSY_
	.p2align	8
	.type	_ZN7rocprim17ROCPRIM_400000_NS6detail17trampoline_kernelINS0_14default_configENS1_27lower_bound_config_selectorIilEEZNS1_14transform_implILb0ES3_S5_N6thrust23THRUST_200600_302600_NS6detail15normal_iteratorINS8_7pointerIiNS8_11hip_rocprim12par_nosync_tENS8_11use_defaultESE_EEEENSA_INSB_IlSD_SE_SE_EEEEZNS1_13binary_searchIS3_S5_NSA_INS8_10device_ptrIiEEEESG_SI_NS1_21lower_bound_search_opENS9_16wrapped_functionINS8_6system6detail7generic6detail18binary_search_lessEbEEEE10hipError_tPvRmT1_T2_T3_mmT4_T5_P12ihipStream_tbEUlRKiE_EESV_SZ_S10_mS11_S14_bEUlT_E_NS1_11comp_targetILNS1_3genE3ELNS1_11target_archE908ELNS1_3gpuE7ELNS1_3repE0EEENS1_30default_config_static_selectorELNS0_4arch9wavefront6targetE0EEEvSY_,@function
_ZN7rocprim17ROCPRIM_400000_NS6detail17trampoline_kernelINS0_14default_configENS1_27lower_bound_config_selectorIilEEZNS1_14transform_implILb0ES3_S5_N6thrust23THRUST_200600_302600_NS6detail15normal_iteratorINS8_7pointerIiNS8_11hip_rocprim12par_nosync_tENS8_11use_defaultESE_EEEENSA_INSB_IlSD_SE_SE_EEEEZNS1_13binary_searchIS3_S5_NSA_INS8_10device_ptrIiEEEESG_SI_NS1_21lower_bound_search_opENS9_16wrapped_functionINS8_6system6detail7generic6detail18binary_search_lessEbEEEE10hipError_tPvRmT1_T2_T3_mmT4_T5_P12ihipStream_tbEUlRKiE_EESV_SZ_S10_mS11_S14_bEUlT_E_NS1_11comp_targetILNS1_3genE3ELNS1_11target_archE908ELNS1_3gpuE7ELNS1_3repE0EEENS1_30default_config_static_selectorELNS0_4arch9wavefront6targetE0EEEvSY_: ; @_ZN7rocprim17ROCPRIM_400000_NS6detail17trampoline_kernelINS0_14default_configENS1_27lower_bound_config_selectorIilEEZNS1_14transform_implILb0ES3_S5_N6thrust23THRUST_200600_302600_NS6detail15normal_iteratorINS8_7pointerIiNS8_11hip_rocprim12par_nosync_tENS8_11use_defaultESE_EEEENSA_INSB_IlSD_SE_SE_EEEEZNS1_13binary_searchIS3_S5_NSA_INS8_10device_ptrIiEEEESG_SI_NS1_21lower_bound_search_opENS9_16wrapped_functionINS8_6system6detail7generic6detail18binary_search_lessEbEEEE10hipError_tPvRmT1_T2_T3_mmT4_T5_P12ihipStream_tbEUlRKiE_EESV_SZ_S10_mS11_S14_bEUlT_E_NS1_11comp_targetILNS1_3genE3ELNS1_11target_archE908ELNS1_3gpuE7ELNS1_3repE0EEENS1_30default_config_static_selectorELNS0_4arch9wavefront6targetE0EEEvSY_
; %bb.0:
	.section	.rodata,"a",@progbits
	.p2align	6, 0x0
	.amdhsa_kernel _ZN7rocprim17ROCPRIM_400000_NS6detail17trampoline_kernelINS0_14default_configENS1_27lower_bound_config_selectorIilEEZNS1_14transform_implILb0ES3_S5_N6thrust23THRUST_200600_302600_NS6detail15normal_iteratorINS8_7pointerIiNS8_11hip_rocprim12par_nosync_tENS8_11use_defaultESE_EEEENSA_INSB_IlSD_SE_SE_EEEEZNS1_13binary_searchIS3_S5_NSA_INS8_10device_ptrIiEEEESG_SI_NS1_21lower_bound_search_opENS9_16wrapped_functionINS8_6system6detail7generic6detail18binary_search_lessEbEEEE10hipError_tPvRmT1_T2_T3_mmT4_T5_P12ihipStream_tbEUlRKiE_EESV_SZ_S10_mS11_S14_bEUlT_E_NS1_11comp_targetILNS1_3genE3ELNS1_11target_archE908ELNS1_3gpuE7ELNS1_3repE0EEENS1_30default_config_static_selectorELNS0_4arch9wavefront6targetE0EEEvSY_
		.amdhsa_group_segment_fixed_size 0
		.amdhsa_private_segment_fixed_size 0
		.amdhsa_kernarg_size 56
		.amdhsa_user_sgpr_count 6
		.amdhsa_user_sgpr_private_segment_buffer 1
		.amdhsa_user_sgpr_dispatch_ptr 0
		.amdhsa_user_sgpr_queue_ptr 0
		.amdhsa_user_sgpr_kernarg_segment_ptr 1
		.amdhsa_user_sgpr_dispatch_id 0
		.amdhsa_user_sgpr_flat_scratch_init 0
		.amdhsa_user_sgpr_private_segment_size 0
		.amdhsa_wavefront_size32 1
		.amdhsa_uses_dynamic_stack 0
		.amdhsa_system_sgpr_private_segment_wavefront_offset 0
		.amdhsa_system_sgpr_workgroup_id_x 1
		.amdhsa_system_sgpr_workgroup_id_y 0
		.amdhsa_system_sgpr_workgroup_id_z 0
		.amdhsa_system_sgpr_workgroup_info 0
		.amdhsa_system_vgpr_workitem_id 0
		.amdhsa_next_free_vgpr 1
		.amdhsa_next_free_sgpr 1
		.amdhsa_reserve_vcc 0
		.amdhsa_reserve_flat_scratch 0
		.amdhsa_float_round_mode_32 0
		.amdhsa_float_round_mode_16_64 0
		.amdhsa_float_denorm_mode_32 3
		.amdhsa_float_denorm_mode_16_64 3
		.amdhsa_dx10_clamp 1
		.amdhsa_ieee_mode 1
		.amdhsa_fp16_overflow 0
		.amdhsa_workgroup_processor_mode 1
		.amdhsa_memory_ordered 1
		.amdhsa_forward_progress 1
		.amdhsa_shared_vgpr_count 0
		.amdhsa_exception_fp_ieee_invalid_op 0
		.amdhsa_exception_fp_denorm_src 0
		.amdhsa_exception_fp_ieee_div_zero 0
		.amdhsa_exception_fp_ieee_overflow 0
		.amdhsa_exception_fp_ieee_underflow 0
		.amdhsa_exception_fp_ieee_inexact 0
		.amdhsa_exception_int_div_zero 0
	.end_amdhsa_kernel
	.section	.text._ZN7rocprim17ROCPRIM_400000_NS6detail17trampoline_kernelINS0_14default_configENS1_27lower_bound_config_selectorIilEEZNS1_14transform_implILb0ES3_S5_N6thrust23THRUST_200600_302600_NS6detail15normal_iteratorINS8_7pointerIiNS8_11hip_rocprim12par_nosync_tENS8_11use_defaultESE_EEEENSA_INSB_IlSD_SE_SE_EEEEZNS1_13binary_searchIS3_S5_NSA_INS8_10device_ptrIiEEEESG_SI_NS1_21lower_bound_search_opENS9_16wrapped_functionINS8_6system6detail7generic6detail18binary_search_lessEbEEEE10hipError_tPvRmT1_T2_T3_mmT4_T5_P12ihipStream_tbEUlRKiE_EESV_SZ_S10_mS11_S14_bEUlT_E_NS1_11comp_targetILNS1_3genE3ELNS1_11target_archE908ELNS1_3gpuE7ELNS1_3repE0EEENS1_30default_config_static_selectorELNS0_4arch9wavefront6targetE0EEEvSY_,"axG",@progbits,_ZN7rocprim17ROCPRIM_400000_NS6detail17trampoline_kernelINS0_14default_configENS1_27lower_bound_config_selectorIilEEZNS1_14transform_implILb0ES3_S5_N6thrust23THRUST_200600_302600_NS6detail15normal_iteratorINS8_7pointerIiNS8_11hip_rocprim12par_nosync_tENS8_11use_defaultESE_EEEENSA_INSB_IlSD_SE_SE_EEEEZNS1_13binary_searchIS3_S5_NSA_INS8_10device_ptrIiEEEESG_SI_NS1_21lower_bound_search_opENS9_16wrapped_functionINS8_6system6detail7generic6detail18binary_search_lessEbEEEE10hipError_tPvRmT1_T2_T3_mmT4_T5_P12ihipStream_tbEUlRKiE_EESV_SZ_S10_mS11_S14_bEUlT_E_NS1_11comp_targetILNS1_3genE3ELNS1_11target_archE908ELNS1_3gpuE7ELNS1_3repE0EEENS1_30default_config_static_selectorELNS0_4arch9wavefront6targetE0EEEvSY_,comdat
.Lfunc_end397:
	.size	_ZN7rocprim17ROCPRIM_400000_NS6detail17trampoline_kernelINS0_14default_configENS1_27lower_bound_config_selectorIilEEZNS1_14transform_implILb0ES3_S5_N6thrust23THRUST_200600_302600_NS6detail15normal_iteratorINS8_7pointerIiNS8_11hip_rocprim12par_nosync_tENS8_11use_defaultESE_EEEENSA_INSB_IlSD_SE_SE_EEEEZNS1_13binary_searchIS3_S5_NSA_INS8_10device_ptrIiEEEESG_SI_NS1_21lower_bound_search_opENS9_16wrapped_functionINS8_6system6detail7generic6detail18binary_search_lessEbEEEE10hipError_tPvRmT1_T2_T3_mmT4_T5_P12ihipStream_tbEUlRKiE_EESV_SZ_S10_mS11_S14_bEUlT_E_NS1_11comp_targetILNS1_3genE3ELNS1_11target_archE908ELNS1_3gpuE7ELNS1_3repE0EEENS1_30default_config_static_selectorELNS0_4arch9wavefront6targetE0EEEvSY_, .Lfunc_end397-_ZN7rocprim17ROCPRIM_400000_NS6detail17trampoline_kernelINS0_14default_configENS1_27lower_bound_config_selectorIilEEZNS1_14transform_implILb0ES3_S5_N6thrust23THRUST_200600_302600_NS6detail15normal_iteratorINS8_7pointerIiNS8_11hip_rocprim12par_nosync_tENS8_11use_defaultESE_EEEENSA_INSB_IlSD_SE_SE_EEEEZNS1_13binary_searchIS3_S5_NSA_INS8_10device_ptrIiEEEESG_SI_NS1_21lower_bound_search_opENS9_16wrapped_functionINS8_6system6detail7generic6detail18binary_search_lessEbEEEE10hipError_tPvRmT1_T2_T3_mmT4_T5_P12ihipStream_tbEUlRKiE_EESV_SZ_S10_mS11_S14_bEUlT_E_NS1_11comp_targetILNS1_3genE3ELNS1_11target_archE908ELNS1_3gpuE7ELNS1_3repE0EEENS1_30default_config_static_selectorELNS0_4arch9wavefront6targetE0EEEvSY_
                                        ; -- End function
	.set _ZN7rocprim17ROCPRIM_400000_NS6detail17trampoline_kernelINS0_14default_configENS1_27lower_bound_config_selectorIilEEZNS1_14transform_implILb0ES3_S5_N6thrust23THRUST_200600_302600_NS6detail15normal_iteratorINS8_7pointerIiNS8_11hip_rocprim12par_nosync_tENS8_11use_defaultESE_EEEENSA_INSB_IlSD_SE_SE_EEEEZNS1_13binary_searchIS3_S5_NSA_INS8_10device_ptrIiEEEESG_SI_NS1_21lower_bound_search_opENS9_16wrapped_functionINS8_6system6detail7generic6detail18binary_search_lessEbEEEE10hipError_tPvRmT1_T2_T3_mmT4_T5_P12ihipStream_tbEUlRKiE_EESV_SZ_S10_mS11_S14_bEUlT_E_NS1_11comp_targetILNS1_3genE3ELNS1_11target_archE908ELNS1_3gpuE7ELNS1_3repE0EEENS1_30default_config_static_selectorELNS0_4arch9wavefront6targetE0EEEvSY_.num_vgpr, 0
	.set _ZN7rocprim17ROCPRIM_400000_NS6detail17trampoline_kernelINS0_14default_configENS1_27lower_bound_config_selectorIilEEZNS1_14transform_implILb0ES3_S5_N6thrust23THRUST_200600_302600_NS6detail15normal_iteratorINS8_7pointerIiNS8_11hip_rocprim12par_nosync_tENS8_11use_defaultESE_EEEENSA_INSB_IlSD_SE_SE_EEEEZNS1_13binary_searchIS3_S5_NSA_INS8_10device_ptrIiEEEESG_SI_NS1_21lower_bound_search_opENS9_16wrapped_functionINS8_6system6detail7generic6detail18binary_search_lessEbEEEE10hipError_tPvRmT1_T2_T3_mmT4_T5_P12ihipStream_tbEUlRKiE_EESV_SZ_S10_mS11_S14_bEUlT_E_NS1_11comp_targetILNS1_3genE3ELNS1_11target_archE908ELNS1_3gpuE7ELNS1_3repE0EEENS1_30default_config_static_selectorELNS0_4arch9wavefront6targetE0EEEvSY_.num_agpr, 0
	.set _ZN7rocprim17ROCPRIM_400000_NS6detail17trampoline_kernelINS0_14default_configENS1_27lower_bound_config_selectorIilEEZNS1_14transform_implILb0ES3_S5_N6thrust23THRUST_200600_302600_NS6detail15normal_iteratorINS8_7pointerIiNS8_11hip_rocprim12par_nosync_tENS8_11use_defaultESE_EEEENSA_INSB_IlSD_SE_SE_EEEEZNS1_13binary_searchIS3_S5_NSA_INS8_10device_ptrIiEEEESG_SI_NS1_21lower_bound_search_opENS9_16wrapped_functionINS8_6system6detail7generic6detail18binary_search_lessEbEEEE10hipError_tPvRmT1_T2_T3_mmT4_T5_P12ihipStream_tbEUlRKiE_EESV_SZ_S10_mS11_S14_bEUlT_E_NS1_11comp_targetILNS1_3genE3ELNS1_11target_archE908ELNS1_3gpuE7ELNS1_3repE0EEENS1_30default_config_static_selectorELNS0_4arch9wavefront6targetE0EEEvSY_.numbered_sgpr, 0
	.set _ZN7rocprim17ROCPRIM_400000_NS6detail17trampoline_kernelINS0_14default_configENS1_27lower_bound_config_selectorIilEEZNS1_14transform_implILb0ES3_S5_N6thrust23THRUST_200600_302600_NS6detail15normal_iteratorINS8_7pointerIiNS8_11hip_rocprim12par_nosync_tENS8_11use_defaultESE_EEEENSA_INSB_IlSD_SE_SE_EEEEZNS1_13binary_searchIS3_S5_NSA_INS8_10device_ptrIiEEEESG_SI_NS1_21lower_bound_search_opENS9_16wrapped_functionINS8_6system6detail7generic6detail18binary_search_lessEbEEEE10hipError_tPvRmT1_T2_T3_mmT4_T5_P12ihipStream_tbEUlRKiE_EESV_SZ_S10_mS11_S14_bEUlT_E_NS1_11comp_targetILNS1_3genE3ELNS1_11target_archE908ELNS1_3gpuE7ELNS1_3repE0EEENS1_30default_config_static_selectorELNS0_4arch9wavefront6targetE0EEEvSY_.num_named_barrier, 0
	.set _ZN7rocprim17ROCPRIM_400000_NS6detail17trampoline_kernelINS0_14default_configENS1_27lower_bound_config_selectorIilEEZNS1_14transform_implILb0ES3_S5_N6thrust23THRUST_200600_302600_NS6detail15normal_iteratorINS8_7pointerIiNS8_11hip_rocprim12par_nosync_tENS8_11use_defaultESE_EEEENSA_INSB_IlSD_SE_SE_EEEEZNS1_13binary_searchIS3_S5_NSA_INS8_10device_ptrIiEEEESG_SI_NS1_21lower_bound_search_opENS9_16wrapped_functionINS8_6system6detail7generic6detail18binary_search_lessEbEEEE10hipError_tPvRmT1_T2_T3_mmT4_T5_P12ihipStream_tbEUlRKiE_EESV_SZ_S10_mS11_S14_bEUlT_E_NS1_11comp_targetILNS1_3genE3ELNS1_11target_archE908ELNS1_3gpuE7ELNS1_3repE0EEENS1_30default_config_static_selectorELNS0_4arch9wavefront6targetE0EEEvSY_.private_seg_size, 0
	.set _ZN7rocprim17ROCPRIM_400000_NS6detail17trampoline_kernelINS0_14default_configENS1_27lower_bound_config_selectorIilEEZNS1_14transform_implILb0ES3_S5_N6thrust23THRUST_200600_302600_NS6detail15normal_iteratorINS8_7pointerIiNS8_11hip_rocprim12par_nosync_tENS8_11use_defaultESE_EEEENSA_INSB_IlSD_SE_SE_EEEEZNS1_13binary_searchIS3_S5_NSA_INS8_10device_ptrIiEEEESG_SI_NS1_21lower_bound_search_opENS9_16wrapped_functionINS8_6system6detail7generic6detail18binary_search_lessEbEEEE10hipError_tPvRmT1_T2_T3_mmT4_T5_P12ihipStream_tbEUlRKiE_EESV_SZ_S10_mS11_S14_bEUlT_E_NS1_11comp_targetILNS1_3genE3ELNS1_11target_archE908ELNS1_3gpuE7ELNS1_3repE0EEENS1_30default_config_static_selectorELNS0_4arch9wavefront6targetE0EEEvSY_.uses_vcc, 0
	.set _ZN7rocprim17ROCPRIM_400000_NS6detail17trampoline_kernelINS0_14default_configENS1_27lower_bound_config_selectorIilEEZNS1_14transform_implILb0ES3_S5_N6thrust23THRUST_200600_302600_NS6detail15normal_iteratorINS8_7pointerIiNS8_11hip_rocprim12par_nosync_tENS8_11use_defaultESE_EEEENSA_INSB_IlSD_SE_SE_EEEEZNS1_13binary_searchIS3_S5_NSA_INS8_10device_ptrIiEEEESG_SI_NS1_21lower_bound_search_opENS9_16wrapped_functionINS8_6system6detail7generic6detail18binary_search_lessEbEEEE10hipError_tPvRmT1_T2_T3_mmT4_T5_P12ihipStream_tbEUlRKiE_EESV_SZ_S10_mS11_S14_bEUlT_E_NS1_11comp_targetILNS1_3genE3ELNS1_11target_archE908ELNS1_3gpuE7ELNS1_3repE0EEENS1_30default_config_static_selectorELNS0_4arch9wavefront6targetE0EEEvSY_.uses_flat_scratch, 0
	.set _ZN7rocprim17ROCPRIM_400000_NS6detail17trampoline_kernelINS0_14default_configENS1_27lower_bound_config_selectorIilEEZNS1_14transform_implILb0ES3_S5_N6thrust23THRUST_200600_302600_NS6detail15normal_iteratorINS8_7pointerIiNS8_11hip_rocprim12par_nosync_tENS8_11use_defaultESE_EEEENSA_INSB_IlSD_SE_SE_EEEEZNS1_13binary_searchIS3_S5_NSA_INS8_10device_ptrIiEEEESG_SI_NS1_21lower_bound_search_opENS9_16wrapped_functionINS8_6system6detail7generic6detail18binary_search_lessEbEEEE10hipError_tPvRmT1_T2_T3_mmT4_T5_P12ihipStream_tbEUlRKiE_EESV_SZ_S10_mS11_S14_bEUlT_E_NS1_11comp_targetILNS1_3genE3ELNS1_11target_archE908ELNS1_3gpuE7ELNS1_3repE0EEENS1_30default_config_static_selectorELNS0_4arch9wavefront6targetE0EEEvSY_.has_dyn_sized_stack, 0
	.set _ZN7rocprim17ROCPRIM_400000_NS6detail17trampoline_kernelINS0_14default_configENS1_27lower_bound_config_selectorIilEEZNS1_14transform_implILb0ES3_S5_N6thrust23THRUST_200600_302600_NS6detail15normal_iteratorINS8_7pointerIiNS8_11hip_rocprim12par_nosync_tENS8_11use_defaultESE_EEEENSA_INSB_IlSD_SE_SE_EEEEZNS1_13binary_searchIS3_S5_NSA_INS8_10device_ptrIiEEEESG_SI_NS1_21lower_bound_search_opENS9_16wrapped_functionINS8_6system6detail7generic6detail18binary_search_lessEbEEEE10hipError_tPvRmT1_T2_T3_mmT4_T5_P12ihipStream_tbEUlRKiE_EESV_SZ_S10_mS11_S14_bEUlT_E_NS1_11comp_targetILNS1_3genE3ELNS1_11target_archE908ELNS1_3gpuE7ELNS1_3repE0EEENS1_30default_config_static_selectorELNS0_4arch9wavefront6targetE0EEEvSY_.has_recursion, 0
	.set _ZN7rocprim17ROCPRIM_400000_NS6detail17trampoline_kernelINS0_14default_configENS1_27lower_bound_config_selectorIilEEZNS1_14transform_implILb0ES3_S5_N6thrust23THRUST_200600_302600_NS6detail15normal_iteratorINS8_7pointerIiNS8_11hip_rocprim12par_nosync_tENS8_11use_defaultESE_EEEENSA_INSB_IlSD_SE_SE_EEEEZNS1_13binary_searchIS3_S5_NSA_INS8_10device_ptrIiEEEESG_SI_NS1_21lower_bound_search_opENS9_16wrapped_functionINS8_6system6detail7generic6detail18binary_search_lessEbEEEE10hipError_tPvRmT1_T2_T3_mmT4_T5_P12ihipStream_tbEUlRKiE_EESV_SZ_S10_mS11_S14_bEUlT_E_NS1_11comp_targetILNS1_3genE3ELNS1_11target_archE908ELNS1_3gpuE7ELNS1_3repE0EEENS1_30default_config_static_selectorELNS0_4arch9wavefront6targetE0EEEvSY_.has_indirect_call, 0
	.section	.AMDGPU.csdata,"",@progbits
; Kernel info:
; codeLenInByte = 0
; TotalNumSgprs: 0
; NumVgprs: 0
; ScratchSize: 0
; MemoryBound: 0
; FloatMode: 240
; IeeeMode: 1
; LDSByteSize: 0 bytes/workgroup (compile time only)
; SGPRBlocks: 0
; VGPRBlocks: 0
; NumSGPRsForWavesPerEU: 1
; NumVGPRsForWavesPerEU: 1
; Occupancy: 16
; WaveLimiterHint : 0
; COMPUTE_PGM_RSRC2:SCRATCH_EN: 0
; COMPUTE_PGM_RSRC2:USER_SGPR: 6
; COMPUTE_PGM_RSRC2:TRAP_HANDLER: 0
; COMPUTE_PGM_RSRC2:TGID_X_EN: 1
; COMPUTE_PGM_RSRC2:TGID_Y_EN: 0
; COMPUTE_PGM_RSRC2:TGID_Z_EN: 0
; COMPUTE_PGM_RSRC2:TIDIG_COMP_CNT: 0
	.section	.text._ZN7rocprim17ROCPRIM_400000_NS6detail17trampoline_kernelINS0_14default_configENS1_27lower_bound_config_selectorIilEEZNS1_14transform_implILb0ES3_S5_N6thrust23THRUST_200600_302600_NS6detail15normal_iteratorINS8_7pointerIiNS8_11hip_rocprim12par_nosync_tENS8_11use_defaultESE_EEEENSA_INSB_IlSD_SE_SE_EEEEZNS1_13binary_searchIS3_S5_NSA_INS8_10device_ptrIiEEEESG_SI_NS1_21lower_bound_search_opENS9_16wrapped_functionINS8_6system6detail7generic6detail18binary_search_lessEbEEEE10hipError_tPvRmT1_T2_T3_mmT4_T5_P12ihipStream_tbEUlRKiE_EESV_SZ_S10_mS11_S14_bEUlT_E_NS1_11comp_targetILNS1_3genE2ELNS1_11target_archE906ELNS1_3gpuE6ELNS1_3repE0EEENS1_30default_config_static_selectorELNS0_4arch9wavefront6targetE0EEEvSY_,"axG",@progbits,_ZN7rocprim17ROCPRIM_400000_NS6detail17trampoline_kernelINS0_14default_configENS1_27lower_bound_config_selectorIilEEZNS1_14transform_implILb0ES3_S5_N6thrust23THRUST_200600_302600_NS6detail15normal_iteratorINS8_7pointerIiNS8_11hip_rocprim12par_nosync_tENS8_11use_defaultESE_EEEENSA_INSB_IlSD_SE_SE_EEEEZNS1_13binary_searchIS3_S5_NSA_INS8_10device_ptrIiEEEESG_SI_NS1_21lower_bound_search_opENS9_16wrapped_functionINS8_6system6detail7generic6detail18binary_search_lessEbEEEE10hipError_tPvRmT1_T2_T3_mmT4_T5_P12ihipStream_tbEUlRKiE_EESV_SZ_S10_mS11_S14_bEUlT_E_NS1_11comp_targetILNS1_3genE2ELNS1_11target_archE906ELNS1_3gpuE6ELNS1_3repE0EEENS1_30default_config_static_selectorELNS0_4arch9wavefront6targetE0EEEvSY_,comdat
	.protected	_ZN7rocprim17ROCPRIM_400000_NS6detail17trampoline_kernelINS0_14default_configENS1_27lower_bound_config_selectorIilEEZNS1_14transform_implILb0ES3_S5_N6thrust23THRUST_200600_302600_NS6detail15normal_iteratorINS8_7pointerIiNS8_11hip_rocprim12par_nosync_tENS8_11use_defaultESE_EEEENSA_INSB_IlSD_SE_SE_EEEEZNS1_13binary_searchIS3_S5_NSA_INS8_10device_ptrIiEEEESG_SI_NS1_21lower_bound_search_opENS9_16wrapped_functionINS8_6system6detail7generic6detail18binary_search_lessEbEEEE10hipError_tPvRmT1_T2_T3_mmT4_T5_P12ihipStream_tbEUlRKiE_EESV_SZ_S10_mS11_S14_bEUlT_E_NS1_11comp_targetILNS1_3genE2ELNS1_11target_archE906ELNS1_3gpuE6ELNS1_3repE0EEENS1_30default_config_static_selectorELNS0_4arch9wavefront6targetE0EEEvSY_ ; -- Begin function _ZN7rocprim17ROCPRIM_400000_NS6detail17trampoline_kernelINS0_14default_configENS1_27lower_bound_config_selectorIilEEZNS1_14transform_implILb0ES3_S5_N6thrust23THRUST_200600_302600_NS6detail15normal_iteratorINS8_7pointerIiNS8_11hip_rocprim12par_nosync_tENS8_11use_defaultESE_EEEENSA_INSB_IlSD_SE_SE_EEEEZNS1_13binary_searchIS3_S5_NSA_INS8_10device_ptrIiEEEESG_SI_NS1_21lower_bound_search_opENS9_16wrapped_functionINS8_6system6detail7generic6detail18binary_search_lessEbEEEE10hipError_tPvRmT1_T2_T3_mmT4_T5_P12ihipStream_tbEUlRKiE_EESV_SZ_S10_mS11_S14_bEUlT_E_NS1_11comp_targetILNS1_3genE2ELNS1_11target_archE906ELNS1_3gpuE6ELNS1_3repE0EEENS1_30default_config_static_selectorELNS0_4arch9wavefront6targetE0EEEvSY_
	.globl	_ZN7rocprim17ROCPRIM_400000_NS6detail17trampoline_kernelINS0_14default_configENS1_27lower_bound_config_selectorIilEEZNS1_14transform_implILb0ES3_S5_N6thrust23THRUST_200600_302600_NS6detail15normal_iteratorINS8_7pointerIiNS8_11hip_rocprim12par_nosync_tENS8_11use_defaultESE_EEEENSA_INSB_IlSD_SE_SE_EEEEZNS1_13binary_searchIS3_S5_NSA_INS8_10device_ptrIiEEEESG_SI_NS1_21lower_bound_search_opENS9_16wrapped_functionINS8_6system6detail7generic6detail18binary_search_lessEbEEEE10hipError_tPvRmT1_T2_T3_mmT4_T5_P12ihipStream_tbEUlRKiE_EESV_SZ_S10_mS11_S14_bEUlT_E_NS1_11comp_targetILNS1_3genE2ELNS1_11target_archE906ELNS1_3gpuE6ELNS1_3repE0EEENS1_30default_config_static_selectorELNS0_4arch9wavefront6targetE0EEEvSY_
	.p2align	8
	.type	_ZN7rocprim17ROCPRIM_400000_NS6detail17trampoline_kernelINS0_14default_configENS1_27lower_bound_config_selectorIilEEZNS1_14transform_implILb0ES3_S5_N6thrust23THRUST_200600_302600_NS6detail15normal_iteratorINS8_7pointerIiNS8_11hip_rocprim12par_nosync_tENS8_11use_defaultESE_EEEENSA_INSB_IlSD_SE_SE_EEEEZNS1_13binary_searchIS3_S5_NSA_INS8_10device_ptrIiEEEESG_SI_NS1_21lower_bound_search_opENS9_16wrapped_functionINS8_6system6detail7generic6detail18binary_search_lessEbEEEE10hipError_tPvRmT1_T2_T3_mmT4_T5_P12ihipStream_tbEUlRKiE_EESV_SZ_S10_mS11_S14_bEUlT_E_NS1_11comp_targetILNS1_3genE2ELNS1_11target_archE906ELNS1_3gpuE6ELNS1_3repE0EEENS1_30default_config_static_selectorELNS0_4arch9wavefront6targetE0EEEvSY_,@function
_ZN7rocprim17ROCPRIM_400000_NS6detail17trampoline_kernelINS0_14default_configENS1_27lower_bound_config_selectorIilEEZNS1_14transform_implILb0ES3_S5_N6thrust23THRUST_200600_302600_NS6detail15normal_iteratorINS8_7pointerIiNS8_11hip_rocprim12par_nosync_tENS8_11use_defaultESE_EEEENSA_INSB_IlSD_SE_SE_EEEEZNS1_13binary_searchIS3_S5_NSA_INS8_10device_ptrIiEEEESG_SI_NS1_21lower_bound_search_opENS9_16wrapped_functionINS8_6system6detail7generic6detail18binary_search_lessEbEEEE10hipError_tPvRmT1_T2_T3_mmT4_T5_P12ihipStream_tbEUlRKiE_EESV_SZ_S10_mS11_S14_bEUlT_E_NS1_11comp_targetILNS1_3genE2ELNS1_11target_archE906ELNS1_3gpuE6ELNS1_3repE0EEENS1_30default_config_static_selectorELNS0_4arch9wavefront6targetE0EEEvSY_: ; @_ZN7rocprim17ROCPRIM_400000_NS6detail17trampoline_kernelINS0_14default_configENS1_27lower_bound_config_selectorIilEEZNS1_14transform_implILb0ES3_S5_N6thrust23THRUST_200600_302600_NS6detail15normal_iteratorINS8_7pointerIiNS8_11hip_rocprim12par_nosync_tENS8_11use_defaultESE_EEEENSA_INSB_IlSD_SE_SE_EEEEZNS1_13binary_searchIS3_S5_NSA_INS8_10device_ptrIiEEEESG_SI_NS1_21lower_bound_search_opENS9_16wrapped_functionINS8_6system6detail7generic6detail18binary_search_lessEbEEEE10hipError_tPvRmT1_T2_T3_mmT4_T5_P12ihipStream_tbEUlRKiE_EESV_SZ_S10_mS11_S14_bEUlT_E_NS1_11comp_targetILNS1_3genE2ELNS1_11target_archE906ELNS1_3gpuE6ELNS1_3repE0EEENS1_30default_config_static_selectorELNS0_4arch9wavefront6targetE0EEEvSY_
; %bb.0:
	.section	.rodata,"a",@progbits
	.p2align	6, 0x0
	.amdhsa_kernel _ZN7rocprim17ROCPRIM_400000_NS6detail17trampoline_kernelINS0_14default_configENS1_27lower_bound_config_selectorIilEEZNS1_14transform_implILb0ES3_S5_N6thrust23THRUST_200600_302600_NS6detail15normal_iteratorINS8_7pointerIiNS8_11hip_rocprim12par_nosync_tENS8_11use_defaultESE_EEEENSA_INSB_IlSD_SE_SE_EEEEZNS1_13binary_searchIS3_S5_NSA_INS8_10device_ptrIiEEEESG_SI_NS1_21lower_bound_search_opENS9_16wrapped_functionINS8_6system6detail7generic6detail18binary_search_lessEbEEEE10hipError_tPvRmT1_T2_T3_mmT4_T5_P12ihipStream_tbEUlRKiE_EESV_SZ_S10_mS11_S14_bEUlT_E_NS1_11comp_targetILNS1_3genE2ELNS1_11target_archE906ELNS1_3gpuE6ELNS1_3repE0EEENS1_30default_config_static_selectorELNS0_4arch9wavefront6targetE0EEEvSY_
		.amdhsa_group_segment_fixed_size 0
		.amdhsa_private_segment_fixed_size 0
		.amdhsa_kernarg_size 56
		.amdhsa_user_sgpr_count 6
		.amdhsa_user_sgpr_private_segment_buffer 1
		.amdhsa_user_sgpr_dispatch_ptr 0
		.amdhsa_user_sgpr_queue_ptr 0
		.amdhsa_user_sgpr_kernarg_segment_ptr 1
		.amdhsa_user_sgpr_dispatch_id 0
		.amdhsa_user_sgpr_flat_scratch_init 0
		.amdhsa_user_sgpr_private_segment_size 0
		.amdhsa_wavefront_size32 1
		.amdhsa_uses_dynamic_stack 0
		.amdhsa_system_sgpr_private_segment_wavefront_offset 0
		.amdhsa_system_sgpr_workgroup_id_x 1
		.amdhsa_system_sgpr_workgroup_id_y 0
		.amdhsa_system_sgpr_workgroup_id_z 0
		.amdhsa_system_sgpr_workgroup_info 0
		.amdhsa_system_vgpr_workitem_id 0
		.amdhsa_next_free_vgpr 1
		.amdhsa_next_free_sgpr 1
		.amdhsa_reserve_vcc 0
		.amdhsa_reserve_flat_scratch 0
		.amdhsa_float_round_mode_32 0
		.amdhsa_float_round_mode_16_64 0
		.amdhsa_float_denorm_mode_32 3
		.amdhsa_float_denorm_mode_16_64 3
		.amdhsa_dx10_clamp 1
		.amdhsa_ieee_mode 1
		.amdhsa_fp16_overflow 0
		.amdhsa_workgroup_processor_mode 1
		.amdhsa_memory_ordered 1
		.amdhsa_forward_progress 1
		.amdhsa_shared_vgpr_count 0
		.amdhsa_exception_fp_ieee_invalid_op 0
		.amdhsa_exception_fp_denorm_src 0
		.amdhsa_exception_fp_ieee_div_zero 0
		.amdhsa_exception_fp_ieee_overflow 0
		.amdhsa_exception_fp_ieee_underflow 0
		.amdhsa_exception_fp_ieee_inexact 0
		.amdhsa_exception_int_div_zero 0
	.end_amdhsa_kernel
	.section	.text._ZN7rocprim17ROCPRIM_400000_NS6detail17trampoline_kernelINS0_14default_configENS1_27lower_bound_config_selectorIilEEZNS1_14transform_implILb0ES3_S5_N6thrust23THRUST_200600_302600_NS6detail15normal_iteratorINS8_7pointerIiNS8_11hip_rocprim12par_nosync_tENS8_11use_defaultESE_EEEENSA_INSB_IlSD_SE_SE_EEEEZNS1_13binary_searchIS3_S5_NSA_INS8_10device_ptrIiEEEESG_SI_NS1_21lower_bound_search_opENS9_16wrapped_functionINS8_6system6detail7generic6detail18binary_search_lessEbEEEE10hipError_tPvRmT1_T2_T3_mmT4_T5_P12ihipStream_tbEUlRKiE_EESV_SZ_S10_mS11_S14_bEUlT_E_NS1_11comp_targetILNS1_3genE2ELNS1_11target_archE906ELNS1_3gpuE6ELNS1_3repE0EEENS1_30default_config_static_selectorELNS0_4arch9wavefront6targetE0EEEvSY_,"axG",@progbits,_ZN7rocprim17ROCPRIM_400000_NS6detail17trampoline_kernelINS0_14default_configENS1_27lower_bound_config_selectorIilEEZNS1_14transform_implILb0ES3_S5_N6thrust23THRUST_200600_302600_NS6detail15normal_iteratorINS8_7pointerIiNS8_11hip_rocprim12par_nosync_tENS8_11use_defaultESE_EEEENSA_INSB_IlSD_SE_SE_EEEEZNS1_13binary_searchIS3_S5_NSA_INS8_10device_ptrIiEEEESG_SI_NS1_21lower_bound_search_opENS9_16wrapped_functionINS8_6system6detail7generic6detail18binary_search_lessEbEEEE10hipError_tPvRmT1_T2_T3_mmT4_T5_P12ihipStream_tbEUlRKiE_EESV_SZ_S10_mS11_S14_bEUlT_E_NS1_11comp_targetILNS1_3genE2ELNS1_11target_archE906ELNS1_3gpuE6ELNS1_3repE0EEENS1_30default_config_static_selectorELNS0_4arch9wavefront6targetE0EEEvSY_,comdat
.Lfunc_end398:
	.size	_ZN7rocprim17ROCPRIM_400000_NS6detail17trampoline_kernelINS0_14default_configENS1_27lower_bound_config_selectorIilEEZNS1_14transform_implILb0ES3_S5_N6thrust23THRUST_200600_302600_NS6detail15normal_iteratorINS8_7pointerIiNS8_11hip_rocprim12par_nosync_tENS8_11use_defaultESE_EEEENSA_INSB_IlSD_SE_SE_EEEEZNS1_13binary_searchIS3_S5_NSA_INS8_10device_ptrIiEEEESG_SI_NS1_21lower_bound_search_opENS9_16wrapped_functionINS8_6system6detail7generic6detail18binary_search_lessEbEEEE10hipError_tPvRmT1_T2_T3_mmT4_T5_P12ihipStream_tbEUlRKiE_EESV_SZ_S10_mS11_S14_bEUlT_E_NS1_11comp_targetILNS1_3genE2ELNS1_11target_archE906ELNS1_3gpuE6ELNS1_3repE0EEENS1_30default_config_static_selectorELNS0_4arch9wavefront6targetE0EEEvSY_, .Lfunc_end398-_ZN7rocprim17ROCPRIM_400000_NS6detail17trampoline_kernelINS0_14default_configENS1_27lower_bound_config_selectorIilEEZNS1_14transform_implILb0ES3_S5_N6thrust23THRUST_200600_302600_NS6detail15normal_iteratorINS8_7pointerIiNS8_11hip_rocprim12par_nosync_tENS8_11use_defaultESE_EEEENSA_INSB_IlSD_SE_SE_EEEEZNS1_13binary_searchIS3_S5_NSA_INS8_10device_ptrIiEEEESG_SI_NS1_21lower_bound_search_opENS9_16wrapped_functionINS8_6system6detail7generic6detail18binary_search_lessEbEEEE10hipError_tPvRmT1_T2_T3_mmT4_T5_P12ihipStream_tbEUlRKiE_EESV_SZ_S10_mS11_S14_bEUlT_E_NS1_11comp_targetILNS1_3genE2ELNS1_11target_archE906ELNS1_3gpuE6ELNS1_3repE0EEENS1_30default_config_static_selectorELNS0_4arch9wavefront6targetE0EEEvSY_
                                        ; -- End function
	.set _ZN7rocprim17ROCPRIM_400000_NS6detail17trampoline_kernelINS0_14default_configENS1_27lower_bound_config_selectorIilEEZNS1_14transform_implILb0ES3_S5_N6thrust23THRUST_200600_302600_NS6detail15normal_iteratorINS8_7pointerIiNS8_11hip_rocprim12par_nosync_tENS8_11use_defaultESE_EEEENSA_INSB_IlSD_SE_SE_EEEEZNS1_13binary_searchIS3_S5_NSA_INS8_10device_ptrIiEEEESG_SI_NS1_21lower_bound_search_opENS9_16wrapped_functionINS8_6system6detail7generic6detail18binary_search_lessEbEEEE10hipError_tPvRmT1_T2_T3_mmT4_T5_P12ihipStream_tbEUlRKiE_EESV_SZ_S10_mS11_S14_bEUlT_E_NS1_11comp_targetILNS1_3genE2ELNS1_11target_archE906ELNS1_3gpuE6ELNS1_3repE0EEENS1_30default_config_static_selectorELNS0_4arch9wavefront6targetE0EEEvSY_.num_vgpr, 0
	.set _ZN7rocprim17ROCPRIM_400000_NS6detail17trampoline_kernelINS0_14default_configENS1_27lower_bound_config_selectorIilEEZNS1_14transform_implILb0ES3_S5_N6thrust23THRUST_200600_302600_NS6detail15normal_iteratorINS8_7pointerIiNS8_11hip_rocprim12par_nosync_tENS8_11use_defaultESE_EEEENSA_INSB_IlSD_SE_SE_EEEEZNS1_13binary_searchIS3_S5_NSA_INS8_10device_ptrIiEEEESG_SI_NS1_21lower_bound_search_opENS9_16wrapped_functionINS8_6system6detail7generic6detail18binary_search_lessEbEEEE10hipError_tPvRmT1_T2_T3_mmT4_T5_P12ihipStream_tbEUlRKiE_EESV_SZ_S10_mS11_S14_bEUlT_E_NS1_11comp_targetILNS1_3genE2ELNS1_11target_archE906ELNS1_3gpuE6ELNS1_3repE0EEENS1_30default_config_static_selectorELNS0_4arch9wavefront6targetE0EEEvSY_.num_agpr, 0
	.set _ZN7rocprim17ROCPRIM_400000_NS6detail17trampoline_kernelINS0_14default_configENS1_27lower_bound_config_selectorIilEEZNS1_14transform_implILb0ES3_S5_N6thrust23THRUST_200600_302600_NS6detail15normal_iteratorINS8_7pointerIiNS8_11hip_rocprim12par_nosync_tENS8_11use_defaultESE_EEEENSA_INSB_IlSD_SE_SE_EEEEZNS1_13binary_searchIS3_S5_NSA_INS8_10device_ptrIiEEEESG_SI_NS1_21lower_bound_search_opENS9_16wrapped_functionINS8_6system6detail7generic6detail18binary_search_lessEbEEEE10hipError_tPvRmT1_T2_T3_mmT4_T5_P12ihipStream_tbEUlRKiE_EESV_SZ_S10_mS11_S14_bEUlT_E_NS1_11comp_targetILNS1_3genE2ELNS1_11target_archE906ELNS1_3gpuE6ELNS1_3repE0EEENS1_30default_config_static_selectorELNS0_4arch9wavefront6targetE0EEEvSY_.numbered_sgpr, 0
	.set _ZN7rocprim17ROCPRIM_400000_NS6detail17trampoline_kernelINS0_14default_configENS1_27lower_bound_config_selectorIilEEZNS1_14transform_implILb0ES3_S5_N6thrust23THRUST_200600_302600_NS6detail15normal_iteratorINS8_7pointerIiNS8_11hip_rocprim12par_nosync_tENS8_11use_defaultESE_EEEENSA_INSB_IlSD_SE_SE_EEEEZNS1_13binary_searchIS3_S5_NSA_INS8_10device_ptrIiEEEESG_SI_NS1_21lower_bound_search_opENS9_16wrapped_functionINS8_6system6detail7generic6detail18binary_search_lessEbEEEE10hipError_tPvRmT1_T2_T3_mmT4_T5_P12ihipStream_tbEUlRKiE_EESV_SZ_S10_mS11_S14_bEUlT_E_NS1_11comp_targetILNS1_3genE2ELNS1_11target_archE906ELNS1_3gpuE6ELNS1_3repE0EEENS1_30default_config_static_selectorELNS0_4arch9wavefront6targetE0EEEvSY_.num_named_barrier, 0
	.set _ZN7rocprim17ROCPRIM_400000_NS6detail17trampoline_kernelINS0_14default_configENS1_27lower_bound_config_selectorIilEEZNS1_14transform_implILb0ES3_S5_N6thrust23THRUST_200600_302600_NS6detail15normal_iteratorINS8_7pointerIiNS8_11hip_rocprim12par_nosync_tENS8_11use_defaultESE_EEEENSA_INSB_IlSD_SE_SE_EEEEZNS1_13binary_searchIS3_S5_NSA_INS8_10device_ptrIiEEEESG_SI_NS1_21lower_bound_search_opENS9_16wrapped_functionINS8_6system6detail7generic6detail18binary_search_lessEbEEEE10hipError_tPvRmT1_T2_T3_mmT4_T5_P12ihipStream_tbEUlRKiE_EESV_SZ_S10_mS11_S14_bEUlT_E_NS1_11comp_targetILNS1_3genE2ELNS1_11target_archE906ELNS1_3gpuE6ELNS1_3repE0EEENS1_30default_config_static_selectorELNS0_4arch9wavefront6targetE0EEEvSY_.private_seg_size, 0
	.set _ZN7rocprim17ROCPRIM_400000_NS6detail17trampoline_kernelINS0_14default_configENS1_27lower_bound_config_selectorIilEEZNS1_14transform_implILb0ES3_S5_N6thrust23THRUST_200600_302600_NS6detail15normal_iteratorINS8_7pointerIiNS8_11hip_rocprim12par_nosync_tENS8_11use_defaultESE_EEEENSA_INSB_IlSD_SE_SE_EEEEZNS1_13binary_searchIS3_S5_NSA_INS8_10device_ptrIiEEEESG_SI_NS1_21lower_bound_search_opENS9_16wrapped_functionINS8_6system6detail7generic6detail18binary_search_lessEbEEEE10hipError_tPvRmT1_T2_T3_mmT4_T5_P12ihipStream_tbEUlRKiE_EESV_SZ_S10_mS11_S14_bEUlT_E_NS1_11comp_targetILNS1_3genE2ELNS1_11target_archE906ELNS1_3gpuE6ELNS1_3repE0EEENS1_30default_config_static_selectorELNS0_4arch9wavefront6targetE0EEEvSY_.uses_vcc, 0
	.set _ZN7rocprim17ROCPRIM_400000_NS6detail17trampoline_kernelINS0_14default_configENS1_27lower_bound_config_selectorIilEEZNS1_14transform_implILb0ES3_S5_N6thrust23THRUST_200600_302600_NS6detail15normal_iteratorINS8_7pointerIiNS8_11hip_rocprim12par_nosync_tENS8_11use_defaultESE_EEEENSA_INSB_IlSD_SE_SE_EEEEZNS1_13binary_searchIS3_S5_NSA_INS8_10device_ptrIiEEEESG_SI_NS1_21lower_bound_search_opENS9_16wrapped_functionINS8_6system6detail7generic6detail18binary_search_lessEbEEEE10hipError_tPvRmT1_T2_T3_mmT4_T5_P12ihipStream_tbEUlRKiE_EESV_SZ_S10_mS11_S14_bEUlT_E_NS1_11comp_targetILNS1_3genE2ELNS1_11target_archE906ELNS1_3gpuE6ELNS1_3repE0EEENS1_30default_config_static_selectorELNS0_4arch9wavefront6targetE0EEEvSY_.uses_flat_scratch, 0
	.set _ZN7rocprim17ROCPRIM_400000_NS6detail17trampoline_kernelINS0_14default_configENS1_27lower_bound_config_selectorIilEEZNS1_14transform_implILb0ES3_S5_N6thrust23THRUST_200600_302600_NS6detail15normal_iteratorINS8_7pointerIiNS8_11hip_rocprim12par_nosync_tENS8_11use_defaultESE_EEEENSA_INSB_IlSD_SE_SE_EEEEZNS1_13binary_searchIS3_S5_NSA_INS8_10device_ptrIiEEEESG_SI_NS1_21lower_bound_search_opENS9_16wrapped_functionINS8_6system6detail7generic6detail18binary_search_lessEbEEEE10hipError_tPvRmT1_T2_T3_mmT4_T5_P12ihipStream_tbEUlRKiE_EESV_SZ_S10_mS11_S14_bEUlT_E_NS1_11comp_targetILNS1_3genE2ELNS1_11target_archE906ELNS1_3gpuE6ELNS1_3repE0EEENS1_30default_config_static_selectorELNS0_4arch9wavefront6targetE0EEEvSY_.has_dyn_sized_stack, 0
	.set _ZN7rocprim17ROCPRIM_400000_NS6detail17trampoline_kernelINS0_14default_configENS1_27lower_bound_config_selectorIilEEZNS1_14transform_implILb0ES3_S5_N6thrust23THRUST_200600_302600_NS6detail15normal_iteratorINS8_7pointerIiNS8_11hip_rocprim12par_nosync_tENS8_11use_defaultESE_EEEENSA_INSB_IlSD_SE_SE_EEEEZNS1_13binary_searchIS3_S5_NSA_INS8_10device_ptrIiEEEESG_SI_NS1_21lower_bound_search_opENS9_16wrapped_functionINS8_6system6detail7generic6detail18binary_search_lessEbEEEE10hipError_tPvRmT1_T2_T3_mmT4_T5_P12ihipStream_tbEUlRKiE_EESV_SZ_S10_mS11_S14_bEUlT_E_NS1_11comp_targetILNS1_3genE2ELNS1_11target_archE906ELNS1_3gpuE6ELNS1_3repE0EEENS1_30default_config_static_selectorELNS0_4arch9wavefront6targetE0EEEvSY_.has_recursion, 0
	.set _ZN7rocprim17ROCPRIM_400000_NS6detail17trampoline_kernelINS0_14default_configENS1_27lower_bound_config_selectorIilEEZNS1_14transform_implILb0ES3_S5_N6thrust23THRUST_200600_302600_NS6detail15normal_iteratorINS8_7pointerIiNS8_11hip_rocprim12par_nosync_tENS8_11use_defaultESE_EEEENSA_INSB_IlSD_SE_SE_EEEEZNS1_13binary_searchIS3_S5_NSA_INS8_10device_ptrIiEEEESG_SI_NS1_21lower_bound_search_opENS9_16wrapped_functionINS8_6system6detail7generic6detail18binary_search_lessEbEEEE10hipError_tPvRmT1_T2_T3_mmT4_T5_P12ihipStream_tbEUlRKiE_EESV_SZ_S10_mS11_S14_bEUlT_E_NS1_11comp_targetILNS1_3genE2ELNS1_11target_archE906ELNS1_3gpuE6ELNS1_3repE0EEENS1_30default_config_static_selectorELNS0_4arch9wavefront6targetE0EEEvSY_.has_indirect_call, 0
	.section	.AMDGPU.csdata,"",@progbits
; Kernel info:
; codeLenInByte = 0
; TotalNumSgprs: 0
; NumVgprs: 0
; ScratchSize: 0
; MemoryBound: 0
; FloatMode: 240
; IeeeMode: 1
; LDSByteSize: 0 bytes/workgroup (compile time only)
; SGPRBlocks: 0
; VGPRBlocks: 0
; NumSGPRsForWavesPerEU: 1
; NumVGPRsForWavesPerEU: 1
; Occupancy: 16
; WaveLimiterHint : 0
; COMPUTE_PGM_RSRC2:SCRATCH_EN: 0
; COMPUTE_PGM_RSRC2:USER_SGPR: 6
; COMPUTE_PGM_RSRC2:TRAP_HANDLER: 0
; COMPUTE_PGM_RSRC2:TGID_X_EN: 1
; COMPUTE_PGM_RSRC2:TGID_Y_EN: 0
; COMPUTE_PGM_RSRC2:TGID_Z_EN: 0
; COMPUTE_PGM_RSRC2:TIDIG_COMP_CNT: 0
	.section	.text._ZN7rocprim17ROCPRIM_400000_NS6detail17trampoline_kernelINS0_14default_configENS1_27lower_bound_config_selectorIilEEZNS1_14transform_implILb0ES3_S5_N6thrust23THRUST_200600_302600_NS6detail15normal_iteratorINS8_7pointerIiNS8_11hip_rocprim12par_nosync_tENS8_11use_defaultESE_EEEENSA_INSB_IlSD_SE_SE_EEEEZNS1_13binary_searchIS3_S5_NSA_INS8_10device_ptrIiEEEESG_SI_NS1_21lower_bound_search_opENS9_16wrapped_functionINS8_6system6detail7generic6detail18binary_search_lessEbEEEE10hipError_tPvRmT1_T2_T3_mmT4_T5_P12ihipStream_tbEUlRKiE_EESV_SZ_S10_mS11_S14_bEUlT_E_NS1_11comp_targetILNS1_3genE10ELNS1_11target_archE1201ELNS1_3gpuE5ELNS1_3repE0EEENS1_30default_config_static_selectorELNS0_4arch9wavefront6targetE0EEEvSY_,"axG",@progbits,_ZN7rocprim17ROCPRIM_400000_NS6detail17trampoline_kernelINS0_14default_configENS1_27lower_bound_config_selectorIilEEZNS1_14transform_implILb0ES3_S5_N6thrust23THRUST_200600_302600_NS6detail15normal_iteratorINS8_7pointerIiNS8_11hip_rocprim12par_nosync_tENS8_11use_defaultESE_EEEENSA_INSB_IlSD_SE_SE_EEEEZNS1_13binary_searchIS3_S5_NSA_INS8_10device_ptrIiEEEESG_SI_NS1_21lower_bound_search_opENS9_16wrapped_functionINS8_6system6detail7generic6detail18binary_search_lessEbEEEE10hipError_tPvRmT1_T2_T3_mmT4_T5_P12ihipStream_tbEUlRKiE_EESV_SZ_S10_mS11_S14_bEUlT_E_NS1_11comp_targetILNS1_3genE10ELNS1_11target_archE1201ELNS1_3gpuE5ELNS1_3repE0EEENS1_30default_config_static_selectorELNS0_4arch9wavefront6targetE0EEEvSY_,comdat
	.protected	_ZN7rocprim17ROCPRIM_400000_NS6detail17trampoline_kernelINS0_14default_configENS1_27lower_bound_config_selectorIilEEZNS1_14transform_implILb0ES3_S5_N6thrust23THRUST_200600_302600_NS6detail15normal_iteratorINS8_7pointerIiNS8_11hip_rocprim12par_nosync_tENS8_11use_defaultESE_EEEENSA_INSB_IlSD_SE_SE_EEEEZNS1_13binary_searchIS3_S5_NSA_INS8_10device_ptrIiEEEESG_SI_NS1_21lower_bound_search_opENS9_16wrapped_functionINS8_6system6detail7generic6detail18binary_search_lessEbEEEE10hipError_tPvRmT1_T2_T3_mmT4_T5_P12ihipStream_tbEUlRKiE_EESV_SZ_S10_mS11_S14_bEUlT_E_NS1_11comp_targetILNS1_3genE10ELNS1_11target_archE1201ELNS1_3gpuE5ELNS1_3repE0EEENS1_30default_config_static_selectorELNS0_4arch9wavefront6targetE0EEEvSY_ ; -- Begin function _ZN7rocprim17ROCPRIM_400000_NS6detail17trampoline_kernelINS0_14default_configENS1_27lower_bound_config_selectorIilEEZNS1_14transform_implILb0ES3_S5_N6thrust23THRUST_200600_302600_NS6detail15normal_iteratorINS8_7pointerIiNS8_11hip_rocprim12par_nosync_tENS8_11use_defaultESE_EEEENSA_INSB_IlSD_SE_SE_EEEEZNS1_13binary_searchIS3_S5_NSA_INS8_10device_ptrIiEEEESG_SI_NS1_21lower_bound_search_opENS9_16wrapped_functionINS8_6system6detail7generic6detail18binary_search_lessEbEEEE10hipError_tPvRmT1_T2_T3_mmT4_T5_P12ihipStream_tbEUlRKiE_EESV_SZ_S10_mS11_S14_bEUlT_E_NS1_11comp_targetILNS1_3genE10ELNS1_11target_archE1201ELNS1_3gpuE5ELNS1_3repE0EEENS1_30default_config_static_selectorELNS0_4arch9wavefront6targetE0EEEvSY_
	.globl	_ZN7rocprim17ROCPRIM_400000_NS6detail17trampoline_kernelINS0_14default_configENS1_27lower_bound_config_selectorIilEEZNS1_14transform_implILb0ES3_S5_N6thrust23THRUST_200600_302600_NS6detail15normal_iteratorINS8_7pointerIiNS8_11hip_rocprim12par_nosync_tENS8_11use_defaultESE_EEEENSA_INSB_IlSD_SE_SE_EEEEZNS1_13binary_searchIS3_S5_NSA_INS8_10device_ptrIiEEEESG_SI_NS1_21lower_bound_search_opENS9_16wrapped_functionINS8_6system6detail7generic6detail18binary_search_lessEbEEEE10hipError_tPvRmT1_T2_T3_mmT4_T5_P12ihipStream_tbEUlRKiE_EESV_SZ_S10_mS11_S14_bEUlT_E_NS1_11comp_targetILNS1_3genE10ELNS1_11target_archE1201ELNS1_3gpuE5ELNS1_3repE0EEENS1_30default_config_static_selectorELNS0_4arch9wavefront6targetE0EEEvSY_
	.p2align	8
	.type	_ZN7rocprim17ROCPRIM_400000_NS6detail17trampoline_kernelINS0_14default_configENS1_27lower_bound_config_selectorIilEEZNS1_14transform_implILb0ES3_S5_N6thrust23THRUST_200600_302600_NS6detail15normal_iteratorINS8_7pointerIiNS8_11hip_rocprim12par_nosync_tENS8_11use_defaultESE_EEEENSA_INSB_IlSD_SE_SE_EEEEZNS1_13binary_searchIS3_S5_NSA_INS8_10device_ptrIiEEEESG_SI_NS1_21lower_bound_search_opENS9_16wrapped_functionINS8_6system6detail7generic6detail18binary_search_lessEbEEEE10hipError_tPvRmT1_T2_T3_mmT4_T5_P12ihipStream_tbEUlRKiE_EESV_SZ_S10_mS11_S14_bEUlT_E_NS1_11comp_targetILNS1_3genE10ELNS1_11target_archE1201ELNS1_3gpuE5ELNS1_3repE0EEENS1_30default_config_static_selectorELNS0_4arch9wavefront6targetE0EEEvSY_,@function
_ZN7rocprim17ROCPRIM_400000_NS6detail17trampoline_kernelINS0_14default_configENS1_27lower_bound_config_selectorIilEEZNS1_14transform_implILb0ES3_S5_N6thrust23THRUST_200600_302600_NS6detail15normal_iteratorINS8_7pointerIiNS8_11hip_rocprim12par_nosync_tENS8_11use_defaultESE_EEEENSA_INSB_IlSD_SE_SE_EEEEZNS1_13binary_searchIS3_S5_NSA_INS8_10device_ptrIiEEEESG_SI_NS1_21lower_bound_search_opENS9_16wrapped_functionINS8_6system6detail7generic6detail18binary_search_lessEbEEEE10hipError_tPvRmT1_T2_T3_mmT4_T5_P12ihipStream_tbEUlRKiE_EESV_SZ_S10_mS11_S14_bEUlT_E_NS1_11comp_targetILNS1_3genE10ELNS1_11target_archE1201ELNS1_3gpuE5ELNS1_3repE0EEENS1_30default_config_static_selectorELNS0_4arch9wavefront6targetE0EEEvSY_: ; @_ZN7rocprim17ROCPRIM_400000_NS6detail17trampoline_kernelINS0_14default_configENS1_27lower_bound_config_selectorIilEEZNS1_14transform_implILb0ES3_S5_N6thrust23THRUST_200600_302600_NS6detail15normal_iteratorINS8_7pointerIiNS8_11hip_rocprim12par_nosync_tENS8_11use_defaultESE_EEEENSA_INSB_IlSD_SE_SE_EEEEZNS1_13binary_searchIS3_S5_NSA_INS8_10device_ptrIiEEEESG_SI_NS1_21lower_bound_search_opENS9_16wrapped_functionINS8_6system6detail7generic6detail18binary_search_lessEbEEEE10hipError_tPvRmT1_T2_T3_mmT4_T5_P12ihipStream_tbEUlRKiE_EESV_SZ_S10_mS11_S14_bEUlT_E_NS1_11comp_targetILNS1_3genE10ELNS1_11target_archE1201ELNS1_3gpuE5ELNS1_3repE0EEENS1_30default_config_static_selectorELNS0_4arch9wavefront6targetE0EEEvSY_
; %bb.0:
	.section	.rodata,"a",@progbits
	.p2align	6, 0x0
	.amdhsa_kernel _ZN7rocprim17ROCPRIM_400000_NS6detail17trampoline_kernelINS0_14default_configENS1_27lower_bound_config_selectorIilEEZNS1_14transform_implILb0ES3_S5_N6thrust23THRUST_200600_302600_NS6detail15normal_iteratorINS8_7pointerIiNS8_11hip_rocprim12par_nosync_tENS8_11use_defaultESE_EEEENSA_INSB_IlSD_SE_SE_EEEEZNS1_13binary_searchIS3_S5_NSA_INS8_10device_ptrIiEEEESG_SI_NS1_21lower_bound_search_opENS9_16wrapped_functionINS8_6system6detail7generic6detail18binary_search_lessEbEEEE10hipError_tPvRmT1_T2_T3_mmT4_T5_P12ihipStream_tbEUlRKiE_EESV_SZ_S10_mS11_S14_bEUlT_E_NS1_11comp_targetILNS1_3genE10ELNS1_11target_archE1201ELNS1_3gpuE5ELNS1_3repE0EEENS1_30default_config_static_selectorELNS0_4arch9wavefront6targetE0EEEvSY_
		.amdhsa_group_segment_fixed_size 0
		.amdhsa_private_segment_fixed_size 0
		.amdhsa_kernarg_size 56
		.amdhsa_user_sgpr_count 6
		.amdhsa_user_sgpr_private_segment_buffer 1
		.amdhsa_user_sgpr_dispatch_ptr 0
		.amdhsa_user_sgpr_queue_ptr 0
		.amdhsa_user_sgpr_kernarg_segment_ptr 1
		.amdhsa_user_sgpr_dispatch_id 0
		.amdhsa_user_sgpr_flat_scratch_init 0
		.amdhsa_user_sgpr_private_segment_size 0
		.amdhsa_wavefront_size32 1
		.amdhsa_uses_dynamic_stack 0
		.amdhsa_system_sgpr_private_segment_wavefront_offset 0
		.amdhsa_system_sgpr_workgroup_id_x 1
		.amdhsa_system_sgpr_workgroup_id_y 0
		.amdhsa_system_sgpr_workgroup_id_z 0
		.amdhsa_system_sgpr_workgroup_info 0
		.amdhsa_system_vgpr_workitem_id 0
		.amdhsa_next_free_vgpr 1
		.amdhsa_next_free_sgpr 1
		.amdhsa_reserve_vcc 0
		.amdhsa_reserve_flat_scratch 0
		.amdhsa_float_round_mode_32 0
		.amdhsa_float_round_mode_16_64 0
		.amdhsa_float_denorm_mode_32 3
		.amdhsa_float_denorm_mode_16_64 3
		.amdhsa_dx10_clamp 1
		.amdhsa_ieee_mode 1
		.amdhsa_fp16_overflow 0
		.amdhsa_workgroup_processor_mode 1
		.amdhsa_memory_ordered 1
		.amdhsa_forward_progress 1
		.amdhsa_shared_vgpr_count 0
		.amdhsa_exception_fp_ieee_invalid_op 0
		.amdhsa_exception_fp_denorm_src 0
		.amdhsa_exception_fp_ieee_div_zero 0
		.amdhsa_exception_fp_ieee_overflow 0
		.amdhsa_exception_fp_ieee_underflow 0
		.amdhsa_exception_fp_ieee_inexact 0
		.amdhsa_exception_int_div_zero 0
	.end_amdhsa_kernel
	.section	.text._ZN7rocprim17ROCPRIM_400000_NS6detail17trampoline_kernelINS0_14default_configENS1_27lower_bound_config_selectorIilEEZNS1_14transform_implILb0ES3_S5_N6thrust23THRUST_200600_302600_NS6detail15normal_iteratorINS8_7pointerIiNS8_11hip_rocprim12par_nosync_tENS8_11use_defaultESE_EEEENSA_INSB_IlSD_SE_SE_EEEEZNS1_13binary_searchIS3_S5_NSA_INS8_10device_ptrIiEEEESG_SI_NS1_21lower_bound_search_opENS9_16wrapped_functionINS8_6system6detail7generic6detail18binary_search_lessEbEEEE10hipError_tPvRmT1_T2_T3_mmT4_T5_P12ihipStream_tbEUlRKiE_EESV_SZ_S10_mS11_S14_bEUlT_E_NS1_11comp_targetILNS1_3genE10ELNS1_11target_archE1201ELNS1_3gpuE5ELNS1_3repE0EEENS1_30default_config_static_selectorELNS0_4arch9wavefront6targetE0EEEvSY_,"axG",@progbits,_ZN7rocprim17ROCPRIM_400000_NS6detail17trampoline_kernelINS0_14default_configENS1_27lower_bound_config_selectorIilEEZNS1_14transform_implILb0ES3_S5_N6thrust23THRUST_200600_302600_NS6detail15normal_iteratorINS8_7pointerIiNS8_11hip_rocprim12par_nosync_tENS8_11use_defaultESE_EEEENSA_INSB_IlSD_SE_SE_EEEEZNS1_13binary_searchIS3_S5_NSA_INS8_10device_ptrIiEEEESG_SI_NS1_21lower_bound_search_opENS9_16wrapped_functionINS8_6system6detail7generic6detail18binary_search_lessEbEEEE10hipError_tPvRmT1_T2_T3_mmT4_T5_P12ihipStream_tbEUlRKiE_EESV_SZ_S10_mS11_S14_bEUlT_E_NS1_11comp_targetILNS1_3genE10ELNS1_11target_archE1201ELNS1_3gpuE5ELNS1_3repE0EEENS1_30default_config_static_selectorELNS0_4arch9wavefront6targetE0EEEvSY_,comdat
.Lfunc_end399:
	.size	_ZN7rocprim17ROCPRIM_400000_NS6detail17trampoline_kernelINS0_14default_configENS1_27lower_bound_config_selectorIilEEZNS1_14transform_implILb0ES3_S5_N6thrust23THRUST_200600_302600_NS6detail15normal_iteratorINS8_7pointerIiNS8_11hip_rocprim12par_nosync_tENS8_11use_defaultESE_EEEENSA_INSB_IlSD_SE_SE_EEEEZNS1_13binary_searchIS3_S5_NSA_INS8_10device_ptrIiEEEESG_SI_NS1_21lower_bound_search_opENS9_16wrapped_functionINS8_6system6detail7generic6detail18binary_search_lessEbEEEE10hipError_tPvRmT1_T2_T3_mmT4_T5_P12ihipStream_tbEUlRKiE_EESV_SZ_S10_mS11_S14_bEUlT_E_NS1_11comp_targetILNS1_3genE10ELNS1_11target_archE1201ELNS1_3gpuE5ELNS1_3repE0EEENS1_30default_config_static_selectorELNS0_4arch9wavefront6targetE0EEEvSY_, .Lfunc_end399-_ZN7rocprim17ROCPRIM_400000_NS6detail17trampoline_kernelINS0_14default_configENS1_27lower_bound_config_selectorIilEEZNS1_14transform_implILb0ES3_S5_N6thrust23THRUST_200600_302600_NS6detail15normal_iteratorINS8_7pointerIiNS8_11hip_rocprim12par_nosync_tENS8_11use_defaultESE_EEEENSA_INSB_IlSD_SE_SE_EEEEZNS1_13binary_searchIS3_S5_NSA_INS8_10device_ptrIiEEEESG_SI_NS1_21lower_bound_search_opENS9_16wrapped_functionINS8_6system6detail7generic6detail18binary_search_lessEbEEEE10hipError_tPvRmT1_T2_T3_mmT4_T5_P12ihipStream_tbEUlRKiE_EESV_SZ_S10_mS11_S14_bEUlT_E_NS1_11comp_targetILNS1_3genE10ELNS1_11target_archE1201ELNS1_3gpuE5ELNS1_3repE0EEENS1_30default_config_static_selectorELNS0_4arch9wavefront6targetE0EEEvSY_
                                        ; -- End function
	.set _ZN7rocprim17ROCPRIM_400000_NS6detail17trampoline_kernelINS0_14default_configENS1_27lower_bound_config_selectorIilEEZNS1_14transform_implILb0ES3_S5_N6thrust23THRUST_200600_302600_NS6detail15normal_iteratorINS8_7pointerIiNS8_11hip_rocprim12par_nosync_tENS8_11use_defaultESE_EEEENSA_INSB_IlSD_SE_SE_EEEEZNS1_13binary_searchIS3_S5_NSA_INS8_10device_ptrIiEEEESG_SI_NS1_21lower_bound_search_opENS9_16wrapped_functionINS8_6system6detail7generic6detail18binary_search_lessEbEEEE10hipError_tPvRmT1_T2_T3_mmT4_T5_P12ihipStream_tbEUlRKiE_EESV_SZ_S10_mS11_S14_bEUlT_E_NS1_11comp_targetILNS1_3genE10ELNS1_11target_archE1201ELNS1_3gpuE5ELNS1_3repE0EEENS1_30default_config_static_selectorELNS0_4arch9wavefront6targetE0EEEvSY_.num_vgpr, 0
	.set _ZN7rocprim17ROCPRIM_400000_NS6detail17trampoline_kernelINS0_14default_configENS1_27lower_bound_config_selectorIilEEZNS1_14transform_implILb0ES3_S5_N6thrust23THRUST_200600_302600_NS6detail15normal_iteratorINS8_7pointerIiNS8_11hip_rocprim12par_nosync_tENS8_11use_defaultESE_EEEENSA_INSB_IlSD_SE_SE_EEEEZNS1_13binary_searchIS3_S5_NSA_INS8_10device_ptrIiEEEESG_SI_NS1_21lower_bound_search_opENS9_16wrapped_functionINS8_6system6detail7generic6detail18binary_search_lessEbEEEE10hipError_tPvRmT1_T2_T3_mmT4_T5_P12ihipStream_tbEUlRKiE_EESV_SZ_S10_mS11_S14_bEUlT_E_NS1_11comp_targetILNS1_3genE10ELNS1_11target_archE1201ELNS1_3gpuE5ELNS1_3repE0EEENS1_30default_config_static_selectorELNS0_4arch9wavefront6targetE0EEEvSY_.num_agpr, 0
	.set _ZN7rocprim17ROCPRIM_400000_NS6detail17trampoline_kernelINS0_14default_configENS1_27lower_bound_config_selectorIilEEZNS1_14transform_implILb0ES3_S5_N6thrust23THRUST_200600_302600_NS6detail15normal_iteratorINS8_7pointerIiNS8_11hip_rocprim12par_nosync_tENS8_11use_defaultESE_EEEENSA_INSB_IlSD_SE_SE_EEEEZNS1_13binary_searchIS3_S5_NSA_INS8_10device_ptrIiEEEESG_SI_NS1_21lower_bound_search_opENS9_16wrapped_functionINS8_6system6detail7generic6detail18binary_search_lessEbEEEE10hipError_tPvRmT1_T2_T3_mmT4_T5_P12ihipStream_tbEUlRKiE_EESV_SZ_S10_mS11_S14_bEUlT_E_NS1_11comp_targetILNS1_3genE10ELNS1_11target_archE1201ELNS1_3gpuE5ELNS1_3repE0EEENS1_30default_config_static_selectorELNS0_4arch9wavefront6targetE0EEEvSY_.numbered_sgpr, 0
	.set _ZN7rocprim17ROCPRIM_400000_NS6detail17trampoline_kernelINS0_14default_configENS1_27lower_bound_config_selectorIilEEZNS1_14transform_implILb0ES3_S5_N6thrust23THRUST_200600_302600_NS6detail15normal_iteratorINS8_7pointerIiNS8_11hip_rocprim12par_nosync_tENS8_11use_defaultESE_EEEENSA_INSB_IlSD_SE_SE_EEEEZNS1_13binary_searchIS3_S5_NSA_INS8_10device_ptrIiEEEESG_SI_NS1_21lower_bound_search_opENS9_16wrapped_functionINS8_6system6detail7generic6detail18binary_search_lessEbEEEE10hipError_tPvRmT1_T2_T3_mmT4_T5_P12ihipStream_tbEUlRKiE_EESV_SZ_S10_mS11_S14_bEUlT_E_NS1_11comp_targetILNS1_3genE10ELNS1_11target_archE1201ELNS1_3gpuE5ELNS1_3repE0EEENS1_30default_config_static_selectorELNS0_4arch9wavefront6targetE0EEEvSY_.num_named_barrier, 0
	.set _ZN7rocprim17ROCPRIM_400000_NS6detail17trampoline_kernelINS0_14default_configENS1_27lower_bound_config_selectorIilEEZNS1_14transform_implILb0ES3_S5_N6thrust23THRUST_200600_302600_NS6detail15normal_iteratorINS8_7pointerIiNS8_11hip_rocprim12par_nosync_tENS8_11use_defaultESE_EEEENSA_INSB_IlSD_SE_SE_EEEEZNS1_13binary_searchIS3_S5_NSA_INS8_10device_ptrIiEEEESG_SI_NS1_21lower_bound_search_opENS9_16wrapped_functionINS8_6system6detail7generic6detail18binary_search_lessEbEEEE10hipError_tPvRmT1_T2_T3_mmT4_T5_P12ihipStream_tbEUlRKiE_EESV_SZ_S10_mS11_S14_bEUlT_E_NS1_11comp_targetILNS1_3genE10ELNS1_11target_archE1201ELNS1_3gpuE5ELNS1_3repE0EEENS1_30default_config_static_selectorELNS0_4arch9wavefront6targetE0EEEvSY_.private_seg_size, 0
	.set _ZN7rocprim17ROCPRIM_400000_NS6detail17trampoline_kernelINS0_14default_configENS1_27lower_bound_config_selectorIilEEZNS1_14transform_implILb0ES3_S5_N6thrust23THRUST_200600_302600_NS6detail15normal_iteratorINS8_7pointerIiNS8_11hip_rocprim12par_nosync_tENS8_11use_defaultESE_EEEENSA_INSB_IlSD_SE_SE_EEEEZNS1_13binary_searchIS3_S5_NSA_INS8_10device_ptrIiEEEESG_SI_NS1_21lower_bound_search_opENS9_16wrapped_functionINS8_6system6detail7generic6detail18binary_search_lessEbEEEE10hipError_tPvRmT1_T2_T3_mmT4_T5_P12ihipStream_tbEUlRKiE_EESV_SZ_S10_mS11_S14_bEUlT_E_NS1_11comp_targetILNS1_3genE10ELNS1_11target_archE1201ELNS1_3gpuE5ELNS1_3repE0EEENS1_30default_config_static_selectorELNS0_4arch9wavefront6targetE0EEEvSY_.uses_vcc, 0
	.set _ZN7rocprim17ROCPRIM_400000_NS6detail17trampoline_kernelINS0_14default_configENS1_27lower_bound_config_selectorIilEEZNS1_14transform_implILb0ES3_S5_N6thrust23THRUST_200600_302600_NS6detail15normal_iteratorINS8_7pointerIiNS8_11hip_rocprim12par_nosync_tENS8_11use_defaultESE_EEEENSA_INSB_IlSD_SE_SE_EEEEZNS1_13binary_searchIS3_S5_NSA_INS8_10device_ptrIiEEEESG_SI_NS1_21lower_bound_search_opENS9_16wrapped_functionINS8_6system6detail7generic6detail18binary_search_lessEbEEEE10hipError_tPvRmT1_T2_T3_mmT4_T5_P12ihipStream_tbEUlRKiE_EESV_SZ_S10_mS11_S14_bEUlT_E_NS1_11comp_targetILNS1_3genE10ELNS1_11target_archE1201ELNS1_3gpuE5ELNS1_3repE0EEENS1_30default_config_static_selectorELNS0_4arch9wavefront6targetE0EEEvSY_.uses_flat_scratch, 0
	.set _ZN7rocprim17ROCPRIM_400000_NS6detail17trampoline_kernelINS0_14default_configENS1_27lower_bound_config_selectorIilEEZNS1_14transform_implILb0ES3_S5_N6thrust23THRUST_200600_302600_NS6detail15normal_iteratorINS8_7pointerIiNS8_11hip_rocprim12par_nosync_tENS8_11use_defaultESE_EEEENSA_INSB_IlSD_SE_SE_EEEEZNS1_13binary_searchIS3_S5_NSA_INS8_10device_ptrIiEEEESG_SI_NS1_21lower_bound_search_opENS9_16wrapped_functionINS8_6system6detail7generic6detail18binary_search_lessEbEEEE10hipError_tPvRmT1_T2_T3_mmT4_T5_P12ihipStream_tbEUlRKiE_EESV_SZ_S10_mS11_S14_bEUlT_E_NS1_11comp_targetILNS1_3genE10ELNS1_11target_archE1201ELNS1_3gpuE5ELNS1_3repE0EEENS1_30default_config_static_selectorELNS0_4arch9wavefront6targetE0EEEvSY_.has_dyn_sized_stack, 0
	.set _ZN7rocprim17ROCPRIM_400000_NS6detail17trampoline_kernelINS0_14default_configENS1_27lower_bound_config_selectorIilEEZNS1_14transform_implILb0ES3_S5_N6thrust23THRUST_200600_302600_NS6detail15normal_iteratorINS8_7pointerIiNS8_11hip_rocprim12par_nosync_tENS8_11use_defaultESE_EEEENSA_INSB_IlSD_SE_SE_EEEEZNS1_13binary_searchIS3_S5_NSA_INS8_10device_ptrIiEEEESG_SI_NS1_21lower_bound_search_opENS9_16wrapped_functionINS8_6system6detail7generic6detail18binary_search_lessEbEEEE10hipError_tPvRmT1_T2_T3_mmT4_T5_P12ihipStream_tbEUlRKiE_EESV_SZ_S10_mS11_S14_bEUlT_E_NS1_11comp_targetILNS1_3genE10ELNS1_11target_archE1201ELNS1_3gpuE5ELNS1_3repE0EEENS1_30default_config_static_selectorELNS0_4arch9wavefront6targetE0EEEvSY_.has_recursion, 0
	.set _ZN7rocprim17ROCPRIM_400000_NS6detail17trampoline_kernelINS0_14default_configENS1_27lower_bound_config_selectorIilEEZNS1_14transform_implILb0ES3_S5_N6thrust23THRUST_200600_302600_NS6detail15normal_iteratorINS8_7pointerIiNS8_11hip_rocprim12par_nosync_tENS8_11use_defaultESE_EEEENSA_INSB_IlSD_SE_SE_EEEEZNS1_13binary_searchIS3_S5_NSA_INS8_10device_ptrIiEEEESG_SI_NS1_21lower_bound_search_opENS9_16wrapped_functionINS8_6system6detail7generic6detail18binary_search_lessEbEEEE10hipError_tPvRmT1_T2_T3_mmT4_T5_P12ihipStream_tbEUlRKiE_EESV_SZ_S10_mS11_S14_bEUlT_E_NS1_11comp_targetILNS1_3genE10ELNS1_11target_archE1201ELNS1_3gpuE5ELNS1_3repE0EEENS1_30default_config_static_selectorELNS0_4arch9wavefront6targetE0EEEvSY_.has_indirect_call, 0
	.section	.AMDGPU.csdata,"",@progbits
; Kernel info:
; codeLenInByte = 0
; TotalNumSgprs: 0
; NumVgprs: 0
; ScratchSize: 0
; MemoryBound: 0
; FloatMode: 240
; IeeeMode: 1
; LDSByteSize: 0 bytes/workgroup (compile time only)
; SGPRBlocks: 0
; VGPRBlocks: 0
; NumSGPRsForWavesPerEU: 1
; NumVGPRsForWavesPerEU: 1
; Occupancy: 16
; WaveLimiterHint : 0
; COMPUTE_PGM_RSRC2:SCRATCH_EN: 0
; COMPUTE_PGM_RSRC2:USER_SGPR: 6
; COMPUTE_PGM_RSRC2:TRAP_HANDLER: 0
; COMPUTE_PGM_RSRC2:TGID_X_EN: 1
; COMPUTE_PGM_RSRC2:TGID_Y_EN: 0
; COMPUTE_PGM_RSRC2:TGID_Z_EN: 0
; COMPUTE_PGM_RSRC2:TIDIG_COMP_CNT: 0
	.section	.text._ZN7rocprim17ROCPRIM_400000_NS6detail17trampoline_kernelINS0_14default_configENS1_27lower_bound_config_selectorIilEEZNS1_14transform_implILb0ES3_S5_N6thrust23THRUST_200600_302600_NS6detail15normal_iteratorINS8_7pointerIiNS8_11hip_rocprim12par_nosync_tENS8_11use_defaultESE_EEEENSA_INSB_IlSD_SE_SE_EEEEZNS1_13binary_searchIS3_S5_NSA_INS8_10device_ptrIiEEEESG_SI_NS1_21lower_bound_search_opENS9_16wrapped_functionINS8_6system6detail7generic6detail18binary_search_lessEbEEEE10hipError_tPvRmT1_T2_T3_mmT4_T5_P12ihipStream_tbEUlRKiE_EESV_SZ_S10_mS11_S14_bEUlT_E_NS1_11comp_targetILNS1_3genE10ELNS1_11target_archE1200ELNS1_3gpuE4ELNS1_3repE0EEENS1_30default_config_static_selectorELNS0_4arch9wavefront6targetE0EEEvSY_,"axG",@progbits,_ZN7rocprim17ROCPRIM_400000_NS6detail17trampoline_kernelINS0_14default_configENS1_27lower_bound_config_selectorIilEEZNS1_14transform_implILb0ES3_S5_N6thrust23THRUST_200600_302600_NS6detail15normal_iteratorINS8_7pointerIiNS8_11hip_rocprim12par_nosync_tENS8_11use_defaultESE_EEEENSA_INSB_IlSD_SE_SE_EEEEZNS1_13binary_searchIS3_S5_NSA_INS8_10device_ptrIiEEEESG_SI_NS1_21lower_bound_search_opENS9_16wrapped_functionINS8_6system6detail7generic6detail18binary_search_lessEbEEEE10hipError_tPvRmT1_T2_T3_mmT4_T5_P12ihipStream_tbEUlRKiE_EESV_SZ_S10_mS11_S14_bEUlT_E_NS1_11comp_targetILNS1_3genE10ELNS1_11target_archE1200ELNS1_3gpuE4ELNS1_3repE0EEENS1_30default_config_static_selectorELNS0_4arch9wavefront6targetE0EEEvSY_,comdat
	.protected	_ZN7rocprim17ROCPRIM_400000_NS6detail17trampoline_kernelINS0_14default_configENS1_27lower_bound_config_selectorIilEEZNS1_14transform_implILb0ES3_S5_N6thrust23THRUST_200600_302600_NS6detail15normal_iteratorINS8_7pointerIiNS8_11hip_rocprim12par_nosync_tENS8_11use_defaultESE_EEEENSA_INSB_IlSD_SE_SE_EEEEZNS1_13binary_searchIS3_S5_NSA_INS8_10device_ptrIiEEEESG_SI_NS1_21lower_bound_search_opENS9_16wrapped_functionINS8_6system6detail7generic6detail18binary_search_lessEbEEEE10hipError_tPvRmT1_T2_T3_mmT4_T5_P12ihipStream_tbEUlRKiE_EESV_SZ_S10_mS11_S14_bEUlT_E_NS1_11comp_targetILNS1_3genE10ELNS1_11target_archE1200ELNS1_3gpuE4ELNS1_3repE0EEENS1_30default_config_static_selectorELNS0_4arch9wavefront6targetE0EEEvSY_ ; -- Begin function _ZN7rocprim17ROCPRIM_400000_NS6detail17trampoline_kernelINS0_14default_configENS1_27lower_bound_config_selectorIilEEZNS1_14transform_implILb0ES3_S5_N6thrust23THRUST_200600_302600_NS6detail15normal_iteratorINS8_7pointerIiNS8_11hip_rocprim12par_nosync_tENS8_11use_defaultESE_EEEENSA_INSB_IlSD_SE_SE_EEEEZNS1_13binary_searchIS3_S5_NSA_INS8_10device_ptrIiEEEESG_SI_NS1_21lower_bound_search_opENS9_16wrapped_functionINS8_6system6detail7generic6detail18binary_search_lessEbEEEE10hipError_tPvRmT1_T2_T3_mmT4_T5_P12ihipStream_tbEUlRKiE_EESV_SZ_S10_mS11_S14_bEUlT_E_NS1_11comp_targetILNS1_3genE10ELNS1_11target_archE1200ELNS1_3gpuE4ELNS1_3repE0EEENS1_30default_config_static_selectorELNS0_4arch9wavefront6targetE0EEEvSY_
	.globl	_ZN7rocprim17ROCPRIM_400000_NS6detail17trampoline_kernelINS0_14default_configENS1_27lower_bound_config_selectorIilEEZNS1_14transform_implILb0ES3_S5_N6thrust23THRUST_200600_302600_NS6detail15normal_iteratorINS8_7pointerIiNS8_11hip_rocprim12par_nosync_tENS8_11use_defaultESE_EEEENSA_INSB_IlSD_SE_SE_EEEEZNS1_13binary_searchIS3_S5_NSA_INS8_10device_ptrIiEEEESG_SI_NS1_21lower_bound_search_opENS9_16wrapped_functionINS8_6system6detail7generic6detail18binary_search_lessEbEEEE10hipError_tPvRmT1_T2_T3_mmT4_T5_P12ihipStream_tbEUlRKiE_EESV_SZ_S10_mS11_S14_bEUlT_E_NS1_11comp_targetILNS1_3genE10ELNS1_11target_archE1200ELNS1_3gpuE4ELNS1_3repE0EEENS1_30default_config_static_selectorELNS0_4arch9wavefront6targetE0EEEvSY_
	.p2align	8
	.type	_ZN7rocprim17ROCPRIM_400000_NS6detail17trampoline_kernelINS0_14default_configENS1_27lower_bound_config_selectorIilEEZNS1_14transform_implILb0ES3_S5_N6thrust23THRUST_200600_302600_NS6detail15normal_iteratorINS8_7pointerIiNS8_11hip_rocprim12par_nosync_tENS8_11use_defaultESE_EEEENSA_INSB_IlSD_SE_SE_EEEEZNS1_13binary_searchIS3_S5_NSA_INS8_10device_ptrIiEEEESG_SI_NS1_21lower_bound_search_opENS9_16wrapped_functionINS8_6system6detail7generic6detail18binary_search_lessEbEEEE10hipError_tPvRmT1_T2_T3_mmT4_T5_P12ihipStream_tbEUlRKiE_EESV_SZ_S10_mS11_S14_bEUlT_E_NS1_11comp_targetILNS1_3genE10ELNS1_11target_archE1200ELNS1_3gpuE4ELNS1_3repE0EEENS1_30default_config_static_selectorELNS0_4arch9wavefront6targetE0EEEvSY_,@function
_ZN7rocprim17ROCPRIM_400000_NS6detail17trampoline_kernelINS0_14default_configENS1_27lower_bound_config_selectorIilEEZNS1_14transform_implILb0ES3_S5_N6thrust23THRUST_200600_302600_NS6detail15normal_iteratorINS8_7pointerIiNS8_11hip_rocprim12par_nosync_tENS8_11use_defaultESE_EEEENSA_INSB_IlSD_SE_SE_EEEEZNS1_13binary_searchIS3_S5_NSA_INS8_10device_ptrIiEEEESG_SI_NS1_21lower_bound_search_opENS9_16wrapped_functionINS8_6system6detail7generic6detail18binary_search_lessEbEEEE10hipError_tPvRmT1_T2_T3_mmT4_T5_P12ihipStream_tbEUlRKiE_EESV_SZ_S10_mS11_S14_bEUlT_E_NS1_11comp_targetILNS1_3genE10ELNS1_11target_archE1200ELNS1_3gpuE4ELNS1_3repE0EEENS1_30default_config_static_selectorELNS0_4arch9wavefront6targetE0EEEvSY_: ; @_ZN7rocprim17ROCPRIM_400000_NS6detail17trampoline_kernelINS0_14default_configENS1_27lower_bound_config_selectorIilEEZNS1_14transform_implILb0ES3_S5_N6thrust23THRUST_200600_302600_NS6detail15normal_iteratorINS8_7pointerIiNS8_11hip_rocprim12par_nosync_tENS8_11use_defaultESE_EEEENSA_INSB_IlSD_SE_SE_EEEEZNS1_13binary_searchIS3_S5_NSA_INS8_10device_ptrIiEEEESG_SI_NS1_21lower_bound_search_opENS9_16wrapped_functionINS8_6system6detail7generic6detail18binary_search_lessEbEEEE10hipError_tPvRmT1_T2_T3_mmT4_T5_P12ihipStream_tbEUlRKiE_EESV_SZ_S10_mS11_S14_bEUlT_E_NS1_11comp_targetILNS1_3genE10ELNS1_11target_archE1200ELNS1_3gpuE4ELNS1_3repE0EEENS1_30default_config_static_selectorELNS0_4arch9wavefront6targetE0EEEvSY_
; %bb.0:
	.section	.rodata,"a",@progbits
	.p2align	6, 0x0
	.amdhsa_kernel _ZN7rocprim17ROCPRIM_400000_NS6detail17trampoline_kernelINS0_14default_configENS1_27lower_bound_config_selectorIilEEZNS1_14transform_implILb0ES3_S5_N6thrust23THRUST_200600_302600_NS6detail15normal_iteratorINS8_7pointerIiNS8_11hip_rocprim12par_nosync_tENS8_11use_defaultESE_EEEENSA_INSB_IlSD_SE_SE_EEEEZNS1_13binary_searchIS3_S5_NSA_INS8_10device_ptrIiEEEESG_SI_NS1_21lower_bound_search_opENS9_16wrapped_functionINS8_6system6detail7generic6detail18binary_search_lessEbEEEE10hipError_tPvRmT1_T2_T3_mmT4_T5_P12ihipStream_tbEUlRKiE_EESV_SZ_S10_mS11_S14_bEUlT_E_NS1_11comp_targetILNS1_3genE10ELNS1_11target_archE1200ELNS1_3gpuE4ELNS1_3repE0EEENS1_30default_config_static_selectorELNS0_4arch9wavefront6targetE0EEEvSY_
		.amdhsa_group_segment_fixed_size 0
		.amdhsa_private_segment_fixed_size 0
		.amdhsa_kernarg_size 56
		.amdhsa_user_sgpr_count 6
		.amdhsa_user_sgpr_private_segment_buffer 1
		.amdhsa_user_sgpr_dispatch_ptr 0
		.amdhsa_user_sgpr_queue_ptr 0
		.amdhsa_user_sgpr_kernarg_segment_ptr 1
		.amdhsa_user_sgpr_dispatch_id 0
		.amdhsa_user_sgpr_flat_scratch_init 0
		.amdhsa_user_sgpr_private_segment_size 0
		.amdhsa_wavefront_size32 1
		.amdhsa_uses_dynamic_stack 0
		.amdhsa_system_sgpr_private_segment_wavefront_offset 0
		.amdhsa_system_sgpr_workgroup_id_x 1
		.amdhsa_system_sgpr_workgroup_id_y 0
		.amdhsa_system_sgpr_workgroup_id_z 0
		.amdhsa_system_sgpr_workgroup_info 0
		.amdhsa_system_vgpr_workitem_id 0
		.amdhsa_next_free_vgpr 1
		.amdhsa_next_free_sgpr 1
		.amdhsa_reserve_vcc 0
		.amdhsa_reserve_flat_scratch 0
		.amdhsa_float_round_mode_32 0
		.amdhsa_float_round_mode_16_64 0
		.amdhsa_float_denorm_mode_32 3
		.amdhsa_float_denorm_mode_16_64 3
		.amdhsa_dx10_clamp 1
		.amdhsa_ieee_mode 1
		.amdhsa_fp16_overflow 0
		.amdhsa_workgroup_processor_mode 1
		.amdhsa_memory_ordered 1
		.amdhsa_forward_progress 1
		.amdhsa_shared_vgpr_count 0
		.amdhsa_exception_fp_ieee_invalid_op 0
		.amdhsa_exception_fp_denorm_src 0
		.amdhsa_exception_fp_ieee_div_zero 0
		.amdhsa_exception_fp_ieee_overflow 0
		.amdhsa_exception_fp_ieee_underflow 0
		.amdhsa_exception_fp_ieee_inexact 0
		.amdhsa_exception_int_div_zero 0
	.end_amdhsa_kernel
	.section	.text._ZN7rocprim17ROCPRIM_400000_NS6detail17trampoline_kernelINS0_14default_configENS1_27lower_bound_config_selectorIilEEZNS1_14transform_implILb0ES3_S5_N6thrust23THRUST_200600_302600_NS6detail15normal_iteratorINS8_7pointerIiNS8_11hip_rocprim12par_nosync_tENS8_11use_defaultESE_EEEENSA_INSB_IlSD_SE_SE_EEEEZNS1_13binary_searchIS3_S5_NSA_INS8_10device_ptrIiEEEESG_SI_NS1_21lower_bound_search_opENS9_16wrapped_functionINS8_6system6detail7generic6detail18binary_search_lessEbEEEE10hipError_tPvRmT1_T2_T3_mmT4_T5_P12ihipStream_tbEUlRKiE_EESV_SZ_S10_mS11_S14_bEUlT_E_NS1_11comp_targetILNS1_3genE10ELNS1_11target_archE1200ELNS1_3gpuE4ELNS1_3repE0EEENS1_30default_config_static_selectorELNS0_4arch9wavefront6targetE0EEEvSY_,"axG",@progbits,_ZN7rocprim17ROCPRIM_400000_NS6detail17trampoline_kernelINS0_14default_configENS1_27lower_bound_config_selectorIilEEZNS1_14transform_implILb0ES3_S5_N6thrust23THRUST_200600_302600_NS6detail15normal_iteratorINS8_7pointerIiNS8_11hip_rocprim12par_nosync_tENS8_11use_defaultESE_EEEENSA_INSB_IlSD_SE_SE_EEEEZNS1_13binary_searchIS3_S5_NSA_INS8_10device_ptrIiEEEESG_SI_NS1_21lower_bound_search_opENS9_16wrapped_functionINS8_6system6detail7generic6detail18binary_search_lessEbEEEE10hipError_tPvRmT1_T2_T3_mmT4_T5_P12ihipStream_tbEUlRKiE_EESV_SZ_S10_mS11_S14_bEUlT_E_NS1_11comp_targetILNS1_3genE10ELNS1_11target_archE1200ELNS1_3gpuE4ELNS1_3repE0EEENS1_30default_config_static_selectorELNS0_4arch9wavefront6targetE0EEEvSY_,comdat
.Lfunc_end400:
	.size	_ZN7rocprim17ROCPRIM_400000_NS6detail17trampoline_kernelINS0_14default_configENS1_27lower_bound_config_selectorIilEEZNS1_14transform_implILb0ES3_S5_N6thrust23THRUST_200600_302600_NS6detail15normal_iteratorINS8_7pointerIiNS8_11hip_rocprim12par_nosync_tENS8_11use_defaultESE_EEEENSA_INSB_IlSD_SE_SE_EEEEZNS1_13binary_searchIS3_S5_NSA_INS8_10device_ptrIiEEEESG_SI_NS1_21lower_bound_search_opENS9_16wrapped_functionINS8_6system6detail7generic6detail18binary_search_lessEbEEEE10hipError_tPvRmT1_T2_T3_mmT4_T5_P12ihipStream_tbEUlRKiE_EESV_SZ_S10_mS11_S14_bEUlT_E_NS1_11comp_targetILNS1_3genE10ELNS1_11target_archE1200ELNS1_3gpuE4ELNS1_3repE0EEENS1_30default_config_static_selectorELNS0_4arch9wavefront6targetE0EEEvSY_, .Lfunc_end400-_ZN7rocprim17ROCPRIM_400000_NS6detail17trampoline_kernelINS0_14default_configENS1_27lower_bound_config_selectorIilEEZNS1_14transform_implILb0ES3_S5_N6thrust23THRUST_200600_302600_NS6detail15normal_iteratorINS8_7pointerIiNS8_11hip_rocprim12par_nosync_tENS8_11use_defaultESE_EEEENSA_INSB_IlSD_SE_SE_EEEEZNS1_13binary_searchIS3_S5_NSA_INS8_10device_ptrIiEEEESG_SI_NS1_21lower_bound_search_opENS9_16wrapped_functionINS8_6system6detail7generic6detail18binary_search_lessEbEEEE10hipError_tPvRmT1_T2_T3_mmT4_T5_P12ihipStream_tbEUlRKiE_EESV_SZ_S10_mS11_S14_bEUlT_E_NS1_11comp_targetILNS1_3genE10ELNS1_11target_archE1200ELNS1_3gpuE4ELNS1_3repE0EEENS1_30default_config_static_selectorELNS0_4arch9wavefront6targetE0EEEvSY_
                                        ; -- End function
	.set _ZN7rocprim17ROCPRIM_400000_NS6detail17trampoline_kernelINS0_14default_configENS1_27lower_bound_config_selectorIilEEZNS1_14transform_implILb0ES3_S5_N6thrust23THRUST_200600_302600_NS6detail15normal_iteratorINS8_7pointerIiNS8_11hip_rocprim12par_nosync_tENS8_11use_defaultESE_EEEENSA_INSB_IlSD_SE_SE_EEEEZNS1_13binary_searchIS3_S5_NSA_INS8_10device_ptrIiEEEESG_SI_NS1_21lower_bound_search_opENS9_16wrapped_functionINS8_6system6detail7generic6detail18binary_search_lessEbEEEE10hipError_tPvRmT1_T2_T3_mmT4_T5_P12ihipStream_tbEUlRKiE_EESV_SZ_S10_mS11_S14_bEUlT_E_NS1_11comp_targetILNS1_3genE10ELNS1_11target_archE1200ELNS1_3gpuE4ELNS1_3repE0EEENS1_30default_config_static_selectorELNS0_4arch9wavefront6targetE0EEEvSY_.num_vgpr, 0
	.set _ZN7rocprim17ROCPRIM_400000_NS6detail17trampoline_kernelINS0_14default_configENS1_27lower_bound_config_selectorIilEEZNS1_14transform_implILb0ES3_S5_N6thrust23THRUST_200600_302600_NS6detail15normal_iteratorINS8_7pointerIiNS8_11hip_rocprim12par_nosync_tENS8_11use_defaultESE_EEEENSA_INSB_IlSD_SE_SE_EEEEZNS1_13binary_searchIS3_S5_NSA_INS8_10device_ptrIiEEEESG_SI_NS1_21lower_bound_search_opENS9_16wrapped_functionINS8_6system6detail7generic6detail18binary_search_lessEbEEEE10hipError_tPvRmT1_T2_T3_mmT4_T5_P12ihipStream_tbEUlRKiE_EESV_SZ_S10_mS11_S14_bEUlT_E_NS1_11comp_targetILNS1_3genE10ELNS1_11target_archE1200ELNS1_3gpuE4ELNS1_3repE0EEENS1_30default_config_static_selectorELNS0_4arch9wavefront6targetE0EEEvSY_.num_agpr, 0
	.set _ZN7rocprim17ROCPRIM_400000_NS6detail17trampoline_kernelINS0_14default_configENS1_27lower_bound_config_selectorIilEEZNS1_14transform_implILb0ES3_S5_N6thrust23THRUST_200600_302600_NS6detail15normal_iteratorINS8_7pointerIiNS8_11hip_rocprim12par_nosync_tENS8_11use_defaultESE_EEEENSA_INSB_IlSD_SE_SE_EEEEZNS1_13binary_searchIS3_S5_NSA_INS8_10device_ptrIiEEEESG_SI_NS1_21lower_bound_search_opENS9_16wrapped_functionINS8_6system6detail7generic6detail18binary_search_lessEbEEEE10hipError_tPvRmT1_T2_T3_mmT4_T5_P12ihipStream_tbEUlRKiE_EESV_SZ_S10_mS11_S14_bEUlT_E_NS1_11comp_targetILNS1_3genE10ELNS1_11target_archE1200ELNS1_3gpuE4ELNS1_3repE0EEENS1_30default_config_static_selectorELNS0_4arch9wavefront6targetE0EEEvSY_.numbered_sgpr, 0
	.set _ZN7rocprim17ROCPRIM_400000_NS6detail17trampoline_kernelINS0_14default_configENS1_27lower_bound_config_selectorIilEEZNS1_14transform_implILb0ES3_S5_N6thrust23THRUST_200600_302600_NS6detail15normal_iteratorINS8_7pointerIiNS8_11hip_rocprim12par_nosync_tENS8_11use_defaultESE_EEEENSA_INSB_IlSD_SE_SE_EEEEZNS1_13binary_searchIS3_S5_NSA_INS8_10device_ptrIiEEEESG_SI_NS1_21lower_bound_search_opENS9_16wrapped_functionINS8_6system6detail7generic6detail18binary_search_lessEbEEEE10hipError_tPvRmT1_T2_T3_mmT4_T5_P12ihipStream_tbEUlRKiE_EESV_SZ_S10_mS11_S14_bEUlT_E_NS1_11comp_targetILNS1_3genE10ELNS1_11target_archE1200ELNS1_3gpuE4ELNS1_3repE0EEENS1_30default_config_static_selectorELNS0_4arch9wavefront6targetE0EEEvSY_.num_named_barrier, 0
	.set _ZN7rocprim17ROCPRIM_400000_NS6detail17trampoline_kernelINS0_14default_configENS1_27lower_bound_config_selectorIilEEZNS1_14transform_implILb0ES3_S5_N6thrust23THRUST_200600_302600_NS6detail15normal_iteratorINS8_7pointerIiNS8_11hip_rocprim12par_nosync_tENS8_11use_defaultESE_EEEENSA_INSB_IlSD_SE_SE_EEEEZNS1_13binary_searchIS3_S5_NSA_INS8_10device_ptrIiEEEESG_SI_NS1_21lower_bound_search_opENS9_16wrapped_functionINS8_6system6detail7generic6detail18binary_search_lessEbEEEE10hipError_tPvRmT1_T2_T3_mmT4_T5_P12ihipStream_tbEUlRKiE_EESV_SZ_S10_mS11_S14_bEUlT_E_NS1_11comp_targetILNS1_3genE10ELNS1_11target_archE1200ELNS1_3gpuE4ELNS1_3repE0EEENS1_30default_config_static_selectorELNS0_4arch9wavefront6targetE0EEEvSY_.private_seg_size, 0
	.set _ZN7rocprim17ROCPRIM_400000_NS6detail17trampoline_kernelINS0_14default_configENS1_27lower_bound_config_selectorIilEEZNS1_14transform_implILb0ES3_S5_N6thrust23THRUST_200600_302600_NS6detail15normal_iteratorINS8_7pointerIiNS8_11hip_rocprim12par_nosync_tENS8_11use_defaultESE_EEEENSA_INSB_IlSD_SE_SE_EEEEZNS1_13binary_searchIS3_S5_NSA_INS8_10device_ptrIiEEEESG_SI_NS1_21lower_bound_search_opENS9_16wrapped_functionINS8_6system6detail7generic6detail18binary_search_lessEbEEEE10hipError_tPvRmT1_T2_T3_mmT4_T5_P12ihipStream_tbEUlRKiE_EESV_SZ_S10_mS11_S14_bEUlT_E_NS1_11comp_targetILNS1_3genE10ELNS1_11target_archE1200ELNS1_3gpuE4ELNS1_3repE0EEENS1_30default_config_static_selectorELNS0_4arch9wavefront6targetE0EEEvSY_.uses_vcc, 0
	.set _ZN7rocprim17ROCPRIM_400000_NS6detail17trampoline_kernelINS0_14default_configENS1_27lower_bound_config_selectorIilEEZNS1_14transform_implILb0ES3_S5_N6thrust23THRUST_200600_302600_NS6detail15normal_iteratorINS8_7pointerIiNS8_11hip_rocprim12par_nosync_tENS8_11use_defaultESE_EEEENSA_INSB_IlSD_SE_SE_EEEEZNS1_13binary_searchIS3_S5_NSA_INS8_10device_ptrIiEEEESG_SI_NS1_21lower_bound_search_opENS9_16wrapped_functionINS8_6system6detail7generic6detail18binary_search_lessEbEEEE10hipError_tPvRmT1_T2_T3_mmT4_T5_P12ihipStream_tbEUlRKiE_EESV_SZ_S10_mS11_S14_bEUlT_E_NS1_11comp_targetILNS1_3genE10ELNS1_11target_archE1200ELNS1_3gpuE4ELNS1_3repE0EEENS1_30default_config_static_selectorELNS0_4arch9wavefront6targetE0EEEvSY_.uses_flat_scratch, 0
	.set _ZN7rocprim17ROCPRIM_400000_NS6detail17trampoline_kernelINS0_14default_configENS1_27lower_bound_config_selectorIilEEZNS1_14transform_implILb0ES3_S5_N6thrust23THRUST_200600_302600_NS6detail15normal_iteratorINS8_7pointerIiNS8_11hip_rocprim12par_nosync_tENS8_11use_defaultESE_EEEENSA_INSB_IlSD_SE_SE_EEEEZNS1_13binary_searchIS3_S5_NSA_INS8_10device_ptrIiEEEESG_SI_NS1_21lower_bound_search_opENS9_16wrapped_functionINS8_6system6detail7generic6detail18binary_search_lessEbEEEE10hipError_tPvRmT1_T2_T3_mmT4_T5_P12ihipStream_tbEUlRKiE_EESV_SZ_S10_mS11_S14_bEUlT_E_NS1_11comp_targetILNS1_3genE10ELNS1_11target_archE1200ELNS1_3gpuE4ELNS1_3repE0EEENS1_30default_config_static_selectorELNS0_4arch9wavefront6targetE0EEEvSY_.has_dyn_sized_stack, 0
	.set _ZN7rocprim17ROCPRIM_400000_NS6detail17trampoline_kernelINS0_14default_configENS1_27lower_bound_config_selectorIilEEZNS1_14transform_implILb0ES3_S5_N6thrust23THRUST_200600_302600_NS6detail15normal_iteratorINS8_7pointerIiNS8_11hip_rocprim12par_nosync_tENS8_11use_defaultESE_EEEENSA_INSB_IlSD_SE_SE_EEEEZNS1_13binary_searchIS3_S5_NSA_INS8_10device_ptrIiEEEESG_SI_NS1_21lower_bound_search_opENS9_16wrapped_functionINS8_6system6detail7generic6detail18binary_search_lessEbEEEE10hipError_tPvRmT1_T2_T3_mmT4_T5_P12ihipStream_tbEUlRKiE_EESV_SZ_S10_mS11_S14_bEUlT_E_NS1_11comp_targetILNS1_3genE10ELNS1_11target_archE1200ELNS1_3gpuE4ELNS1_3repE0EEENS1_30default_config_static_selectorELNS0_4arch9wavefront6targetE0EEEvSY_.has_recursion, 0
	.set _ZN7rocprim17ROCPRIM_400000_NS6detail17trampoline_kernelINS0_14default_configENS1_27lower_bound_config_selectorIilEEZNS1_14transform_implILb0ES3_S5_N6thrust23THRUST_200600_302600_NS6detail15normal_iteratorINS8_7pointerIiNS8_11hip_rocprim12par_nosync_tENS8_11use_defaultESE_EEEENSA_INSB_IlSD_SE_SE_EEEEZNS1_13binary_searchIS3_S5_NSA_INS8_10device_ptrIiEEEESG_SI_NS1_21lower_bound_search_opENS9_16wrapped_functionINS8_6system6detail7generic6detail18binary_search_lessEbEEEE10hipError_tPvRmT1_T2_T3_mmT4_T5_P12ihipStream_tbEUlRKiE_EESV_SZ_S10_mS11_S14_bEUlT_E_NS1_11comp_targetILNS1_3genE10ELNS1_11target_archE1200ELNS1_3gpuE4ELNS1_3repE0EEENS1_30default_config_static_selectorELNS0_4arch9wavefront6targetE0EEEvSY_.has_indirect_call, 0
	.section	.AMDGPU.csdata,"",@progbits
; Kernel info:
; codeLenInByte = 0
; TotalNumSgprs: 0
; NumVgprs: 0
; ScratchSize: 0
; MemoryBound: 0
; FloatMode: 240
; IeeeMode: 1
; LDSByteSize: 0 bytes/workgroup (compile time only)
; SGPRBlocks: 0
; VGPRBlocks: 0
; NumSGPRsForWavesPerEU: 1
; NumVGPRsForWavesPerEU: 1
; Occupancy: 16
; WaveLimiterHint : 0
; COMPUTE_PGM_RSRC2:SCRATCH_EN: 0
; COMPUTE_PGM_RSRC2:USER_SGPR: 6
; COMPUTE_PGM_RSRC2:TRAP_HANDLER: 0
; COMPUTE_PGM_RSRC2:TGID_X_EN: 1
; COMPUTE_PGM_RSRC2:TGID_Y_EN: 0
; COMPUTE_PGM_RSRC2:TGID_Z_EN: 0
; COMPUTE_PGM_RSRC2:TIDIG_COMP_CNT: 0
	.section	.text._ZN7rocprim17ROCPRIM_400000_NS6detail17trampoline_kernelINS0_14default_configENS1_27lower_bound_config_selectorIilEEZNS1_14transform_implILb0ES3_S5_N6thrust23THRUST_200600_302600_NS6detail15normal_iteratorINS8_7pointerIiNS8_11hip_rocprim12par_nosync_tENS8_11use_defaultESE_EEEENSA_INSB_IlSD_SE_SE_EEEEZNS1_13binary_searchIS3_S5_NSA_INS8_10device_ptrIiEEEESG_SI_NS1_21lower_bound_search_opENS9_16wrapped_functionINS8_6system6detail7generic6detail18binary_search_lessEbEEEE10hipError_tPvRmT1_T2_T3_mmT4_T5_P12ihipStream_tbEUlRKiE_EESV_SZ_S10_mS11_S14_bEUlT_E_NS1_11comp_targetILNS1_3genE9ELNS1_11target_archE1100ELNS1_3gpuE3ELNS1_3repE0EEENS1_30default_config_static_selectorELNS0_4arch9wavefront6targetE0EEEvSY_,"axG",@progbits,_ZN7rocprim17ROCPRIM_400000_NS6detail17trampoline_kernelINS0_14default_configENS1_27lower_bound_config_selectorIilEEZNS1_14transform_implILb0ES3_S5_N6thrust23THRUST_200600_302600_NS6detail15normal_iteratorINS8_7pointerIiNS8_11hip_rocprim12par_nosync_tENS8_11use_defaultESE_EEEENSA_INSB_IlSD_SE_SE_EEEEZNS1_13binary_searchIS3_S5_NSA_INS8_10device_ptrIiEEEESG_SI_NS1_21lower_bound_search_opENS9_16wrapped_functionINS8_6system6detail7generic6detail18binary_search_lessEbEEEE10hipError_tPvRmT1_T2_T3_mmT4_T5_P12ihipStream_tbEUlRKiE_EESV_SZ_S10_mS11_S14_bEUlT_E_NS1_11comp_targetILNS1_3genE9ELNS1_11target_archE1100ELNS1_3gpuE3ELNS1_3repE0EEENS1_30default_config_static_selectorELNS0_4arch9wavefront6targetE0EEEvSY_,comdat
	.protected	_ZN7rocprim17ROCPRIM_400000_NS6detail17trampoline_kernelINS0_14default_configENS1_27lower_bound_config_selectorIilEEZNS1_14transform_implILb0ES3_S5_N6thrust23THRUST_200600_302600_NS6detail15normal_iteratorINS8_7pointerIiNS8_11hip_rocprim12par_nosync_tENS8_11use_defaultESE_EEEENSA_INSB_IlSD_SE_SE_EEEEZNS1_13binary_searchIS3_S5_NSA_INS8_10device_ptrIiEEEESG_SI_NS1_21lower_bound_search_opENS9_16wrapped_functionINS8_6system6detail7generic6detail18binary_search_lessEbEEEE10hipError_tPvRmT1_T2_T3_mmT4_T5_P12ihipStream_tbEUlRKiE_EESV_SZ_S10_mS11_S14_bEUlT_E_NS1_11comp_targetILNS1_3genE9ELNS1_11target_archE1100ELNS1_3gpuE3ELNS1_3repE0EEENS1_30default_config_static_selectorELNS0_4arch9wavefront6targetE0EEEvSY_ ; -- Begin function _ZN7rocprim17ROCPRIM_400000_NS6detail17trampoline_kernelINS0_14default_configENS1_27lower_bound_config_selectorIilEEZNS1_14transform_implILb0ES3_S5_N6thrust23THRUST_200600_302600_NS6detail15normal_iteratorINS8_7pointerIiNS8_11hip_rocprim12par_nosync_tENS8_11use_defaultESE_EEEENSA_INSB_IlSD_SE_SE_EEEEZNS1_13binary_searchIS3_S5_NSA_INS8_10device_ptrIiEEEESG_SI_NS1_21lower_bound_search_opENS9_16wrapped_functionINS8_6system6detail7generic6detail18binary_search_lessEbEEEE10hipError_tPvRmT1_T2_T3_mmT4_T5_P12ihipStream_tbEUlRKiE_EESV_SZ_S10_mS11_S14_bEUlT_E_NS1_11comp_targetILNS1_3genE9ELNS1_11target_archE1100ELNS1_3gpuE3ELNS1_3repE0EEENS1_30default_config_static_selectorELNS0_4arch9wavefront6targetE0EEEvSY_
	.globl	_ZN7rocprim17ROCPRIM_400000_NS6detail17trampoline_kernelINS0_14default_configENS1_27lower_bound_config_selectorIilEEZNS1_14transform_implILb0ES3_S5_N6thrust23THRUST_200600_302600_NS6detail15normal_iteratorINS8_7pointerIiNS8_11hip_rocprim12par_nosync_tENS8_11use_defaultESE_EEEENSA_INSB_IlSD_SE_SE_EEEEZNS1_13binary_searchIS3_S5_NSA_INS8_10device_ptrIiEEEESG_SI_NS1_21lower_bound_search_opENS9_16wrapped_functionINS8_6system6detail7generic6detail18binary_search_lessEbEEEE10hipError_tPvRmT1_T2_T3_mmT4_T5_P12ihipStream_tbEUlRKiE_EESV_SZ_S10_mS11_S14_bEUlT_E_NS1_11comp_targetILNS1_3genE9ELNS1_11target_archE1100ELNS1_3gpuE3ELNS1_3repE0EEENS1_30default_config_static_selectorELNS0_4arch9wavefront6targetE0EEEvSY_
	.p2align	8
	.type	_ZN7rocprim17ROCPRIM_400000_NS6detail17trampoline_kernelINS0_14default_configENS1_27lower_bound_config_selectorIilEEZNS1_14transform_implILb0ES3_S5_N6thrust23THRUST_200600_302600_NS6detail15normal_iteratorINS8_7pointerIiNS8_11hip_rocprim12par_nosync_tENS8_11use_defaultESE_EEEENSA_INSB_IlSD_SE_SE_EEEEZNS1_13binary_searchIS3_S5_NSA_INS8_10device_ptrIiEEEESG_SI_NS1_21lower_bound_search_opENS9_16wrapped_functionINS8_6system6detail7generic6detail18binary_search_lessEbEEEE10hipError_tPvRmT1_T2_T3_mmT4_T5_P12ihipStream_tbEUlRKiE_EESV_SZ_S10_mS11_S14_bEUlT_E_NS1_11comp_targetILNS1_3genE9ELNS1_11target_archE1100ELNS1_3gpuE3ELNS1_3repE0EEENS1_30default_config_static_selectorELNS0_4arch9wavefront6targetE0EEEvSY_,@function
_ZN7rocprim17ROCPRIM_400000_NS6detail17trampoline_kernelINS0_14default_configENS1_27lower_bound_config_selectorIilEEZNS1_14transform_implILb0ES3_S5_N6thrust23THRUST_200600_302600_NS6detail15normal_iteratorINS8_7pointerIiNS8_11hip_rocprim12par_nosync_tENS8_11use_defaultESE_EEEENSA_INSB_IlSD_SE_SE_EEEEZNS1_13binary_searchIS3_S5_NSA_INS8_10device_ptrIiEEEESG_SI_NS1_21lower_bound_search_opENS9_16wrapped_functionINS8_6system6detail7generic6detail18binary_search_lessEbEEEE10hipError_tPvRmT1_T2_T3_mmT4_T5_P12ihipStream_tbEUlRKiE_EESV_SZ_S10_mS11_S14_bEUlT_E_NS1_11comp_targetILNS1_3genE9ELNS1_11target_archE1100ELNS1_3gpuE3ELNS1_3repE0EEENS1_30default_config_static_selectorELNS0_4arch9wavefront6targetE0EEEvSY_: ; @_ZN7rocprim17ROCPRIM_400000_NS6detail17trampoline_kernelINS0_14default_configENS1_27lower_bound_config_selectorIilEEZNS1_14transform_implILb0ES3_S5_N6thrust23THRUST_200600_302600_NS6detail15normal_iteratorINS8_7pointerIiNS8_11hip_rocprim12par_nosync_tENS8_11use_defaultESE_EEEENSA_INSB_IlSD_SE_SE_EEEEZNS1_13binary_searchIS3_S5_NSA_INS8_10device_ptrIiEEEESG_SI_NS1_21lower_bound_search_opENS9_16wrapped_functionINS8_6system6detail7generic6detail18binary_search_lessEbEEEE10hipError_tPvRmT1_T2_T3_mmT4_T5_P12ihipStream_tbEUlRKiE_EESV_SZ_S10_mS11_S14_bEUlT_E_NS1_11comp_targetILNS1_3genE9ELNS1_11target_archE1100ELNS1_3gpuE3ELNS1_3repE0EEENS1_30default_config_static_selectorELNS0_4arch9wavefront6targetE0EEEvSY_
; %bb.0:
	.section	.rodata,"a",@progbits
	.p2align	6, 0x0
	.amdhsa_kernel _ZN7rocprim17ROCPRIM_400000_NS6detail17trampoline_kernelINS0_14default_configENS1_27lower_bound_config_selectorIilEEZNS1_14transform_implILb0ES3_S5_N6thrust23THRUST_200600_302600_NS6detail15normal_iteratorINS8_7pointerIiNS8_11hip_rocprim12par_nosync_tENS8_11use_defaultESE_EEEENSA_INSB_IlSD_SE_SE_EEEEZNS1_13binary_searchIS3_S5_NSA_INS8_10device_ptrIiEEEESG_SI_NS1_21lower_bound_search_opENS9_16wrapped_functionINS8_6system6detail7generic6detail18binary_search_lessEbEEEE10hipError_tPvRmT1_T2_T3_mmT4_T5_P12ihipStream_tbEUlRKiE_EESV_SZ_S10_mS11_S14_bEUlT_E_NS1_11comp_targetILNS1_3genE9ELNS1_11target_archE1100ELNS1_3gpuE3ELNS1_3repE0EEENS1_30default_config_static_selectorELNS0_4arch9wavefront6targetE0EEEvSY_
		.amdhsa_group_segment_fixed_size 0
		.amdhsa_private_segment_fixed_size 0
		.amdhsa_kernarg_size 56
		.amdhsa_user_sgpr_count 6
		.amdhsa_user_sgpr_private_segment_buffer 1
		.amdhsa_user_sgpr_dispatch_ptr 0
		.amdhsa_user_sgpr_queue_ptr 0
		.amdhsa_user_sgpr_kernarg_segment_ptr 1
		.amdhsa_user_sgpr_dispatch_id 0
		.amdhsa_user_sgpr_flat_scratch_init 0
		.amdhsa_user_sgpr_private_segment_size 0
		.amdhsa_wavefront_size32 1
		.amdhsa_uses_dynamic_stack 0
		.amdhsa_system_sgpr_private_segment_wavefront_offset 0
		.amdhsa_system_sgpr_workgroup_id_x 1
		.amdhsa_system_sgpr_workgroup_id_y 0
		.amdhsa_system_sgpr_workgroup_id_z 0
		.amdhsa_system_sgpr_workgroup_info 0
		.amdhsa_system_vgpr_workitem_id 0
		.amdhsa_next_free_vgpr 1
		.amdhsa_next_free_sgpr 1
		.amdhsa_reserve_vcc 0
		.amdhsa_reserve_flat_scratch 0
		.amdhsa_float_round_mode_32 0
		.amdhsa_float_round_mode_16_64 0
		.amdhsa_float_denorm_mode_32 3
		.amdhsa_float_denorm_mode_16_64 3
		.amdhsa_dx10_clamp 1
		.amdhsa_ieee_mode 1
		.amdhsa_fp16_overflow 0
		.amdhsa_workgroup_processor_mode 1
		.amdhsa_memory_ordered 1
		.amdhsa_forward_progress 1
		.amdhsa_shared_vgpr_count 0
		.amdhsa_exception_fp_ieee_invalid_op 0
		.amdhsa_exception_fp_denorm_src 0
		.amdhsa_exception_fp_ieee_div_zero 0
		.amdhsa_exception_fp_ieee_overflow 0
		.amdhsa_exception_fp_ieee_underflow 0
		.amdhsa_exception_fp_ieee_inexact 0
		.amdhsa_exception_int_div_zero 0
	.end_amdhsa_kernel
	.section	.text._ZN7rocprim17ROCPRIM_400000_NS6detail17trampoline_kernelINS0_14default_configENS1_27lower_bound_config_selectorIilEEZNS1_14transform_implILb0ES3_S5_N6thrust23THRUST_200600_302600_NS6detail15normal_iteratorINS8_7pointerIiNS8_11hip_rocprim12par_nosync_tENS8_11use_defaultESE_EEEENSA_INSB_IlSD_SE_SE_EEEEZNS1_13binary_searchIS3_S5_NSA_INS8_10device_ptrIiEEEESG_SI_NS1_21lower_bound_search_opENS9_16wrapped_functionINS8_6system6detail7generic6detail18binary_search_lessEbEEEE10hipError_tPvRmT1_T2_T3_mmT4_T5_P12ihipStream_tbEUlRKiE_EESV_SZ_S10_mS11_S14_bEUlT_E_NS1_11comp_targetILNS1_3genE9ELNS1_11target_archE1100ELNS1_3gpuE3ELNS1_3repE0EEENS1_30default_config_static_selectorELNS0_4arch9wavefront6targetE0EEEvSY_,"axG",@progbits,_ZN7rocprim17ROCPRIM_400000_NS6detail17trampoline_kernelINS0_14default_configENS1_27lower_bound_config_selectorIilEEZNS1_14transform_implILb0ES3_S5_N6thrust23THRUST_200600_302600_NS6detail15normal_iteratorINS8_7pointerIiNS8_11hip_rocprim12par_nosync_tENS8_11use_defaultESE_EEEENSA_INSB_IlSD_SE_SE_EEEEZNS1_13binary_searchIS3_S5_NSA_INS8_10device_ptrIiEEEESG_SI_NS1_21lower_bound_search_opENS9_16wrapped_functionINS8_6system6detail7generic6detail18binary_search_lessEbEEEE10hipError_tPvRmT1_T2_T3_mmT4_T5_P12ihipStream_tbEUlRKiE_EESV_SZ_S10_mS11_S14_bEUlT_E_NS1_11comp_targetILNS1_3genE9ELNS1_11target_archE1100ELNS1_3gpuE3ELNS1_3repE0EEENS1_30default_config_static_selectorELNS0_4arch9wavefront6targetE0EEEvSY_,comdat
.Lfunc_end401:
	.size	_ZN7rocprim17ROCPRIM_400000_NS6detail17trampoline_kernelINS0_14default_configENS1_27lower_bound_config_selectorIilEEZNS1_14transform_implILb0ES3_S5_N6thrust23THRUST_200600_302600_NS6detail15normal_iteratorINS8_7pointerIiNS8_11hip_rocprim12par_nosync_tENS8_11use_defaultESE_EEEENSA_INSB_IlSD_SE_SE_EEEEZNS1_13binary_searchIS3_S5_NSA_INS8_10device_ptrIiEEEESG_SI_NS1_21lower_bound_search_opENS9_16wrapped_functionINS8_6system6detail7generic6detail18binary_search_lessEbEEEE10hipError_tPvRmT1_T2_T3_mmT4_T5_P12ihipStream_tbEUlRKiE_EESV_SZ_S10_mS11_S14_bEUlT_E_NS1_11comp_targetILNS1_3genE9ELNS1_11target_archE1100ELNS1_3gpuE3ELNS1_3repE0EEENS1_30default_config_static_selectorELNS0_4arch9wavefront6targetE0EEEvSY_, .Lfunc_end401-_ZN7rocprim17ROCPRIM_400000_NS6detail17trampoline_kernelINS0_14default_configENS1_27lower_bound_config_selectorIilEEZNS1_14transform_implILb0ES3_S5_N6thrust23THRUST_200600_302600_NS6detail15normal_iteratorINS8_7pointerIiNS8_11hip_rocprim12par_nosync_tENS8_11use_defaultESE_EEEENSA_INSB_IlSD_SE_SE_EEEEZNS1_13binary_searchIS3_S5_NSA_INS8_10device_ptrIiEEEESG_SI_NS1_21lower_bound_search_opENS9_16wrapped_functionINS8_6system6detail7generic6detail18binary_search_lessEbEEEE10hipError_tPvRmT1_T2_T3_mmT4_T5_P12ihipStream_tbEUlRKiE_EESV_SZ_S10_mS11_S14_bEUlT_E_NS1_11comp_targetILNS1_3genE9ELNS1_11target_archE1100ELNS1_3gpuE3ELNS1_3repE0EEENS1_30default_config_static_selectorELNS0_4arch9wavefront6targetE0EEEvSY_
                                        ; -- End function
	.set _ZN7rocprim17ROCPRIM_400000_NS6detail17trampoline_kernelINS0_14default_configENS1_27lower_bound_config_selectorIilEEZNS1_14transform_implILb0ES3_S5_N6thrust23THRUST_200600_302600_NS6detail15normal_iteratorINS8_7pointerIiNS8_11hip_rocprim12par_nosync_tENS8_11use_defaultESE_EEEENSA_INSB_IlSD_SE_SE_EEEEZNS1_13binary_searchIS3_S5_NSA_INS8_10device_ptrIiEEEESG_SI_NS1_21lower_bound_search_opENS9_16wrapped_functionINS8_6system6detail7generic6detail18binary_search_lessEbEEEE10hipError_tPvRmT1_T2_T3_mmT4_T5_P12ihipStream_tbEUlRKiE_EESV_SZ_S10_mS11_S14_bEUlT_E_NS1_11comp_targetILNS1_3genE9ELNS1_11target_archE1100ELNS1_3gpuE3ELNS1_3repE0EEENS1_30default_config_static_selectorELNS0_4arch9wavefront6targetE0EEEvSY_.num_vgpr, 0
	.set _ZN7rocprim17ROCPRIM_400000_NS6detail17trampoline_kernelINS0_14default_configENS1_27lower_bound_config_selectorIilEEZNS1_14transform_implILb0ES3_S5_N6thrust23THRUST_200600_302600_NS6detail15normal_iteratorINS8_7pointerIiNS8_11hip_rocprim12par_nosync_tENS8_11use_defaultESE_EEEENSA_INSB_IlSD_SE_SE_EEEEZNS1_13binary_searchIS3_S5_NSA_INS8_10device_ptrIiEEEESG_SI_NS1_21lower_bound_search_opENS9_16wrapped_functionINS8_6system6detail7generic6detail18binary_search_lessEbEEEE10hipError_tPvRmT1_T2_T3_mmT4_T5_P12ihipStream_tbEUlRKiE_EESV_SZ_S10_mS11_S14_bEUlT_E_NS1_11comp_targetILNS1_3genE9ELNS1_11target_archE1100ELNS1_3gpuE3ELNS1_3repE0EEENS1_30default_config_static_selectorELNS0_4arch9wavefront6targetE0EEEvSY_.num_agpr, 0
	.set _ZN7rocprim17ROCPRIM_400000_NS6detail17trampoline_kernelINS0_14default_configENS1_27lower_bound_config_selectorIilEEZNS1_14transform_implILb0ES3_S5_N6thrust23THRUST_200600_302600_NS6detail15normal_iteratorINS8_7pointerIiNS8_11hip_rocprim12par_nosync_tENS8_11use_defaultESE_EEEENSA_INSB_IlSD_SE_SE_EEEEZNS1_13binary_searchIS3_S5_NSA_INS8_10device_ptrIiEEEESG_SI_NS1_21lower_bound_search_opENS9_16wrapped_functionINS8_6system6detail7generic6detail18binary_search_lessEbEEEE10hipError_tPvRmT1_T2_T3_mmT4_T5_P12ihipStream_tbEUlRKiE_EESV_SZ_S10_mS11_S14_bEUlT_E_NS1_11comp_targetILNS1_3genE9ELNS1_11target_archE1100ELNS1_3gpuE3ELNS1_3repE0EEENS1_30default_config_static_selectorELNS0_4arch9wavefront6targetE0EEEvSY_.numbered_sgpr, 0
	.set _ZN7rocprim17ROCPRIM_400000_NS6detail17trampoline_kernelINS0_14default_configENS1_27lower_bound_config_selectorIilEEZNS1_14transform_implILb0ES3_S5_N6thrust23THRUST_200600_302600_NS6detail15normal_iteratorINS8_7pointerIiNS8_11hip_rocprim12par_nosync_tENS8_11use_defaultESE_EEEENSA_INSB_IlSD_SE_SE_EEEEZNS1_13binary_searchIS3_S5_NSA_INS8_10device_ptrIiEEEESG_SI_NS1_21lower_bound_search_opENS9_16wrapped_functionINS8_6system6detail7generic6detail18binary_search_lessEbEEEE10hipError_tPvRmT1_T2_T3_mmT4_T5_P12ihipStream_tbEUlRKiE_EESV_SZ_S10_mS11_S14_bEUlT_E_NS1_11comp_targetILNS1_3genE9ELNS1_11target_archE1100ELNS1_3gpuE3ELNS1_3repE0EEENS1_30default_config_static_selectorELNS0_4arch9wavefront6targetE0EEEvSY_.num_named_barrier, 0
	.set _ZN7rocprim17ROCPRIM_400000_NS6detail17trampoline_kernelINS0_14default_configENS1_27lower_bound_config_selectorIilEEZNS1_14transform_implILb0ES3_S5_N6thrust23THRUST_200600_302600_NS6detail15normal_iteratorINS8_7pointerIiNS8_11hip_rocprim12par_nosync_tENS8_11use_defaultESE_EEEENSA_INSB_IlSD_SE_SE_EEEEZNS1_13binary_searchIS3_S5_NSA_INS8_10device_ptrIiEEEESG_SI_NS1_21lower_bound_search_opENS9_16wrapped_functionINS8_6system6detail7generic6detail18binary_search_lessEbEEEE10hipError_tPvRmT1_T2_T3_mmT4_T5_P12ihipStream_tbEUlRKiE_EESV_SZ_S10_mS11_S14_bEUlT_E_NS1_11comp_targetILNS1_3genE9ELNS1_11target_archE1100ELNS1_3gpuE3ELNS1_3repE0EEENS1_30default_config_static_selectorELNS0_4arch9wavefront6targetE0EEEvSY_.private_seg_size, 0
	.set _ZN7rocprim17ROCPRIM_400000_NS6detail17trampoline_kernelINS0_14default_configENS1_27lower_bound_config_selectorIilEEZNS1_14transform_implILb0ES3_S5_N6thrust23THRUST_200600_302600_NS6detail15normal_iteratorINS8_7pointerIiNS8_11hip_rocprim12par_nosync_tENS8_11use_defaultESE_EEEENSA_INSB_IlSD_SE_SE_EEEEZNS1_13binary_searchIS3_S5_NSA_INS8_10device_ptrIiEEEESG_SI_NS1_21lower_bound_search_opENS9_16wrapped_functionINS8_6system6detail7generic6detail18binary_search_lessEbEEEE10hipError_tPvRmT1_T2_T3_mmT4_T5_P12ihipStream_tbEUlRKiE_EESV_SZ_S10_mS11_S14_bEUlT_E_NS1_11comp_targetILNS1_3genE9ELNS1_11target_archE1100ELNS1_3gpuE3ELNS1_3repE0EEENS1_30default_config_static_selectorELNS0_4arch9wavefront6targetE0EEEvSY_.uses_vcc, 0
	.set _ZN7rocprim17ROCPRIM_400000_NS6detail17trampoline_kernelINS0_14default_configENS1_27lower_bound_config_selectorIilEEZNS1_14transform_implILb0ES3_S5_N6thrust23THRUST_200600_302600_NS6detail15normal_iteratorINS8_7pointerIiNS8_11hip_rocprim12par_nosync_tENS8_11use_defaultESE_EEEENSA_INSB_IlSD_SE_SE_EEEEZNS1_13binary_searchIS3_S5_NSA_INS8_10device_ptrIiEEEESG_SI_NS1_21lower_bound_search_opENS9_16wrapped_functionINS8_6system6detail7generic6detail18binary_search_lessEbEEEE10hipError_tPvRmT1_T2_T3_mmT4_T5_P12ihipStream_tbEUlRKiE_EESV_SZ_S10_mS11_S14_bEUlT_E_NS1_11comp_targetILNS1_3genE9ELNS1_11target_archE1100ELNS1_3gpuE3ELNS1_3repE0EEENS1_30default_config_static_selectorELNS0_4arch9wavefront6targetE0EEEvSY_.uses_flat_scratch, 0
	.set _ZN7rocprim17ROCPRIM_400000_NS6detail17trampoline_kernelINS0_14default_configENS1_27lower_bound_config_selectorIilEEZNS1_14transform_implILb0ES3_S5_N6thrust23THRUST_200600_302600_NS6detail15normal_iteratorINS8_7pointerIiNS8_11hip_rocprim12par_nosync_tENS8_11use_defaultESE_EEEENSA_INSB_IlSD_SE_SE_EEEEZNS1_13binary_searchIS3_S5_NSA_INS8_10device_ptrIiEEEESG_SI_NS1_21lower_bound_search_opENS9_16wrapped_functionINS8_6system6detail7generic6detail18binary_search_lessEbEEEE10hipError_tPvRmT1_T2_T3_mmT4_T5_P12ihipStream_tbEUlRKiE_EESV_SZ_S10_mS11_S14_bEUlT_E_NS1_11comp_targetILNS1_3genE9ELNS1_11target_archE1100ELNS1_3gpuE3ELNS1_3repE0EEENS1_30default_config_static_selectorELNS0_4arch9wavefront6targetE0EEEvSY_.has_dyn_sized_stack, 0
	.set _ZN7rocprim17ROCPRIM_400000_NS6detail17trampoline_kernelINS0_14default_configENS1_27lower_bound_config_selectorIilEEZNS1_14transform_implILb0ES3_S5_N6thrust23THRUST_200600_302600_NS6detail15normal_iteratorINS8_7pointerIiNS8_11hip_rocprim12par_nosync_tENS8_11use_defaultESE_EEEENSA_INSB_IlSD_SE_SE_EEEEZNS1_13binary_searchIS3_S5_NSA_INS8_10device_ptrIiEEEESG_SI_NS1_21lower_bound_search_opENS9_16wrapped_functionINS8_6system6detail7generic6detail18binary_search_lessEbEEEE10hipError_tPvRmT1_T2_T3_mmT4_T5_P12ihipStream_tbEUlRKiE_EESV_SZ_S10_mS11_S14_bEUlT_E_NS1_11comp_targetILNS1_3genE9ELNS1_11target_archE1100ELNS1_3gpuE3ELNS1_3repE0EEENS1_30default_config_static_selectorELNS0_4arch9wavefront6targetE0EEEvSY_.has_recursion, 0
	.set _ZN7rocprim17ROCPRIM_400000_NS6detail17trampoline_kernelINS0_14default_configENS1_27lower_bound_config_selectorIilEEZNS1_14transform_implILb0ES3_S5_N6thrust23THRUST_200600_302600_NS6detail15normal_iteratorINS8_7pointerIiNS8_11hip_rocprim12par_nosync_tENS8_11use_defaultESE_EEEENSA_INSB_IlSD_SE_SE_EEEEZNS1_13binary_searchIS3_S5_NSA_INS8_10device_ptrIiEEEESG_SI_NS1_21lower_bound_search_opENS9_16wrapped_functionINS8_6system6detail7generic6detail18binary_search_lessEbEEEE10hipError_tPvRmT1_T2_T3_mmT4_T5_P12ihipStream_tbEUlRKiE_EESV_SZ_S10_mS11_S14_bEUlT_E_NS1_11comp_targetILNS1_3genE9ELNS1_11target_archE1100ELNS1_3gpuE3ELNS1_3repE0EEENS1_30default_config_static_selectorELNS0_4arch9wavefront6targetE0EEEvSY_.has_indirect_call, 0
	.section	.AMDGPU.csdata,"",@progbits
; Kernel info:
; codeLenInByte = 0
; TotalNumSgprs: 0
; NumVgprs: 0
; ScratchSize: 0
; MemoryBound: 0
; FloatMode: 240
; IeeeMode: 1
; LDSByteSize: 0 bytes/workgroup (compile time only)
; SGPRBlocks: 0
; VGPRBlocks: 0
; NumSGPRsForWavesPerEU: 1
; NumVGPRsForWavesPerEU: 1
; Occupancy: 16
; WaveLimiterHint : 0
; COMPUTE_PGM_RSRC2:SCRATCH_EN: 0
; COMPUTE_PGM_RSRC2:USER_SGPR: 6
; COMPUTE_PGM_RSRC2:TRAP_HANDLER: 0
; COMPUTE_PGM_RSRC2:TGID_X_EN: 1
; COMPUTE_PGM_RSRC2:TGID_Y_EN: 0
; COMPUTE_PGM_RSRC2:TGID_Z_EN: 0
; COMPUTE_PGM_RSRC2:TIDIG_COMP_CNT: 0
	.section	.text._ZN7rocprim17ROCPRIM_400000_NS6detail17trampoline_kernelINS0_14default_configENS1_27lower_bound_config_selectorIilEEZNS1_14transform_implILb0ES3_S5_N6thrust23THRUST_200600_302600_NS6detail15normal_iteratorINS8_7pointerIiNS8_11hip_rocprim12par_nosync_tENS8_11use_defaultESE_EEEENSA_INSB_IlSD_SE_SE_EEEEZNS1_13binary_searchIS3_S5_NSA_INS8_10device_ptrIiEEEESG_SI_NS1_21lower_bound_search_opENS9_16wrapped_functionINS8_6system6detail7generic6detail18binary_search_lessEbEEEE10hipError_tPvRmT1_T2_T3_mmT4_T5_P12ihipStream_tbEUlRKiE_EESV_SZ_S10_mS11_S14_bEUlT_E_NS1_11comp_targetILNS1_3genE8ELNS1_11target_archE1030ELNS1_3gpuE2ELNS1_3repE0EEENS1_30default_config_static_selectorELNS0_4arch9wavefront6targetE0EEEvSY_,"axG",@progbits,_ZN7rocprim17ROCPRIM_400000_NS6detail17trampoline_kernelINS0_14default_configENS1_27lower_bound_config_selectorIilEEZNS1_14transform_implILb0ES3_S5_N6thrust23THRUST_200600_302600_NS6detail15normal_iteratorINS8_7pointerIiNS8_11hip_rocprim12par_nosync_tENS8_11use_defaultESE_EEEENSA_INSB_IlSD_SE_SE_EEEEZNS1_13binary_searchIS3_S5_NSA_INS8_10device_ptrIiEEEESG_SI_NS1_21lower_bound_search_opENS9_16wrapped_functionINS8_6system6detail7generic6detail18binary_search_lessEbEEEE10hipError_tPvRmT1_T2_T3_mmT4_T5_P12ihipStream_tbEUlRKiE_EESV_SZ_S10_mS11_S14_bEUlT_E_NS1_11comp_targetILNS1_3genE8ELNS1_11target_archE1030ELNS1_3gpuE2ELNS1_3repE0EEENS1_30default_config_static_selectorELNS0_4arch9wavefront6targetE0EEEvSY_,comdat
	.protected	_ZN7rocprim17ROCPRIM_400000_NS6detail17trampoline_kernelINS0_14default_configENS1_27lower_bound_config_selectorIilEEZNS1_14transform_implILb0ES3_S5_N6thrust23THRUST_200600_302600_NS6detail15normal_iteratorINS8_7pointerIiNS8_11hip_rocprim12par_nosync_tENS8_11use_defaultESE_EEEENSA_INSB_IlSD_SE_SE_EEEEZNS1_13binary_searchIS3_S5_NSA_INS8_10device_ptrIiEEEESG_SI_NS1_21lower_bound_search_opENS9_16wrapped_functionINS8_6system6detail7generic6detail18binary_search_lessEbEEEE10hipError_tPvRmT1_T2_T3_mmT4_T5_P12ihipStream_tbEUlRKiE_EESV_SZ_S10_mS11_S14_bEUlT_E_NS1_11comp_targetILNS1_3genE8ELNS1_11target_archE1030ELNS1_3gpuE2ELNS1_3repE0EEENS1_30default_config_static_selectorELNS0_4arch9wavefront6targetE0EEEvSY_ ; -- Begin function _ZN7rocprim17ROCPRIM_400000_NS6detail17trampoline_kernelINS0_14default_configENS1_27lower_bound_config_selectorIilEEZNS1_14transform_implILb0ES3_S5_N6thrust23THRUST_200600_302600_NS6detail15normal_iteratorINS8_7pointerIiNS8_11hip_rocprim12par_nosync_tENS8_11use_defaultESE_EEEENSA_INSB_IlSD_SE_SE_EEEEZNS1_13binary_searchIS3_S5_NSA_INS8_10device_ptrIiEEEESG_SI_NS1_21lower_bound_search_opENS9_16wrapped_functionINS8_6system6detail7generic6detail18binary_search_lessEbEEEE10hipError_tPvRmT1_T2_T3_mmT4_T5_P12ihipStream_tbEUlRKiE_EESV_SZ_S10_mS11_S14_bEUlT_E_NS1_11comp_targetILNS1_3genE8ELNS1_11target_archE1030ELNS1_3gpuE2ELNS1_3repE0EEENS1_30default_config_static_selectorELNS0_4arch9wavefront6targetE0EEEvSY_
	.globl	_ZN7rocprim17ROCPRIM_400000_NS6detail17trampoline_kernelINS0_14default_configENS1_27lower_bound_config_selectorIilEEZNS1_14transform_implILb0ES3_S5_N6thrust23THRUST_200600_302600_NS6detail15normal_iteratorINS8_7pointerIiNS8_11hip_rocprim12par_nosync_tENS8_11use_defaultESE_EEEENSA_INSB_IlSD_SE_SE_EEEEZNS1_13binary_searchIS3_S5_NSA_INS8_10device_ptrIiEEEESG_SI_NS1_21lower_bound_search_opENS9_16wrapped_functionINS8_6system6detail7generic6detail18binary_search_lessEbEEEE10hipError_tPvRmT1_T2_T3_mmT4_T5_P12ihipStream_tbEUlRKiE_EESV_SZ_S10_mS11_S14_bEUlT_E_NS1_11comp_targetILNS1_3genE8ELNS1_11target_archE1030ELNS1_3gpuE2ELNS1_3repE0EEENS1_30default_config_static_selectorELNS0_4arch9wavefront6targetE0EEEvSY_
	.p2align	8
	.type	_ZN7rocprim17ROCPRIM_400000_NS6detail17trampoline_kernelINS0_14default_configENS1_27lower_bound_config_selectorIilEEZNS1_14transform_implILb0ES3_S5_N6thrust23THRUST_200600_302600_NS6detail15normal_iteratorINS8_7pointerIiNS8_11hip_rocprim12par_nosync_tENS8_11use_defaultESE_EEEENSA_INSB_IlSD_SE_SE_EEEEZNS1_13binary_searchIS3_S5_NSA_INS8_10device_ptrIiEEEESG_SI_NS1_21lower_bound_search_opENS9_16wrapped_functionINS8_6system6detail7generic6detail18binary_search_lessEbEEEE10hipError_tPvRmT1_T2_T3_mmT4_T5_P12ihipStream_tbEUlRKiE_EESV_SZ_S10_mS11_S14_bEUlT_E_NS1_11comp_targetILNS1_3genE8ELNS1_11target_archE1030ELNS1_3gpuE2ELNS1_3repE0EEENS1_30default_config_static_selectorELNS0_4arch9wavefront6targetE0EEEvSY_,@function
_ZN7rocprim17ROCPRIM_400000_NS6detail17trampoline_kernelINS0_14default_configENS1_27lower_bound_config_selectorIilEEZNS1_14transform_implILb0ES3_S5_N6thrust23THRUST_200600_302600_NS6detail15normal_iteratorINS8_7pointerIiNS8_11hip_rocprim12par_nosync_tENS8_11use_defaultESE_EEEENSA_INSB_IlSD_SE_SE_EEEEZNS1_13binary_searchIS3_S5_NSA_INS8_10device_ptrIiEEEESG_SI_NS1_21lower_bound_search_opENS9_16wrapped_functionINS8_6system6detail7generic6detail18binary_search_lessEbEEEE10hipError_tPvRmT1_T2_T3_mmT4_T5_P12ihipStream_tbEUlRKiE_EESV_SZ_S10_mS11_S14_bEUlT_E_NS1_11comp_targetILNS1_3genE8ELNS1_11target_archE1030ELNS1_3gpuE2ELNS1_3repE0EEENS1_30default_config_static_selectorELNS0_4arch9wavefront6targetE0EEEvSY_: ; @_ZN7rocprim17ROCPRIM_400000_NS6detail17trampoline_kernelINS0_14default_configENS1_27lower_bound_config_selectorIilEEZNS1_14transform_implILb0ES3_S5_N6thrust23THRUST_200600_302600_NS6detail15normal_iteratorINS8_7pointerIiNS8_11hip_rocprim12par_nosync_tENS8_11use_defaultESE_EEEENSA_INSB_IlSD_SE_SE_EEEEZNS1_13binary_searchIS3_S5_NSA_INS8_10device_ptrIiEEEESG_SI_NS1_21lower_bound_search_opENS9_16wrapped_functionINS8_6system6detail7generic6detail18binary_search_lessEbEEEE10hipError_tPvRmT1_T2_T3_mmT4_T5_P12ihipStream_tbEUlRKiE_EESV_SZ_S10_mS11_S14_bEUlT_E_NS1_11comp_targetILNS1_3genE8ELNS1_11target_archE1030ELNS1_3gpuE2ELNS1_3repE0EEENS1_30default_config_static_selectorELNS0_4arch9wavefront6targetE0EEEvSY_
; %bb.0:
	s_clause 0x3
	s_load_dwordx4 s[12:15], s[4:5], 0x0
	s_load_dwordx4 s[0:3], s[4:5], 0x18
	s_load_dword s16, s[4:5], 0x38
	s_load_dwordx2 s[10:11], s[4:5], 0x28
	s_waitcnt lgkmcnt(0)
	s_lshl_b64 s[8:9], s[14:15], 2
	s_add_u32 s12, s12, s8
	s_addc_u32 s13, s13, s9
	s_lshl_b64 s[8:9], s[14:15], 3
	s_add_u32 s7, s0, s8
	s_addc_u32 s1, s1, s9
	s_add_i32 s16, s16, -1
	s_lshl_b32 s8, s6, 8
	s_mov_b32 s9, 0
	s_cmp_lg_u32 s6, s16
	s_mov_b32 s0, -1
	s_cbranch_scc0 .LBB402_7
; %bb.1:
	s_cmp_eq_u64 s[10:11], 0
	s_cbranch_scc1 .LBB402_5
; %bb.2:
	v_lshlrev_b32_e32 v1, 2, v0
	s_lshl_b64 s[14:15], s[8:9], 2
	v_mov_b32_e32 v3, s10
	s_add_u32 s0, s12, s14
	s_addc_u32 s6, s13, s15
	v_add_co_u32 v1, s0, s0, v1
	v_add_co_ci_u32_e64 v2, null, s6, 0, s0
	v_mov_b32_e32 v4, s11
	s_mov_b32 s0, 0
	flat_load_dword v5, v[1:2]
	v_mov_b32_e32 v1, 0
	v_mov_b32_e32 v2, 0
	s_inst_prefetch 0x1
	.p2align	6
.LBB402_3:                              ; =>This Inner Loop Header: Depth=1
	v_sub_co_u32 v6, vcc_lo, v3, v1
	v_sub_co_ci_u32_e64 v7, null, v4, v2, vcc_lo
	v_lshrrev_b64 v[8:9], 1, v[6:7]
	v_lshrrev_b64 v[6:7], 6, v[6:7]
	v_add_co_u32 v8, vcc_lo, v8, v1
	v_add_co_ci_u32_e64 v9, null, v9, v2, vcc_lo
	v_add_co_u32 v6, vcc_lo, v8, v6
	v_add_co_ci_u32_e64 v7, null, v9, v7, vcc_lo
	v_lshlrev_b64 v[8:9], 2, v[6:7]
	v_add_co_u32 v8, vcc_lo, s2, v8
	v_add_co_ci_u32_e64 v9, null, s3, v9, vcc_lo
	global_load_dword v8, v[8:9], off
	v_add_co_u32 v9, vcc_lo, v6, 1
	v_add_co_ci_u32_e64 v10, null, 0, v7, vcc_lo
	s_waitcnt vmcnt(0) lgkmcnt(0)
	v_cmp_lt_i32_e32 vcc_lo, v8, v5
	v_cndmask_b32_e32 v4, v7, v4, vcc_lo
	v_cndmask_b32_e32 v3, v6, v3, vcc_lo
	;; [unrolled: 1-line block ×4, first 2 shown]
	v_cmp_ge_u64_e32 vcc_lo, v[1:2], v[3:4]
	s_or_b32 s0, vcc_lo, s0
	s_andn2_b32 exec_lo, exec_lo, s0
	s_cbranch_execnz .LBB402_3
; %bb.4:
	s_inst_prefetch 0x2
	s_or_b32 exec_lo, exec_lo, s0
	s_branch .LBB402_6
.LBB402_5:
	v_mov_b32_e32 v1, 0
	v_mov_b32_e32 v2, 0
.LBB402_6:
	v_lshlrev_b32_e32 v3, 3, v0
	s_lshl_b64 s[14:15], s[8:9], 3
	s_add_u32 s0, s7, s14
	s_addc_u32 s6, s1, s15
	v_add_co_u32 v3, s0, s0, v3
	v_add_co_ci_u32_e64 v4, null, s6, 0, s0
	s_mov_b32 s0, 0
	flat_store_dwordx2 v[3:4], v[1:2]
.LBB402_7:
	s_and_b32 vcc_lo, exec_lo, s0
	s_cbranch_vccz .LBB402_16
; %bb.8:
	s_load_dword s0, s[4:5], 0x10
                                        ; implicit-def: $vgpr5
	s_waitcnt lgkmcnt(0)
	s_sub_i32 s4, s0, s8
	v_cmp_le_u32_e64 s0, s4, v0
	v_cmp_gt_u32_e32 vcc_lo, s4, v0
	s_and_saveexec_b32 s4, vcc_lo
	s_cbranch_execz .LBB402_10
; %bb.9:
	v_lshlrev_b32_e32 v1, 2, v0
	s_lshl_b64 s[14:15], s[8:9], 2
	s_add_u32 s5, s12, s14
	s_addc_u32 s6, s13, s15
	v_add_co_u32 v1, s5, s5, v1
	v_add_co_ci_u32_e64 v2, null, s6, 0, s5
	flat_load_dword v5, v[1:2]
.LBB402_10:
	s_or_b32 exec_lo, exec_lo, s4
	s_cmp_lg_u64 s[10:11], 0
	v_mov_b32_e32 v1, 0
	v_mov_b32_e32 v2, 0
	s_cselect_b32 s4, -1, 0
	s_xor_b32 s0, s0, -1
	s_and_b32 s0, s0, s4
	s_and_saveexec_b32 s4, s0
	s_cbranch_execz .LBB402_14
; %bb.11:
	v_mov_b32_e32 v1, 0
	v_mov_b32_e32 v3, s10
	;; [unrolled: 1-line block ×4, first 2 shown]
	s_mov_b32 s5, 0
	s_inst_prefetch 0x1
	.p2align	6
.LBB402_12:                             ; =>This Inner Loop Header: Depth=1
	v_sub_co_u32 v6, s0, v3, v1
	v_sub_co_ci_u32_e64 v7, null, v4, v2, s0
	v_lshrrev_b64 v[8:9], 1, v[6:7]
	v_lshrrev_b64 v[6:7], 6, v[6:7]
	v_add_co_u32 v8, s0, v8, v1
	v_add_co_ci_u32_e64 v9, null, v9, v2, s0
	v_add_co_u32 v6, s0, v8, v6
	v_add_co_ci_u32_e64 v7, null, v9, v7, s0
	v_lshlrev_b64 v[8:9], 2, v[6:7]
	v_add_co_u32 v8, s0, s2, v8
	v_add_co_ci_u32_e64 v9, null, s3, v9, s0
	global_load_dword v8, v[8:9], off
	v_add_co_u32 v9, s0, v6, 1
	v_add_co_ci_u32_e64 v10, null, 0, v7, s0
	s_waitcnt vmcnt(0) lgkmcnt(0)
	v_cmp_lt_i32_e64 s0, v8, v5
	v_cndmask_b32_e64 v4, v7, v4, s0
	v_cndmask_b32_e64 v3, v6, v3, s0
	;; [unrolled: 1-line block ×4, first 2 shown]
	v_cmp_ge_u64_e64 s0, v[1:2], v[3:4]
	s_or_b32 s5, s0, s5
	s_andn2_b32 exec_lo, exec_lo, s5
	s_cbranch_execnz .LBB402_12
; %bb.13:
	s_inst_prefetch 0x2
	s_or_b32 exec_lo, exec_lo, s5
.LBB402_14:
	s_or_b32 exec_lo, exec_lo, s4
	s_and_saveexec_b32 s0, vcc_lo
	s_cbranch_execz .LBB402_16
; %bb.15:
	v_lshlrev_b32_e32 v0, 3, v0
	s_lshl_b64 s[2:3], s[8:9], 3
	s_add_u32 s0, s7, s2
	s_addc_u32 s1, s1, s3
	v_add_co_u32 v3, s0, s0, v0
	v_add_co_ci_u32_e64 v4, null, s1, 0, s0
	flat_store_dwordx2 v[3:4], v[1:2]
.LBB402_16:
	s_endpgm
	.section	.rodata,"a",@progbits
	.p2align	6, 0x0
	.amdhsa_kernel _ZN7rocprim17ROCPRIM_400000_NS6detail17trampoline_kernelINS0_14default_configENS1_27lower_bound_config_selectorIilEEZNS1_14transform_implILb0ES3_S5_N6thrust23THRUST_200600_302600_NS6detail15normal_iteratorINS8_7pointerIiNS8_11hip_rocprim12par_nosync_tENS8_11use_defaultESE_EEEENSA_INSB_IlSD_SE_SE_EEEEZNS1_13binary_searchIS3_S5_NSA_INS8_10device_ptrIiEEEESG_SI_NS1_21lower_bound_search_opENS9_16wrapped_functionINS8_6system6detail7generic6detail18binary_search_lessEbEEEE10hipError_tPvRmT1_T2_T3_mmT4_T5_P12ihipStream_tbEUlRKiE_EESV_SZ_S10_mS11_S14_bEUlT_E_NS1_11comp_targetILNS1_3genE8ELNS1_11target_archE1030ELNS1_3gpuE2ELNS1_3repE0EEENS1_30default_config_static_selectorELNS0_4arch9wavefront6targetE0EEEvSY_
		.amdhsa_group_segment_fixed_size 0
		.amdhsa_private_segment_fixed_size 0
		.amdhsa_kernarg_size 312
		.amdhsa_user_sgpr_count 6
		.amdhsa_user_sgpr_private_segment_buffer 1
		.amdhsa_user_sgpr_dispatch_ptr 0
		.amdhsa_user_sgpr_queue_ptr 0
		.amdhsa_user_sgpr_kernarg_segment_ptr 1
		.amdhsa_user_sgpr_dispatch_id 0
		.amdhsa_user_sgpr_flat_scratch_init 0
		.amdhsa_user_sgpr_private_segment_size 0
		.amdhsa_wavefront_size32 1
		.amdhsa_uses_dynamic_stack 0
		.amdhsa_system_sgpr_private_segment_wavefront_offset 0
		.amdhsa_system_sgpr_workgroup_id_x 1
		.amdhsa_system_sgpr_workgroup_id_y 0
		.amdhsa_system_sgpr_workgroup_id_z 0
		.amdhsa_system_sgpr_workgroup_info 0
		.amdhsa_system_vgpr_workitem_id 0
		.amdhsa_next_free_vgpr 11
		.amdhsa_next_free_sgpr 17
		.amdhsa_reserve_vcc 1
		.amdhsa_reserve_flat_scratch 0
		.amdhsa_float_round_mode_32 0
		.amdhsa_float_round_mode_16_64 0
		.amdhsa_float_denorm_mode_32 3
		.amdhsa_float_denorm_mode_16_64 3
		.amdhsa_dx10_clamp 1
		.amdhsa_ieee_mode 1
		.amdhsa_fp16_overflow 0
		.amdhsa_workgroup_processor_mode 1
		.amdhsa_memory_ordered 1
		.amdhsa_forward_progress 1
		.amdhsa_shared_vgpr_count 0
		.amdhsa_exception_fp_ieee_invalid_op 0
		.amdhsa_exception_fp_denorm_src 0
		.amdhsa_exception_fp_ieee_div_zero 0
		.amdhsa_exception_fp_ieee_overflow 0
		.amdhsa_exception_fp_ieee_underflow 0
		.amdhsa_exception_fp_ieee_inexact 0
		.amdhsa_exception_int_div_zero 0
	.end_amdhsa_kernel
	.section	.text._ZN7rocprim17ROCPRIM_400000_NS6detail17trampoline_kernelINS0_14default_configENS1_27lower_bound_config_selectorIilEEZNS1_14transform_implILb0ES3_S5_N6thrust23THRUST_200600_302600_NS6detail15normal_iteratorINS8_7pointerIiNS8_11hip_rocprim12par_nosync_tENS8_11use_defaultESE_EEEENSA_INSB_IlSD_SE_SE_EEEEZNS1_13binary_searchIS3_S5_NSA_INS8_10device_ptrIiEEEESG_SI_NS1_21lower_bound_search_opENS9_16wrapped_functionINS8_6system6detail7generic6detail18binary_search_lessEbEEEE10hipError_tPvRmT1_T2_T3_mmT4_T5_P12ihipStream_tbEUlRKiE_EESV_SZ_S10_mS11_S14_bEUlT_E_NS1_11comp_targetILNS1_3genE8ELNS1_11target_archE1030ELNS1_3gpuE2ELNS1_3repE0EEENS1_30default_config_static_selectorELNS0_4arch9wavefront6targetE0EEEvSY_,"axG",@progbits,_ZN7rocprim17ROCPRIM_400000_NS6detail17trampoline_kernelINS0_14default_configENS1_27lower_bound_config_selectorIilEEZNS1_14transform_implILb0ES3_S5_N6thrust23THRUST_200600_302600_NS6detail15normal_iteratorINS8_7pointerIiNS8_11hip_rocprim12par_nosync_tENS8_11use_defaultESE_EEEENSA_INSB_IlSD_SE_SE_EEEEZNS1_13binary_searchIS3_S5_NSA_INS8_10device_ptrIiEEEESG_SI_NS1_21lower_bound_search_opENS9_16wrapped_functionINS8_6system6detail7generic6detail18binary_search_lessEbEEEE10hipError_tPvRmT1_T2_T3_mmT4_T5_P12ihipStream_tbEUlRKiE_EESV_SZ_S10_mS11_S14_bEUlT_E_NS1_11comp_targetILNS1_3genE8ELNS1_11target_archE1030ELNS1_3gpuE2ELNS1_3repE0EEENS1_30default_config_static_selectorELNS0_4arch9wavefront6targetE0EEEvSY_,comdat
.Lfunc_end402:
	.size	_ZN7rocprim17ROCPRIM_400000_NS6detail17trampoline_kernelINS0_14default_configENS1_27lower_bound_config_selectorIilEEZNS1_14transform_implILb0ES3_S5_N6thrust23THRUST_200600_302600_NS6detail15normal_iteratorINS8_7pointerIiNS8_11hip_rocprim12par_nosync_tENS8_11use_defaultESE_EEEENSA_INSB_IlSD_SE_SE_EEEEZNS1_13binary_searchIS3_S5_NSA_INS8_10device_ptrIiEEEESG_SI_NS1_21lower_bound_search_opENS9_16wrapped_functionINS8_6system6detail7generic6detail18binary_search_lessEbEEEE10hipError_tPvRmT1_T2_T3_mmT4_T5_P12ihipStream_tbEUlRKiE_EESV_SZ_S10_mS11_S14_bEUlT_E_NS1_11comp_targetILNS1_3genE8ELNS1_11target_archE1030ELNS1_3gpuE2ELNS1_3repE0EEENS1_30default_config_static_selectorELNS0_4arch9wavefront6targetE0EEEvSY_, .Lfunc_end402-_ZN7rocprim17ROCPRIM_400000_NS6detail17trampoline_kernelINS0_14default_configENS1_27lower_bound_config_selectorIilEEZNS1_14transform_implILb0ES3_S5_N6thrust23THRUST_200600_302600_NS6detail15normal_iteratorINS8_7pointerIiNS8_11hip_rocprim12par_nosync_tENS8_11use_defaultESE_EEEENSA_INSB_IlSD_SE_SE_EEEEZNS1_13binary_searchIS3_S5_NSA_INS8_10device_ptrIiEEEESG_SI_NS1_21lower_bound_search_opENS9_16wrapped_functionINS8_6system6detail7generic6detail18binary_search_lessEbEEEE10hipError_tPvRmT1_T2_T3_mmT4_T5_P12ihipStream_tbEUlRKiE_EESV_SZ_S10_mS11_S14_bEUlT_E_NS1_11comp_targetILNS1_3genE8ELNS1_11target_archE1030ELNS1_3gpuE2ELNS1_3repE0EEENS1_30default_config_static_selectorELNS0_4arch9wavefront6targetE0EEEvSY_
                                        ; -- End function
	.set _ZN7rocprim17ROCPRIM_400000_NS6detail17trampoline_kernelINS0_14default_configENS1_27lower_bound_config_selectorIilEEZNS1_14transform_implILb0ES3_S5_N6thrust23THRUST_200600_302600_NS6detail15normal_iteratorINS8_7pointerIiNS8_11hip_rocprim12par_nosync_tENS8_11use_defaultESE_EEEENSA_INSB_IlSD_SE_SE_EEEEZNS1_13binary_searchIS3_S5_NSA_INS8_10device_ptrIiEEEESG_SI_NS1_21lower_bound_search_opENS9_16wrapped_functionINS8_6system6detail7generic6detail18binary_search_lessEbEEEE10hipError_tPvRmT1_T2_T3_mmT4_T5_P12ihipStream_tbEUlRKiE_EESV_SZ_S10_mS11_S14_bEUlT_E_NS1_11comp_targetILNS1_3genE8ELNS1_11target_archE1030ELNS1_3gpuE2ELNS1_3repE0EEENS1_30default_config_static_selectorELNS0_4arch9wavefront6targetE0EEEvSY_.num_vgpr, 11
	.set _ZN7rocprim17ROCPRIM_400000_NS6detail17trampoline_kernelINS0_14default_configENS1_27lower_bound_config_selectorIilEEZNS1_14transform_implILb0ES3_S5_N6thrust23THRUST_200600_302600_NS6detail15normal_iteratorINS8_7pointerIiNS8_11hip_rocprim12par_nosync_tENS8_11use_defaultESE_EEEENSA_INSB_IlSD_SE_SE_EEEEZNS1_13binary_searchIS3_S5_NSA_INS8_10device_ptrIiEEEESG_SI_NS1_21lower_bound_search_opENS9_16wrapped_functionINS8_6system6detail7generic6detail18binary_search_lessEbEEEE10hipError_tPvRmT1_T2_T3_mmT4_T5_P12ihipStream_tbEUlRKiE_EESV_SZ_S10_mS11_S14_bEUlT_E_NS1_11comp_targetILNS1_3genE8ELNS1_11target_archE1030ELNS1_3gpuE2ELNS1_3repE0EEENS1_30default_config_static_selectorELNS0_4arch9wavefront6targetE0EEEvSY_.num_agpr, 0
	.set _ZN7rocprim17ROCPRIM_400000_NS6detail17trampoline_kernelINS0_14default_configENS1_27lower_bound_config_selectorIilEEZNS1_14transform_implILb0ES3_S5_N6thrust23THRUST_200600_302600_NS6detail15normal_iteratorINS8_7pointerIiNS8_11hip_rocprim12par_nosync_tENS8_11use_defaultESE_EEEENSA_INSB_IlSD_SE_SE_EEEEZNS1_13binary_searchIS3_S5_NSA_INS8_10device_ptrIiEEEESG_SI_NS1_21lower_bound_search_opENS9_16wrapped_functionINS8_6system6detail7generic6detail18binary_search_lessEbEEEE10hipError_tPvRmT1_T2_T3_mmT4_T5_P12ihipStream_tbEUlRKiE_EESV_SZ_S10_mS11_S14_bEUlT_E_NS1_11comp_targetILNS1_3genE8ELNS1_11target_archE1030ELNS1_3gpuE2ELNS1_3repE0EEENS1_30default_config_static_selectorELNS0_4arch9wavefront6targetE0EEEvSY_.numbered_sgpr, 17
	.set _ZN7rocprim17ROCPRIM_400000_NS6detail17trampoline_kernelINS0_14default_configENS1_27lower_bound_config_selectorIilEEZNS1_14transform_implILb0ES3_S5_N6thrust23THRUST_200600_302600_NS6detail15normal_iteratorINS8_7pointerIiNS8_11hip_rocprim12par_nosync_tENS8_11use_defaultESE_EEEENSA_INSB_IlSD_SE_SE_EEEEZNS1_13binary_searchIS3_S5_NSA_INS8_10device_ptrIiEEEESG_SI_NS1_21lower_bound_search_opENS9_16wrapped_functionINS8_6system6detail7generic6detail18binary_search_lessEbEEEE10hipError_tPvRmT1_T2_T3_mmT4_T5_P12ihipStream_tbEUlRKiE_EESV_SZ_S10_mS11_S14_bEUlT_E_NS1_11comp_targetILNS1_3genE8ELNS1_11target_archE1030ELNS1_3gpuE2ELNS1_3repE0EEENS1_30default_config_static_selectorELNS0_4arch9wavefront6targetE0EEEvSY_.num_named_barrier, 0
	.set _ZN7rocprim17ROCPRIM_400000_NS6detail17trampoline_kernelINS0_14default_configENS1_27lower_bound_config_selectorIilEEZNS1_14transform_implILb0ES3_S5_N6thrust23THRUST_200600_302600_NS6detail15normal_iteratorINS8_7pointerIiNS8_11hip_rocprim12par_nosync_tENS8_11use_defaultESE_EEEENSA_INSB_IlSD_SE_SE_EEEEZNS1_13binary_searchIS3_S5_NSA_INS8_10device_ptrIiEEEESG_SI_NS1_21lower_bound_search_opENS9_16wrapped_functionINS8_6system6detail7generic6detail18binary_search_lessEbEEEE10hipError_tPvRmT1_T2_T3_mmT4_T5_P12ihipStream_tbEUlRKiE_EESV_SZ_S10_mS11_S14_bEUlT_E_NS1_11comp_targetILNS1_3genE8ELNS1_11target_archE1030ELNS1_3gpuE2ELNS1_3repE0EEENS1_30default_config_static_selectorELNS0_4arch9wavefront6targetE0EEEvSY_.private_seg_size, 0
	.set _ZN7rocprim17ROCPRIM_400000_NS6detail17trampoline_kernelINS0_14default_configENS1_27lower_bound_config_selectorIilEEZNS1_14transform_implILb0ES3_S5_N6thrust23THRUST_200600_302600_NS6detail15normal_iteratorINS8_7pointerIiNS8_11hip_rocprim12par_nosync_tENS8_11use_defaultESE_EEEENSA_INSB_IlSD_SE_SE_EEEEZNS1_13binary_searchIS3_S5_NSA_INS8_10device_ptrIiEEEESG_SI_NS1_21lower_bound_search_opENS9_16wrapped_functionINS8_6system6detail7generic6detail18binary_search_lessEbEEEE10hipError_tPvRmT1_T2_T3_mmT4_T5_P12ihipStream_tbEUlRKiE_EESV_SZ_S10_mS11_S14_bEUlT_E_NS1_11comp_targetILNS1_3genE8ELNS1_11target_archE1030ELNS1_3gpuE2ELNS1_3repE0EEENS1_30default_config_static_selectorELNS0_4arch9wavefront6targetE0EEEvSY_.uses_vcc, 1
	.set _ZN7rocprim17ROCPRIM_400000_NS6detail17trampoline_kernelINS0_14default_configENS1_27lower_bound_config_selectorIilEEZNS1_14transform_implILb0ES3_S5_N6thrust23THRUST_200600_302600_NS6detail15normal_iteratorINS8_7pointerIiNS8_11hip_rocprim12par_nosync_tENS8_11use_defaultESE_EEEENSA_INSB_IlSD_SE_SE_EEEEZNS1_13binary_searchIS3_S5_NSA_INS8_10device_ptrIiEEEESG_SI_NS1_21lower_bound_search_opENS9_16wrapped_functionINS8_6system6detail7generic6detail18binary_search_lessEbEEEE10hipError_tPvRmT1_T2_T3_mmT4_T5_P12ihipStream_tbEUlRKiE_EESV_SZ_S10_mS11_S14_bEUlT_E_NS1_11comp_targetILNS1_3genE8ELNS1_11target_archE1030ELNS1_3gpuE2ELNS1_3repE0EEENS1_30default_config_static_selectorELNS0_4arch9wavefront6targetE0EEEvSY_.uses_flat_scratch, 0
	.set _ZN7rocprim17ROCPRIM_400000_NS6detail17trampoline_kernelINS0_14default_configENS1_27lower_bound_config_selectorIilEEZNS1_14transform_implILb0ES3_S5_N6thrust23THRUST_200600_302600_NS6detail15normal_iteratorINS8_7pointerIiNS8_11hip_rocprim12par_nosync_tENS8_11use_defaultESE_EEEENSA_INSB_IlSD_SE_SE_EEEEZNS1_13binary_searchIS3_S5_NSA_INS8_10device_ptrIiEEEESG_SI_NS1_21lower_bound_search_opENS9_16wrapped_functionINS8_6system6detail7generic6detail18binary_search_lessEbEEEE10hipError_tPvRmT1_T2_T3_mmT4_T5_P12ihipStream_tbEUlRKiE_EESV_SZ_S10_mS11_S14_bEUlT_E_NS1_11comp_targetILNS1_3genE8ELNS1_11target_archE1030ELNS1_3gpuE2ELNS1_3repE0EEENS1_30default_config_static_selectorELNS0_4arch9wavefront6targetE0EEEvSY_.has_dyn_sized_stack, 0
	.set _ZN7rocprim17ROCPRIM_400000_NS6detail17trampoline_kernelINS0_14default_configENS1_27lower_bound_config_selectorIilEEZNS1_14transform_implILb0ES3_S5_N6thrust23THRUST_200600_302600_NS6detail15normal_iteratorINS8_7pointerIiNS8_11hip_rocprim12par_nosync_tENS8_11use_defaultESE_EEEENSA_INSB_IlSD_SE_SE_EEEEZNS1_13binary_searchIS3_S5_NSA_INS8_10device_ptrIiEEEESG_SI_NS1_21lower_bound_search_opENS9_16wrapped_functionINS8_6system6detail7generic6detail18binary_search_lessEbEEEE10hipError_tPvRmT1_T2_T3_mmT4_T5_P12ihipStream_tbEUlRKiE_EESV_SZ_S10_mS11_S14_bEUlT_E_NS1_11comp_targetILNS1_3genE8ELNS1_11target_archE1030ELNS1_3gpuE2ELNS1_3repE0EEENS1_30default_config_static_selectorELNS0_4arch9wavefront6targetE0EEEvSY_.has_recursion, 0
	.set _ZN7rocprim17ROCPRIM_400000_NS6detail17trampoline_kernelINS0_14default_configENS1_27lower_bound_config_selectorIilEEZNS1_14transform_implILb0ES3_S5_N6thrust23THRUST_200600_302600_NS6detail15normal_iteratorINS8_7pointerIiNS8_11hip_rocprim12par_nosync_tENS8_11use_defaultESE_EEEENSA_INSB_IlSD_SE_SE_EEEEZNS1_13binary_searchIS3_S5_NSA_INS8_10device_ptrIiEEEESG_SI_NS1_21lower_bound_search_opENS9_16wrapped_functionINS8_6system6detail7generic6detail18binary_search_lessEbEEEE10hipError_tPvRmT1_T2_T3_mmT4_T5_P12ihipStream_tbEUlRKiE_EESV_SZ_S10_mS11_S14_bEUlT_E_NS1_11comp_targetILNS1_3genE8ELNS1_11target_archE1030ELNS1_3gpuE2ELNS1_3repE0EEENS1_30default_config_static_selectorELNS0_4arch9wavefront6targetE0EEEvSY_.has_indirect_call, 0
	.section	.AMDGPU.csdata,"",@progbits
; Kernel info:
; codeLenInByte = 816
; TotalNumSgprs: 19
; NumVgprs: 11
; ScratchSize: 0
; MemoryBound: 0
; FloatMode: 240
; IeeeMode: 1
; LDSByteSize: 0 bytes/workgroup (compile time only)
; SGPRBlocks: 0
; VGPRBlocks: 1
; NumSGPRsForWavesPerEU: 19
; NumVGPRsForWavesPerEU: 11
; Occupancy: 16
; WaveLimiterHint : 0
; COMPUTE_PGM_RSRC2:SCRATCH_EN: 0
; COMPUTE_PGM_RSRC2:USER_SGPR: 6
; COMPUTE_PGM_RSRC2:TRAP_HANDLER: 0
; COMPUTE_PGM_RSRC2:TGID_X_EN: 1
; COMPUTE_PGM_RSRC2:TGID_Y_EN: 0
; COMPUTE_PGM_RSRC2:TGID_Z_EN: 0
; COMPUTE_PGM_RSRC2:TIDIG_COMP_CNT: 0
	.section	.text._ZN7rocprim17ROCPRIM_400000_NS6detail17trampoline_kernelINS0_14default_configENS1_27lower_bound_config_selectorIilEEZNS1_14transform_implILb0ES3_S5_N6thrust23THRUST_200600_302600_NS6detail15normal_iteratorINS8_7pointerIiNS8_11hip_rocprim5par_tENS8_11use_defaultESE_EEEENSA_INSB_IlSD_SE_SE_EEEEZNS1_13binary_searchIS3_S5_NSA_INS8_10device_ptrIiEEEESG_SI_NS1_21lower_bound_search_opENS9_16wrapped_functionINS8_6system6detail7generic6detail18binary_search_lessEbEEEE10hipError_tPvRmT1_T2_T3_mmT4_T5_P12ihipStream_tbEUlRKiE_EESV_SZ_S10_mS11_S14_bEUlT_E_NS1_11comp_targetILNS1_3genE0ELNS1_11target_archE4294967295ELNS1_3gpuE0ELNS1_3repE0EEENS1_30default_config_static_selectorELNS0_4arch9wavefront6targetE0EEEvSY_,"axG",@progbits,_ZN7rocprim17ROCPRIM_400000_NS6detail17trampoline_kernelINS0_14default_configENS1_27lower_bound_config_selectorIilEEZNS1_14transform_implILb0ES3_S5_N6thrust23THRUST_200600_302600_NS6detail15normal_iteratorINS8_7pointerIiNS8_11hip_rocprim5par_tENS8_11use_defaultESE_EEEENSA_INSB_IlSD_SE_SE_EEEEZNS1_13binary_searchIS3_S5_NSA_INS8_10device_ptrIiEEEESG_SI_NS1_21lower_bound_search_opENS9_16wrapped_functionINS8_6system6detail7generic6detail18binary_search_lessEbEEEE10hipError_tPvRmT1_T2_T3_mmT4_T5_P12ihipStream_tbEUlRKiE_EESV_SZ_S10_mS11_S14_bEUlT_E_NS1_11comp_targetILNS1_3genE0ELNS1_11target_archE4294967295ELNS1_3gpuE0ELNS1_3repE0EEENS1_30default_config_static_selectorELNS0_4arch9wavefront6targetE0EEEvSY_,comdat
	.protected	_ZN7rocprim17ROCPRIM_400000_NS6detail17trampoline_kernelINS0_14default_configENS1_27lower_bound_config_selectorIilEEZNS1_14transform_implILb0ES3_S5_N6thrust23THRUST_200600_302600_NS6detail15normal_iteratorINS8_7pointerIiNS8_11hip_rocprim5par_tENS8_11use_defaultESE_EEEENSA_INSB_IlSD_SE_SE_EEEEZNS1_13binary_searchIS3_S5_NSA_INS8_10device_ptrIiEEEESG_SI_NS1_21lower_bound_search_opENS9_16wrapped_functionINS8_6system6detail7generic6detail18binary_search_lessEbEEEE10hipError_tPvRmT1_T2_T3_mmT4_T5_P12ihipStream_tbEUlRKiE_EESV_SZ_S10_mS11_S14_bEUlT_E_NS1_11comp_targetILNS1_3genE0ELNS1_11target_archE4294967295ELNS1_3gpuE0ELNS1_3repE0EEENS1_30default_config_static_selectorELNS0_4arch9wavefront6targetE0EEEvSY_ ; -- Begin function _ZN7rocprim17ROCPRIM_400000_NS6detail17trampoline_kernelINS0_14default_configENS1_27lower_bound_config_selectorIilEEZNS1_14transform_implILb0ES3_S5_N6thrust23THRUST_200600_302600_NS6detail15normal_iteratorINS8_7pointerIiNS8_11hip_rocprim5par_tENS8_11use_defaultESE_EEEENSA_INSB_IlSD_SE_SE_EEEEZNS1_13binary_searchIS3_S5_NSA_INS8_10device_ptrIiEEEESG_SI_NS1_21lower_bound_search_opENS9_16wrapped_functionINS8_6system6detail7generic6detail18binary_search_lessEbEEEE10hipError_tPvRmT1_T2_T3_mmT4_T5_P12ihipStream_tbEUlRKiE_EESV_SZ_S10_mS11_S14_bEUlT_E_NS1_11comp_targetILNS1_3genE0ELNS1_11target_archE4294967295ELNS1_3gpuE0ELNS1_3repE0EEENS1_30default_config_static_selectorELNS0_4arch9wavefront6targetE0EEEvSY_
	.globl	_ZN7rocprim17ROCPRIM_400000_NS6detail17trampoline_kernelINS0_14default_configENS1_27lower_bound_config_selectorIilEEZNS1_14transform_implILb0ES3_S5_N6thrust23THRUST_200600_302600_NS6detail15normal_iteratorINS8_7pointerIiNS8_11hip_rocprim5par_tENS8_11use_defaultESE_EEEENSA_INSB_IlSD_SE_SE_EEEEZNS1_13binary_searchIS3_S5_NSA_INS8_10device_ptrIiEEEESG_SI_NS1_21lower_bound_search_opENS9_16wrapped_functionINS8_6system6detail7generic6detail18binary_search_lessEbEEEE10hipError_tPvRmT1_T2_T3_mmT4_T5_P12ihipStream_tbEUlRKiE_EESV_SZ_S10_mS11_S14_bEUlT_E_NS1_11comp_targetILNS1_3genE0ELNS1_11target_archE4294967295ELNS1_3gpuE0ELNS1_3repE0EEENS1_30default_config_static_selectorELNS0_4arch9wavefront6targetE0EEEvSY_
	.p2align	8
	.type	_ZN7rocprim17ROCPRIM_400000_NS6detail17trampoline_kernelINS0_14default_configENS1_27lower_bound_config_selectorIilEEZNS1_14transform_implILb0ES3_S5_N6thrust23THRUST_200600_302600_NS6detail15normal_iteratorINS8_7pointerIiNS8_11hip_rocprim5par_tENS8_11use_defaultESE_EEEENSA_INSB_IlSD_SE_SE_EEEEZNS1_13binary_searchIS3_S5_NSA_INS8_10device_ptrIiEEEESG_SI_NS1_21lower_bound_search_opENS9_16wrapped_functionINS8_6system6detail7generic6detail18binary_search_lessEbEEEE10hipError_tPvRmT1_T2_T3_mmT4_T5_P12ihipStream_tbEUlRKiE_EESV_SZ_S10_mS11_S14_bEUlT_E_NS1_11comp_targetILNS1_3genE0ELNS1_11target_archE4294967295ELNS1_3gpuE0ELNS1_3repE0EEENS1_30default_config_static_selectorELNS0_4arch9wavefront6targetE0EEEvSY_,@function
_ZN7rocprim17ROCPRIM_400000_NS6detail17trampoline_kernelINS0_14default_configENS1_27lower_bound_config_selectorIilEEZNS1_14transform_implILb0ES3_S5_N6thrust23THRUST_200600_302600_NS6detail15normal_iteratorINS8_7pointerIiNS8_11hip_rocprim5par_tENS8_11use_defaultESE_EEEENSA_INSB_IlSD_SE_SE_EEEEZNS1_13binary_searchIS3_S5_NSA_INS8_10device_ptrIiEEEESG_SI_NS1_21lower_bound_search_opENS9_16wrapped_functionINS8_6system6detail7generic6detail18binary_search_lessEbEEEE10hipError_tPvRmT1_T2_T3_mmT4_T5_P12ihipStream_tbEUlRKiE_EESV_SZ_S10_mS11_S14_bEUlT_E_NS1_11comp_targetILNS1_3genE0ELNS1_11target_archE4294967295ELNS1_3gpuE0ELNS1_3repE0EEENS1_30default_config_static_selectorELNS0_4arch9wavefront6targetE0EEEvSY_: ; @_ZN7rocprim17ROCPRIM_400000_NS6detail17trampoline_kernelINS0_14default_configENS1_27lower_bound_config_selectorIilEEZNS1_14transform_implILb0ES3_S5_N6thrust23THRUST_200600_302600_NS6detail15normal_iteratorINS8_7pointerIiNS8_11hip_rocprim5par_tENS8_11use_defaultESE_EEEENSA_INSB_IlSD_SE_SE_EEEEZNS1_13binary_searchIS3_S5_NSA_INS8_10device_ptrIiEEEESG_SI_NS1_21lower_bound_search_opENS9_16wrapped_functionINS8_6system6detail7generic6detail18binary_search_lessEbEEEE10hipError_tPvRmT1_T2_T3_mmT4_T5_P12ihipStream_tbEUlRKiE_EESV_SZ_S10_mS11_S14_bEUlT_E_NS1_11comp_targetILNS1_3genE0ELNS1_11target_archE4294967295ELNS1_3gpuE0ELNS1_3repE0EEENS1_30default_config_static_selectorELNS0_4arch9wavefront6targetE0EEEvSY_
; %bb.0:
	.section	.rodata,"a",@progbits
	.p2align	6, 0x0
	.amdhsa_kernel _ZN7rocprim17ROCPRIM_400000_NS6detail17trampoline_kernelINS0_14default_configENS1_27lower_bound_config_selectorIilEEZNS1_14transform_implILb0ES3_S5_N6thrust23THRUST_200600_302600_NS6detail15normal_iteratorINS8_7pointerIiNS8_11hip_rocprim5par_tENS8_11use_defaultESE_EEEENSA_INSB_IlSD_SE_SE_EEEEZNS1_13binary_searchIS3_S5_NSA_INS8_10device_ptrIiEEEESG_SI_NS1_21lower_bound_search_opENS9_16wrapped_functionINS8_6system6detail7generic6detail18binary_search_lessEbEEEE10hipError_tPvRmT1_T2_T3_mmT4_T5_P12ihipStream_tbEUlRKiE_EESV_SZ_S10_mS11_S14_bEUlT_E_NS1_11comp_targetILNS1_3genE0ELNS1_11target_archE4294967295ELNS1_3gpuE0ELNS1_3repE0EEENS1_30default_config_static_selectorELNS0_4arch9wavefront6targetE0EEEvSY_
		.amdhsa_group_segment_fixed_size 0
		.amdhsa_private_segment_fixed_size 0
		.amdhsa_kernarg_size 56
		.amdhsa_user_sgpr_count 6
		.amdhsa_user_sgpr_private_segment_buffer 1
		.amdhsa_user_sgpr_dispatch_ptr 0
		.amdhsa_user_sgpr_queue_ptr 0
		.amdhsa_user_sgpr_kernarg_segment_ptr 1
		.amdhsa_user_sgpr_dispatch_id 0
		.amdhsa_user_sgpr_flat_scratch_init 0
		.amdhsa_user_sgpr_private_segment_size 0
		.amdhsa_wavefront_size32 1
		.amdhsa_uses_dynamic_stack 0
		.amdhsa_system_sgpr_private_segment_wavefront_offset 0
		.amdhsa_system_sgpr_workgroup_id_x 1
		.amdhsa_system_sgpr_workgroup_id_y 0
		.amdhsa_system_sgpr_workgroup_id_z 0
		.amdhsa_system_sgpr_workgroup_info 0
		.amdhsa_system_vgpr_workitem_id 0
		.amdhsa_next_free_vgpr 1
		.amdhsa_next_free_sgpr 1
		.amdhsa_reserve_vcc 0
		.amdhsa_reserve_flat_scratch 0
		.amdhsa_float_round_mode_32 0
		.amdhsa_float_round_mode_16_64 0
		.amdhsa_float_denorm_mode_32 3
		.amdhsa_float_denorm_mode_16_64 3
		.amdhsa_dx10_clamp 1
		.amdhsa_ieee_mode 1
		.amdhsa_fp16_overflow 0
		.amdhsa_workgroup_processor_mode 1
		.amdhsa_memory_ordered 1
		.amdhsa_forward_progress 1
		.amdhsa_shared_vgpr_count 0
		.amdhsa_exception_fp_ieee_invalid_op 0
		.amdhsa_exception_fp_denorm_src 0
		.amdhsa_exception_fp_ieee_div_zero 0
		.amdhsa_exception_fp_ieee_overflow 0
		.amdhsa_exception_fp_ieee_underflow 0
		.amdhsa_exception_fp_ieee_inexact 0
		.amdhsa_exception_int_div_zero 0
	.end_amdhsa_kernel
	.section	.text._ZN7rocprim17ROCPRIM_400000_NS6detail17trampoline_kernelINS0_14default_configENS1_27lower_bound_config_selectorIilEEZNS1_14transform_implILb0ES3_S5_N6thrust23THRUST_200600_302600_NS6detail15normal_iteratorINS8_7pointerIiNS8_11hip_rocprim5par_tENS8_11use_defaultESE_EEEENSA_INSB_IlSD_SE_SE_EEEEZNS1_13binary_searchIS3_S5_NSA_INS8_10device_ptrIiEEEESG_SI_NS1_21lower_bound_search_opENS9_16wrapped_functionINS8_6system6detail7generic6detail18binary_search_lessEbEEEE10hipError_tPvRmT1_T2_T3_mmT4_T5_P12ihipStream_tbEUlRKiE_EESV_SZ_S10_mS11_S14_bEUlT_E_NS1_11comp_targetILNS1_3genE0ELNS1_11target_archE4294967295ELNS1_3gpuE0ELNS1_3repE0EEENS1_30default_config_static_selectorELNS0_4arch9wavefront6targetE0EEEvSY_,"axG",@progbits,_ZN7rocprim17ROCPRIM_400000_NS6detail17trampoline_kernelINS0_14default_configENS1_27lower_bound_config_selectorIilEEZNS1_14transform_implILb0ES3_S5_N6thrust23THRUST_200600_302600_NS6detail15normal_iteratorINS8_7pointerIiNS8_11hip_rocprim5par_tENS8_11use_defaultESE_EEEENSA_INSB_IlSD_SE_SE_EEEEZNS1_13binary_searchIS3_S5_NSA_INS8_10device_ptrIiEEEESG_SI_NS1_21lower_bound_search_opENS9_16wrapped_functionINS8_6system6detail7generic6detail18binary_search_lessEbEEEE10hipError_tPvRmT1_T2_T3_mmT4_T5_P12ihipStream_tbEUlRKiE_EESV_SZ_S10_mS11_S14_bEUlT_E_NS1_11comp_targetILNS1_3genE0ELNS1_11target_archE4294967295ELNS1_3gpuE0ELNS1_3repE0EEENS1_30default_config_static_selectorELNS0_4arch9wavefront6targetE0EEEvSY_,comdat
.Lfunc_end403:
	.size	_ZN7rocprim17ROCPRIM_400000_NS6detail17trampoline_kernelINS0_14default_configENS1_27lower_bound_config_selectorIilEEZNS1_14transform_implILb0ES3_S5_N6thrust23THRUST_200600_302600_NS6detail15normal_iteratorINS8_7pointerIiNS8_11hip_rocprim5par_tENS8_11use_defaultESE_EEEENSA_INSB_IlSD_SE_SE_EEEEZNS1_13binary_searchIS3_S5_NSA_INS8_10device_ptrIiEEEESG_SI_NS1_21lower_bound_search_opENS9_16wrapped_functionINS8_6system6detail7generic6detail18binary_search_lessEbEEEE10hipError_tPvRmT1_T2_T3_mmT4_T5_P12ihipStream_tbEUlRKiE_EESV_SZ_S10_mS11_S14_bEUlT_E_NS1_11comp_targetILNS1_3genE0ELNS1_11target_archE4294967295ELNS1_3gpuE0ELNS1_3repE0EEENS1_30default_config_static_selectorELNS0_4arch9wavefront6targetE0EEEvSY_, .Lfunc_end403-_ZN7rocprim17ROCPRIM_400000_NS6detail17trampoline_kernelINS0_14default_configENS1_27lower_bound_config_selectorIilEEZNS1_14transform_implILb0ES3_S5_N6thrust23THRUST_200600_302600_NS6detail15normal_iteratorINS8_7pointerIiNS8_11hip_rocprim5par_tENS8_11use_defaultESE_EEEENSA_INSB_IlSD_SE_SE_EEEEZNS1_13binary_searchIS3_S5_NSA_INS8_10device_ptrIiEEEESG_SI_NS1_21lower_bound_search_opENS9_16wrapped_functionINS8_6system6detail7generic6detail18binary_search_lessEbEEEE10hipError_tPvRmT1_T2_T3_mmT4_T5_P12ihipStream_tbEUlRKiE_EESV_SZ_S10_mS11_S14_bEUlT_E_NS1_11comp_targetILNS1_3genE0ELNS1_11target_archE4294967295ELNS1_3gpuE0ELNS1_3repE0EEENS1_30default_config_static_selectorELNS0_4arch9wavefront6targetE0EEEvSY_
                                        ; -- End function
	.set _ZN7rocprim17ROCPRIM_400000_NS6detail17trampoline_kernelINS0_14default_configENS1_27lower_bound_config_selectorIilEEZNS1_14transform_implILb0ES3_S5_N6thrust23THRUST_200600_302600_NS6detail15normal_iteratorINS8_7pointerIiNS8_11hip_rocprim5par_tENS8_11use_defaultESE_EEEENSA_INSB_IlSD_SE_SE_EEEEZNS1_13binary_searchIS3_S5_NSA_INS8_10device_ptrIiEEEESG_SI_NS1_21lower_bound_search_opENS9_16wrapped_functionINS8_6system6detail7generic6detail18binary_search_lessEbEEEE10hipError_tPvRmT1_T2_T3_mmT4_T5_P12ihipStream_tbEUlRKiE_EESV_SZ_S10_mS11_S14_bEUlT_E_NS1_11comp_targetILNS1_3genE0ELNS1_11target_archE4294967295ELNS1_3gpuE0ELNS1_3repE0EEENS1_30default_config_static_selectorELNS0_4arch9wavefront6targetE0EEEvSY_.num_vgpr, 0
	.set _ZN7rocprim17ROCPRIM_400000_NS6detail17trampoline_kernelINS0_14default_configENS1_27lower_bound_config_selectorIilEEZNS1_14transform_implILb0ES3_S5_N6thrust23THRUST_200600_302600_NS6detail15normal_iteratorINS8_7pointerIiNS8_11hip_rocprim5par_tENS8_11use_defaultESE_EEEENSA_INSB_IlSD_SE_SE_EEEEZNS1_13binary_searchIS3_S5_NSA_INS8_10device_ptrIiEEEESG_SI_NS1_21lower_bound_search_opENS9_16wrapped_functionINS8_6system6detail7generic6detail18binary_search_lessEbEEEE10hipError_tPvRmT1_T2_T3_mmT4_T5_P12ihipStream_tbEUlRKiE_EESV_SZ_S10_mS11_S14_bEUlT_E_NS1_11comp_targetILNS1_3genE0ELNS1_11target_archE4294967295ELNS1_3gpuE0ELNS1_3repE0EEENS1_30default_config_static_selectorELNS0_4arch9wavefront6targetE0EEEvSY_.num_agpr, 0
	.set _ZN7rocprim17ROCPRIM_400000_NS6detail17trampoline_kernelINS0_14default_configENS1_27lower_bound_config_selectorIilEEZNS1_14transform_implILb0ES3_S5_N6thrust23THRUST_200600_302600_NS6detail15normal_iteratorINS8_7pointerIiNS8_11hip_rocprim5par_tENS8_11use_defaultESE_EEEENSA_INSB_IlSD_SE_SE_EEEEZNS1_13binary_searchIS3_S5_NSA_INS8_10device_ptrIiEEEESG_SI_NS1_21lower_bound_search_opENS9_16wrapped_functionINS8_6system6detail7generic6detail18binary_search_lessEbEEEE10hipError_tPvRmT1_T2_T3_mmT4_T5_P12ihipStream_tbEUlRKiE_EESV_SZ_S10_mS11_S14_bEUlT_E_NS1_11comp_targetILNS1_3genE0ELNS1_11target_archE4294967295ELNS1_3gpuE0ELNS1_3repE0EEENS1_30default_config_static_selectorELNS0_4arch9wavefront6targetE0EEEvSY_.numbered_sgpr, 0
	.set _ZN7rocprim17ROCPRIM_400000_NS6detail17trampoline_kernelINS0_14default_configENS1_27lower_bound_config_selectorIilEEZNS1_14transform_implILb0ES3_S5_N6thrust23THRUST_200600_302600_NS6detail15normal_iteratorINS8_7pointerIiNS8_11hip_rocprim5par_tENS8_11use_defaultESE_EEEENSA_INSB_IlSD_SE_SE_EEEEZNS1_13binary_searchIS3_S5_NSA_INS8_10device_ptrIiEEEESG_SI_NS1_21lower_bound_search_opENS9_16wrapped_functionINS8_6system6detail7generic6detail18binary_search_lessEbEEEE10hipError_tPvRmT1_T2_T3_mmT4_T5_P12ihipStream_tbEUlRKiE_EESV_SZ_S10_mS11_S14_bEUlT_E_NS1_11comp_targetILNS1_3genE0ELNS1_11target_archE4294967295ELNS1_3gpuE0ELNS1_3repE0EEENS1_30default_config_static_selectorELNS0_4arch9wavefront6targetE0EEEvSY_.num_named_barrier, 0
	.set _ZN7rocprim17ROCPRIM_400000_NS6detail17trampoline_kernelINS0_14default_configENS1_27lower_bound_config_selectorIilEEZNS1_14transform_implILb0ES3_S5_N6thrust23THRUST_200600_302600_NS6detail15normal_iteratorINS8_7pointerIiNS8_11hip_rocprim5par_tENS8_11use_defaultESE_EEEENSA_INSB_IlSD_SE_SE_EEEEZNS1_13binary_searchIS3_S5_NSA_INS8_10device_ptrIiEEEESG_SI_NS1_21lower_bound_search_opENS9_16wrapped_functionINS8_6system6detail7generic6detail18binary_search_lessEbEEEE10hipError_tPvRmT1_T2_T3_mmT4_T5_P12ihipStream_tbEUlRKiE_EESV_SZ_S10_mS11_S14_bEUlT_E_NS1_11comp_targetILNS1_3genE0ELNS1_11target_archE4294967295ELNS1_3gpuE0ELNS1_3repE0EEENS1_30default_config_static_selectorELNS0_4arch9wavefront6targetE0EEEvSY_.private_seg_size, 0
	.set _ZN7rocprim17ROCPRIM_400000_NS6detail17trampoline_kernelINS0_14default_configENS1_27lower_bound_config_selectorIilEEZNS1_14transform_implILb0ES3_S5_N6thrust23THRUST_200600_302600_NS6detail15normal_iteratorINS8_7pointerIiNS8_11hip_rocprim5par_tENS8_11use_defaultESE_EEEENSA_INSB_IlSD_SE_SE_EEEEZNS1_13binary_searchIS3_S5_NSA_INS8_10device_ptrIiEEEESG_SI_NS1_21lower_bound_search_opENS9_16wrapped_functionINS8_6system6detail7generic6detail18binary_search_lessEbEEEE10hipError_tPvRmT1_T2_T3_mmT4_T5_P12ihipStream_tbEUlRKiE_EESV_SZ_S10_mS11_S14_bEUlT_E_NS1_11comp_targetILNS1_3genE0ELNS1_11target_archE4294967295ELNS1_3gpuE0ELNS1_3repE0EEENS1_30default_config_static_selectorELNS0_4arch9wavefront6targetE0EEEvSY_.uses_vcc, 0
	.set _ZN7rocprim17ROCPRIM_400000_NS6detail17trampoline_kernelINS0_14default_configENS1_27lower_bound_config_selectorIilEEZNS1_14transform_implILb0ES3_S5_N6thrust23THRUST_200600_302600_NS6detail15normal_iteratorINS8_7pointerIiNS8_11hip_rocprim5par_tENS8_11use_defaultESE_EEEENSA_INSB_IlSD_SE_SE_EEEEZNS1_13binary_searchIS3_S5_NSA_INS8_10device_ptrIiEEEESG_SI_NS1_21lower_bound_search_opENS9_16wrapped_functionINS8_6system6detail7generic6detail18binary_search_lessEbEEEE10hipError_tPvRmT1_T2_T3_mmT4_T5_P12ihipStream_tbEUlRKiE_EESV_SZ_S10_mS11_S14_bEUlT_E_NS1_11comp_targetILNS1_3genE0ELNS1_11target_archE4294967295ELNS1_3gpuE0ELNS1_3repE0EEENS1_30default_config_static_selectorELNS0_4arch9wavefront6targetE0EEEvSY_.uses_flat_scratch, 0
	.set _ZN7rocprim17ROCPRIM_400000_NS6detail17trampoline_kernelINS0_14default_configENS1_27lower_bound_config_selectorIilEEZNS1_14transform_implILb0ES3_S5_N6thrust23THRUST_200600_302600_NS6detail15normal_iteratorINS8_7pointerIiNS8_11hip_rocprim5par_tENS8_11use_defaultESE_EEEENSA_INSB_IlSD_SE_SE_EEEEZNS1_13binary_searchIS3_S5_NSA_INS8_10device_ptrIiEEEESG_SI_NS1_21lower_bound_search_opENS9_16wrapped_functionINS8_6system6detail7generic6detail18binary_search_lessEbEEEE10hipError_tPvRmT1_T2_T3_mmT4_T5_P12ihipStream_tbEUlRKiE_EESV_SZ_S10_mS11_S14_bEUlT_E_NS1_11comp_targetILNS1_3genE0ELNS1_11target_archE4294967295ELNS1_3gpuE0ELNS1_3repE0EEENS1_30default_config_static_selectorELNS0_4arch9wavefront6targetE0EEEvSY_.has_dyn_sized_stack, 0
	.set _ZN7rocprim17ROCPRIM_400000_NS6detail17trampoline_kernelINS0_14default_configENS1_27lower_bound_config_selectorIilEEZNS1_14transform_implILb0ES3_S5_N6thrust23THRUST_200600_302600_NS6detail15normal_iteratorINS8_7pointerIiNS8_11hip_rocprim5par_tENS8_11use_defaultESE_EEEENSA_INSB_IlSD_SE_SE_EEEEZNS1_13binary_searchIS3_S5_NSA_INS8_10device_ptrIiEEEESG_SI_NS1_21lower_bound_search_opENS9_16wrapped_functionINS8_6system6detail7generic6detail18binary_search_lessEbEEEE10hipError_tPvRmT1_T2_T3_mmT4_T5_P12ihipStream_tbEUlRKiE_EESV_SZ_S10_mS11_S14_bEUlT_E_NS1_11comp_targetILNS1_3genE0ELNS1_11target_archE4294967295ELNS1_3gpuE0ELNS1_3repE0EEENS1_30default_config_static_selectorELNS0_4arch9wavefront6targetE0EEEvSY_.has_recursion, 0
	.set _ZN7rocprim17ROCPRIM_400000_NS6detail17trampoline_kernelINS0_14default_configENS1_27lower_bound_config_selectorIilEEZNS1_14transform_implILb0ES3_S5_N6thrust23THRUST_200600_302600_NS6detail15normal_iteratorINS8_7pointerIiNS8_11hip_rocprim5par_tENS8_11use_defaultESE_EEEENSA_INSB_IlSD_SE_SE_EEEEZNS1_13binary_searchIS3_S5_NSA_INS8_10device_ptrIiEEEESG_SI_NS1_21lower_bound_search_opENS9_16wrapped_functionINS8_6system6detail7generic6detail18binary_search_lessEbEEEE10hipError_tPvRmT1_T2_T3_mmT4_T5_P12ihipStream_tbEUlRKiE_EESV_SZ_S10_mS11_S14_bEUlT_E_NS1_11comp_targetILNS1_3genE0ELNS1_11target_archE4294967295ELNS1_3gpuE0ELNS1_3repE0EEENS1_30default_config_static_selectorELNS0_4arch9wavefront6targetE0EEEvSY_.has_indirect_call, 0
	.section	.AMDGPU.csdata,"",@progbits
; Kernel info:
; codeLenInByte = 0
; TotalNumSgprs: 0
; NumVgprs: 0
; ScratchSize: 0
; MemoryBound: 0
; FloatMode: 240
; IeeeMode: 1
; LDSByteSize: 0 bytes/workgroup (compile time only)
; SGPRBlocks: 0
; VGPRBlocks: 0
; NumSGPRsForWavesPerEU: 1
; NumVGPRsForWavesPerEU: 1
; Occupancy: 16
; WaveLimiterHint : 0
; COMPUTE_PGM_RSRC2:SCRATCH_EN: 0
; COMPUTE_PGM_RSRC2:USER_SGPR: 6
; COMPUTE_PGM_RSRC2:TRAP_HANDLER: 0
; COMPUTE_PGM_RSRC2:TGID_X_EN: 1
; COMPUTE_PGM_RSRC2:TGID_Y_EN: 0
; COMPUTE_PGM_RSRC2:TGID_Z_EN: 0
; COMPUTE_PGM_RSRC2:TIDIG_COMP_CNT: 0
	.section	.text._ZN7rocprim17ROCPRIM_400000_NS6detail17trampoline_kernelINS0_14default_configENS1_27lower_bound_config_selectorIilEEZNS1_14transform_implILb0ES3_S5_N6thrust23THRUST_200600_302600_NS6detail15normal_iteratorINS8_7pointerIiNS8_11hip_rocprim5par_tENS8_11use_defaultESE_EEEENSA_INSB_IlSD_SE_SE_EEEEZNS1_13binary_searchIS3_S5_NSA_INS8_10device_ptrIiEEEESG_SI_NS1_21lower_bound_search_opENS9_16wrapped_functionINS8_6system6detail7generic6detail18binary_search_lessEbEEEE10hipError_tPvRmT1_T2_T3_mmT4_T5_P12ihipStream_tbEUlRKiE_EESV_SZ_S10_mS11_S14_bEUlT_E_NS1_11comp_targetILNS1_3genE5ELNS1_11target_archE942ELNS1_3gpuE9ELNS1_3repE0EEENS1_30default_config_static_selectorELNS0_4arch9wavefront6targetE0EEEvSY_,"axG",@progbits,_ZN7rocprim17ROCPRIM_400000_NS6detail17trampoline_kernelINS0_14default_configENS1_27lower_bound_config_selectorIilEEZNS1_14transform_implILb0ES3_S5_N6thrust23THRUST_200600_302600_NS6detail15normal_iteratorINS8_7pointerIiNS8_11hip_rocprim5par_tENS8_11use_defaultESE_EEEENSA_INSB_IlSD_SE_SE_EEEEZNS1_13binary_searchIS3_S5_NSA_INS8_10device_ptrIiEEEESG_SI_NS1_21lower_bound_search_opENS9_16wrapped_functionINS8_6system6detail7generic6detail18binary_search_lessEbEEEE10hipError_tPvRmT1_T2_T3_mmT4_T5_P12ihipStream_tbEUlRKiE_EESV_SZ_S10_mS11_S14_bEUlT_E_NS1_11comp_targetILNS1_3genE5ELNS1_11target_archE942ELNS1_3gpuE9ELNS1_3repE0EEENS1_30default_config_static_selectorELNS0_4arch9wavefront6targetE0EEEvSY_,comdat
	.protected	_ZN7rocprim17ROCPRIM_400000_NS6detail17trampoline_kernelINS0_14default_configENS1_27lower_bound_config_selectorIilEEZNS1_14transform_implILb0ES3_S5_N6thrust23THRUST_200600_302600_NS6detail15normal_iteratorINS8_7pointerIiNS8_11hip_rocprim5par_tENS8_11use_defaultESE_EEEENSA_INSB_IlSD_SE_SE_EEEEZNS1_13binary_searchIS3_S5_NSA_INS8_10device_ptrIiEEEESG_SI_NS1_21lower_bound_search_opENS9_16wrapped_functionINS8_6system6detail7generic6detail18binary_search_lessEbEEEE10hipError_tPvRmT1_T2_T3_mmT4_T5_P12ihipStream_tbEUlRKiE_EESV_SZ_S10_mS11_S14_bEUlT_E_NS1_11comp_targetILNS1_3genE5ELNS1_11target_archE942ELNS1_3gpuE9ELNS1_3repE0EEENS1_30default_config_static_selectorELNS0_4arch9wavefront6targetE0EEEvSY_ ; -- Begin function _ZN7rocprim17ROCPRIM_400000_NS6detail17trampoline_kernelINS0_14default_configENS1_27lower_bound_config_selectorIilEEZNS1_14transform_implILb0ES3_S5_N6thrust23THRUST_200600_302600_NS6detail15normal_iteratorINS8_7pointerIiNS8_11hip_rocprim5par_tENS8_11use_defaultESE_EEEENSA_INSB_IlSD_SE_SE_EEEEZNS1_13binary_searchIS3_S5_NSA_INS8_10device_ptrIiEEEESG_SI_NS1_21lower_bound_search_opENS9_16wrapped_functionINS8_6system6detail7generic6detail18binary_search_lessEbEEEE10hipError_tPvRmT1_T2_T3_mmT4_T5_P12ihipStream_tbEUlRKiE_EESV_SZ_S10_mS11_S14_bEUlT_E_NS1_11comp_targetILNS1_3genE5ELNS1_11target_archE942ELNS1_3gpuE9ELNS1_3repE0EEENS1_30default_config_static_selectorELNS0_4arch9wavefront6targetE0EEEvSY_
	.globl	_ZN7rocprim17ROCPRIM_400000_NS6detail17trampoline_kernelINS0_14default_configENS1_27lower_bound_config_selectorIilEEZNS1_14transform_implILb0ES3_S5_N6thrust23THRUST_200600_302600_NS6detail15normal_iteratorINS8_7pointerIiNS8_11hip_rocprim5par_tENS8_11use_defaultESE_EEEENSA_INSB_IlSD_SE_SE_EEEEZNS1_13binary_searchIS3_S5_NSA_INS8_10device_ptrIiEEEESG_SI_NS1_21lower_bound_search_opENS9_16wrapped_functionINS8_6system6detail7generic6detail18binary_search_lessEbEEEE10hipError_tPvRmT1_T2_T3_mmT4_T5_P12ihipStream_tbEUlRKiE_EESV_SZ_S10_mS11_S14_bEUlT_E_NS1_11comp_targetILNS1_3genE5ELNS1_11target_archE942ELNS1_3gpuE9ELNS1_3repE0EEENS1_30default_config_static_selectorELNS0_4arch9wavefront6targetE0EEEvSY_
	.p2align	8
	.type	_ZN7rocprim17ROCPRIM_400000_NS6detail17trampoline_kernelINS0_14default_configENS1_27lower_bound_config_selectorIilEEZNS1_14transform_implILb0ES3_S5_N6thrust23THRUST_200600_302600_NS6detail15normal_iteratorINS8_7pointerIiNS8_11hip_rocprim5par_tENS8_11use_defaultESE_EEEENSA_INSB_IlSD_SE_SE_EEEEZNS1_13binary_searchIS3_S5_NSA_INS8_10device_ptrIiEEEESG_SI_NS1_21lower_bound_search_opENS9_16wrapped_functionINS8_6system6detail7generic6detail18binary_search_lessEbEEEE10hipError_tPvRmT1_T2_T3_mmT4_T5_P12ihipStream_tbEUlRKiE_EESV_SZ_S10_mS11_S14_bEUlT_E_NS1_11comp_targetILNS1_3genE5ELNS1_11target_archE942ELNS1_3gpuE9ELNS1_3repE0EEENS1_30default_config_static_selectorELNS0_4arch9wavefront6targetE0EEEvSY_,@function
_ZN7rocprim17ROCPRIM_400000_NS6detail17trampoline_kernelINS0_14default_configENS1_27lower_bound_config_selectorIilEEZNS1_14transform_implILb0ES3_S5_N6thrust23THRUST_200600_302600_NS6detail15normal_iteratorINS8_7pointerIiNS8_11hip_rocprim5par_tENS8_11use_defaultESE_EEEENSA_INSB_IlSD_SE_SE_EEEEZNS1_13binary_searchIS3_S5_NSA_INS8_10device_ptrIiEEEESG_SI_NS1_21lower_bound_search_opENS9_16wrapped_functionINS8_6system6detail7generic6detail18binary_search_lessEbEEEE10hipError_tPvRmT1_T2_T3_mmT4_T5_P12ihipStream_tbEUlRKiE_EESV_SZ_S10_mS11_S14_bEUlT_E_NS1_11comp_targetILNS1_3genE5ELNS1_11target_archE942ELNS1_3gpuE9ELNS1_3repE0EEENS1_30default_config_static_selectorELNS0_4arch9wavefront6targetE0EEEvSY_: ; @_ZN7rocprim17ROCPRIM_400000_NS6detail17trampoline_kernelINS0_14default_configENS1_27lower_bound_config_selectorIilEEZNS1_14transform_implILb0ES3_S5_N6thrust23THRUST_200600_302600_NS6detail15normal_iteratorINS8_7pointerIiNS8_11hip_rocprim5par_tENS8_11use_defaultESE_EEEENSA_INSB_IlSD_SE_SE_EEEEZNS1_13binary_searchIS3_S5_NSA_INS8_10device_ptrIiEEEESG_SI_NS1_21lower_bound_search_opENS9_16wrapped_functionINS8_6system6detail7generic6detail18binary_search_lessEbEEEE10hipError_tPvRmT1_T2_T3_mmT4_T5_P12ihipStream_tbEUlRKiE_EESV_SZ_S10_mS11_S14_bEUlT_E_NS1_11comp_targetILNS1_3genE5ELNS1_11target_archE942ELNS1_3gpuE9ELNS1_3repE0EEENS1_30default_config_static_selectorELNS0_4arch9wavefront6targetE0EEEvSY_
; %bb.0:
	.section	.rodata,"a",@progbits
	.p2align	6, 0x0
	.amdhsa_kernel _ZN7rocprim17ROCPRIM_400000_NS6detail17trampoline_kernelINS0_14default_configENS1_27lower_bound_config_selectorIilEEZNS1_14transform_implILb0ES3_S5_N6thrust23THRUST_200600_302600_NS6detail15normal_iteratorINS8_7pointerIiNS8_11hip_rocprim5par_tENS8_11use_defaultESE_EEEENSA_INSB_IlSD_SE_SE_EEEEZNS1_13binary_searchIS3_S5_NSA_INS8_10device_ptrIiEEEESG_SI_NS1_21lower_bound_search_opENS9_16wrapped_functionINS8_6system6detail7generic6detail18binary_search_lessEbEEEE10hipError_tPvRmT1_T2_T3_mmT4_T5_P12ihipStream_tbEUlRKiE_EESV_SZ_S10_mS11_S14_bEUlT_E_NS1_11comp_targetILNS1_3genE5ELNS1_11target_archE942ELNS1_3gpuE9ELNS1_3repE0EEENS1_30default_config_static_selectorELNS0_4arch9wavefront6targetE0EEEvSY_
		.amdhsa_group_segment_fixed_size 0
		.amdhsa_private_segment_fixed_size 0
		.amdhsa_kernarg_size 56
		.amdhsa_user_sgpr_count 6
		.amdhsa_user_sgpr_private_segment_buffer 1
		.amdhsa_user_sgpr_dispatch_ptr 0
		.amdhsa_user_sgpr_queue_ptr 0
		.amdhsa_user_sgpr_kernarg_segment_ptr 1
		.amdhsa_user_sgpr_dispatch_id 0
		.amdhsa_user_sgpr_flat_scratch_init 0
		.amdhsa_user_sgpr_private_segment_size 0
		.amdhsa_wavefront_size32 1
		.amdhsa_uses_dynamic_stack 0
		.amdhsa_system_sgpr_private_segment_wavefront_offset 0
		.amdhsa_system_sgpr_workgroup_id_x 1
		.amdhsa_system_sgpr_workgroup_id_y 0
		.amdhsa_system_sgpr_workgroup_id_z 0
		.amdhsa_system_sgpr_workgroup_info 0
		.amdhsa_system_vgpr_workitem_id 0
		.amdhsa_next_free_vgpr 1
		.amdhsa_next_free_sgpr 1
		.amdhsa_reserve_vcc 0
		.amdhsa_reserve_flat_scratch 0
		.amdhsa_float_round_mode_32 0
		.amdhsa_float_round_mode_16_64 0
		.amdhsa_float_denorm_mode_32 3
		.amdhsa_float_denorm_mode_16_64 3
		.amdhsa_dx10_clamp 1
		.amdhsa_ieee_mode 1
		.amdhsa_fp16_overflow 0
		.amdhsa_workgroup_processor_mode 1
		.amdhsa_memory_ordered 1
		.amdhsa_forward_progress 1
		.amdhsa_shared_vgpr_count 0
		.amdhsa_exception_fp_ieee_invalid_op 0
		.amdhsa_exception_fp_denorm_src 0
		.amdhsa_exception_fp_ieee_div_zero 0
		.amdhsa_exception_fp_ieee_overflow 0
		.amdhsa_exception_fp_ieee_underflow 0
		.amdhsa_exception_fp_ieee_inexact 0
		.amdhsa_exception_int_div_zero 0
	.end_amdhsa_kernel
	.section	.text._ZN7rocprim17ROCPRIM_400000_NS6detail17trampoline_kernelINS0_14default_configENS1_27lower_bound_config_selectorIilEEZNS1_14transform_implILb0ES3_S5_N6thrust23THRUST_200600_302600_NS6detail15normal_iteratorINS8_7pointerIiNS8_11hip_rocprim5par_tENS8_11use_defaultESE_EEEENSA_INSB_IlSD_SE_SE_EEEEZNS1_13binary_searchIS3_S5_NSA_INS8_10device_ptrIiEEEESG_SI_NS1_21lower_bound_search_opENS9_16wrapped_functionINS8_6system6detail7generic6detail18binary_search_lessEbEEEE10hipError_tPvRmT1_T2_T3_mmT4_T5_P12ihipStream_tbEUlRKiE_EESV_SZ_S10_mS11_S14_bEUlT_E_NS1_11comp_targetILNS1_3genE5ELNS1_11target_archE942ELNS1_3gpuE9ELNS1_3repE0EEENS1_30default_config_static_selectorELNS0_4arch9wavefront6targetE0EEEvSY_,"axG",@progbits,_ZN7rocprim17ROCPRIM_400000_NS6detail17trampoline_kernelINS0_14default_configENS1_27lower_bound_config_selectorIilEEZNS1_14transform_implILb0ES3_S5_N6thrust23THRUST_200600_302600_NS6detail15normal_iteratorINS8_7pointerIiNS8_11hip_rocprim5par_tENS8_11use_defaultESE_EEEENSA_INSB_IlSD_SE_SE_EEEEZNS1_13binary_searchIS3_S5_NSA_INS8_10device_ptrIiEEEESG_SI_NS1_21lower_bound_search_opENS9_16wrapped_functionINS8_6system6detail7generic6detail18binary_search_lessEbEEEE10hipError_tPvRmT1_T2_T3_mmT4_T5_P12ihipStream_tbEUlRKiE_EESV_SZ_S10_mS11_S14_bEUlT_E_NS1_11comp_targetILNS1_3genE5ELNS1_11target_archE942ELNS1_3gpuE9ELNS1_3repE0EEENS1_30default_config_static_selectorELNS0_4arch9wavefront6targetE0EEEvSY_,comdat
.Lfunc_end404:
	.size	_ZN7rocprim17ROCPRIM_400000_NS6detail17trampoline_kernelINS0_14default_configENS1_27lower_bound_config_selectorIilEEZNS1_14transform_implILb0ES3_S5_N6thrust23THRUST_200600_302600_NS6detail15normal_iteratorINS8_7pointerIiNS8_11hip_rocprim5par_tENS8_11use_defaultESE_EEEENSA_INSB_IlSD_SE_SE_EEEEZNS1_13binary_searchIS3_S5_NSA_INS8_10device_ptrIiEEEESG_SI_NS1_21lower_bound_search_opENS9_16wrapped_functionINS8_6system6detail7generic6detail18binary_search_lessEbEEEE10hipError_tPvRmT1_T2_T3_mmT4_T5_P12ihipStream_tbEUlRKiE_EESV_SZ_S10_mS11_S14_bEUlT_E_NS1_11comp_targetILNS1_3genE5ELNS1_11target_archE942ELNS1_3gpuE9ELNS1_3repE0EEENS1_30default_config_static_selectorELNS0_4arch9wavefront6targetE0EEEvSY_, .Lfunc_end404-_ZN7rocprim17ROCPRIM_400000_NS6detail17trampoline_kernelINS0_14default_configENS1_27lower_bound_config_selectorIilEEZNS1_14transform_implILb0ES3_S5_N6thrust23THRUST_200600_302600_NS6detail15normal_iteratorINS8_7pointerIiNS8_11hip_rocprim5par_tENS8_11use_defaultESE_EEEENSA_INSB_IlSD_SE_SE_EEEEZNS1_13binary_searchIS3_S5_NSA_INS8_10device_ptrIiEEEESG_SI_NS1_21lower_bound_search_opENS9_16wrapped_functionINS8_6system6detail7generic6detail18binary_search_lessEbEEEE10hipError_tPvRmT1_T2_T3_mmT4_T5_P12ihipStream_tbEUlRKiE_EESV_SZ_S10_mS11_S14_bEUlT_E_NS1_11comp_targetILNS1_3genE5ELNS1_11target_archE942ELNS1_3gpuE9ELNS1_3repE0EEENS1_30default_config_static_selectorELNS0_4arch9wavefront6targetE0EEEvSY_
                                        ; -- End function
	.set _ZN7rocprim17ROCPRIM_400000_NS6detail17trampoline_kernelINS0_14default_configENS1_27lower_bound_config_selectorIilEEZNS1_14transform_implILb0ES3_S5_N6thrust23THRUST_200600_302600_NS6detail15normal_iteratorINS8_7pointerIiNS8_11hip_rocprim5par_tENS8_11use_defaultESE_EEEENSA_INSB_IlSD_SE_SE_EEEEZNS1_13binary_searchIS3_S5_NSA_INS8_10device_ptrIiEEEESG_SI_NS1_21lower_bound_search_opENS9_16wrapped_functionINS8_6system6detail7generic6detail18binary_search_lessEbEEEE10hipError_tPvRmT1_T2_T3_mmT4_T5_P12ihipStream_tbEUlRKiE_EESV_SZ_S10_mS11_S14_bEUlT_E_NS1_11comp_targetILNS1_3genE5ELNS1_11target_archE942ELNS1_3gpuE9ELNS1_3repE0EEENS1_30default_config_static_selectorELNS0_4arch9wavefront6targetE0EEEvSY_.num_vgpr, 0
	.set _ZN7rocprim17ROCPRIM_400000_NS6detail17trampoline_kernelINS0_14default_configENS1_27lower_bound_config_selectorIilEEZNS1_14transform_implILb0ES3_S5_N6thrust23THRUST_200600_302600_NS6detail15normal_iteratorINS8_7pointerIiNS8_11hip_rocprim5par_tENS8_11use_defaultESE_EEEENSA_INSB_IlSD_SE_SE_EEEEZNS1_13binary_searchIS3_S5_NSA_INS8_10device_ptrIiEEEESG_SI_NS1_21lower_bound_search_opENS9_16wrapped_functionINS8_6system6detail7generic6detail18binary_search_lessEbEEEE10hipError_tPvRmT1_T2_T3_mmT4_T5_P12ihipStream_tbEUlRKiE_EESV_SZ_S10_mS11_S14_bEUlT_E_NS1_11comp_targetILNS1_3genE5ELNS1_11target_archE942ELNS1_3gpuE9ELNS1_3repE0EEENS1_30default_config_static_selectorELNS0_4arch9wavefront6targetE0EEEvSY_.num_agpr, 0
	.set _ZN7rocprim17ROCPRIM_400000_NS6detail17trampoline_kernelINS0_14default_configENS1_27lower_bound_config_selectorIilEEZNS1_14transform_implILb0ES3_S5_N6thrust23THRUST_200600_302600_NS6detail15normal_iteratorINS8_7pointerIiNS8_11hip_rocprim5par_tENS8_11use_defaultESE_EEEENSA_INSB_IlSD_SE_SE_EEEEZNS1_13binary_searchIS3_S5_NSA_INS8_10device_ptrIiEEEESG_SI_NS1_21lower_bound_search_opENS9_16wrapped_functionINS8_6system6detail7generic6detail18binary_search_lessEbEEEE10hipError_tPvRmT1_T2_T3_mmT4_T5_P12ihipStream_tbEUlRKiE_EESV_SZ_S10_mS11_S14_bEUlT_E_NS1_11comp_targetILNS1_3genE5ELNS1_11target_archE942ELNS1_3gpuE9ELNS1_3repE0EEENS1_30default_config_static_selectorELNS0_4arch9wavefront6targetE0EEEvSY_.numbered_sgpr, 0
	.set _ZN7rocprim17ROCPRIM_400000_NS6detail17trampoline_kernelINS0_14default_configENS1_27lower_bound_config_selectorIilEEZNS1_14transform_implILb0ES3_S5_N6thrust23THRUST_200600_302600_NS6detail15normal_iteratorINS8_7pointerIiNS8_11hip_rocprim5par_tENS8_11use_defaultESE_EEEENSA_INSB_IlSD_SE_SE_EEEEZNS1_13binary_searchIS3_S5_NSA_INS8_10device_ptrIiEEEESG_SI_NS1_21lower_bound_search_opENS9_16wrapped_functionINS8_6system6detail7generic6detail18binary_search_lessEbEEEE10hipError_tPvRmT1_T2_T3_mmT4_T5_P12ihipStream_tbEUlRKiE_EESV_SZ_S10_mS11_S14_bEUlT_E_NS1_11comp_targetILNS1_3genE5ELNS1_11target_archE942ELNS1_3gpuE9ELNS1_3repE0EEENS1_30default_config_static_selectorELNS0_4arch9wavefront6targetE0EEEvSY_.num_named_barrier, 0
	.set _ZN7rocprim17ROCPRIM_400000_NS6detail17trampoline_kernelINS0_14default_configENS1_27lower_bound_config_selectorIilEEZNS1_14transform_implILb0ES3_S5_N6thrust23THRUST_200600_302600_NS6detail15normal_iteratorINS8_7pointerIiNS8_11hip_rocprim5par_tENS8_11use_defaultESE_EEEENSA_INSB_IlSD_SE_SE_EEEEZNS1_13binary_searchIS3_S5_NSA_INS8_10device_ptrIiEEEESG_SI_NS1_21lower_bound_search_opENS9_16wrapped_functionINS8_6system6detail7generic6detail18binary_search_lessEbEEEE10hipError_tPvRmT1_T2_T3_mmT4_T5_P12ihipStream_tbEUlRKiE_EESV_SZ_S10_mS11_S14_bEUlT_E_NS1_11comp_targetILNS1_3genE5ELNS1_11target_archE942ELNS1_3gpuE9ELNS1_3repE0EEENS1_30default_config_static_selectorELNS0_4arch9wavefront6targetE0EEEvSY_.private_seg_size, 0
	.set _ZN7rocprim17ROCPRIM_400000_NS6detail17trampoline_kernelINS0_14default_configENS1_27lower_bound_config_selectorIilEEZNS1_14transform_implILb0ES3_S5_N6thrust23THRUST_200600_302600_NS6detail15normal_iteratorINS8_7pointerIiNS8_11hip_rocprim5par_tENS8_11use_defaultESE_EEEENSA_INSB_IlSD_SE_SE_EEEEZNS1_13binary_searchIS3_S5_NSA_INS8_10device_ptrIiEEEESG_SI_NS1_21lower_bound_search_opENS9_16wrapped_functionINS8_6system6detail7generic6detail18binary_search_lessEbEEEE10hipError_tPvRmT1_T2_T3_mmT4_T5_P12ihipStream_tbEUlRKiE_EESV_SZ_S10_mS11_S14_bEUlT_E_NS1_11comp_targetILNS1_3genE5ELNS1_11target_archE942ELNS1_3gpuE9ELNS1_3repE0EEENS1_30default_config_static_selectorELNS0_4arch9wavefront6targetE0EEEvSY_.uses_vcc, 0
	.set _ZN7rocprim17ROCPRIM_400000_NS6detail17trampoline_kernelINS0_14default_configENS1_27lower_bound_config_selectorIilEEZNS1_14transform_implILb0ES3_S5_N6thrust23THRUST_200600_302600_NS6detail15normal_iteratorINS8_7pointerIiNS8_11hip_rocprim5par_tENS8_11use_defaultESE_EEEENSA_INSB_IlSD_SE_SE_EEEEZNS1_13binary_searchIS3_S5_NSA_INS8_10device_ptrIiEEEESG_SI_NS1_21lower_bound_search_opENS9_16wrapped_functionINS8_6system6detail7generic6detail18binary_search_lessEbEEEE10hipError_tPvRmT1_T2_T3_mmT4_T5_P12ihipStream_tbEUlRKiE_EESV_SZ_S10_mS11_S14_bEUlT_E_NS1_11comp_targetILNS1_3genE5ELNS1_11target_archE942ELNS1_3gpuE9ELNS1_3repE0EEENS1_30default_config_static_selectorELNS0_4arch9wavefront6targetE0EEEvSY_.uses_flat_scratch, 0
	.set _ZN7rocprim17ROCPRIM_400000_NS6detail17trampoline_kernelINS0_14default_configENS1_27lower_bound_config_selectorIilEEZNS1_14transform_implILb0ES3_S5_N6thrust23THRUST_200600_302600_NS6detail15normal_iteratorINS8_7pointerIiNS8_11hip_rocprim5par_tENS8_11use_defaultESE_EEEENSA_INSB_IlSD_SE_SE_EEEEZNS1_13binary_searchIS3_S5_NSA_INS8_10device_ptrIiEEEESG_SI_NS1_21lower_bound_search_opENS9_16wrapped_functionINS8_6system6detail7generic6detail18binary_search_lessEbEEEE10hipError_tPvRmT1_T2_T3_mmT4_T5_P12ihipStream_tbEUlRKiE_EESV_SZ_S10_mS11_S14_bEUlT_E_NS1_11comp_targetILNS1_3genE5ELNS1_11target_archE942ELNS1_3gpuE9ELNS1_3repE0EEENS1_30default_config_static_selectorELNS0_4arch9wavefront6targetE0EEEvSY_.has_dyn_sized_stack, 0
	.set _ZN7rocprim17ROCPRIM_400000_NS6detail17trampoline_kernelINS0_14default_configENS1_27lower_bound_config_selectorIilEEZNS1_14transform_implILb0ES3_S5_N6thrust23THRUST_200600_302600_NS6detail15normal_iteratorINS8_7pointerIiNS8_11hip_rocprim5par_tENS8_11use_defaultESE_EEEENSA_INSB_IlSD_SE_SE_EEEEZNS1_13binary_searchIS3_S5_NSA_INS8_10device_ptrIiEEEESG_SI_NS1_21lower_bound_search_opENS9_16wrapped_functionINS8_6system6detail7generic6detail18binary_search_lessEbEEEE10hipError_tPvRmT1_T2_T3_mmT4_T5_P12ihipStream_tbEUlRKiE_EESV_SZ_S10_mS11_S14_bEUlT_E_NS1_11comp_targetILNS1_3genE5ELNS1_11target_archE942ELNS1_3gpuE9ELNS1_3repE0EEENS1_30default_config_static_selectorELNS0_4arch9wavefront6targetE0EEEvSY_.has_recursion, 0
	.set _ZN7rocprim17ROCPRIM_400000_NS6detail17trampoline_kernelINS0_14default_configENS1_27lower_bound_config_selectorIilEEZNS1_14transform_implILb0ES3_S5_N6thrust23THRUST_200600_302600_NS6detail15normal_iteratorINS8_7pointerIiNS8_11hip_rocprim5par_tENS8_11use_defaultESE_EEEENSA_INSB_IlSD_SE_SE_EEEEZNS1_13binary_searchIS3_S5_NSA_INS8_10device_ptrIiEEEESG_SI_NS1_21lower_bound_search_opENS9_16wrapped_functionINS8_6system6detail7generic6detail18binary_search_lessEbEEEE10hipError_tPvRmT1_T2_T3_mmT4_T5_P12ihipStream_tbEUlRKiE_EESV_SZ_S10_mS11_S14_bEUlT_E_NS1_11comp_targetILNS1_3genE5ELNS1_11target_archE942ELNS1_3gpuE9ELNS1_3repE0EEENS1_30default_config_static_selectorELNS0_4arch9wavefront6targetE0EEEvSY_.has_indirect_call, 0
	.section	.AMDGPU.csdata,"",@progbits
; Kernel info:
; codeLenInByte = 0
; TotalNumSgprs: 0
; NumVgprs: 0
; ScratchSize: 0
; MemoryBound: 0
; FloatMode: 240
; IeeeMode: 1
; LDSByteSize: 0 bytes/workgroup (compile time only)
; SGPRBlocks: 0
; VGPRBlocks: 0
; NumSGPRsForWavesPerEU: 1
; NumVGPRsForWavesPerEU: 1
; Occupancy: 16
; WaveLimiterHint : 0
; COMPUTE_PGM_RSRC2:SCRATCH_EN: 0
; COMPUTE_PGM_RSRC2:USER_SGPR: 6
; COMPUTE_PGM_RSRC2:TRAP_HANDLER: 0
; COMPUTE_PGM_RSRC2:TGID_X_EN: 1
; COMPUTE_PGM_RSRC2:TGID_Y_EN: 0
; COMPUTE_PGM_RSRC2:TGID_Z_EN: 0
; COMPUTE_PGM_RSRC2:TIDIG_COMP_CNT: 0
	.section	.text._ZN7rocprim17ROCPRIM_400000_NS6detail17trampoline_kernelINS0_14default_configENS1_27lower_bound_config_selectorIilEEZNS1_14transform_implILb0ES3_S5_N6thrust23THRUST_200600_302600_NS6detail15normal_iteratorINS8_7pointerIiNS8_11hip_rocprim5par_tENS8_11use_defaultESE_EEEENSA_INSB_IlSD_SE_SE_EEEEZNS1_13binary_searchIS3_S5_NSA_INS8_10device_ptrIiEEEESG_SI_NS1_21lower_bound_search_opENS9_16wrapped_functionINS8_6system6detail7generic6detail18binary_search_lessEbEEEE10hipError_tPvRmT1_T2_T3_mmT4_T5_P12ihipStream_tbEUlRKiE_EESV_SZ_S10_mS11_S14_bEUlT_E_NS1_11comp_targetILNS1_3genE4ELNS1_11target_archE910ELNS1_3gpuE8ELNS1_3repE0EEENS1_30default_config_static_selectorELNS0_4arch9wavefront6targetE0EEEvSY_,"axG",@progbits,_ZN7rocprim17ROCPRIM_400000_NS6detail17trampoline_kernelINS0_14default_configENS1_27lower_bound_config_selectorIilEEZNS1_14transform_implILb0ES3_S5_N6thrust23THRUST_200600_302600_NS6detail15normal_iteratorINS8_7pointerIiNS8_11hip_rocprim5par_tENS8_11use_defaultESE_EEEENSA_INSB_IlSD_SE_SE_EEEEZNS1_13binary_searchIS3_S5_NSA_INS8_10device_ptrIiEEEESG_SI_NS1_21lower_bound_search_opENS9_16wrapped_functionINS8_6system6detail7generic6detail18binary_search_lessEbEEEE10hipError_tPvRmT1_T2_T3_mmT4_T5_P12ihipStream_tbEUlRKiE_EESV_SZ_S10_mS11_S14_bEUlT_E_NS1_11comp_targetILNS1_3genE4ELNS1_11target_archE910ELNS1_3gpuE8ELNS1_3repE0EEENS1_30default_config_static_selectorELNS0_4arch9wavefront6targetE0EEEvSY_,comdat
	.protected	_ZN7rocprim17ROCPRIM_400000_NS6detail17trampoline_kernelINS0_14default_configENS1_27lower_bound_config_selectorIilEEZNS1_14transform_implILb0ES3_S5_N6thrust23THRUST_200600_302600_NS6detail15normal_iteratorINS8_7pointerIiNS8_11hip_rocprim5par_tENS8_11use_defaultESE_EEEENSA_INSB_IlSD_SE_SE_EEEEZNS1_13binary_searchIS3_S5_NSA_INS8_10device_ptrIiEEEESG_SI_NS1_21lower_bound_search_opENS9_16wrapped_functionINS8_6system6detail7generic6detail18binary_search_lessEbEEEE10hipError_tPvRmT1_T2_T3_mmT4_T5_P12ihipStream_tbEUlRKiE_EESV_SZ_S10_mS11_S14_bEUlT_E_NS1_11comp_targetILNS1_3genE4ELNS1_11target_archE910ELNS1_3gpuE8ELNS1_3repE0EEENS1_30default_config_static_selectorELNS0_4arch9wavefront6targetE0EEEvSY_ ; -- Begin function _ZN7rocprim17ROCPRIM_400000_NS6detail17trampoline_kernelINS0_14default_configENS1_27lower_bound_config_selectorIilEEZNS1_14transform_implILb0ES3_S5_N6thrust23THRUST_200600_302600_NS6detail15normal_iteratorINS8_7pointerIiNS8_11hip_rocprim5par_tENS8_11use_defaultESE_EEEENSA_INSB_IlSD_SE_SE_EEEEZNS1_13binary_searchIS3_S5_NSA_INS8_10device_ptrIiEEEESG_SI_NS1_21lower_bound_search_opENS9_16wrapped_functionINS8_6system6detail7generic6detail18binary_search_lessEbEEEE10hipError_tPvRmT1_T2_T3_mmT4_T5_P12ihipStream_tbEUlRKiE_EESV_SZ_S10_mS11_S14_bEUlT_E_NS1_11comp_targetILNS1_3genE4ELNS1_11target_archE910ELNS1_3gpuE8ELNS1_3repE0EEENS1_30default_config_static_selectorELNS0_4arch9wavefront6targetE0EEEvSY_
	.globl	_ZN7rocprim17ROCPRIM_400000_NS6detail17trampoline_kernelINS0_14default_configENS1_27lower_bound_config_selectorIilEEZNS1_14transform_implILb0ES3_S5_N6thrust23THRUST_200600_302600_NS6detail15normal_iteratorINS8_7pointerIiNS8_11hip_rocprim5par_tENS8_11use_defaultESE_EEEENSA_INSB_IlSD_SE_SE_EEEEZNS1_13binary_searchIS3_S5_NSA_INS8_10device_ptrIiEEEESG_SI_NS1_21lower_bound_search_opENS9_16wrapped_functionINS8_6system6detail7generic6detail18binary_search_lessEbEEEE10hipError_tPvRmT1_T2_T3_mmT4_T5_P12ihipStream_tbEUlRKiE_EESV_SZ_S10_mS11_S14_bEUlT_E_NS1_11comp_targetILNS1_3genE4ELNS1_11target_archE910ELNS1_3gpuE8ELNS1_3repE0EEENS1_30default_config_static_selectorELNS0_4arch9wavefront6targetE0EEEvSY_
	.p2align	8
	.type	_ZN7rocprim17ROCPRIM_400000_NS6detail17trampoline_kernelINS0_14default_configENS1_27lower_bound_config_selectorIilEEZNS1_14transform_implILb0ES3_S5_N6thrust23THRUST_200600_302600_NS6detail15normal_iteratorINS8_7pointerIiNS8_11hip_rocprim5par_tENS8_11use_defaultESE_EEEENSA_INSB_IlSD_SE_SE_EEEEZNS1_13binary_searchIS3_S5_NSA_INS8_10device_ptrIiEEEESG_SI_NS1_21lower_bound_search_opENS9_16wrapped_functionINS8_6system6detail7generic6detail18binary_search_lessEbEEEE10hipError_tPvRmT1_T2_T3_mmT4_T5_P12ihipStream_tbEUlRKiE_EESV_SZ_S10_mS11_S14_bEUlT_E_NS1_11comp_targetILNS1_3genE4ELNS1_11target_archE910ELNS1_3gpuE8ELNS1_3repE0EEENS1_30default_config_static_selectorELNS0_4arch9wavefront6targetE0EEEvSY_,@function
_ZN7rocprim17ROCPRIM_400000_NS6detail17trampoline_kernelINS0_14default_configENS1_27lower_bound_config_selectorIilEEZNS1_14transform_implILb0ES3_S5_N6thrust23THRUST_200600_302600_NS6detail15normal_iteratorINS8_7pointerIiNS8_11hip_rocprim5par_tENS8_11use_defaultESE_EEEENSA_INSB_IlSD_SE_SE_EEEEZNS1_13binary_searchIS3_S5_NSA_INS8_10device_ptrIiEEEESG_SI_NS1_21lower_bound_search_opENS9_16wrapped_functionINS8_6system6detail7generic6detail18binary_search_lessEbEEEE10hipError_tPvRmT1_T2_T3_mmT4_T5_P12ihipStream_tbEUlRKiE_EESV_SZ_S10_mS11_S14_bEUlT_E_NS1_11comp_targetILNS1_3genE4ELNS1_11target_archE910ELNS1_3gpuE8ELNS1_3repE0EEENS1_30default_config_static_selectorELNS0_4arch9wavefront6targetE0EEEvSY_: ; @_ZN7rocprim17ROCPRIM_400000_NS6detail17trampoline_kernelINS0_14default_configENS1_27lower_bound_config_selectorIilEEZNS1_14transform_implILb0ES3_S5_N6thrust23THRUST_200600_302600_NS6detail15normal_iteratorINS8_7pointerIiNS8_11hip_rocprim5par_tENS8_11use_defaultESE_EEEENSA_INSB_IlSD_SE_SE_EEEEZNS1_13binary_searchIS3_S5_NSA_INS8_10device_ptrIiEEEESG_SI_NS1_21lower_bound_search_opENS9_16wrapped_functionINS8_6system6detail7generic6detail18binary_search_lessEbEEEE10hipError_tPvRmT1_T2_T3_mmT4_T5_P12ihipStream_tbEUlRKiE_EESV_SZ_S10_mS11_S14_bEUlT_E_NS1_11comp_targetILNS1_3genE4ELNS1_11target_archE910ELNS1_3gpuE8ELNS1_3repE0EEENS1_30default_config_static_selectorELNS0_4arch9wavefront6targetE0EEEvSY_
; %bb.0:
	.section	.rodata,"a",@progbits
	.p2align	6, 0x0
	.amdhsa_kernel _ZN7rocprim17ROCPRIM_400000_NS6detail17trampoline_kernelINS0_14default_configENS1_27lower_bound_config_selectorIilEEZNS1_14transform_implILb0ES3_S5_N6thrust23THRUST_200600_302600_NS6detail15normal_iteratorINS8_7pointerIiNS8_11hip_rocprim5par_tENS8_11use_defaultESE_EEEENSA_INSB_IlSD_SE_SE_EEEEZNS1_13binary_searchIS3_S5_NSA_INS8_10device_ptrIiEEEESG_SI_NS1_21lower_bound_search_opENS9_16wrapped_functionINS8_6system6detail7generic6detail18binary_search_lessEbEEEE10hipError_tPvRmT1_T2_T3_mmT4_T5_P12ihipStream_tbEUlRKiE_EESV_SZ_S10_mS11_S14_bEUlT_E_NS1_11comp_targetILNS1_3genE4ELNS1_11target_archE910ELNS1_3gpuE8ELNS1_3repE0EEENS1_30default_config_static_selectorELNS0_4arch9wavefront6targetE0EEEvSY_
		.amdhsa_group_segment_fixed_size 0
		.amdhsa_private_segment_fixed_size 0
		.amdhsa_kernarg_size 56
		.amdhsa_user_sgpr_count 6
		.amdhsa_user_sgpr_private_segment_buffer 1
		.amdhsa_user_sgpr_dispatch_ptr 0
		.amdhsa_user_sgpr_queue_ptr 0
		.amdhsa_user_sgpr_kernarg_segment_ptr 1
		.amdhsa_user_sgpr_dispatch_id 0
		.amdhsa_user_sgpr_flat_scratch_init 0
		.amdhsa_user_sgpr_private_segment_size 0
		.amdhsa_wavefront_size32 1
		.amdhsa_uses_dynamic_stack 0
		.amdhsa_system_sgpr_private_segment_wavefront_offset 0
		.amdhsa_system_sgpr_workgroup_id_x 1
		.amdhsa_system_sgpr_workgroup_id_y 0
		.amdhsa_system_sgpr_workgroup_id_z 0
		.amdhsa_system_sgpr_workgroup_info 0
		.amdhsa_system_vgpr_workitem_id 0
		.amdhsa_next_free_vgpr 1
		.amdhsa_next_free_sgpr 1
		.amdhsa_reserve_vcc 0
		.amdhsa_reserve_flat_scratch 0
		.amdhsa_float_round_mode_32 0
		.amdhsa_float_round_mode_16_64 0
		.amdhsa_float_denorm_mode_32 3
		.amdhsa_float_denorm_mode_16_64 3
		.amdhsa_dx10_clamp 1
		.amdhsa_ieee_mode 1
		.amdhsa_fp16_overflow 0
		.amdhsa_workgroup_processor_mode 1
		.amdhsa_memory_ordered 1
		.amdhsa_forward_progress 1
		.amdhsa_shared_vgpr_count 0
		.amdhsa_exception_fp_ieee_invalid_op 0
		.amdhsa_exception_fp_denorm_src 0
		.amdhsa_exception_fp_ieee_div_zero 0
		.amdhsa_exception_fp_ieee_overflow 0
		.amdhsa_exception_fp_ieee_underflow 0
		.amdhsa_exception_fp_ieee_inexact 0
		.amdhsa_exception_int_div_zero 0
	.end_amdhsa_kernel
	.section	.text._ZN7rocprim17ROCPRIM_400000_NS6detail17trampoline_kernelINS0_14default_configENS1_27lower_bound_config_selectorIilEEZNS1_14transform_implILb0ES3_S5_N6thrust23THRUST_200600_302600_NS6detail15normal_iteratorINS8_7pointerIiNS8_11hip_rocprim5par_tENS8_11use_defaultESE_EEEENSA_INSB_IlSD_SE_SE_EEEEZNS1_13binary_searchIS3_S5_NSA_INS8_10device_ptrIiEEEESG_SI_NS1_21lower_bound_search_opENS9_16wrapped_functionINS8_6system6detail7generic6detail18binary_search_lessEbEEEE10hipError_tPvRmT1_T2_T3_mmT4_T5_P12ihipStream_tbEUlRKiE_EESV_SZ_S10_mS11_S14_bEUlT_E_NS1_11comp_targetILNS1_3genE4ELNS1_11target_archE910ELNS1_3gpuE8ELNS1_3repE0EEENS1_30default_config_static_selectorELNS0_4arch9wavefront6targetE0EEEvSY_,"axG",@progbits,_ZN7rocprim17ROCPRIM_400000_NS6detail17trampoline_kernelINS0_14default_configENS1_27lower_bound_config_selectorIilEEZNS1_14transform_implILb0ES3_S5_N6thrust23THRUST_200600_302600_NS6detail15normal_iteratorINS8_7pointerIiNS8_11hip_rocprim5par_tENS8_11use_defaultESE_EEEENSA_INSB_IlSD_SE_SE_EEEEZNS1_13binary_searchIS3_S5_NSA_INS8_10device_ptrIiEEEESG_SI_NS1_21lower_bound_search_opENS9_16wrapped_functionINS8_6system6detail7generic6detail18binary_search_lessEbEEEE10hipError_tPvRmT1_T2_T3_mmT4_T5_P12ihipStream_tbEUlRKiE_EESV_SZ_S10_mS11_S14_bEUlT_E_NS1_11comp_targetILNS1_3genE4ELNS1_11target_archE910ELNS1_3gpuE8ELNS1_3repE0EEENS1_30default_config_static_selectorELNS0_4arch9wavefront6targetE0EEEvSY_,comdat
.Lfunc_end405:
	.size	_ZN7rocprim17ROCPRIM_400000_NS6detail17trampoline_kernelINS0_14default_configENS1_27lower_bound_config_selectorIilEEZNS1_14transform_implILb0ES3_S5_N6thrust23THRUST_200600_302600_NS6detail15normal_iteratorINS8_7pointerIiNS8_11hip_rocprim5par_tENS8_11use_defaultESE_EEEENSA_INSB_IlSD_SE_SE_EEEEZNS1_13binary_searchIS3_S5_NSA_INS8_10device_ptrIiEEEESG_SI_NS1_21lower_bound_search_opENS9_16wrapped_functionINS8_6system6detail7generic6detail18binary_search_lessEbEEEE10hipError_tPvRmT1_T2_T3_mmT4_T5_P12ihipStream_tbEUlRKiE_EESV_SZ_S10_mS11_S14_bEUlT_E_NS1_11comp_targetILNS1_3genE4ELNS1_11target_archE910ELNS1_3gpuE8ELNS1_3repE0EEENS1_30default_config_static_selectorELNS0_4arch9wavefront6targetE0EEEvSY_, .Lfunc_end405-_ZN7rocprim17ROCPRIM_400000_NS6detail17trampoline_kernelINS0_14default_configENS1_27lower_bound_config_selectorIilEEZNS1_14transform_implILb0ES3_S5_N6thrust23THRUST_200600_302600_NS6detail15normal_iteratorINS8_7pointerIiNS8_11hip_rocprim5par_tENS8_11use_defaultESE_EEEENSA_INSB_IlSD_SE_SE_EEEEZNS1_13binary_searchIS3_S5_NSA_INS8_10device_ptrIiEEEESG_SI_NS1_21lower_bound_search_opENS9_16wrapped_functionINS8_6system6detail7generic6detail18binary_search_lessEbEEEE10hipError_tPvRmT1_T2_T3_mmT4_T5_P12ihipStream_tbEUlRKiE_EESV_SZ_S10_mS11_S14_bEUlT_E_NS1_11comp_targetILNS1_3genE4ELNS1_11target_archE910ELNS1_3gpuE8ELNS1_3repE0EEENS1_30default_config_static_selectorELNS0_4arch9wavefront6targetE0EEEvSY_
                                        ; -- End function
	.set _ZN7rocprim17ROCPRIM_400000_NS6detail17trampoline_kernelINS0_14default_configENS1_27lower_bound_config_selectorIilEEZNS1_14transform_implILb0ES3_S5_N6thrust23THRUST_200600_302600_NS6detail15normal_iteratorINS8_7pointerIiNS8_11hip_rocprim5par_tENS8_11use_defaultESE_EEEENSA_INSB_IlSD_SE_SE_EEEEZNS1_13binary_searchIS3_S5_NSA_INS8_10device_ptrIiEEEESG_SI_NS1_21lower_bound_search_opENS9_16wrapped_functionINS8_6system6detail7generic6detail18binary_search_lessEbEEEE10hipError_tPvRmT1_T2_T3_mmT4_T5_P12ihipStream_tbEUlRKiE_EESV_SZ_S10_mS11_S14_bEUlT_E_NS1_11comp_targetILNS1_3genE4ELNS1_11target_archE910ELNS1_3gpuE8ELNS1_3repE0EEENS1_30default_config_static_selectorELNS0_4arch9wavefront6targetE0EEEvSY_.num_vgpr, 0
	.set _ZN7rocprim17ROCPRIM_400000_NS6detail17trampoline_kernelINS0_14default_configENS1_27lower_bound_config_selectorIilEEZNS1_14transform_implILb0ES3_S5_N6thrust23THRUST_200600_302600_NS6detail15normal_iteratorINS8_7pointerIiNS8_11hip_rocprim5par_tENS8_11use_defaultESE_EEEENSA_INSB_IlSD_SE_SE_EEEEZNS1_13binary_searchIS3_S5_NSA_INS8_10device_ptrIiEEEESG_SI_NS1_21lower_bound_search_opENS9_16wrapped_functionINS8_6system6detail7generic6detail18binary_search_lessEbEEEE10hipError_tPvRmT1_T2_T3_mmT4_T5_P12ihipStream_tbEUlRKiE_EESV_SZ_S10_mS11_S14_bEUlT_E_NS1_11comp_targetILNS1_3genE4ELNS1_11target_archE910ELNS1_3gpuE8ELNS1_3repE0EEENS1_30default_config_static_selectorELNS0_4arch9wavefront6targetE0EEEvSY_.num_agpr, 0
	.set _ZN7rocprim17ROCPRIM_400000_NS6detail17trampoline_kernelINS0_14default_configENS1_27lower_bound_config_selectorIilEEZNS1_14transform_implILb0ES3_S5_N6thrust23THRUST_200600_302600_NS6detail15normal_iteratorINS8_7pointerIiNS8_11hip_rocprim5par_tENS8_11use_defaultESE_EEEENSA_INSB_IlSD_SE_SE_EEEEZNS1_13binary_searchIS3_S5_NSA_INS8_10device_ptrIiEEEESG_SI_NS1_21lower_bound_search_opENS9_16wrapped_functionINS8_6system6detail7generic6detail18binary_search_lessEbEEEE10hipError_tPvRmT1_T2_T3_mmT4_T5_P12ihipStream_tbEUlRKiE_EESV_SZ_S10_mS11_S14_bEUlT_E_NS1_11comp_targetILNS1_3genE4ELNS1_11target_archE910ELNS1_3gpuE8ELNS1_3repE0EEENS1_30default_config_static_selectorELNS0_4arch9wavefront6targetE0EEEvSY_.numbered_sgpr, 0
	.set _ZN7rocprim17ROCPRIM_400000_NS6detail17trampoline_kernelINS0_14default_configENS1_27lower_bound_config_selectorIilEEZNS1_14transform_implILb0ES3_S5_N6thrust23THRUST_200600_302600_NS6detail15normal_iteratorINS8_7pointerIiNS8_11hip_rocprim5par_tENS8_11use_defaultESE_EEEENSA_INSB_IlSD_SE_SE_EEEEZNS1_13binary_searchIS3_S5_NSA_INS8_10device_ptrIiEEEESG_SI_NS1_21lower_bound_search_opENS9_16wrapped_functionINS8_6system6detail7generic6detail18binary_search_lessEbEEEE10hipError_tPvRmT1_T2_T3_mmT4_T5_P12ihipStream_tbEUlRKiE_EESV_SZ_S10_mS11_S14_bEUlT_E_NS1_11comp_targetILNS1_3genE4ELNS1_11target_archE910ELNS1_3gpuE8ELNS1_3repE0EEENS1_30default_config_static_selectorELNS0_4arch9wavefront6targetE0EEEvSY_.num_named_barrier, 0
	.set _ZN7rocprim17ROCPRIM_400000_NS6detail17trampoline_kernelINS0_14default_configENS1_27lower_bound_config_selectorIilEEZNS1_14transform_implILb0ES3_S5_N6thrust23THRUST_200600_302600_NS6detail15normal_iteratorINS8_7pointerIiNS8_11hip_rocprim5par_tENS8_11use_defaultESE_EEEENSA_INSB_IlSD_SE_SE_EEEEZNS1_13binary_searchIS3_S5_NSA_INS8_10device_ptrIiEEEESG_SI_NS1_21lower_bound_search_opENS9_16wrapped_functionINS8_6system6detail7generic6detail18binary_search_lessEbEEEE10hipError_tPvRmT1_T2_T3_mmT4_T5_P12ihipStream_tbEUlRKiE_EESV_SZ_S10_mS11_S14_bEUlT_E_NS1_11comp_targetILNS1_3genE4ELNS1_11target_archE910ELNS1_3gpuE8ELNS1_3repE0EEENS1_30default_config_static_selectorELNS0_4arch9wavefront6targetE0EEEvSY_.private_seg_size, 0
	.set _ZN7rocprim17ROCPRIM_400000_NS6detail17trampoline_kernelINS0_14default_configENS1_27lower_bound_config_selectorIilEEZNS1_14transform_implILb0ES3_S5_N6thrust23THRUST_200600_302600_NS6detail15normal_iteratorINS8_7pointerIiNS8_11hip_rocprim5par_tENS8_11use_defaultESE_EEEENSA_INSB_IlSD_SE_SE_EEEEZNS1_13binary_searchIS3_S5_NSA_INS8_10device_ptrIiEEEESG_SI_NS1_21lower_bound_search_opENS9_16wrapped_functionINS8_6system6detail7generic6detail18binary_search_lessEbEEEE10hipError_tPvRmT1_T2_T3_mmT4_T5_P12ihipStream_tbEUlRKiE_EESV_SZ_S10_mS11_S14_bEUlT_E_NS1_11comp_targetILNS1_3genE4ELNS1_11target_archE910ELNS1_3gpuE8ELNS1_3repE0EEENS1_30default_config_static_selectorELNS0_4arch9wavefront6targetE0EEEvSY_.uses_vcc, 0
	.set _ZN7rocprim17ROCPRIM_400000_NS6detail17trampoline_kernelINS0_14default_configENS1_27lower_bound_config_selectorIilEEZNS1_14transform_implILb0ES3_S5_N6thrust23THRUST_200600_302600_NS6detail15normal_iteratorINS8_7pointerIiNS8_11hip_rocprim5par_tENS8_11use_defaultESE_EEEENSA_INSB_IlSD_SE_SE_EEEEZNS1_13binary_searchIS3_S5_NSA_INS8_10device_ptrIiEEEESG_SI_NS1_21lower_bound_search_opENS9_16wrapped_functionINS8_6system6detail7generic6detail18binary_search_lessEbEEEE10hipError_tPvRmT1_T2_T3_mmT4_T5_P12ihipStream_tbEUlRKiE_EESV_SZ_S10_mS11_S14_bEUlT_E_NS1_11comp_targetILNS1_3genE4ELNS1_11target_archE910ELNS1_3gpuE8ELNS1_3repE0EEENS1_30default_config_static_selectorELNS0_4arch9wavefront6targetE0EEEvSY_.uses_flat_scratch, 0
	.set _ZN7rocprim17ROCPRIM_400000_NS6detail17trampoline_kernelINS0_14default_configENS1_27lower_bound_config_selectorIilEEZNS1_14transform_implILb0ES3_S5_N6thrust23THRUST_200600_302600_NS6detail15normal_iteratorINS8_7pointerIiNS8_11hip_rocprim5par_tENS8_11use_defaultESE_EEEENSA_INSB_IlSD_SE_SE_EEEEZNS1_13binary_searchIS3_S5_NSA_INS8_10device_ptrIiEEEESG_SI_NS1_21lower_bound_search_opENS9_16wrapped_functionINS8_6system6detail7generic6detail18binary_search_lessEbEEEE10hipError_tPvRmT1_T2_T3_mmT4_T5_P12ihipStream_tbEUlRKiE_EESV_SZ_S10_mS11_S14_bEUlT_E_NS1_11comp_targetILNS1_3genE4ELNS1_11target_archE910ELNS1_3gpuE8ELNS1_3repE0EEENS1_30default_config_static_selectorELNS0_4arch9wavefront6targetE0EEEvSY_.has_dyn_sized_stack, 0
	.set _ZN7rocprim17ROCPRIM_400000_NS6detail17trampoline_kernelINS0_14default_configENS1_27lower_bound_config_selectorIilEEZNS1_14transform_implILb0ES3_S5_N6thrust23THRUST_200600_302600_NS6detail15normal_iteratorINS8_7pointerIiNS8_11hip_rocprim5par_tENS8_11use_defaultESE_EEEENSA_INSB_IlSD_SE_SE_EEEEZNS1_13binary_searchIS3_S5_NSA_INS8_10device_ptrIiEEEESG_SI_NS1_21lower_bound_search_opENS9_16wrapped_functionINS8_6system6detail7generic6detail18binary_search_lessEbEEEE10hipError_tPvRmT1_T2_T3_mmT4_T5_P12ihipStream_tbEUlRKiE_EESV_SZ_S10_mS11_S14_bEUlT_E_NS1_11comp_targetILNS1_3genE4ELNS1_11target_archE910ELNS1_3gpuE8ELNS1_3repE0EEENS1_30default_config_static_selectorELNS0_4arch9wavefront6targetE0EEEvSY_.has_recursion, 0
	.set _ZN7rocprim17ROCPRIM_400000_NS6detail17trampoline_kernelINS0_14default_configENS1_27lower_bound_config_selectorIilEEZNS1_14transform_implILb0ES3_S5_N6thrust23THRUST_200600_302600_NS6detail15normal_iteratorINS8_7pointerIiNS8_11hip_rocprim5par_tENS8_11use_defaultESE_EEEENSA_INSB_IlSD_SE_SE_EEEEZNS1_13binary_searchIS3_S5_NSA_INS8_10device_ptrIiEEEESG_SI_NS1_21lower_bound_search_opENS9_16wrapped_functionINS8_6system6detail7generic6detail18binary_search_lessEbEEEE10hipError_tPvRmT1_T2_T3_mmT4_T5_P12ihipStream_tbEUlRKiE_EESV_SZ_S10_mS11_S14_bEUlT_E_NS1_11comp_targetILNS1_3genE4ELNS1_11target_archE910ELNS1_3gpuE8ELNS1_3repE0EEENS1_30default_config_static_selectorELNS0_4arch9wavefront6targetE0EEEvSY_.has_indirect_call, 0
	.section	.AMDGPU.csdata,"",@progbits
; Kernel info:
; codeLenInByte = 0
; TotalNumSgprs: 0
; NumVgprs: 0
; ScratchSize: 0
; MemoryBound: 0
; FloatMode: 240
; IeeeMode: 1
; LDSByteSize: 0 bytes/workgroup (compile time only)
; SGPRBlocks: 0
; VGPRBlocks: 0
; NumSGPRsForWavesPerEU: 1
; NumVGPRsForWavesPerEU: 1
; Occupancy: 16
; WaveLimiterHint : 0
; COMPUTE_PGM_RSRC2:SCRATCH_EN: 0
; COMPUTE_PGM_RSRC2:USER_SGPR: 6
; COMPUTE_PGM_RSRC2:TRAP_HANDLER: 0
; COMPUTE_PGM_RSRC2:TGID_X_EN: 1
; COMPUTE_PGM_RSRC2:TGID_Y_EN: 0
; COMPUTE_PGM_RSRC2:TGID_Z_EN: 0
; COMPUTE_PGM_RSRC2:TIDIG_COMP_CNT: 0
	.section	.text._ZN7rocprim17ROCPRIM_400000_NS6detail17trampoline_kernelINS0_14default_configENS1_27lower_bound_config_selectorIilEEZNS1_14transform_implILb0ES3_S5_N6thrust23THRUST_200600_302600_NS6detail15normal_iteratorINS8_7pointerIiNS8_11hip_rocprim5par_tENS8_11use_defaultESE_EEEENSA_INSB_IlSD_SE_SE_EEEEZNS1_13binary_searchIS3_S5_NSA_INS8_10device_ptrIiEEEESG_SI_NS1_21lower_bound_search_opENS9_16wrapped_functionINS8_6system6detail7generic6detail18binary_search_lessEbEEEE10hipError_tPvRmT1_T2_T3_mmT4_T5_P12ihipStream_tbEUlRKiE_EESV_SZ_S10_mS11_S14_bEUlT_E_NS1_11comp_targetILNS1_3genE3ELNS1_11target_archE908ELNS1_3gpuE7ELNS1_3repE0EEENS1_30default_config_static_selectorELNS0_4arch9wavefront6targetE0EEEvSY_,"axG",@progbits,_ZN7rocprim17ROCPRIM_400000_NS6detail17trampoline_kernelINS0_14default_configENS1_27lower_bound_config_selectorIilEEZNS1_14transform_implILb0ES3_S5_N6thrust23THRUST_200600_302600_NS6detail15normal_iteratorINS8_7pointerIiNS8_11hip_rocprim5par_tENS8_11use_defaultESE_EEEENSA_INSB_IlSD_SE_SE_EEEEZNS1_13binary_searchIS3_S5_NSA_INS8_10device_ptrIiEEEESG_SI_NS1_21lower_bound_search_opENS9_16wrapped_functionINS8_6system6detail7generic6detail18binary_search_lessEbEEEE10hipError_tPvRmT1_T2_T3_mmT4_T5_P12ihipStream_tbEUlRKiE_EESV_SZ_S10_mS11_S14_bEUlT_E_NS1_11comp_targetILNS1_3genE3ELNS1_11target_archE908ELNS1_3gpuE7ELNS1_3repE0EEENS1_30default_config_static_selectorELNS0_4arch9wavefront6targetE0EEEvSY_,comdat
	.protected	_ZN7rocprim17ROCPRIM_400000_NS6detail17trampoline_kernelINS0_14default_configENS1_27lower_bound_config_selectorIilEEZNS1_14transform_implILb0ES3_S5_N6thrust23THRUST_200600_302600_NS6detail15normal_iteratorINS8_7pointerIiNS8_11hip_rocprim5par_tENS8_11use_defaultESE_EEEENSA_INSB_IlSD_SE_SE_EEEEZNS1_13binary_searchIS3_S5_NSA_INS8_10device_ptrIiEEEESG_SI_NS1_21lower_bound_search_opENS9_16wrapped_functionINS8_6system6detail7generic6detail18binary_search_lessEbEEEE10hipError_tPvRmT1_T2_T3_mmT4_T5_P12ihipStream_tbEUlRKiE_EESV_SZ_S10_mS11_S14_bEUlT_E_NS1_11comp_targetILNS1_3genE3ELNS1_11target_archE908ELNS1_3gpuE7ELNS1_3repE0EEENS1_30default_config_static_selectorELNS0_4arch9wavefront6targetE0EEEvSY_ ; -- Begin function _ZN7rocprim17ROCPRIM_400000_NS6detail17trampoline_kernelINS0_14default_configENS1_27lower_bound_config_selectorIilEEZNS1_14transform_implILb0ES3_S5_N6thrust23THRUST_200600_302600_NS6detail15normal_iteratorINS8_7pointerIiNS8_11hip_rocprim5par_tENS8_11use_defaultESE_EEEENSA_INSB_IlSD_SE_SE_EEEEZNS1_13binary_searchIS3_S5_NSA_INS8_10device_ptrIiEEEESG_SI_NS1_21lower_bound_search_opENS9_16wrapped_functionINS8_6system6detail7generic6detail18binary_search_lessEbEEEE10hipError_tPvRmT1_T2_T3_mmT4_T5_P12ihipStream_tbEUlRKiE_EESV_SZ_S10_mS11_S14_bEUlT_E_NS1_11comp_targetILNS1_3genE3ELNS1_11target_archE908ELNS1_3gpuE7ELNS1_3repE0EEENS1_30default_config_static_selectorELNS0_4arch9wavefront6targetE0EEEvSY_
	.globl	_ZN7rocprim17ROCPRIM_400000_NS6detail17trampoline_kernelINS0_14default_configENS1_27lower_bound_config_selectorIilEEZNS1_14transform_implILb0ES3_S5_N6thrust23THRUST_200600_302600_NS6detail15normal_iteratorINS8_7pointerIiNS8_11hip_rocprim5par_tENS8_11use_defaultESE_EEEENSA_INSB_IlSD_SE_SE_EEEEZNS1_13binary_searchIS3_S5_NSA_INS8_10device_ptrIiEEEESG_SI_NS1_21lower_bound_search_opENS9_16wrapped_functionINS8_6system6detail7generic6detail18binary_search_lessEbEEEE10hipError_tPvRmT1_T2_T3_mmT4_T5_P12ihipStream_tbEUlRKiE_EESV_SZ_S10_mS11_S14_bEUlT_E_NS1_11comp_targetILNS1_3genE3ELNS1_11target_archE908ELNS1_3gpuE7ELNS1_3repE0EEENS1_30default_config_static_selectorELNS0_4arch9wavefront6targetE0EEEvSY_
	.p2align	8
	.type	_ZN7rocprim17ROCPRIM_400000_NS6detail17trampoline_kernelINS0_14default_configENS1_27lower_bound_config_selectorIilEEZNS1_14transform_implILb0ES3_S5_N6thrust23THRUST_200600_302600_NS6detail15normal_iteratorINS8_7pointerIiNS8_11hip_rocprim5par_tENS8_11use_defaultESE_EEEENSA_INSB_IlSD_SE_SE_EEEEZNS1_13binary_searchIS3_S5_NSA_INS8_10device_ptrIiEEEESG_SI_NS1_21lower_bound_search_opENS9_16wrapped_functionINS8_6system6detail7generic6detail18binary_search_lessEbEEEE10hipError_tPvRmT1_T2_T3_mmT4_T5_P12ihipStream_tbEUlRKiE_EESV_SZ_S10_mS11_S14_bEUlT_E_NS1_11comp_targetILNS1_3genE3ELNS1_11target_archE908ELNS1_3gpuE7ELNS1_3repE0EEENS1_30default_config_static_selectorELNS0_4arch9wavefront6targetE0EEEvSY_,@function
_ZN7rocprim17ROCPRIM_400000_NS6detail17trampoline_kernelINS0_14default_configENS1_27lower_bound_config_selectorIilEEZNS1_14transform_implILb0ES3_S5_N6thrust23THRUST_200600_302600_NS6detail15normal_iteratorINS8_7pointerIiNS8_11hip_rocprim5par_tENS8_11use_defaultESE_EEEENSA_INSB_IlSD_SE_SE_EEEEZNS1_13binary_searchIS3_S5_NSA_INS8_10device_ptrIiEEEESG_SI_NS1_21lower_bound_search_opENS9_16wrapped_functionINS8_6system6detail7generic6detail18binary_search_lessEbEEEE10hipError_tPvRmT1_T2_T3_mmT4_T5_P12ihipStream_tbEUlRKiE_EESV_SZ_S10_mS11_S14_bEUlT_E_NS1_11comp_targetILNS1_3genE3ELNS1_11target_archE908ELNS1_3gpuE7ELNS1_3repE0EEENS1_30default_config_static_selectorELNS0_4arch9wavefront6targetE0EEEvSY_: ; @_ZN7rocprim17ROCPRIM_400000_NS6detail17trampoline_kernelINS0_14default_configENS1_27lower_bound_config_selectorIilEEZNS1_14transform_implILb0ES3_S5_N6thrust23THRUST_200600_302600_NS6detail15normal_iteratorINS8_7pointerIiNS8_11hip_rocprim5par_tENS8_11use_defaultESE_EEEENSA_INSB_IlSD_SE_SE_EEEEZNS1_13binary_searchIS3_S5_NSA_INS8_10device_ptrIiEEEESG_SI_NS1_21lower_bound_search_opENS9_16wrapped_functionINS8_6system6detail7generic6detail18binary_search_lessEbEEEE10hipError_tPvRmT1_T2_T3_mmT4_T5_P12ihipStream_tbEUlRKiE_EESV_SZ_S10_mS11_S14_bEUlT_E_NS1_11comp_targetILNS1_3genE3ELNS1_11target_archE908ELNS1_3gpuE7ELNS1_3repE0EEENS1_30default_config_static_selectorELNS0_4arch9wavefront6targetE0EEEvSY_
; %bb.0:
	.section	.rodata,"a",@progbits
	.p2align	6, 0x0
	.amdhsa_kernel _ZN7rocprim17ROCPRIM_400000_NS6detail17trampoline_kernelINS0_14default_configENS1_27lower_bound_config_selectorIilEEZNS1_14transform_implILb0ES3_S5_N6thrust23THRUST_200600_302600_NS6detail15normal_iteratorINS8_7pointerIiNS8_11hip_rocprim5par_tENS8_11use_defaultESE_EEEENSA_INSB_IlSD_SE_SE_EEEEZNS1_13binary_searchIS3_S5_NSA_INS8_10device_ptrIiEEEESG_SI_NS1_21lower_bound_search_opENS9_16wrapped_functionINS8_6system6detail7generic6detail18binary_search_lessEbEEEE10hipError_tPvRmT1_T2_T3_mmT4_T5_P12ihipStream_tbEUlRKiE_EESV_SZ_S10_mS11_S14_bEUlT_E_NS1_11comp_targetILNS1_3genE3ELNS1_11target_archE908ELNS1_3gpuE7ELNS1_3repE0EEENS1_30default_config_static_selectorELNS0_4arch9wavefront6targetE0EEEvSY_
		.amdhsa_group_segment_fixed_size 0
		.amdhsa_private_segment_fixed_size 0
		.amdhsa_kernarg_size 56
		.amdhsa_user_sgpr_count 6
		.amdhsa_user_sgpr_private_segment_buffer 1
		.amdhsa_user_sgpr_dispatch_ptr 0
		.amdhsa_user_sgpr_queue_ptr 0
		.amdhsa_user_sgpr_kernarg_segment_ptr 1
		.amdhsa_user_sgpr_dispatch_id 0
		.amdhsa_user_sgpr_flat_scratch_init 0
		.amdhsa_user_sgpr_private_segment_size 0
		.amdhsa_wavefront_size32 1
		.amdhsa_uses_dynamic_stack 0
		.amdhsa_system_sgpr_private_segment_wavefront_offset 0
		.amdhsa_system_sgpr_workgroup_id_x 1
		.amdhsa_system_sgpr_workgroup_id_y 0
		.amdhsa_system_sgpr_workgroup_id_z 0
		.amdhsa_system_sgpr_workgroup_info 0
		.amdhsa_system_vgpr_workitem_id 0
		.amdhsa_next_free_vgpr 1
		.amdhsa_next_free_sgpr 1
		.amdhsa_reserve_vcc 0
		.amdhsa_reserve_flat_scratch 0
		.amdhsa_float_round_mode_32 0
		.amdhsa_float_round_mode_16_64 0
		.amdhsa_float_denorm_mode_32 3
		.amdhsa_float_denorm_mode_16_64 3
		.amdhsa_dx10_clamp 1
		.amdhsa_ieee_mode 1
		.amdhsa_fp16_overflow 0
		.amdhsa_workgroup_processor_mode 1
		.amdhsa_memory_ordered 1
		.amdhsa_forward_progress 1
		.amdhsa_shared_vgpr_count 0
		.amdhsa_exception_fp_ieee_invalid_op 0
		.amdhsa_exception_fp_denorm_src 0
		.amdhsa_exception_fp_ieee_div_zero 0
		.amdhsa_exception_fp_ieee_overflow 0
		.amdhsa_exception_fp_ieee_underflow 0
		.amdhsa_exception_fp_ieee_inexact 0
		.amdhsa_exception_int_div_zero 0
	.end_amdhsa_kernel
	.section	.text._ZN7rocprim17ROCPRIM_400000_NS6detail17trampoline_kernelINS0_14default_configENS1_27lower_bound_config_selectorIilEEZNS1_14transform_implILb0ES3_S5_N6thrust23THRUST_200600_302600_NS6detail15normal_iteratorINS8_7pointerIiNS8_11hip_rocprim5par_tENS8_11use_defaultESE_EEEENSA_INSB_IlSD_SE_SE_EEEEZNS1_13binary_searchIS3_S5_NSA_INS8_10device_ptrIiEEEESG_SI_NS1_21lower_bound_search_opENS9_16wrapped_functionINS8_6system6detail7generic6detail18binary_search_lessEbEEEE10hipError_tPvRmT1_T2_T3_mmT4_T5_P12ihipStream_tbEUlRKiE_EESV_SZ_S10_mS11_S14_bEUlT_E_NS1_11comp_targetILNS1_3genE3ELNS1_11target_archE908ELNS1_3gpuE7ELNS1_3repE0EEENS1_30default_config_static_selectorELNS0_4arch9wavefront6targetE0EEEvSY_,"axG",@progbits,_ZN7rocprim17ROCPRIM_400000_NS6detail17trampoline_kernelINS0_14default_configENS1_27lower_bound_config_selectorIilEEZNS1_14transform_implILb0ES3_S5_N6thrust23THRUST_200600_302600_NS6detail15normal_iteratorINS8_7pointerIiNS8_11hip_rocprim5par_tENS8_11use_defaultESE_EEEENSA_INSB_IlSD_SE_SE_EEEEZNS1_13binary_searchIS3_S5_NSA_INS8_10device_ptrIiEEEESG_SI_NS1_21lower_bound_search_opENS9_16wrapped_functionINS8_6system6detail7generic6detail18binary_search_lessEbEEEE10hipError_tPvRmT1_T2_T3_mmT4_T5_P12ihipStream_tbEUlRKiE_EESV_SZ_S10_mS11_S14_bEUlT_E_NS1_11comp_targetILNS1_3genE3ELNS1_11target_archE908ELNS1_3gpuE7ELNS1_3repE0EEENS1_30default_config_static_selectorELNS0_4arch9wavefront6targetE0EEEvSY_,comdat
.Lfunc_end406:
	.size	_ZN7rocprim17ROCPRIM_400000_NS6detail17trampoline_kernelINS0_14default_configENS1_27lower_bound_config_selectorIilEEZNS1_14transform_implILb0ES3_S5_N6thrust23THRUST_200600_302600_NS6detail15normal_iteratorINS8_7pointerIiNS8_11hip_rocprim5par_tENS8_11use_defaultESE_EEEENSA_INSB_IlSD_SE_SE_EEEEZNS1_13binary_searchIS3_S5_NSA_INS8_10device_ptrIiEEEESG_SI_NS1_21lower_bound_search_opENS9_16wrapped_functionINS8_6system6detail7generic6detail18binary_search_lessEbEEEE10hipError_tPvRmT1_T2_T3_mmT4_T5_P12ihipStream_tbEUlRKiE_EESV_SZ_S10_mS11_S14_bEUlT_E_NS1_11comp_targetILNS1_3genE3ELNS1_11target_archE908ELNS1_3gpuE7ELNS1_3repE0EEENS1_30default_config_static_selectorELNS0_4arch9wavefront6targetE0EEEvSY_, .Lfunc_end406-_ZN7rocprim17ROCPRIM_400000_NS6detail17trampoline_kernelINS0_14default_configENS1_27lower_bound_config_selectorIilEEZNS1_14transform_implILb0ES3_S5_N6thrust23THRUST_200600_302600_NS6detail15normal_iteratorINS8_7pointerIiNS8_11hip_rocprim5par_tENS8_11use_defaultESE_EEEENSA_INSB_IlSD_SE_SE_EEEEZNS1_13binary_searchIS3_S5_NSA_INS8_10device_ptrIiEEEESG_SI_NS1_21lower_bound_search_opENS9_16wrapped_functionINS8_6system6detail7generic6detail18binary_search_lessEbEEEE10hipError_tPvRmT1_T2_T3_mmT4_T5_P12ihipStream_tbEUlRKiE_EESV_SZ_S10_mS11_S14_bEUlT_E_NS1_11comp_targetILNS1_3genE3ELNS1_11target_archE908ELNS1_3gpuE7ELNS1_3repE0EEENS1_30default_config_static_selectorELNS0_4arch9wavefront6targetE0EEEvSY_
                                        ; -- End function
	.set _ZN7rocprim17ROCPRIM_400000_NS6detail17trampoline_kernelINS0_14default_configENS1_27lower_bound_config_selectorIilEEZNS1_14transform_implILb0ES3_S5_N6thrust23THRUST_200600_302600_NS6detail15normal_iteratorINS8_7pointerIiNS8_11hip_rocprim5par_tENS8_11use_defaultESE_EEEENSA_INSB_IlSD_SE_SE_EEEEZNS1_13binary_searchIS3_S5_NSA_INS8_10device_ptrIiEEEESG_SI_NS1_21lower_bound_search_opENS9_16wrapped_functionINS8_6system6detail7generic6detail18binary_search_lessEbEEEE10hipError_tPvRmT1_T2_T3_mmT4_T5_P12ihipStream_tbEUlRKiE_EESV_SZ_S10_mS11_S14_bEUlT_E_NS1_11comp_targetILNS1_3genE3ELNS1_11target_archE908ELNS1_3gpuE7ELNS1_3repE0EEENS1_30default_config_static_selectorELNS0_4arch9wavefront6targetE0EEEvSY_.num_vgpr, 0
	.set _ZN7rocprim17ROCPRIM_400000_NS6detail17trampoline_kernelINS0_14default_configENS1_27lower_bound_config_selectorIilEEZNS1_14transform_implILb0ES3_S5_N6thrust23THRUST_200600_302600_NS6detail15normal_iteratorINS8_7pointerIiNS8_11hip_rocprim5par_tENS8_11use_defaultESE_EEEENSA_INSB_IlSD_SE_SE_EEEEZNS1_13binary_searchIS3_S5_NSA_INS8_10device_ptrIiEEEESG_SI_NS1_21lower_bound_search_opENS9_16wrapped_functionINS8_6system6detail7generic6detail18binary_search_lessEbEEEE10hipError_tPvRmT1_T2_T3_mmT4_T5_P12ihipStream_tbEUlRKiE_EESV_SZ_S10_mS11_S14_bEUlT_E_NS1_11comp_targetILNS1_3genE3ELNS1_11target_archE908ELNS1_3gpuE7ELNS1_3repE0EEENS1_30default_config_static_selectorELNS0_4arch9wavefront6targetE0EEEvSY_.num_agpr, 0
	.set _ZN7rocprim17ROCPRIM_400000_NS6detail17trampoline_kernelINS0_14default_configENS1_27lower_bound_config_selectorIilEEZNS1_14transform_implILb0ES3_S5_N6thrust23THRUST_200600_302600_NS6detail15normal_iteratorINS8_7pointerIiNS8_11hip_rocprim5par_tENS8_11use_defaultESE_EEEENSA_INSB_IlSD_SE_SE_EEEEZNS1_13binary_searchIS3_S5_NSA_INS8_10device_ptrIiEEEESG_SI_NS1_21lower_bound_search_opENS9_16wrapped_functionINS8_6system6detail7generic6detail18binary_search_lessEbEEEE10hipError_tPvRmT1_T2_T3_mmT4_T5_P12ihipStream_tbEUlRKiE_EESV_SZ_S10_mS11_S14_bEUlT_E_NS1_11comp_targetILNS1_3genE3ELNS1_11target_archE908ELNS1_3gpuE7ELNS1_3repE0EEENS1_30default_config_static_selectorELNS0_4arch9wavefront6targetE0EEEvSY_.numbered_sgpr, 0
	.set _ZN7rocprim17ROCPRIM_400000_NS6detail17trampoline_kernelINS0_14default_configENS1_27lower_bound_config_selectorIilEEZNS1_14transform_implILb0ES3_S5_N6thrust23THRUST_200600_302600_NS6detail15normal_iteratorINS8_7pointerIiNS8_11hip_rocprim5par_tENS8_11use_defaultESE_EEEENSA_INSB_IlSD_SE_SE_EEEEZNS1_13binary_searchIS3_S5_NSA_INS8_10device_ptrIiEEEESG_SI_NS1_21lower_bound_search_opENS9_16wrapped_functionINS8_6system6detail7generic6detail18binary_search_lessEbEEEE10hipError_tPvRmT1_T2_T3_mmT4_T5_P12ihipStream_tbEUlRKiE_EESV_SZ_S10_mS11_S14_bEUlT_E_NS1_11comp_targetILNS1_3genE3ELNS1_11target_archE908ELNS1_3gpuE7ELNS1_3repE0EEENS1_30default_config_static_selectorELNS0_4arch9wavefront6targetE0EEEvSY_.num_named_barrier, 0
	.set _ZN7rocprim17ROCPRIM_400000_NS6detail17trampoline_kernelINS0_14default_configENS1_27lower_bound_config_selectorIilEEZNS1_14transform_implILb0ES3_S5_N6thrust23THRUST_200600_302600_NS6detail15normal_iteratorINS8_7pointerIiNS8_11hip_rocprim5par_tENS8_11use_defaultESE_EEEENSA_INSB_IlSD_SE_SE_EEEEZNS1_13binary_searchIS3_S5_NSA_INS8_10device_ptrIiEEEESG_SI_NS1_21lower_bound_search_opENS9_16wrapped_functionINS8_6system6detail7generic6detail18binary_search_lessEbEEEE10hipError_tPvRmT1_T2_T3_mmT4_T5_P12ihipStream_tbEUlRKiE_EESV_SZ_S10_mS11_S14_bEUlT_E_NS1_11comp_targetILNS1_3genE3ELNS1_11target_archE908ELNS1_3gpuE7ELNS1_3repE0EEENS1_30default_config_static_selectorELNS0_4arch9wavefront6targetE0EEEvSY_.private_seg_size, 0
	.set _ZN7rocprim17ROCPRIM_400000_NS6detail17trampoline_kernelINS0_14default_configENS1_27lower_bound_config_selectorIilEEZNS1_14transform_implILb0ES3_S5_N6thrust23THRUST_200600_302600_NS6detail15normal_iteratorINS8_7pointerIiNS8_11hip_rocprim5par_tENS8_11use_defaultESE_EEEENSA_INSB_IlSD_SE_SE_EEEEZNS1_13binary_searchIS3_S5_NSA_INS8_10device_ptrIiEEEESG_SI_NS1_21lower_bound_search_opENS9_16wrapped_functionINS8_6system6detail7generic6detail18binary_search_lessEbEEEE10hipError_tPvRmT1_T2_T3_mmT4_T5_P12ihipStream_tbEUlRKiE_EESV_SZ_S10_mS11_S14_bEUlT_E_NS1_11comp_targetILNS1_3genE3ELNS1_11target_archE908ELNS1_3gpuE7ELNS1_3repE0EEENS1_30default_config_static_selectorELNS0_4arch9wavefront6targetE0EEEvSY_.uses_vcc, 0
	.set _ZN7rocprim17ROCPRIM_400000_NS6detail17trampoline_kernelINS0_14default_configENS1_27lower_bound_config_selectorIilEEZNS1_14transform_implILb0ES3_S5_N6thrust23THRUST_200600_302600_NS6detail15normal_iteratorINS8_7pointerIiNS8_11hip_rocprim5par_tENS8_11use_defaultESE_EEEENSA_INSB_IlSD_SE_SE_EEEEZNS1_13binary_searchIS3_S5_NSA_INS8_10device_ptrIiEEEESG_SI_NS1_21lower_bound_search_opENS9_16wrapped_functionINS8_6system6detail7generic6detail18binary_search_lessEbEEEE10hipError_tPvRmT1_T2_T3_mmT4_T5_P12ihipStream_tbEUlRKiE_EESV_SZ_S10_mS11_S14_bEUlT_E_NS1_11comp_targetILNS1_3genE3ELNS1_11target_archE908ELNS1_3gpuE7ELNS1_3repE0EEENS1_30default_config_static_selectorELNS0_4arch9wavefront6targetE0EEEvSY_.uses_flat_scratch, 0
	.set _ZN7rocprim17ROCPRIM_400000_NS6detail17trampoline_kernelINS0_14default_configENS1_27lower_bound_config_selectorIilEEZNS1_14transform_implILb0ES3_S5_N6thrust23THRUST_200600_302600_NS6detail15normal_iteratorINS8_7pointerIiNS8_11hip_rocprim5par_tENS8_11use_defaultESE_EEEENSA_INSB_IlSD_SE_SE_EEEEZNS1_13binary_searchIS3_S5_NSA_INS8_10device_ptrIiEEEESG_SI_NS1_21lower_bound_search_opENS9_16wrapped_functionINS8_6system6detail7generic6detail18binary_search_lessEbEEEE10hipError_tPvRmT1_T2_T3_mmT4_T5_P12ihipStream_tbEUlRKiE_EESV_SZ_S10_mS11_S14_bEUlT_E_NS1_11comp_targetILNS1_3genE3ELNS1_11target_archE908ELNS1_3gpuE7ELNS1_3repE0EEENS1_30default_config_static_selectorELNS0_4arch9wavefront6targetE0EEEvSY_.has_dyn_sized_stack, 0
	.set _ZN7rocprim17ROCPRIM_400000_NS6detail17trampoline_kernelINS0_14default_configENS1_27lower_bound_config_selectorIilEEZNS1_14transform_implILb0ES3_S5_N6thrust23THRUST_200600_302600_NS6detail15normal_iteratorINS8_7pointerIiNS8_11hip_rocprim5par_tENS8_11use_defaultESE_EEEENSA_INSB_IlSD_SE_SE_EEEEZNS1_13binary_searchIS3_S5_NSA_INS8_10device_ptrIiEEEESG_SI_NS1_21lower_bound_search_opENS9_16wrapped_functionINS8_6system6detail7generic6detail18binary_search_lessEbEEEE10hipError_tPvRmT1_T2_T3_mmT4_T5_P12ihipStream_tbEUlRKiE_EESV_SZ_S10_mS11_S14_bEUlT_E_NS1_11comp_targetILNS1_3genE3ELNS1_11target_archE908ELNS1_3gpuE7ELNS1_3repE0EEENS1_30default_config_static_selectorELNS0_4arch9wavefront6targetE0EEEvSY_.has_recursion, 0
	.set _ZN7rocprim17ROCPRIM_400000_NS6detail17trampoline_kernelINS0_14default_configENS1_27lower_bound_config_selectorIilEEZNS1_14transform_implILb0ES3_S5_N6thrust23THRUST_200600_302600_NS6detail15normal_iteratorINS8_7pointerIiNS8_11hip_rocprim5par_tENS8_11use_defaultESE_EEEENSA_INSB_IlSD_SE_SE_EEEEZNS1_13binary_searchIS3_S5_NSA_INS8_10device_ptrIiEEEESG_SI_NS1_21lower_bound_search_opENS9_16wrapped_functionINS8_6system6detail7generic6detail18binary_search_lessEbEEEE10hipError_tPvRmT1_T2_T3_mmT4_T5_P12ihipStream_tbEUlRKiE_EESV_SZ_S10_mS11_S14_bEUlT_E_NS1_11comp_targetILNS1_3genE3ELNS1_11target_archE908ELNS1_3gpuE7ELNS1_3repE0EEENS1_30default_config_static_selectorELNS0_4arch9wavefront6targetE0EEEvSY_.has_indirect_call, 0
	.section	.AMDGPU.csdata,"",@progbits
; Kernel info:
; codeLenInByte = 0
; TotalNumSgprs: 0
; NumVgprs: 0
; ScratchSize: 0
; MemoryBound: 0
; FloatMode: 240
; IeeeMode: 1
; LDSByteSize: 0 bytes/workgroup (compile time only)
; SGPRBlocks: 0
; VGPRBlocks: 0
; NumSGPRsForWavesPerEU: 1
; NumVGPRsForWavesPerEU: 1
; Occupancy: 16
; WaveLimiterHint : 0
; COMPUTE_PGM_RSRC2:SCRATCH_EN: 0
; COMPUTE_PGM_RSRC2:USER_SGPR: 6
; COMPUTE_PGM_RSRC2:TRAP_HANDLER: 0
; COMPUTE_PGM_RSRC2:TGID_X_EN: 1
; COMPUTE_PGM_RSRC2:TGID_Y_EN: 0
; COMPUTE_PGM_RSRC2:TGID_Z_EN: 0
; COMPUTE_PGM_RSRC2:TIDIG_COMP_CNT: 0
	.section	.text._ZN7rocprim17ROCPRIM_400000_NS6detail17trampoline_kernelINS0_14default_configENS1_27lower_bound_config_selectorIilEEZNS1_14transform_implILb0ES3_S5_N6thrust23THRUST_200600_302600_NS6detail15normal_iteratorINS8_7pointerIiNS8_11hip_rocprim5par_tENS8_11use_defaultESE_EEEENSA_INSB_IlSD_SE_SE_EEEEZNS1_13binary_searchIS3_S5_NSA_INS8_10device_ptrIiEEEESG_SI_NS1_21lower_bound_search_opENS9_16wrapped_functionINS8_6system6detail7generic6detail18binary_search_lessEbEEEE10hipError_tPvRmT1_T2_T3_mmT4_T5_P12ihipStream_tbEUlRKiE_EESV_SZ_S10_mS11_S14_bEUlT_E_NS1_11comp_targetILNS1_3genE2ELNS1_11target_archE906ELNS1_3gpuE6ELNS1_3repE0EEENS1_30default_config_static_selectorELNS0_4arch9wavefront6targetE0EEEvSY_,"axG",@progbits,_ZN7rocprim17ROCPRIM_400000_NS6detail17trampoline_kernelINS0_14default_configENS1_27lower_bound_config_selectorIilEEZNS1_14transform_implILb0ES3_S5_N6thrust23THRUST_200600_302600_NS6detail15normal_iteratorINS8_7pointerIiNS8_11hip_rocprim5par_tENS8_11use_defaultESE_EEEENSA_INSB_IlSD_SE_SE_EEEEZNS1_13binary_searchIS3_S5_NSA_INS8_10device_ptrIiEEEESG_SI_NS1_21lower_bound_search_opENS9_16wrapped_functionINS8_6system6detail7generic6detail18binary_search_lessEbEEEE10hipError_tPvRmT1_T2_T3_mmT4_T5_P12ihipStream_tbEUlRKiE_EESV_SZ_S10_mS11_S14_bEUlT_E_NS1_11comp_targetILNS1_3genE2ELNS1_11target_archE906ELNS1_3gpuE6ELNS1_3repE0EEENS1_30default_config_static_selectorELNS0_4arch9wavefront6targetE0EEEvSY_,comdat
	.protected	_ZN7rocprim17ROCPRIM_400000_NS6detail17trampoline_kernelINS0_14default_configENS1_27lower_bound_config_selectorIilEEZNS1_14transform_implILb0ES3_S5_N6thrust23THRUST_200600_302600_NS6detail15normal_iteratorINS8_7pointerIiNS8_11hip_rocprim5par_tENS8_11use_defaultESE_EEEENSA_INSB_IlSD_SE_SE_EEEEZNS1_13binary_searchIS3_S5_NSA_INS8_10device_ptrIiEEEESG_SI_NS1_21lower_bound_search_opENS9_16wrapped_functionINS8_6system6detail7generic6detail18binary_search_lessEbEEEE10hipError_tPvRmT1_T2_T3_mmT4_T5_P12ihipStream_tbEUlRKiE_EESV_SZ_S10_mS11_S14_bEUlT_E_NS1_11comp_targetILNS1_3genE2ELNS1_11target_archE906ELNS1_3gpuE6ELNS1_3repE0EEENS1_30default_config_static_selectorELNS0_4arch9wavefront6targetE0EEEvSY_ ; -- Begin function _ZN7rocprim17ROCPRIM_400000_NS6detail17trampoline_kernelINS0_14default_configENS1_27lower_bound_config_selectorIilEEZNS1_14transform_implILb0ES3_S5_N6thrust23THRUST_200600_302600_NS6detail15normal_iteratorINS8_7pointerIiNS8_11hip_rocprim5par_tENS8_11use_defaultESE_EEEENSA_INSB_IlSD_SE_SE_EEEEZNS1_13binary_searchIS3_S5_NSA_INS8_10device_ptrIiEEEESG_SI_NS1_21lower_bound_search_opENS9_16wrapped_functionINS8_6system6detail7generic6detail18binary_search_lessEbEEEE10hipError_tPvRmT1_T2_T3_mmT4_T5_P12ihipStream_tbEUlRKiE_EESV_SZ_S10_mS11_S14_bEUlT_E_NS1_11comp_targetILNS1_3genE2ELNS1_11target_archE906ELNS1_3gpuE6ELNS1_3repE0EEENS1_30default_config_static_selectorELNS0_4arch9wavefront6targetE0EEEvSY_
	.globl	_ZN7rocprim17ROCPRIM_400000_NS6detail17trampoline_kernelINS0_14default_configENS1_27lower_bound_config_selectorIilEEZNS1_14transform_implILb0ES3_S5_N6thrust23THRUST_200600_302600_NS6detail15normal_iteratorINS8_7pointerIiNS8_11hip_rocprim5par_tENS8_11use_defaultESE_EEEENSA_INSB_IlSD_SE_SE_EEEEZNS1_13binary_searchIS3_S5_NSA_INS8_10device_ptrIiEEEESG_SI_NS1_21lower_bound_search_opENS9_16wrapped_functionINS8_6system6detail7generic6detail18binary_search_lessEbEEEE10hipError_tPvRmT1_T2_T3_mmT4_T5_P12ihipStream_tbEUlRKiE_EESV_SZ_S10_mS11_S14_bEUlT_E_NS1_11comp_targetILNS1_3genE2ELNS1_11target_archE906ELNS1_3gpuE6ELNS1_3repE0EEENS1_30default_config_static_selectorELNS0_4arch9wavefront6targetE0EEEvSY_
	.p2align	8
	.type	_ZN7rocprim17ROCPRIM_400000_NS6detail17trampoline_kernelINS0_14default_configENS1_27lower_bound_config_selectorIilEEZNS1_14transform_implILb0ES3_S5_N6thrust23THRUST_200600_302600_NS6detail15normal_iteratorINS8_7pointerIiNS8_11hip_rocprim5par_tENS8_11use_defaultESE_EEEENSA_INSB_IlSD_SE_SE_EEEEZNS1_13binary_searchIS3_S5_NSA_INS8_10device_ptrIiEEEESG_SI_NS1_21lower_bound_search_opENS9_16wrapped_functionINS8_6system6detail7generic6detail18binary_search_lessEbEEEE10hipError_tPvRmT1_T2_T3_mmT4_T5_P12ihipStream_tbEUlRKiE_EESV_SZ_S10_mS11_S14_bEUlT_E_NS1_11comp_targetILNS1_3genE2ELNS1_11target_archE906ELNS1_3gpuE6ELNS1_3repE0EEENS1_30default_config_static_selectorELNS0_4arch9wavefront6targetE0EEEvSY_,@function
_ZN7rocprim17ROCPRIM_400000_NS6detail17trampoline_kernelINS0_14default_configENS1_27lower_bound_config_selectorIilEEZNS1_14transform_implILb0ES3_S5_N6thrust23THRUST_200600_302600_NS6detail15normal_iteratorINS8_7pointerIiNS8_11hip_rocprim5par_tENS8_11use_defaultESE_EEEENSA_INSB_IlSD_SE_SE_EEEEZNS1_13binary_searchIS3_S5_NSA_INS8_10device_ptrIiEEEESG_SI_NS1_21lower_bound_search_opENS9_16wrapped_functionINS8_6system6detail7generic6detail18binary_search_lessEbEEEE10hipError_tPvRmT1_T2_T3_mmT4_T5_P12ihipStream_tbEUlRKiE_EESV_SZ_S10_mS11_S14_bEUlT_E_NS1_11comp_targetILNS1_3genE2ELNS1_11target_archE906ELNS1_3gpuE6ELNS1_3repE0EEENS1_30default_config_static_selectorELNS0_4arch9wavefront6targetE0EEEvSY_: ; @_ZN7rocprim17ROCPRIM_400000_NS6detail17trampoline_kernelINS0_14default_configENS1_27lower_bound_config_selectorIilEEZNS1_14transform_implILb0ES3_S5_N6thrust23THRUST_200600_302600_NS6detail15normal_iteratorINS8_7pointerIiNS8_11hip_rocprim5par_tENS8_11use_defaultESE_EEEENSA_INSB_IlSD_SE_SE_EEEEZNS1_13binary_searchIS3_S5_NSA_INS8_10device_ptrIiEEEESG_SI_NS1_21lower_bound_search_opENS9_16wrapped_functionINS8_6system6detail7generic6detail18binary_search_lessEbEEEE10hipError_tPvRmT1_T2_T3_mmT4_T5_P12ihipStream_tbEUlRKiE_EESV_SZ_S10_mS11_S14_bEUlT_E_NS1_11comp_targetILNS1_3genE2ELNS1_11target_archE906ELNS1_3gpuE6ELNS1_3repE0EEENS1_30default_config_static_selectorELNS0_4arch9wavefront6targetE0EEEvSY_
; %bb.0:
	.section	.rodata,"a",@progbits
	.p2align	6, 0x0
	.amdhsa_kernel _ZN7rocprim17ROCPRIM_400000_NS6detail17trampoline_kernelINS0_14default_configENS1_27lower_bound_config_selectorIilEEZNS1_14transform_implILb0ES3_S5_N6thrust23THRUST_200600_302600_NS6detail15normal_iteratorINS8_7pointerIiNS8_11hip_rocprim5par_tENS8_11use_defaultESE_EEEENSA_INSB_IlSD_SE_SE_EEEEZNS1_13binary_searchIS3_S5_NSA_INS8_10device_ptrIiEEEESG_SI_NS1_21lower_bound_search_opENS9_16wrapped_functionINS8_6system6detail7generic6detail18binary_search_lessEbEEEE10hipError_tPvRmT1_T2_T3_mmT4_T5_P12ihipStream_tbEUlRKiE_EESV_SZ_S10_mS11_S14_bEUlT_E_NS1_11comp_targetILNS1_3genE2ELNS1_11target_archE906ELNS1_3gpuE6ELNS1_3repE0EEENS1_30default_config_static_selectorELNS0_4arch9wavefront6targetE0EEEvSY_
		.amdhsa_group_segment_fixed_size 0
		.amdhsa_private_segment_fixed_size 0
		.amdhsa_kernarg_size 56
		.amdhsa_user_sgpr_count 6
		.amdhsa_user_sgpr_private_segment_buffer 1
		.amdhsa_user_sgpr_dispatch_ptr 0
		.amdhsa_user_sgpr_queue_ptr 0
		.amdhsa_user_sgpr_kernarg_segment_ptr 1
		.amdhsa_user_sgpr_dispatch_id 0
		.amdhsa_user_sgpr_flat_scratch_init 0
		.amdhsa_user_sgpr_private_segment_size 0
		.amdhsa_wavefront_size32 1
		.amdhsa_uses_dynamic_stack 0
		.amdhsa_system_sgpr_private_segment_wavefront_offset 0
		.amdhsa_system_sgpr_workgroup_id_x 1
		.amdhsa_system_sgpr_workgroup_id_y 0
		.amdhsa_system_sgpr_workgroup_id_z 0
		.amdhsa_system_sgpr_workgroup_info 0
		.amdhsa_system_vgpr_workitem_id 0
		.amdhsa_next_free_vgpr 1
		.amdhsa_next_free_sgpr 1
		.amdhsa_reserve_vcc 0
		.amdhsa_reserve_flat_scratch 0
		.amdhsa_float_round_mode_32 0
		.amdhsa_float_round_mode_16_64 0
		.amdhsa_float_denorm_mode_32 3
		.amdhsa_float_denorm_mode_16_64 3
		.amdhsa_dx10_clamp 1
		.amdhsa_ieee_mode 1
		.amdhsa_fp16_overflow 0
		.amdhsa_workgroup_processor_mode 1
		.amdhsa_memory_ordered 1
		.amdhsa_forward_progress 1
		.amdhsa_shared_vgpr_count 0
		.amdhsa_exception_fp_ieee_invalid_op 0
		.amdhsa_exception_fp_denorm_src 0
		.amdhsa_exception_fp_ieee_div_zero 0
		.amdhsa_exception_fp_ieee_overflow 0
		.amdhsa_exception_fp_ieee_underflow 0
		.amdhsa_exception_fp_ieee_inexact 0
		.amdhsa_exception_int_div_zero 0
	.end_amdhsa_kernel
	.section	.text._ZN7rocprim17ROCPRIM_400000_NS6detail17trampoline_kernelINS0_14default_configENS1_27lower_bound_config_selectorIilEEZNS1_14transform_implILb0ES3_S5_N6thrust23THRUST_200600_302600_NS6detail15normal_iteratorINS8_7pointerIiNS8_11hip_rocprim5par_tENS8_11use_defaultESE_EEEENSA_INSB_IlSD_SE_SE_EEEEZNS1_13binary_searchIS3_S5_NSA_INS8_10device_ptrIiEEEESG_SI_NS1_21lower_bound_search_opENS9_16wrapped_functionINS8_6system6detail7generic6detail18binary_search_lessEbEEEE10hipError_tPvRmT1_T2_T3_mmT4_T5_P12ihipStream_tbEUlRKiE_EESV_SZ_S10_mS11_S14_bEUlT_E_NS1_11comp_targetILNS1_3genE2ELNS1_11target_archE906ELNS1_3gpuE6ELNS1_3repE0EEENS1_30default_config_static_selectorELNS0_4arch9wavefront6targetE0EEEvSY_,"axG",@progbits,_ZN7rocprim17ROCPRIM_400000_NS6detail17trampoline_kernelINS0_14default_configENS1_27lower_bound_config_selectorIilEEZNS1_14transform_implILb0ES3_S5_N6thrust23THRUST_200600_302600_NS6detail15normal_iteratorINS8_7pointerIiNS8_11hip_rocprim5par_tENS8_11use_defaultESE_EEEENSA_INSB_IlSD_SE_SE_EEEEZNS1_13binary_searchIS3_S5_NSA_INS8_10device_ptrIiEEEESG_SI_NS1_21lower_bound_search_opENS9_16wrapped_functionINS8_6system6detail7generic6detail18binary_search_lessEbEEEE10hipError_tPvRmT1_T2_T3_mmT4_T5_P12ihipStream_tbEUlRKiE_EESV_SZ_S10_mS11_S14_bEUlT_E_NS1_11comp_targetILNS1_3genE2ELNS1_11target_archE906ELNS1_3gpuE6ELNS1_3repE0EEENS1_30default_config_static_selectorELNS0_4arch9wavefront6targetE0EEEvSY_,comdat
.Lfunc_end407:
	.size	_ZN7rocprim17ROCPRIM_400000_NS6detail17trampoline_kernelINS0_14default_configENS1_27lower_bound_config_selectorIilEEZNS1_14transform_implILb0ES3_S5_N6thrust23THRUST_200600_302600_NS6detail15normal_iteratorINS8_7pointerIiNS8_11hip_rocprim5par_tENS8_11use_defaultESE_EEEENSA_INSB_IlSD_SE_SE_EEEEZNS1_13binary_searchIS3_S5_NSA_INS8_10device_ptrIiEEEESG_SI_NS1_21lower_bound_search_opENS9_16wrapped_functionINS8_6system6detail7generic6detail18binary_search_lessEbEEEE10hipError_tPvRmT1_T2_T3_mmT4_T5_P12ihipStream_tbEUlRKiE_EESV_SZ_S10_mS11_S14_bEUlT_E_NS1_11comp_targetILNS1_3genE2ELNS1_11target_archE906ELNS1_3gpuE6ELNS1_3repE0EEENS1_30default_config_static_selectorELNS0_4arch9wavefront6targetE0EEEvSY_, .Lfunc_end407-_ZN7rocprim17ROCPRIM_400000_NS6detail17trampoline_kernelINS0_14default_configENS1_27lower_bound_config_selectorIilEEZNS1_14transform_implILb0ES3_S5_N6thrust23THRUST_200600_302600_NS6detail15normal_iteratorINS8_7pointerIiNS8_11hip_rocprim5par_tENS8_11use_defaultESE_EEEENSA_INSB_IlSD_SE_SE_EEEEZNS1_13binary_searchIS3_S5_NSA_INS8_10device_ptrIiEEEESG_SI_NS1_21lower_bound_search_opENS9_16wrapped_functionINS8_6system6detail7generic6detail18binary_search_lessEbEEEE10hipError_tPvRmT1_T2_T3_mmT4_T5_P12ihipStream_tbEUlRKiE_EESV_SZ_S10_mS11_S14_bEUlT_E_NS1_11comp_targetILNS1_3genE2ELNS1_11target_archE906ELNS1_3gpuE6ELNS1_3repE0EEENS1_30default_config_static_selectorELNS0_4arch9wavefront6targetE0EEEvSY_
                                        ; -- End function
	.set _ZN7rocprim17ROCPRIM_400000_NS6detail17trampoline_kernelINS0_14default_configENS1_27lower_bound_config_selectorIilEEZNS1_14transform_implILb0ES3_S5_N6thrust23THRUST_200600_302600_NS6detail15normal_iteratorINS8_7pointerIiNS8_11hip_rocprim5par_tENS8_11use_defaultESE_EEEENSA_INSB_IlSD_SE_SE_EEEEZNS1_13binary_searchIS3_S5_NSA_INS8_10device_ptrIiEEEESG_SI_NS1_21lower_bound_search_opENS9_16wrapped_functionINS8_6system6detail7generic6detail18binary_search_lessEbEEEE10hipError_tPvRmT1_T2_T3_mmT4_T5_P12ihipStream_tbEUlRKiE_EESV_SZ_S10_mS11_S14_bEUlT_E_NS1_11comp_targetILNS1_3genE2ELNS1_11target_archE906ELNS1_3gpuE6ELNS1_3repE0EEENS1_30default_config_static_selectorELNS0_4arch9wavefront6targetE0EEEvSY_.num_vgpr, 0
	.set _ZN7rocprim17ROCPRIM_400000_NS6detail17trampoline_kernelINS0_14default_configENS1_27lower_bound_config_selectorIilEEZNS1_14transform_implILb0ES3_S5_N6thrust23THRUST_200600_302600_NS6detail15normal_iteratorINS8_7pointerIiNS8_11hip_rocprim5par_tENS8_11use_defaultESE_EEEENSA_INSB_IlSD_SE_SE_EEEEZNS1_13binary_searchIS3_S5_NSA_INS8_10device_ptrIiEEEESG_SI_NS1_21lower_bound_search_opENS9_16wrapped_functionINS8_6system6detail7generic6detail18binary_search_lessEbEEEE10hipError_tPvRmT1_T2_T3_mmT4_T5_P12ihipStream_tbEUlRKiE_EESV_SZ_S10_mS11_S14_bEUlT_E_NS1_11comp_targetILNS1_3genE2ELNS1_11target_archE906ELNS1_3gpuE6ELNS1_3repE0EEENS1_30default_config_static_selectorELNS0_4arch9wavefront6targetE0EEEvSY_.num_agpr, 0
	.set _ZN7rocprim17ROCPRIM_400000_NS6detail17trampoline_kernelINS0_14default_configENS1_27lower_bound_config_selectorIilEEZNS1_14transform_implILb0ES3_S5_N6thrust23THRUST_200600_302600_NS6detail15normal_iteratorINS8_7pointerIiNS8_11hip_rocprim5par_tENS8_11use_defaultESE_EEEENSA_INSB_IlSD_SE_SE_EEEEZNS1_13binary_searchIS3_S5_NSA_INS8_10device_ptrIiEEEESG_SI_NS1_21lower_bound_search_opENS9_16wrapped_functionINS8_6system6detail7generic6detail18binary_search_lessEbEEEE10hipError_tPvRmT1_T2_T3_mmT4_T5_P12ihipStream_tbEUlRKiE_EESV_SZ_S10_mS11_S14_bEUlT_E_NS1_11comp_targetILNS1_3genE2ELNS1_11target_archE906ELNS1_3gpuE6ELNS1_3repE0EEENS1_30default_config_static_selectorELNS0_4arch9wavefront6targetE0EEEvSY_.numbered_sgpr, 0
	.set _ZN7rocprim17ROCPRIM_400000_NS6detail17trampoline_kernelINS0_14default_configENS1_27lower_bound_config_selectorIilEEZNS1_14transform_implILb0ES3_S5_N6thrust23THRUST_200600_302600_NS6detail15normal_iteratorINS8_7pointerIiNS8_11hip_rocprim5par_tENS8_11use_defaultESE_EEEENSA_INSB_IlSD_SE_SE_EEEEZNS1_13binary_searchIS3_S5_NSA_INS8_10device_ptrIiEEEESG_SI_NS1_21lower_bound_search_opENS9_16wrapped_functionINS8_6system6detail7generic6detail18binary_search_lessEbEEEE10hipError_tPvRmT1_T2_T3_mmT4_T5_P12ihipStream_tbEUlRKiE_EESV_SZ_S10_mS11_S14_bEUlT_E_NS1_11comp_targetILNS1_3genE2ELNS1_11target_archE906ELNS1_3gpuE6ELNS1_3repE0EEENS1_30default_config_static_selectorELNS0_4arch9wavefront6targetE0EEEvSY_.num_named_barrier, 0
	.set _ZN7rocprim17ROCPRIM_400000_NS6detail17trampoline_kernelINS0_14default_configENS1_27lower_bound_config_selectorIilEEZNS1_14transform_implILb0ES3_S5_N6thrust23THRUST_200600_302600_NS6detail15normal_iteratorINS8_7pointerIiNS8_11hip_rocprim5par_tENS8_11use_defaultESE_EEEENSA_INSB_IlSD_SE_SE_EEEEZNS1_13binary_searchIS3_S5_NSA_INS8_10device_ptrIiEEEESG_SI_NS1_21lower_bound_search_opENS9_16wrapped_functionINS8_6system6detail7generic6detail18binary_search_lessEbEEEE10hipError_tPvRmT1_T2_T3_mmT4_T5_P12ihipStream_tbEUlRKiE_EESV_SZ_S10_mS11_S14_bEUlT_E_NS1_11comp_targetILNS1_3genE2ELNS1_11target_archE906ELNS1_3gpuE6ELNS1_3repE0EEENS1_30default_config_static_selectorELNS0_4arch9wavefront6targetE0EEEvSY_.private_seg_size, 0
	.set _ZN7rocprim17ROCPRIM_400000_NS6detail17trampoline_kernelINS0_14default_configENS1_27lower_bound_config_selectorIilEEZNS1_14transform_implILb0ES3_S5_N6thrust23THRUST_200600_302600_NS6detail15normal_iteratorINS8_7pointerIiNS8_11hip_rocprim5par_tENS8_11use_defaultESE_EEEENSA_INSB_IlSD_SE_SE_EEEEZNS1_13binary_searchIS3_S5_NSA_INS8_10device_ptrIiEEEESG_SI_NS1_21lower_bound_search_opENS9_16wrapped_functionINS8_6system6detail7generic6detail18binary_search_lessEbEEEE10hipError_tPvRmT1_T2_T3_mmT4_T5_P12ihipStream_tbEUlRKiE_EESV_SZ_S10_mS11_S14_bEUlT_E_NS1_11comp_targetILNS1_3genE2ELNS1_11target_archE906ELNS1_3gpuE6ELNS1_3repE0EEENS1_30default_config_static_selectorELNS0_4arch9wavefront6targetE0EEEvSY_.uses_vcc, 0
	.set _ZN7rocprim17ROCPRIM_400000_NS6detail17trampoline_kernelINS0_14default_configENS1_27lower_bound_config_selectorIilEEZNS1_14transform_implILb0ES3_S5_N6thrust23THRUST_200600_302600_NS6detail15normal_iteratorINS8_7pointerIiNS8_11hip_rocprim5par_tENS8_11use_defaultESE_EEEENSA_INSB_IlSD_SE_SE_EEEEZNS1_13binary_searchIS3_S5_NSA_INS8_10device_ptrIiEEEESG_SI_NS1_21lower_bound_search_opENS9_16wrapped_functionINS8_6system6detail7generic6detail18binary_search_lessEbEEEE10hipError_tPvRmT1_T2_T3_mmT4_T5_P12ihipStream_tbEUlRKiE_EESV_SZ_S10_mS11_S14_bEUlT_E_NS1_11comp_targetILNS1_3genE2ELNS1_11target_archE906ELNS1_3gpuE6ELNS1_3repE0EEENS1_30default_config_static_selectorELNS0_4arch9wavefront6targetE0EEEvSY_.uses_flat_scratch, 0
	.set _ZN7rocprim17ROCPRIM_400000_NS6detail17trampoline_kernelINS0_14default_configENS1_27lower_bound_config_selectorIilEEZNS1_14transform_implILb0ES3_S5_N6thrust23THRUST_200600_302600_NS6detail15normal_iteratorINS8_7pointerIiNS8_11hip_rocprim5par_tENS8_11use_defaultESE_EEEENSA_INSB_IlSD_SE_SE_EEEEZNS1_13binary_searchIS3_S5_NSA_INS8_10device_ptrIiEEEESG_SI_NS1_21lower_bound_search_opENS9_16wrapped_functionINS8_6system6detail7generic6detail18binary_search_lessEbEEEE10hipError_tPvRmT1_T2_T3_mmT4_T5_P12ihipStream_tbEUlRKiE_EESV_SZ_S10_mS11_S14_bEUlT_E_NS1_11comp_targetILNS1_3genE2ELNS1_11target_archE906ELNS1_3gpuE6ELNS1_3repE0EEENS1_30default_config_static_selectorELNS0_4arch9wavefront6targetE0EEEvSY_.has_dyn_sized_stack, 0
	.set _ZN7rocprim17ROCPRIM_400000_NS6detail17trampoline_kernelINS0_14default_configENS1_27lower_bound_config_selectorIilEEZNS1_14transform_implILb0ES3_S5_N6thrust23THRUST_200600_302600_NS6detail15normal_iteratorINS8_7pointerIiNS8_11hip_rocprim5par_tENS8_11use_defaultESE_EEEENSA_INSB_IlSD_SE_SE_EEEEZNS1_13binary_searchIS3_S5_NSA_INS8_10device_ptrIiEEEESG_SI_NS1_21lower_bound_search_opENS9_16wrapped_functionINS8_6system6detail7generic6detail18binary_search_lessEbEEEE10hipError_tPvRmT1_T2_T3_mmT4_T5_P12ihipStream_tbEUlRKiE_EESV_SZ_S10_mS11_S14_bEUlT_E_NS1_11comp_targetILNS1_3genE2ELNS1_11target_archE906ELNS1_3gpuE6ELNS1_3repE0EEENS1_30default_config_static_selectorELNS0_4arch9wavefront6targetE0EEEvSY_.has_recursion, 0
	.set _ZN7rocprim17ROCPRIM_400000_NS6detail17trampoline_kernelINS0_14default_configENS1_27lower_bound_config_selectorIilEEZNS1_14transform_implILb0ES3_S5_N6thrust23THRUST_200600_302600_NS6detail15normal_iteratorINS8_7pointerIiNS8_11hip_rocprim5par_tENS8_11use_defaultESE_EEEENSA_INSB_IlSD_SE_SE_EEEEZNS1_13binary_searchIS3_S5_NSA_INS8_10device_ptrIiEEEESG_SI_NS1_21lower_bound_search_opENS9_16wrapped_functionINS8_6system6detail7generic6detail18binary_search_lessEbEEEE10hipError_tPvRmT1_T2_T3_mmT4_T5_P12ihipStream_tbEUlRKiE_EESV_SZ_S10_mS11_S14_bEUlT_E_NS1_11comp_targetILNS1_3genE2ELNS1_11target_archE906ELNS1_3gpuE6ELNS1_3repE0EEENS1_30default_config_static_selectorELNS0_4arch9wavefront6targetE0EEEvSY_.has_indirect_call, 0
	.section	.AMDGPU.csdata,"",@progbits
; Kernel info:
; codeLenInByte = 0
; TotalNumSgprs: 0
; NumVgprs: 0
; ScratchSize: 0
; MemoryBound: 0
; FloatMode: 240
; IeeeMode: 1
; LDSByteSize: 0 bytes/workgroup (compile time only)
; SGPRBlocks: 0
; VGPRBlocks: 0
; NumSGPRsForWavesPerEU: 1
; NumVGPRsForWavesPerEU: 1
; Occupancy: 16
; WaveLimiterHint : 0
; COMPUTE_PGM_RSRC2:SCRATCH_EN: 0
; COMPUTE_PGM_RSRC2:USER_SGPR: 6
; COMPUTE_PGM_RSRC2:TRAP_HANDLER: 0
; COMPUTE_PGM_RSRC2:TGID_X_EN: 1
; COMPUTE_PGM_RSRC2:TGID_Y_EN: 0
; COMPUTE_PGM_RSRC2:TGID_Z_EN: 0
; COMPUTE_PGM_RSRC2:TIDIG_COMP_CNT: 0
	.section	.text._ZN7rocprim17ROCPRIM_400000_NS6detail17trampoline_kernelINS0_14default_configENS1_27lower_bound_config_selectorIilEEZNS1_14transform_implILb0ES3_S5_N6thrust23THRUST_200600_302600_NS6detail15normal_iteratorINS8_7pointerIiNS8_11hip_rocprim5par_tENS8_11use_defaultESE_EEEENSA_INSB_IlSD_SE_SE_EEEEZNS1_13binary_searchIS3_S5_NSA_INS8_10device_ptrIiEEEESG_SI_NS1_21lower_bound_search_opENS9_16wrapped_functionINS8_6system6detail7generic6detail18binary_search_lessEbEEEE10hipError_tPvRmT1_T2_T3_mmT4_T5_P12ihipStream_tbEUlRKiE_EESV_SZ_S10_mS11_S14_bEUlT_E_NS1_11comp_targetILNS1_3genE10ELNS1_11target_archE1201ELNS1_3gpuE5ELNS1_3repE0EEENS1_30default_config_static_selectorELNS0_4arch9wavefront6targetE0EEEvSY_,"axG",@progbits,_ZN7rocprim17ROCPRIM_400000_NS6detail17trampoline_kernelINS0_14default_configENS1_27lower_bound_config_selectorIilEEZNS1_14transform_implILb0ES3_S5_N6thrust23THRUST_200600_302600_NS6detail15normal_iteratorINS8_7pointerIiNS8_11hip_rocprim5par_tENS8_11use_defaultESE_EEEENSA_INSB_IlSD_SE_SE_EEEEZNS1_13binary_searchIS3_S5_NSA_INS8_10device_ptrIiEEEESG_SI_NS1_21lower_bound_search_opENS9_16wrapped_functionINS8_6system6detail7generic6detail18binary_search_lessEbEEEE10hipError_tPvRmT1_T2_T3_mmT4_T5_P12ihipStream_tbEUlRKiE_EESV_SZ_S10_mS11_S14_bEUlT_E_NS1_11comp_targetILNS1_3genE10ELNS1_11target_archE1201ELNS1_3gpuE5ELNS1_3repE0EEENS1_30default_config_static_selectorELNS0_4arch9wavefront6targetE0EEEvSY_,comdat
	.protected	_ZN7rocprim17ROCPRIM_400000_NS6detail17trampoline_kernelINS0_14default_configENS1_27lower_bound_config_selectorIilEEZNS1_14transform_implILb0ES3_S5_N6thrust23THRUST_200600_302600_NS6detail15normal_iteratorINS8_7pointerIiNS8_11hip_rocprim5par_tENS8_11use_defaultESE_EEEENSA_INSB_IlSD_SE_SE_EEEEZNS1_13binary_searchIS3_S5_NSA_INS8_10device_ptrIiEEEESG_SI_NS1_21lower_bound_search_opENS9_16wrapped_functionINS8_6system6detail7generic6detail18binary_search_lessEbEEEE10hipError_tPvRmT1_T2_T3_mmT4_T5_P12ihipStream_tbEUlRKiE_EESV_SZ_S10_mS11_S14_bEUlT_E_NS1_11comp_targetILNS1_3genE10ELNS1_11target_archE1201ELNS1_3gpuE5ELNS1_3repE0EEENS1_30default_config_static_selectorELNS0_4arch9wavefront6targetE0EEEvSY_ ; -- Begin function _ZN7rocprim17ROCPRIM_400000_NS6detail17trampoline_kernelINS0_14default_configENS1_27lower_bound_config_selectorIilEEZNS1_14transform_implILb0ES3_S5_N6thrust23THRUST_200600_302600_NS6detail15normal_iteratorINS8_7pointerIiNS8_11hip_rocprim5par_tENS8_11use_defaultESE_EEEENSA_INSB_IlSD_SE_SE_EEEEZNS1_13binary_searchIS3_S5_NSA_INS8_10device_ptrIiEEEESG_SI_NS1_21lower_bound_search_opENS9_16wrapped_functionINS8_6system6detail7generic6detail18binary_search_lessEbEEEE10hipError_tPvRmT1_T2_T3_mmT4_T5_P12ihipStream_tbEUlRKiE_EESV_SZ_S10_mS11_S14_bEUlT_E_NS1_11comp_targetILNS1_3genE10ELNS1_11target_archE1201ELNS1_3gpuE5ELNS1_3repE0EEENS1_30default_config_static_selectorELNS0_4arch9wavefront6targetE0EEEvSY_
	.globl	_ZN7rocprim17ROCPRIM_400000_NS6detail17trampoline_kernelINS0_14default_configENS1_27lower_bound_config_selectorIilEEZNS1_14transform_implILb0ES3_S5_N6thrust23THRUST_200600_302600_NS6detail15normal_iteratorINS8_7pointerIiNS8_11hip_rocprim5par_tENS8_11use_defaultESE_EEEENSA_INSB_IlSD_SE_SE_EEEEZNS1_13binary_searchIS3_S5_NSA_INS8_10device_ptrIiEEEESG_SI_NS1_21lower_bound_search_opENS9_16wrapped_functionINS8_6system6detail7generic6detail18binary_search_lessEbEEEE10hipError_tPvRmT1_T2_T3_mmT4_T5_P12ihipStream_tbEUlRKiE_EESV_SZ_S10_mS11_S14_bEUlT_E_NS1_11comp_targetILNS1_3genE10ELNS1_11target_archE1201ELNS1_3gpuE5ELNS1_3repE0EEENS1_30default_config_static_selectorELNS0_4arch9wavefront6targetE0EEEvSY_
	.p2align	8
	.type	_ZN7rocprim17ROCPRIM_400000_NS6detail17trampoline_kernelINS0_14default_configENS1_27lower_bound_config_selectorIilEEZNS1_14transform_implILb0ES3_S5_N6thrust23THRUST_200600_302600_NS6detail15normal_iteratorINS8_7pointerIiNS8_11hip_rocprim5par_tENS8_11use_defaultESE_EEEENSA_INSB_IlSD_SE_SE_EEEEZNS1_13binary_searchIS3_S5_NSA_INS8_10device_ptrIiEEEESG_SI_NS1_21lower_bound_search_opENS9_16wrapped_functionINS8_6system6detail7generic6detail18binary_search_lessEbEEEE10hipError_tPvRmT1_T2_T3_mmT4_T5_P12ihipStream_tbEUlRKiE_EESV_SZ_S10_mS11_S14_bEUlT_E_NS1_11comp_targetILNS1_3genE10ELNS1_11target_archE1201ELNS1_3gpuE5ELNS1_3repE0EEENS1_30default_config_static_selectorELNS0_4arch9wavefront6targetE0EEEvSY_,@function
_ZN7rocprim17ROCPRIM_400000_NS6detail17trampoline_kernelINS0_14default_configENS1_27lower_bound_config_selectorIilEEZNS1_14transform_implILb0ES3_S5_N6thrust23THRUST_200600_302600_NS6detail15normal_iteratorINS8_7pointerIiNS8_11hip_rocprim5par_tENS8_11use_defaultESE_EEEENSA_INSB_IlSD_SE_SE_EEEEZNS1_13binary_searchIS3_S5_NSA_INS8_10device_ptrIiEEEESG_SI_NS1_21lower_bound_search_opENS9_16wrapped_functionINS8_6system6detail7generic6detail18binary_search_lessEbEEEE10hipError_tPvRmT1_T2_T3_mmT4_T5_P12ihipStream_tbEUlRKiE_EESV_SZ_S10_mS11_S14_bEUlT_E_NS1_11comp_targetILNS1_3genE10ELNS1_11target_archE1201ELNS1_3gpuE5ELNS1_3repE0EEENS1_30default_config_static_selectorELNS0_4arch9wavefront6targetE0EEEvSY_: ; @_ZN7rocprim17ROCPRIM_400000_NS6detail17trampoline_kernelINS0_14default_configENS1_27lower_bound_config_selectorIilEEZNS1_14transform_implILb0ES3_S5_N6thrust23THRUST_200600_302600_NS6detail15normal_iteratorINS8_7pointerIiNS8_11hip_rocprim5par_tENS8_11use_defaultESE_EEEENSA_INSB_IlSD_SE_SE_EEEEZNS1_13binary_searchIS3_S5_NSA_INS8_10device_ptrIiEEEESG_SI_NS1_21lower_bound_search_opENS9_16wrapped_functionINS8_6system6detail7generic6detail18binary_search_lessEbEEEE10hipError_tPvRmT1_T2_T3_mmT4_T5_P12ihipStream_tbEUlRKiE_EESV_SZ_S10_mS11_S14_bEUlT_E_NS1_11comp_targetILNS1_3genE10ELNS1_11target_archE1201ELNS1_3gpuE5ELNS1_3repE0EEENS1_30default_config_static_selectorELNS0_4arch9wavefront6targetE0EEEvSY_
; %bb.0:
	.section	.rodata,"a",@progbits
	.p2align	6, 0x0
	.amdhsa_kernel _ZN7rocprim17ROCPRIM_400000_NS6detail17trampoline_kernelINS0_14default_configENS1_27lower_bound_config_selectorIilEEZNS1_14transform_implILb0ES3_S5_N6thrust23THRUST_200600_302600_NS6detail15normal_iteratorINS8_7pointerIiNS8_11hip_rocprim5par_tENS8_11use_defaultESE_EEEENSA_INSB_IlSD_SE_SE_EEEEZNS1_13binary_searchIS3_S5_NSA_INS8_10device_ptrIiEEEESG_SI_NS1_21lower_bound_search_opENS9_16wrapped_functionINS8_6system6detail7generic6detail18binary_search_lessEbEEEE10hipError_tPvRmT1_T2_T3_mmT4_T5_P12ihipStream_tbEUlRKiE_EESV_SZ_S10_mS11_S14_bEUlT_E_NS1_11comp_targetILNS1_3genE10ELNS1_11target_archE1201ELNS1_3gpuE5ELNS1_3repE0EEENS1_30default_config_static_selectorELNS0_4arch9wavefront6targetE0EEEvSY_
		.amdhsa_group_segment_fixed_size 0
		.amdhsa_private_segment_fixed_size 0
		.amdhsa_kernarg_size 56
		.amdhsa_user_sgpr_count 6
		.amdhsa_user_sgpr_private_segment_buffer 1
		.amdhsa_user_sgpr_dispatch_ptr 0
		.amdhsa_user_sgpr_queue_ptr 0
		.amdhsa_user_sgpr_kernarg_segment_ptr 1
		.amdhsa_user_sgpr_dispatch_id 0
		.amdhsa_user_sgpr_flat_scratch_init 0
		.amdhsa_user_sgpr_private_segment_size 0
		.amdhsa_wavefront_size32 1
		.amdhsa_uses_dynamic_stack 0
		.amdhsa_system_sgpr_private_segment_wavefront_offset 0
		.amdhsa_system_sgpr_workgroup_id_x 1
		.amdhsa_system_sgpr_workgroup_id_y 0
		.amdhsa_system_sgpr_workgroup_id_z 0
		.amdhsa_system_sgpr_workgroup_info 0
		.amdhsa_system_vgpr_workitem_id 0
		.amdhsa_next_free_vgpr 1
		.amdhsa_next_free_sgpr 1
		.amdhsa_reserve_vcc 0
		.amdhsa_reserve_flat_scratch 0
		.amdhsa_float_round_mode_32 0
		.amdhsa_float_round_mode_16_64 0
		.amdhsa_float_denorm_mode_32 3
		.amdhsa_float_denorm_mode_16_64 3
		.amdhsa_dx10_clamp 1
		.amdhsa_ieee_mode 1
		.amdhsa_fp16_overflow 0
		.amdhsa_workgroup_processor_mode 1
		.amdhsa_memory_ordered 1
		.amdhsa_forward_progress 1
		.amdhsa_shared_vgpr_count 0
		.amdhsa_exception_fp_ieee_invalid_op 0
		.amdhsa_exception_fp_denorm_src 0
		.amdhsa_exception_fp_ieee_div_zero 0
		.amdhsa_exception_fp_ieee_overflow 0
		.amdhsa_exception_fp_ieee_underflow 0
		.amdhsa_exception_fp_ieee_inexact 0
		.amdhsa_exception_int_div_zero 0
	.end_amdhsa_kernel
	.section	.text._ZN7rocprim17ROCPRIM_400000_NS6detail17trampoline_kernelINS0_14default_configENS1_27lower_bound_config_selectorIilEEZNS1_14transform_implILb0ES3_S5_N6thrust23THRUST_200600_302600_NS6detail15normal_iteratorINS8_7pointerIiNS8_11hip_rocprim5par_tENS8_11use_defaultESE_EEEENSA_INSB_IlSD_SE_SE_EEEEZNS1_13binary_searchIS3_S5_NSA_INS8_10device_ptrIiEEEESG_SI_NS1_21lower_bound_search_opENS9_16wrapped_functionINS8_6system6detail7generic6detail18binary_search_lessEbEEEE10hipError_tPvRmT1_T2_T3_mmT4_T5_P12ihipStream_tbEUlRKiE_EESV_SZ_S10_mS11_S14_bEUlT_E_NS1_11comp_targetILNS1_3genE10ELNS1_11target_archE1201ELNS1_3gpuE5ELNS1_3repE0EEENS1_30default_config_static_selectorELNS0_4arch9wavefront6targetE0EEEvSY_,"axG",@progbits,_ZN7rocprim17ROCPRIM_400000_NS6detail17trampoline_kernelINS0_14default_configENS1_27lower_bound_config_selectorIilEEZNS1_14transform_implILb0ES3_S5_N6thrust23THRUST_200600_302600_NS6detail15normal_iteratorINS8_7pointerIiNS8_11hip_rocprim5par_tENS8_11use_defaultESE_EEEENSA_INSB_IlSD_SE_SE_EEEEZNS1_13binary_searchIS3_S5_NSA_INS8_10device_ptrIiEEEESG_SI_NS1_21lower_bound_search_opENS9_16wrapped_functionINS8_6system6detail7generic6detail18binary_search_lessEbEEEE10hipError_tPvRmT1_T2_T3_mmT4_T5_P12ihipStream_tbEUlRKiE_EESV_SZ_S10_mS11_S14_bEUlT_E_NS1_11comp_targetILNS1_3genE10ELNS1_11target_archE1201ELNS1_3gpuE5ELNS1_3repE0EEENS1_30default_config_static_selectorELNS0_4arch9wavefront6targetE0EEEvSY_,comdat
.Lfunc_end408:
	.size	_ZN7rocprim17ROCPRIM_400000_NS6detail17trampoline_kernelINS0_14default_configENS1_27lower_bound_config_selectorIilEEZNS1_14transform_implILb0ES3_S5_N6thrust23THRUST_200600_302600_NS6detail15normal_iteratorINS8_7pointerIiNS8_11hip_rocprim5par_tENS8_11use_defaultESE_EEEENSA_INSB_IlSD_SE_SE_EEEEZNS1_13binary_searchIS3_S5_NSA_INS8_10device_ptrIiEEEESG_SI_NS1_21lower_bound_search_opENS9_16wrapped_functionINS8_6system6detail7generic6detail18binary_search_lessEbEEEE10hipError_tPvRmT1_T2_T3_mmT4_T5_P12ihipStream_tbEUlRKiE_EESV_SZ_S10_mS11_S14_bEUlT_E_NS1_11comp_targetILNS1_3genE10ELNS1_11target_archE1201ELNS1_3gpuE5ELNS1_3repE0EEENS1_30default_config_static_selectorELNS0_4arch9wavefront6targetE0EEEvSY_, .Lfunc_end408-_ZN7rocprim17ROCPRIM_400000_NS6detail17trampoline_kernelINS0_14default_configENS1_27lower_bound_config_selectorIilEEZNS1_14transform_implILb0ES3_S5_N6thrust23THRUST_200600_302600_NS6detail15normal_iteratorINS8_7pointerIiNS8_11hip_rocprim5par_tENS8_11use_defaultESE_EEEENSA_INSB_IlSD_SE_SE_EEEEZNS1_13binary_searchIS3_S5_NSA_INS8_10device_ptrIiEEEESG_SI_NS1_21lower_bound_search_opENS9_16wrapped_functionINS8_6system6detail7generic6detail18binary_search_lessEbEEEE10hipError_tPvRmT1_T2_T3_mmT4_T5_P12ihipStream_tbEUlRKiE_EESV_SZ_S10_mS11_S14_bEUlT_E_NS1_11comp_targetILNS1_3genE10ELNS1_11target_archE1201ELNS1_3gpuE5ELNS1_3repE0EEENS1_30default_config_static_selectorELNS0_4arch9wavefront6targetE0EEEvSY_
                                        ; -- End function
	.set _ZN7rocprim17ROCPRIM_400000_NS6detail17trampoline_kernelINS0_14default_configENS1_27lower_bound_config_selectorIilEEZNS1_14transform_implILb0ES3_S5_N6thrust23THRUST_200600_302600_NS6detail15normal_iteratorINS8_7pointerIiNS8_11hip_rocprim5par_tENS8_11use_defaultESE_EEEENSA_INSB_IlSD_SE_SE_EEEEZNS1_13binary_searchIS3_S5_NSA_INS8_10device_ptrIiEEEESG_SI_NS1_21lower_bound_search_opENS9_16wrapped_functionINS8_6system6detail7generic6detail18binary_search_lessEbEEEE10hipError_tPvRmT1_T2_T3_mmT4_T5_P12ihipStream_tbEUlRKiE_EESV_SZ_S10_mS11_S14_bEUlT_E_NS1_11comp_targetILNS1_3genE10ELNS1_11target_archE1201ELNS1_3gpuE5ELNS1_3repE0EEENS1_30default_config_static_selectorELNS0_4arch9wavefront6targetE0EEEvSY_.num_vgpr, 0
	.set _ZN7rocprim17ROCPRIM_400000_NS6detail17trampoline_kernelINS0_14default_configENS1_27lower_bound_config_selectorIilEEZNS1_14transform_implILb0ES3_S5_N6thrust23THRUST_200600_302600_NS6detail15normal_iteratorINS8_7pointerIiNS8_11hip_rocprim5par_tENS8_11use_defaultESE_EEEENSA_INSB_IlSD_SE_SE_EEEEZNS1_13binary_searchIS3_S5_NSA_INS8_10device_ptrIiEEEESG_SI_NS1_21lower_bound_search_opENS9_16wrapped_functionINS8_6system6detail7generic6detail18binary_search_lessEbEEEE10hipError_tPvRmT1_T2_T3_mmT4_T5_P12ihipStream_tbEUlRKiE_EESV_SZ_S10_mS11_S14_bEUlT_E_NS1_11comp_targetILNS1_3genE10ELNS1_11target_archE1201ELNS1_3gpuE5ELNS1_3repE0EEENS1_30default_config_static_selectorELNS0_4arch9wavefront6targetE0EEEvSY_.num_agpr, 0
	.set _ZN7rocprim17ROCPRIM_400000_NS6detail17trampoline_kernelINS0_14default_configENS1_27lower_bound_config_selectorIilEEZNS1_14transform_implILb0ES3_S5_N6thrust23THRUST_200600_302600_NS6detail15normal_iteratorINS8_7pointerIiNS8_11hip_rocprim5par_tENS8_11use_defaultESE_EEEENSA_INSB_IlSD_SE_SE_EEEEZNS1_13binary_searchIS3_S5_NSA_INS8_10device_ptrIiEEEESG_SI_NS1_21lower_bound_search_opENS9_16wrapped_functionINS8_6system6detail7generic6detail18binary_search_lessEbEEEE10hipError_tPvRmT1_T2_T3_mmT4_T5_P12ihipStream_tbEUlRKiE_EESV_SZ_S10_mS11_S14_bEUlT_E_NS1_11comp_targetILNS1_3genE10ELNS1_11target_archE1201ELNS1_3gpuE5ELNS1_3repE0EEENS1_30default_config_static_selectorELNS0_4arch9wavefront6targetE0EEEvSY_.numbered_sgpr, 0
	.set _ZN7rocprim17ROCPRIM_400000_NS6detail17trampoline_kernelINS0_14default_configENS1_27lower_bound_config_selectorIilEEZNS1_14transform_implILb0ES3_S5_N6thrust23THRUST_200600_302600_NS6detail15normal_iteratorINS8_7pointerIiNS8_11hip_rocprim5par_tENS8_11use_defaultESE_EEEENSA_INSB_IlSD_SE_SE_EEEEZNS1_13binary_searchIS3_S5_NSA_INS8_10device_ptrIiEEEESG_SI_NS1_21lower_bound_search_opENS9_16wrapped_functionINS8_6system6detail7generic6detail18binary_search_lessEbEEEE10hipError_tPvRmT1_T2_T3_mmT4_T5_P12ihipStream_tbEUlRKiE_EESV_SZ_S10_mS11_S14_bEUlT_E_NS1_11comp_targetILNS1_3genE10ELNS1_11target_archE1201ELNS1_3gpuE5ELNS1_3repE0EEENS1_30default_config_static_selectorELNS0_4arch9wavefront6targetE0EEEvSY_.num_named_barrier, 0
	.set _ZN7rocprim17ROCPRIM_400000_NS6detail17trampoline_kernelINS0_14default_configENS1_27lower_bound_config_selectorIilEEZNS1_14transform_implILb0ES3_S5_N6thrust23THRUST_200600_302600_NS6detail15normal_iteratorINS8_7pointerIiNS8_11hip_rocprim5par_tENS8_11use_defaultESE_EEEENSA_INSB_IlSD_SE_SE_EEEEZNS1_13binary_searchIS3_S5_NSA_INS8_10device_ptrIiEEEESG_SI_NS1_21lower_bound_search_opENS9_16wrapped_functionINS8_6system6detail7generic6detail18binary_search_lessEbEEEE10hipError_tPvRmT1_T2_T3_mmT4_T5_P12ihipStream_tbEUlRKiE_EESV_SZ_S10_mS11_S14_bEUlT_E_NS1_11comp_targetILNS1_3genE10ELNS1_11target_archE1201ELNS1_3gpuE5ELNS1_3repE0EEENS1_30default_config_static_selectorELNS0_4arch9wavefront6targetE0EEEvSY_.private_seg_size, 0
	.set _ZN7rocprim17ROCPRIM_400000_NS6detail17trampoline_kernelINS0_14default_configENS1_27lower_bound_config_selectorIilEEZNS1_14transform_implILb0ES3_S5_N6thrust23THRUST_200600_302600_NS6detail15normal_iteratorINS8_7pointerIiNS8_11hip_rocprim5par_tENS8_11use_defaultESE_EEEENSA_INSB_IlSD_SE_SE_EEEEZNS1_13binary_searchIS3_S5_NSA_INS8_10device_ptrIiEEEESG_SI_NS1_21lower_bound_search_opENS9_16wrapped_functionINS8_6system6detail7generic6detail18binary_search_lessEbEEEE10hipError_tPvRmT1_T2_T3_mmT4_T5_P12ihipStream_tbEUlRKiE_EESV_SZ_S10_mS11_S14_bEUlT_E_NS1_11comp_targetILNS1_3genE10ELNS1_11target_archE1201ELNS1_3gpuE5ELNS1_3repE0EEENS1_30default_config_static_selectorELNS0_4arch9wavefront6targetE0EEEvSY_.uses_vcc, 0
	.set _ZN7rocprim17ROCPRIM_400000_NS6detail17trampoline_kernelINS0_14default_configENS1_27lower_bound_config_selectorIilEEZNS1_14transform_implILb0ES3_S5_N6thrust23THRUST_200600_302600_NS6detail15normal_iteratorINS8_7pointerIiNS8_11hip_rocprim5par_tENS8_11use_defaultESE_EEEENSA_INSB_IlSD_SE_SE_EEEEZNS1_13binary_searchIS3_S5_NSA_INS8_10device_ptrIiEEEESG_SI_NS1_21lower_bound_search_opENS9_16wrapped_functionINS8_6system6detail7generic6detail18binary_search_lessEbEEEE10hipError_tPvRmT1_T2_T3_mmT4_T5_P12ihipStream_tbEUlRKiE_EESV_SZ_S10_mS11_S14_bEUlT_E_NS1_11comp_targetILNS1_3genE10ELNS1_11target_archE1201ELNS1_3gpuE5ELNS1_3repE0EEENS1_30default_config_static_selectorELNS0_4arch9wavefront6targetE0EEEvSY_.uses_flat_scratch, 0
	.set _ZN7rocprim17ROCPRIM_400000_NS6detail17trampoline_kernelINS0_14default_configENS1_27lower_bound_config_selectorIilEEZNS1_14transform_implILb0ES3_S5_N6thrust23THRUST_200600_302600_NS6detail15normal_iteratorINS8_7pointerIiNS8_11hip_rocprim5par_tENS8_11use_defaultESE_EEEENSA_INSB_IlSD_SE_SE_EEEEZNS1_13binary_searchIS3_S5_NSA_INS8_10device_ptrIiEEEESG_SI_NS1_21lower_bound_search_opENS9_16wrapped_functionINS8_6system6detail7generic6detail18binary_search_lessEbEEEE10hipError_tPvRmT1_T2_T3_mmT4_T5_P12ihipStream_tbEUlRKiE_EESV_SZ_S10_mS11_S14_bEUlT_E_NS1_11comp_targetILNS1_3genE10ELNS1_11target_archE1201ELNS1_3gpuE5ELNS1_3repE0EEENS1_30default_config_static_selectorELNS0_4arch9wavefront6targetE0EEEvSY_.has_dyn_sized_stack, 0
	.set _ZN7rocprim17ROCPRIM_400000_NS6detail17trampoline_kernelINS0_14default_configENS1_27lower_bound_config_selectorIilEEZNS1_14transform_implILb0ES3_S5_N6thrust23THRUST_200600_302600_NS6detail15normal_iteratorINS8_7pointerIiNS8_11hip_rocprim5par_tENS8_11use_defaultESE_EEEENSA_INSB_IlSD_SE_SE_EEEEZNS1_13binary_searchIS3_S5_NSA_INS8_10device_ptrIiEEEESG_SI_NS1_21lower_bound_search_opENS9_16wrapped_functionINS8_6system6detail7generic6detail18binary_search_lessEbEEEE10hipError_tPvRmT1_T2_T3_mmT4_T5_P12ihipStream_tbEUlRKiE_EESV_SZ_S10_mS11_S14_bEUlT_E_NS1_11comp_targetILNS1_3genE10ELNS1_11target_archE1201ELNS1_3gpuE5ELNS1_3repE0EEENS1_30default_config_static_selectorELNS0_4arch9wavefront6targetE0EEEvSY_.has_recursion, 0
	.set _ZN7rocprim17ROCPRIM_400000_NS6detail17trampoline_kernelINS0_14default_configENS1_27lower_bound_config_selectorIilEEZNS1_14transform_implILb0ES3_S5_N6thrust23THRUST_200600_302600_NS6detail15normal_iteratorINS8_7pointerIiNS8_11hip_rocprim5par_tENS8_11use_defaultESE_EEEENSA_INSB_IlSD_SE_SE_EEEEZNS1_13binary_searchIS3_S5_NSA_INS8_10device_ptrIiEEEESG_SI_NS1_21lower_bound_search_opENS9_16wrapped_functionINS8_6system6detail7generic6detail18binary_search_lessEbEEEE10hipError_tPvRmT1_T2_T3_mmT4_T5_P12ihipStream_tbEUlRKiE_EESV_SZ_S10_mS11_S14_bEUlT_E_NS1_11comp_targetILNS1_3genE10ELNS1_11target_archE1201ELNS1_3gpuE5ELNS1_3repE0EEENS1_30default_config_static_selectorELNS0_4arch9wavefront6targetE0EEEvSY_.has_indirect_call, 0
	.section	.AMDGPU.csdata,"",@progbits
; Kernel info:
; codeLenInByte = 0
; TotalNumSgprs: 0
; NumVgprs: 0
; ScratchSize: 0
; MemoryBound: 0
; FloatMode: 240
; IeeeMode: 1
; LDSByteSize: 0 bytes/workgroup (compile time only)
; SGPRBlocks: 0
; VGPRBlocks: 0
; NumSGPRsForWavesPerEU: 1
; NumVGPRsForWavesPerEU: 1
; Occupancy: 16
; WaveLimiterHint : 0
; COMPUTE_PGM_RSRC2:SCRATCH_EN: 0
; COMPUTE_PGM_RSRC2:USER_SGPR: 6
; COMPUTE_PGM_RSRC2:TRAP_HANDLER: 0
; COMPUTE_PGM_RSRC2:TGID_X_EN: 1
; COMPUTE_PGM_RSRC2:TGID_Y_EN: 0
; COMPUTE_PGM_RSRC2:TGID_Z_EN: 0
; COMPUTE_PGM_RSRC2:TIDIG_COMP_CNT: 0
	.section	.text._ZN7rocprim17ROCPRIM_400000_NS6detail17trampoline_kernelINS0_14default_configENS1_27lower_bound_config_selectorIilEEZNS1_14transform_implILb0ES3_S5_N6thrust23THRUST_200600_302600_NS6detail15normal_iteratorINS8_7pointerIiNS8_11hip_rocprim5par_tENS8_11use_defaultESE_EEEENSA_INSB_IlSD_SE_SE_EEEEZNS1_13binary_searchIS3_S5_NSA_INS8_10device_ptrIiEEEESG_SI_NS1_21lower_bound_search_opENS9_16wrapped_functionINS8_6system6detail7generic6detail18binary_search_lessEbEEEE10hipError_tPvRmT1_T2_T3_mmT4_T5_P12ihipStream_tbEUlRKiE_EESV_SZ_S10_mS11_S14_bEUlT_E_NS1_11comp_targetILNS1_3genE10ELNS1_11target_archE1200ELNS1_3gpuE4ELNS1_3repE0EEENS1_30default_config_static_selectorELNS0_4arch9wavefront6targetE0EEEvSY_,"axG",@progbits,_ZN7rocprim17ROCPRIM_400000_NS6detail17trampoline_kernelINS0_14default_configENS1_27lower_bound_config_selectorIilEEZNS1_14transform_implILb0ES3_S5_N6thrust23THRUST_200600_302600_NS6detail15normal_iteratorINS8_7pointerIiNS8_11hip_rocprim5par_tENS8_11use_defaultESE_EEEENSA_INSB_IlSD_SE_SE_EEEEZNS1_13binary_searchIS3_S5_NSA_INS8_10device_ptrIiEEEESG_SI_NS1_21lower_bound_search_opENS9_16wrapped_functionINS8_6system6detail7generic6detail18binary_search_lessEbEEEE10hipError_tPvRmT1_T2_T3_mmT4_T5_P12ihipStream_tbEUlRKiE_EESV_SZ_S10_mS11_S14_bEUlT_E_NS1_11comp_targetILNS1_3genE10ELNS1_11target_archE1200ELNS1_3gpuE4ELNS1_3repE0EEENS1_30default_config_static_selectorELNS0_4arch9wavefront6targetE0EEEvSY_,comdat
	.protected	_ZN7rocprim17ROCPRIM_400000_NS6detail17trampoline_kernelINS0_14default_configENS1_27lower_bound_config_selectorIilEEZNS1_14transform_implILb0ES3_S5_N6thrust23THRUST_200600_302600_NS6detail15normal_iteratorINS8_7pointerIiNS8_11hip_rocprim5par_tENS8_11use_defaultESE_EEEENSA_INSB_IlSD_SE_SE_EEEEZNS1_13binary_searchIS3_S5_NSA_INS8_10device_ptrIiEEEESG_SI_NS1_21lower_bound_search_opENS9_16wrapped_functionINS8_6system6detail7generic6detail18binary_search_lessEbEEEE10hipError_tPvRmT1_T2_T3_mmT4_T5_P12ihipStream_tbEUlRKiE_EESV_SZ_S10_mS11_S14_bEUlT_E_NS1_11comp_targetILNS1_3genE10ELNS1_11target_archE1200ELNS1_3gpuE4ELNS1_3repE0EEENS1_30default_config_static_selectorELNS0_4arch9wavefront6targetE0EEEvSY_ ; -- Begin function _ZN7rocprim17ROCPRIM_400000_NS6detail17trampoline_kernelINS0_14default_configENS1_27lower_bound_config_selectorIilEEZNS1_14transform_implILb0ES3_S5_N6thrust23THRUST_200600_302600_NS6detail15normal_iteratorINS8_7pointerIiNS8_11hip_rocprim5par_tENS8_11use_defaultESE_EEEENSA_INSB_IlSD_SE_SE_EEEEZNS1_13binary_searchIS3_S5_NSA_INS8_10device_ptrIiEEEESG_SI_NS1_21lower_bound_search_opENS9_16wrapped_functionINS8_6system6detail7generic6detail18binary_search_lessEbEEEE10hipError_tPvRmT1_T2_T3_mmT4_T5_P12ihipStream_tbEUlRKiE_EESV_SZ_S10_mS11_S14_bEUlT_E_NS1_11comp_targetILNS1_3genE10ELNS1_11target_archE1200ELNS1_3gpuE4ELNS1_3repE0EEENS1_30default_config_static_selectorELNS0_4arch9wavefront6targetE0EEEvSY_
	.globl	_ZN7rocprim17ROCPRIM_400000_NS6detail17trampoline_kernelINS0_14default_configENS1_27lower_bound_config_selectorIilEEZNS1_14transform_implILb0ES3_S5_N6thrust23THRUST_200600_302600_NS6detail15normal_iteratorINS8_7pointerIiNS8_11hip_rocprim5par_tENS8_11use_defaultESE_EEEENSA_INSB_IlSD_SE_SE_EEEEZNS1_13binary_searchIS3_S5_NSA_INS8_10device_ptrIiEEEESG_SI_NS1_21lower_bound_search_opENS9_16wrapped_functionINS8_6system6detail7generic6detail18binary_search_lessEbEEEE10hipError_tPvRmT1_T2_T3_mmT4_T5_P12ihipStream_tbEUlRKiE_EESV_SZ_S10_mS11_S14_bEUlT_E_NS1_11comp_targetILNS1_3genE10ELNS1_11target_archE1200ELNS1_3gpuE4ELNS1_3repE0EEENS1_30default_config_static_selectorELNS0_4arch9wavefront6targetE0EEEvSY_
	.p2align	8
	.type	_ZN7rocprim17ROCPRIM_400000_NS6detail17trampoline_kernelINS0_14default_configENS1_27lower_bound_config_selectorIilEEZNS1_14transform_implILb0ES3_S5_N6thrust23THRUST_200600_302600_NS6detail15normal_iteratorINS8_7pointerIiNS8_11hip_rocprim5par_tENS8_11use_defaultESE_EEEENSA_INSB_IlSD_SE_SE_EEEEZNS1_13binary_searchIS3_S5_NSA_INS8_10device_ptrIiEEEESG_SI_NS1_21lower_bound_search_opENS9_16wrapped_functionINS8_6system6detail7generic6detail18binary_search_lessEbEEEE10hipError_tPvRmT1_T2_T3_mmT4_T5_P12ihipStream_tbEUlRKiE_EESV_SZ_S10_mS11_S14_bEUlT_E_NS1_11comp_targetILNS1_3genE10ELNS1_11target_archE1200ELNS1_3gpuE4ELNS1_3repE0EEENS1_30default_config_static_selectorELNS0_4arch9wavefront6targetE0EEEvSY_,@function
_ZN7rocprim17ROCPRIM_400000_NS6detail17trampoline_kernelINS0_14default_configENS1_27lower_bound_config_selectorIilEEZNS1_14transform_implILb0ES3_S5_N6thrust23THRUST_200600_302600_NS6detail15normal_iteratorINS8_7pointerIiNS8_11hip_rocprim5par_tENS8_11use_defaultESE_EEEENSA_INSB_IlSD_SE_SE_EEEEZNS1_13binary_searchIS3_S5_NSA_INS8_10device_ptrIiEEEESG_SI_NS1_21lower_bound_search_opENS9_16wrapped_functionINS8_6system6detail7generic6detail18binary_search_lessEbEEEE10hipError_tPvRmT1_T2_T3_mmT4_T5_P12ihipStream_tbEUlRKiE_EESV_SZ_S10_mS11_S14_bEUlT_E_NS1_11comp_targetILNS1_3genE10ELNS1_11target_archE1200ELNS1_3gpuE4ELNS1_3repE0EEENS1_30default_config_static_selectorELNS0_4arch9wavefront6targetE0EEEvSY_: ; @_ZN7rocprim17ROCPRIM_400000_NS6detail17trampoline_kernelINS0_14default_configENS1_27lower_bound_config_selectorIilEEZNS1_14transform_implILb0ES3_S5_N6thrust23THRUST_200600_302600_NS6detail15normal_iteratorINS8_7pointerIiNS8_11hip_rocprim5par_tENS8_11use_defaultESE_EEEENSA_INSB_IlSD_SE_SE_EEEEZNS1_13binary_searchIS3_S5_NSA_INS8_10device_ptrIiEEEESG_SI_NS1_21lower_bound_search_opENS9_16wrapped_functionINS8_6system6detail7generic6detail18binary_search_lessEbEEEE10hipError_tPvRmT1_T2_T3_mmT4_T5_P12ihipStream_tbEUlRKiE_EESV_SZ_S10_mS11_S14_bEUlT_E_NS1_11comp_targetILNS1_3genE10ELNS1_11target_archE1200ELNS1_3gpuE4ELNS1_3repE0EEENS1_30default_config_static_selectorELNS0_4arch9wavefront6targetE0EEEvSY_
; %bb.0:
	.section	.rodata,"a",@progbits
	.p2align	6, 0x0
	.amdhsa_kernel _ZN7rocprim17ROCPRIM_400000_NS6detail17trampoline_kernelINS0_14default_configENS1_27lower_bound_config_selectorIilEEZNS1_14transform_implILb0ES3_S5_N6thrust23THRUST_200600_302600_NS6detail15normal_iteratorINS8_7pointerIiNS8_11hip_rocprim5par_tENS8_11use_defaultESE_EEEENSA_INSB_IlSD_SE_SE_EEEEZNS1_13binary_searchIS3_S5_NSA_INS8_10device_ptrIiEEEESG_SI_NS1_21lower_bound_search_opENS9_16wrapped_functionINS8_6system6detail7generic6detail18binary_search_lessEbEEEE10hipError_tPvRmT1_T2_T3_mmT4_T5_P12ihipStream_tbEUlRKiE_EESV_SZ_S10_mS11_S14_bEUlT_E_NS1_11comp_targetILNS1_3genE10ELNS1_11target_archE1200ELNS1_3gpuE4ELNS1_3repE0EEENS1_30default_config_static_selectorELNS0_4arch9wavefront6targetE0EEEvSY_
		.amdhsa_group_segment_fixed_size 0
		.amdhsa_private_segment_fixed_size 0
		.amdhsa_kernarg_size 56
		.amdhsa_user_sgpr_count 6
		.amdhsa_user_sgpr_private_segment_buffer 1
		.amdhsa_user_sgpr_dispatch_ptr 0
		.amdhsa_user_sgpr_queue_ptr 0
		.amdhsa_user_sgpr_kernarg_segment_ptr 1
		.amdhsa_user_sgpr_dispatch_id 0
		.amdhsa_user_sgpr_flat_scratch_init 0
		.amdhsa_user_sgpr_private_segment_size 0
		.amdhsa_wavefront_size32 1
		.amdhsa_uses_dynamic_stack 0
		.amdhsa_system_sgpr_private_segment_wavefront_offset 0
		.amdhsa_system_sgpr_workgroup_id_x 1
		.amdhsa_system_sgpr_workgroup_id_y 0
		.amdhsa_system_sgpr_workgroup_id_z 0
		.amdhsa_system_sgpr_workgroup_info 0
		.amdhsa_system_vgpr_workitem_id 0
		.amdhsa_next_free_vgpr 1
		.amdhsa_next_free_sgpr 1
		.amdhsa_reserve_vcc 0
		.amdhsa_reserve_flat_scratch 0
		.amdhsa_float_round_mode_32 0
		.amdhsa_float_round_mode_16_64 0
		.amdhsa_float_denorm_mode_32 3
		.amdhsa_float_denorm_mode_16_64 3
		.amdhsa_dx10_clamp 1
		.amdhsa_ieee_mode 1
		.amdhsa_fp16_overflow 0
		.amdhsa_workgroup_processor_mode 1
		.amdhsa_memory_ordered 1
		.amdhsa_forward_progress 1
		.amdhsa_shared_vgpr_count 0
		.amdhsa_exception_fp_ieee_invalid_op 0
		.amdhsa_exception_fp_denorm_src 0
		.amdhsa_exception_fp_ieee_div_zero 0
		.amdhsa_exception_fp_ieee_overflow 0
		.amdhsa_exception_fp_ieee_underflow 0
		.amdhsa_exception_fp_ieee_inexact 0
		.amdhsa_exception_int_div_zero 0
	.end_amdhsa_kernel
	.section	.text._ZN7rocprim17ROCPRIM_400000_NS6detail17trampoline_kernelINS0_14default_configENS1_27lower_bound_config_selectorIilEEZNS1_14transform_implILb0ES3_S5_N6thrust23THRUST_200600_302600_NS6detail15normal_iteratorINS8_7pointerIiNS8_11hip_rocprim5par_tENS8_11use_defaultESE_EEEENSA_INSB_IlSD_SE_SE_EEEEZNS1_13binary_searchIS3_S5_NSA_INS8_10device_ptrIiEEEESG_SI_NS1_21lower_bound_search_opENS9_16wrapped_functionINS8_6system6detail7generic6detail18binary_search_lessEbEEEE10hipError_tPvRmT1_T2_T3_mmT4_T5_P12ihipStream_tbEUlRKiE_EESV_SZ_S10_mS11_S14_bEUlT_E_NS1_11comp_targetILNS1_3genE10ELNS1_11target_archE1200ELNS1_3gpuE4ELNS1_3repE0EEENS1_30default_config_static_selectorELNS0_4arch9wavefront6targetE0EEEvSY_,"axG",@progbits,_ZN7rocprim17ROCPRIM_400000_NS6detail17trampoline_kernelINS0_14default_configENS1_27lower_bound_config_selectorIilEEZNS1_14transform_implILb0ES3_S5_N6thrust23THRUST_200600_302600_NS6detail15normal_iteratorINS8_7pointerIiNS8_11hip_rocprim5par_tENS8_11use_defaultESE_EEEENSA_INSB_IlSD_SE_SE_EEEEZNS1_13binary_searchIS3_S5_NSA_INS8_10device_ptrIiEEEESG_SI_NS1_21lower_bound_search_opENS9_16wrapped_functionINS8_6system6detail7generic6detail18binary_search_lessEbEEEE10hipError_tPvRmT1_T2_T3_mmT4_T5_P12ihipStream_tbEUlRKiE_EESV_SZ_S10_mS11_S14_bEUlT_E_NS1_11comp_targetILNS1_3genE10ELNS1_11target_archE1200ELNS1_3gpuE4ELNS1_3repE0EEENS1_30default_config_static_selectorELNS0_4arch9wavefront6targetE0EEEvSY_,comdat
.Lfunc_end409:
	.size	_ZN7rocprim17ROCPRIM_400000_NS6detail17trampoline_kernelINS0_14default_configENS1_27lower_bound_config_selectorIilEEZNS1_14transform_implILb0ES3_S5_N6thrust23THRUST_200600_302600_NS6detail15normal_iteratorINS8_7pointerIiNS8_11hip_rocprim5par_tENS8_11use_defaultESE_EEEENSA_INSB_IlSD_SE_SE_EEEEZNS1_13binary_searchIS3_S5_NSA_INS8_10device_ptrIiEEEESG_SI_NS1_21lower_bound_search_opENS9_16wrapped_functionINS8_6system6detail7generic6detail18binary_search_lessEbEEEE10hipError_tPvRmT1_T2_T3_mmT4_T5_P12ihipStream_tbEUlRKiE_EESV_SZ_S10_mS11_S14_bEUlT_E_NS1_11comp_targetILNS1_3genE10ELNS1_11target_archE1200ELNS1_3gpuE4ELNS1_3repE0EEENS1_30default_config_static_selectorELNS0_4arch9wavefront6targetE0EEEvSY_, .Lfunc_end409-_ZN7rocprim17ROCPRIM_400000_NS6detail17trampoline_kernelINS0_14default_configENS1_27lower_bound_config_selectorIilEEZNS1_14transform_implILb0ES3_S5_N6thrust23THRUST_200600_302600_NS6detail15normal_iteratorINS8_7pointerIiNS8_11hip_rocprim5par_tENS8_11use_defaultESE_EEEENSA_INSB_IlSD_SE_SE_EEEEZNS1_13binary_searchIS3_S5_NSA_INS8_10device_ptrIiEEEESG_SI_NS1_21lower_bound_search_opENS9_16wrapped_functionINS8_6system6detail7generic6detail18binary_search_lessEbEEEE10hipError_tPvRmT1_T2_T3_mmT4_T5_P12ihipStream_tbEUlRKiE_EESV_SZ_S10_mS11_S14_bEUlT_E_NS1_11comp_targetILNS1_3genE10ELNS1_11target_archE1200ELNS1_3gpuE4ELNS1_3repE0EEENS1_30default_config_static_selectorELNS0_4arch9wavefront6targetE0EEEvSY_
                                        ; -- End function
	.set _ZN7rocprim17ROCPRIM_400000_NS6detail17trampoline_kernelINS0_14default_configENS1_27lower_bound_config_selectorIilEEZNS1_14transform_implILb0ES3_S5_N6thrust23THRUST_200600_302600_NS6detail15normal_iteratorINS8_7pointerIiNS8_11hip_rocprim5par_tENS8_11use_defaultESE_EEEENSA_INSB_IlSD_SE_SE_EEEEZNS1_13binary_searchIS3_S5_NSA_INS8_10device_ptrIiEEEESG_SI_NS1_21lower_bound_search_opENS9_16wrapped_functionINS8_6system6detail7generic6detail18binary_search_lessEbEEEE10hipError_tPvRmT1_T2_T3_mmT4_T5_P12ihipStream_tbEUlRKiE_EESV_SZ_S10_mS11_S14_bEUlT_E_NS1_11comp_targetILNS1_3genE10ELNS1_11target_archE1200ELNS1_3gpuE4ELNS1_3repE0EEENS1_30default_config_static_selectorELNS0_4arch9wavefront6targetE0EEEvSY_.num_vgpr, 0
	.set _ZN7rocprim17ROCPRIM_400000_NS6detail17trampoline_kernelINS0_14default_configENS1_27lower_bound_config_selectorIilEEZNS1_14transform_implILb0ES3_S5_N6thrust23THRUST_200600_302600_NS6detail15normal_iteratorINS8_7pointerIiNS8_11hip_rocprim5par_tENS8_11use_defaultESE_EEEENSA_INSB_IlSD_SE_SE_EEEEZNS1_13binary_searchIS3_S5_NSA_INS8_10device_ptrIiEEEESG_SI_NS1_21lower_bound_search_opENS9_16wrapped_functionINS8_6system6detail7generic6detail18binary_search_lessEbEEEE10hipError_tPvRmT1_T2_T3_mmT4_T5_P12ihipStream_tbEUlRKiE_EESV_SZ_S10_mS11_S14_bEUlT_E_NS1_11comp_targetILNS1_3genE10ELNS1_11target_archE1200ELNS1_3gpuE4ELNS1_3repE0EEENS1_30default_config_static_selectorELNS0_4arch9wavefront6targetE0EEEvSY_.num_agpr, 0
	.set _ZN7rocprim17ROCPRIM_400000_NS6detail17trampoline_kernelINS0_14default_configENS1_27lower_bound_config_selectorIilEEZNS1_14transform_implILb0ES3_S5_N6thrust23THRUST_200600_302600_NS6detail15normal_iteratorINS8_7pointerIiNS8_11hip_rocprim5par_tENS8_11use_defaultESE_EEEENSA_INSB_IlSD_SE_SE_EEEEZNS1_13binary_searchIS3_S5_NSA_INS8_10device_ptrIiEEEESG_SI_NS1_21lower_bound_search_opENS9_16wrapped_functionINS8_6system6detail7generic6detail18binary_search_lessEbEEEE10hipError_tPvRmT1_T2_T3_mmT4_T5_P12ihipStream_tbEUlRKiE_EESV_SZ_S10_mS11_S14_bEUlT_E_NS1_11comp_targetILNS1_3genE10ELNS1_11target_archE1200ELNS1_3gpuE4ELNS1_3repE0EEENS1_30default_config_static_selectorELNS0_4arch9wavefront6targetE0EEEvSY_.numbered_sgpr, 0
	.set _ZN7rocprim17ROCPRIM_400000_NS6detail17trampoline_kernelINS0_14default_configENS1_27lower_bound_config_selectorIilEEZNS1_14transform_implILb0ES3_S5_N6thrust23THRUST_200600_302600_NS6detail15normal_iteratorINS8_7pointerIiNS8_11hip_rocprim5par_tENS8_11use_defaultESE_EEEENSA_INSB_IlSD_SE_SE_EEEEZNS1_13binary_searchIS3_S5_NSA_INS8_10device_ptrIiEEEESG_SI_NS1_21lower_bound_search_opENS9_16wrapped_functionINS8_6system6detail7generic6detail18binary_search_lessEbEEEE10hipError_tPvRmT1_T2_T3_mmT4_T5_P12ihipStream_tbEUlRKiE_EESV_SZ_S10_mS11_S14_bEUlT_E_NS1_11comp_targetILNS1_3genE10ELNS1_11target_archE1200ELNS1_3gpuE4ELNS1_3repE0EEENS1_30default_config_static_selectorELNS0_4arch9wavefront6targetE0EEEvSY_.num_named_barrier, 0
	.set _ZN7rocprim17ROCPRIM_400000_NS6detail17trampoline_kernelINS0_14default_configENS1_27lower_bound_config_selectorIilEEZNS1_14transform_implILb0ES3_S5_N6thrust23THRUST_200600_302600_NS6detail15normal_iteratorINS8_7pointerIiNS8_11hip_rocprim5par_tENS8_11use_defaultESE_EEEENSA_INSB_IlSD_SE_SE_EEEEZNS1_13binary_searchIS3_S5_NSA_INS8_10device_ptrIiEEEESG_SI_NS1_21lower_bound_search_opENS9_16wrapped_functionINS8_6system6detail7generic6detail18binary_search_lessEbEEEE10hipError_tPvRmT1_T2_T3_mmT4_T5_P12ihipStream_tbEUlRKiE_EESV_SZ_S10_mS11_S14_bEUlT_E_NS1_11comp_targetILNS1_3genE10ELNS1_11target_archE1200ELNS1_3gpuE4ELNS1_3repE0EEENS1_30default_config_static_selectorELNS0_4arch9wavefront6targetE0EEEvSY_.private_seg_size, 0
	.set _ZN7rocprim17ROCPRIM_400000_NS6detail17trampoline_kernelINS0_14default_configENS1_27lower_bound_config_selectorIilEEZNS1_14transform_implILb0ES3_S5_N6thrust23THRUST_200600_302600_NS6detail15normal_iteratorINS8_7pointerIiNS8_11hip_rocprim5par_tENS8_11use_defaultESE_EEEENSA_INSB_IlSD_SE_SE_EEEEZNS1_13binary_searchIS3_S5_NSA_INS8_10device_ptrIiEEEESG_SI_NS1_21lower_bound_search_opENS9_16wrapped_functionINS8_6system6detail7generic6detail18binary_search_lessEbEEEE10hipError_tPvRmT1_T2_T3_mmT4_T5_P12ihipStream_tbEUlRKiE_EESV_SZ_S10_mS11_S14_bEUlT_E_NS1_11comp_targetILNS1_3genE10ELNS1_11target_archE1200ELNS1_3gpuE4ELNS1_3repE0EEENS1_30default_config_static_selectorELNS0_4arch9wavefront6targetE0EEEvSY_.uses_vcc, 0
	.set _ZN7rocprim17ROCPRIM_400000_NS6detail17trampoline_kernelINS0_14default_configENS1_27lower_bound_config_selectorIilEEZNS1_14transform_implILb0ES3_S5_N6thrust23THRUST_200600_302600_NS6detail15normal_iteratorINS8_7pointerIiNS8_11hip_rocprim5par_tENS8_11use_defaultESE_EEEENSA_INSB_IlSD_SE_SE_EEEEZNS1_13binary_searchIS3_S5_NSA_INS8_10device_ptrIiEEEESG_SI_NS1_21lower_bound_search_opENS9_16wrapped_functionINS8_6system6detail7generic6detail18binary_search_lessEbEEEE10hipError_tPvRmT1_T2_T3_mmT4_T5_P12ihipStream_tbEUlRKiE_EESV_SZ_S10_mS11_S14_bEUlT_E_NS1_11comp_targetILNS1_3genE10ELNS1_11target_archE1200ELNS1_3gpuE4ELNS1_3repE0EEENS1_30default_config_static_selectorELNS0_4arch9wavefront6targetE0EEEvSY_.uses_flat_scratch, 0
	.set _ZN7rocprim17ROCPRIM_400000_NS6detail17trampoline_kernelINS0_14default_configENS1_27lower_bound_config_selectorIilEEZNS1_14transform_implILb0ES3_S5_N6thrust23THRUST_200600_302600_NS6detail15normal_iteratorINS8_7pointerIiNS8_11hip_rocprim5par_tENS8_11use_defaultESE_EEEENSA_INSB_IlSD_SE_SE_EEEEZNS1_13binary_searchIS3_S5_NSA_INS8_10device_ptrIiEEEESG_SI_NS1_21lower_bound_search_opENS9_16wrapped_functionINS8_6system6detail7generic6detail18binary_search_lessEbEEEE10hipError_tPvRmT1_T2_T3_mmT4_T5_P12ihipStream_tbEUlRKiE_EESV_SZ_S10_mS11_S14_bEUlT_E_NS1_11comp_targetILNS1_3genE10ELNS1_11target_archE1200ELNS1_3gpuE4ELNS1_3repE0EEENS1_30default_config_static_selectorELNS0_4arch9wavefront6targetE0EEEvSY_.has_dyn_sized_stack, 0
	.set _ZN7rocprim17ROCPRIM_400000_NS6detail17trampoline_kernelINS0_14default_configENS1_27lower_bound_config_selectorIilEEZNS1_14transform_implILb0ES3_S5_N6thrust23THRUST_200600_302600_NS6detail15normal_iteratorINS8_7pointerIiNS8_11hip_rocprim5par_tENS8_11use_defaultESE_EEEENSA_INSB_IlSD_SE_SE_EEEEZNS1_13binary_searchIS3_S5_NSA_INS8_10device_ptrIiEEEESG_SI_NS1_21lower_bound_search_opENS9_16wrapped_functionINS8_6system6detail7generic6detail18binary_search_lessEbEEEE10hipError_tPvRmT1_T2_T3_mmT4_T5_P12ihipStream_tbEUlRKiE_EESV_SZ_S10_mS11_S14_bEUlT_E_NS1_11comp_targetILNS1_3genE10ELNS1_11target_archE1200ELNS1_3gpuE4ELNS1_3repE0EEENS1_30default_config_static_selectorELNS0_4arch9wavefront6targetE0EEEvSY_.has_recursion, 0
	.set _ZN7rocprim17ROCPRIM_400000_NS6detail17trampoline_kernelINS0_14default_configENS1_27lower_bound_config_selectorIilEEZNS1_14transform_implILb0ES3_S5_N6thrust23THRUST_200600_302600_NS6detail15normal_iteratorINS8_7pointerIiNS8_11hip_rocprim5par_tENS8_11use_defaultESE_EEEENSA_INSB_IlSD_SE_SE_EEEEZNS1_13binary_searchIS3_S5_NSA_INS8_10device_ptrIiEEEESG_SI_NS1_21lower_bound_search_opENS9_16wrapped_functionINS8_6system6detail7generic6detail18binary_search_lessEbEEEE10hipError_tPvRmT1_T2_T3_mmT4_T5_P12ihipStream_tbEUlRKiE_EESV_SZ_S10_mS11_S14_bEUlT_E_NS1_11comp_targetILNS1_3genE10ELNS1_11target_archE1200ELNS1_3gpuE4ELNS1_3repE0EEENS1_30default_config_static_selectorELNS0_4arch9wavefront6targetE0EEEvSY_.has_indirect_call, 0
	.section	.AMDGPU.csdata,"",@progbits
; Kernel info:
; codeLenInByte = 0
; TotalNumSgprs: 0
; NumVgprs: 0
; ScratchSize: 0
; MemoryBound: 0
; FloatMode: 240
; IeeeMode: 1
; LDSByteSize: 0 bytes/workgroup (compile time only)
; SGPRBlocks: 0
; VGPRBlocks: 0
; NumSGPRsForWavesPerEU: 1
; NumVGPRsForWavesPerEU: 1
; Occupancy: 16
; WaveLimiterHint : 0
; COMPUTE_PGM_RSRC2:SCRATCH_EN: 0
; COMPUTE_PGM_RSRC2:USER_SGPR: 6
; COMPUTE_PGM_RSRC2:TRAP_HANDLER: 0
; COMPUTE_PGM_RSRC2:TGID_X_EN: 1
; COMPUTE_PGM_RSRC2:TGID_Y_EN: 0
; COMPUTE_PGM_RSRC2:TGID_Z_EN: 0
; COMPUTE_PGM_RSRC2:TIDIG_COMP_CNT: 0
	.section	.text._ZN7rocprim17ROCPRIM_400000_NS6detail17trampoline_kernelINS0_14default_configENS1_27lower_bound_config_selectorIilEEZNS1_14transform_implILb0ES3_S5_N6thrust23THRUST_200600_302600_NS6detail15normal_iteratorINS8_7pointerIiNS8_11hip_rocprim5par_tENS8_11use_defaultESE_EEEENSA_INSB_IlSD_SE_SE_EEEEZNS1_13binary_searchIS3_S5_NSA_INS8_10device_ptrIiEEEESG_SI_NS1_21lower_bound_search_opENS9_16wrapped_functionINS8_6system6detail7generic6detail18binary_search_lessEbEEEE10hipError_tPvRmT1_T2_T3_mmT4_T5_P12ihipStream_tbEUlRKiE_EESV_SZ_S10_mS11_S14_bEUlT_E_NS1_11comp_targetILNS1_3genE9ELNS1_11target_archE1100ELNS1_3gpuE3ELNS1_3repE0EEENS1_30default_config_static_selectorELNS0_4arch9wavefront6targetE0EEEvSY_,"axG",@progbits,_ZN7rocprim17ROCPRIM_400000_NS6detail17trampoline_kernelINS0_14default_configENS1_27lower_bound_config_selectorIilEEZNS1_14transform_implILb0ES3_S5_N6thrust23THRUST_200600_302600_NS6detail15normal_iteratorINS8_7pointerIiNS8_11hip_rocprim5par_tENS8_11use_defaultESE_EEEENSA_INSB_IlSD_SE_SE_EEEEZNS1_13binary_searchIS3_S5_NSA_INS8_10device_ptrIiEEEESG_SI_NS1_21lower_bound_search_opENS9_16wrapped_functionINS8_6system6detail7generic6detail18binary_search_lessEbEEEE10hipError_tPvRmT1_T2_T3_mmT4_T5_P12ihipStream_tbEUlRKiE_EESV_SZ_S10_mS11_S14_bEUlT_E_NS1_11comp_targetILNS1_3genE9ELNS1_11target_archE1100ELNS1_3gpuE3ELNS1_3repE0EEENS1_30default_config_static_selectorELNS0_4arch9wavefront6targetE0EEEvSY_,comdat
	.protected	_ZN7rocprim17ROCPRIM_400000_NS6detail17trampoline_kernelINS0_14default_configENS1_27lower_bound_config_selectorIilEEZNS1_14transform_implILb0ES3_S5_N6thrust23THRUST_200600_302600_NS6detail15normal_iteratorINS8_7pointerIiNS8_11hip_rocprim5par_tENS8_11use_defaultESE_EEEENSA_INSB_IlSD_SE_SE_EEEEZNS1_13binary_searchIS3_S5_NSA_INS8_10device_ptrIiEEEESG_SI_NS1_21lower_bound_search_opENS9_16wrapped_functionINS8_6system6detail7generic6detail18binary_search_lessEbEEEE10hipError_tPvRmT1_T2_T3_mmT4_T5_P12ihipStream_tbEUlRKiE_EESV_SZ_S10_mS11_S14_bEUlT_E_NS1_11comp_targetILNS1_3genE9ELNS1_11target_archE1100ELNS1_3gpuE3ELNS1_3repE0EEENS1_30default_config_static_selectorELNS0_4arch9wavefront6targetE0EEEvSY_ ; -- Begin function _ZN7rocprim17ROCPRIM_400000_NS6detail17trampoline_kernelINS0_14default_configENS1_27lower_bound_config_selectorIilEEZNS1_14transform_implILb0ES3_S5_N6thrust23THRUST_200600_302600_NS6detail15normal_iteratorINS8_7pointerIiNS8_11hip_rocprim5par_tENS8_11use_defaultESE_EEEENSA_INSB_IlSD_SE_SE_EEEEZNS1_13binary_searchIS3_S5_NSA_INS8_10device_ptrIiEEEESG_SI_NS1_21lower_bound_search_opENS9_16wrapped_functionINS8_6system6detail7generic6detail18binary_search_lessEbEEEE10hipError_tPvRmT1_T2_T3_mmT4_T5_P12ihipStream_tbEUlRKiE_EESV_SZ_S10_mS11_S14_bEUlT_E_NS1_11comp_targetILNS1_3genE9ELNS1_11target_archE1100ELNS1_3gpuE3ELNS1_3repE0EEENS1_30default_config_static_selectorELNS0_4arch9wavefront6targetE0EEEvSY_
	.globl	_ZN7rocprim17ROCPRIM_400000_NS6detail17trampoline_kernelINS0_14default_configENS1_27lower_bound_config_selectorIilEEZNS1_14transform_implILb0ES3_S5_N6thrust23THRUST_200600_302600_NS6detail15normal_iteratorINS8_7pointerIiNS8_11hip_rocprim5par_tENS8_11use_defaultESE_EEEENSA_INSB_IlSD_SE_SE_EEEEZNS1_13binary_searchIS3_S5_NSA_INS8_10device_ptrIiEEEESG_SI_NS1_21lower_bound_search_opENS9_16wrapped_functionINS8_6system6detail7generic6detail18binary_search_lessEbEEEE10hipError_tPvRmT1_T2_T3_mmT4_T5_P12ihipStream_tbEUlRKiE_EESV_SZ_S10_mS11_S14_bEUlT_E_NS1_11comp_targetILNS1_3genE9ELNS1_11target_archE1100ELNS1_3gpuE3ELNS1_3repE0EEENS1_30default_config_static_selectorELNS0_4arch9wavefront6targetE0EEEvSY_
	.p2align	8
	.type	_ZN7rocprim17ROCPRIM_400000_NS6detail17trampoline_kernelINS0_14default_configENS1_27lower_bound_config_selectorIilEEZNS1_14transform_implILb0ES3_S5_N6thrust23THRUST_200600_302600_NS6detail15normal_iteratorINS8_7pointerIiNS8_11hip_rocprim5par_tENS8_11use_defaultESE_EEEENSA_INSB_IlSD_SE_SE_EEEEZNS1_13binary_searchIS3_S5_NSA_INS8_10device_ptrIiEEEESG_SI_NS1_21lower_bound_search_opENS9_16wrapped_functionINS8_6system6detail7generic6detail18binary_search_lessEbEEEE10hipError_tPvRmT1_T2_T3_mmT4_T5_P12ihipStream_tbEUlRKiE_EESV_SZ_S10_mS11_S14_bEUlT_E_NS1_11comp_targetILNS1_3genE9ELNS1_11target_archE1100ELNS1_3gpuE3ELNS1_3repE0EEENS1_30default_config_static_selectorELNS0_4arch9wavefront6targetE0EEEvSY_,@function
_ZN7rocprim17ROCPRIM_400000_NS6detail17trampoline_kernelINS0_14default_configENS1_27lower_bound_config_selectorIilEEZNS1_14transform_implILb0ES3_S5_N6thrust23THRUST_200600_302600_NS6detail15normal_iteratorINS8_7pointerIiNS8_11hip_rocprim5par_tENS8_11use_defaultESE_EEEENSA_INSB_IlSD_SE_SE_EEEEZNS1_13binary_searchIS3_S5_NSA_INS8_10device_ptrIiEEEESG_SI_NS1_21lower_bound_search_opENS9_16wrapped_functionINS8_6system6detail7generic6detail18binary_search_lessEbEEEE10hipError_tPvRmT1_T2_T3_mmT4_T5_P12ihipStream_tbEUlRKiE_EESV_SZ_S10_mS11_S14_bEUlT_E_NS1_11comp_targetILNS1_3genE9ELNS1_11target_archE1100ELNS1_3gpuE3ELNS1_3repE0EEENS1_30default_config_static_selectorELNS0_4arch9wavefront6targetE0EEEvSY_: ; @_ZN7rocprim17ROCPRIM_400000_NS6detail17trampoline_kernelINS0_14default_configENS1_27lower_bound_config_selectorIilEEZNS1_14transform_implILb0ES3_S5_N6thrust23THRUST_200600_302600_NS6detail15normal_iteratorINS8_7pointerIiNS8_11hip_rocprim5par_tENS8_11use_defaultESE_EEEENSA_INSB_IlSD_SE_SE_EEEEZNS1_13binary_searchIS3_S5_NSA_INS8_10device_ptrIiEEEESG_SI_NS1_21lower_bound_search_opENS9_16wrapped_functionINS8_6system6detail7generic6detail18binary_search_lessEbEEEE10hipError_tPvRmT1_T2_T3_mmT4_T5_P12ihipStream_tbEUlRKiE_EESV_SZ_S10_mS11_S14_bEUlT_E_NS1_11comp_targetILNS1_3genE9ELNS1_11target_archE1100ELNS1_3gpuE3ELNS1_3repE0EEENS1_30default_config_static_selectorELNS0_4arch9wavefront6targetE0EEEvSY_
; %bb.0:
	.section	.rodata,"a",@progbits
	.p2align	6, 0x0
	.amdhsa_kernel _ZN7rocprim17ROCPRIM_400000_NS6detail17trampoline_kernelINS0_14default_configENS1_27lower_bound_config_selectorIilEEZNS1_14transform_implILb0ES3_S5_N6thrust23THRUST_200600_302600_NS6detail15normal_iteratorINS8_7pointerIiNS8_11hip_rocprim5par_tENS8_11use_defaultESE_EEEENSA_INSB_IlSD_SE_SE_EEEEZNS1_13binary_searchIS3_S5_NSA_INS8_10device_ptrIiEEEESG_SI_NS1_21lower_bound_search_opENS9_16wrapped_functionINS8_6system6detail7generic6detail18binary_search_lessEbEEEE10hipError_tPvRmT1_T2_T3_mmT4_T5_P12ihipStream_tbEUlRKiE_EESV_SZ_S10_mS11_S14_bEUlT_E_NS1_11comp_targetILNS1_3genE9ELNS1_11target_archE1100ELNS1_3gpuE3ELNS1_3repE0EEENS1_30default_config_static_selectorELNS0_4arch9wavefront6targetE0EEEvSY_
		.amdhsa_group_segment_fixed_size 0
		.amdhsa_private_segment_fixed_size 0
		.amdhsa_kernarg_size 56
		.amdhsa_user_sgpr_count 6
		.amdhsa_user_sgpr_private_segment_buffer 1
		.amdhsa_user_sgpr_dispatch_ptr 0
		.amdhsa_user_sgpr_queue_ptr 0
		.amdhsa_user_sgpr_kernarg_segment_ptr 1
		.amdhsa_user_sgpr_dispatch_id 0
		.amdhsa_user_sgpr_flat_scratch_init 0
		.amdhsa_user_sgpr_private_segment_size 0
		.amdhsa_wavefront_size32 1
		.amdhsa_uses_dynamic_stack 0
		.amdhsa_system_sgpr_private_segment_wavefront_offset 0
		.amdhsa_system_sgpr_workgroup_id_x 1
		.amdhsa_system_sgpr_workgroup_id_y 0
		.amdhsa_system_sgpr_workgroup_id_z 0
		.amdhsa_system_sgpr_workgroup_info 0
		.amdhsa_system_vgpr_workitem_id 0
		.amdhsa_next_free_vgpr 1
		.amdhsa_next_free_sgpr 1
		.amdhsa_reserve_vcc 0
		.amdhsa_reserve_flat_scratch 0
		.amdhsa_float_round_mode_32 0
		.amdhsa_float_round_mode_16_64 0
		.amdhsa_float_denorm_mode_32 3
		.amdhsa_float_denorm_mode_16_64 3
		.amdhsa_dx10_clamp 1
		.amdhsa_ieee_mode 1
		.amdhsa_fp16_overflow 0
		.amdhsa_workgroup_processor_mode 1
		.amdhsa_memory_ordered 1
		.amdhsa_forward_progress 1
		.amdhsa_shared_vgpr_count 0
		.amdhsa_exception_fp_ieee_invalid_op 0
		.amdhsa_exception_fp_denorm_src 0
		.amdhsa_exception_fp_ieee_div_zero 0
		.amdhsa_exception_fp_ieee_overflow 0
		.amdhsa_exception_fp_ieee_underflow 0
		.amdhsa_exception_fp_ieee_inexact 0
		.amdhsa_exception_int_div_zero 0
	.end_amdhsa_kernel
	.section	.text._ZN7rocprim17ROCPRIM_400000_NS6detail17trampoline_kernelINS0_14default_configENS1_27lower_bound_config_selectorIilEEZNS1_14transform_implILb0ES3_S5_N6thrust23THRUST_200600_302600_NS6detail15normal_iteratorINS8_7pointerIiNS8_11hip_rocprim5par_tENS8_11use_defaultESE_EEEENSA_INSB_IlSD_SE_SE_EEEEZNS1_13binary_searchIS3_S5_NSA_INS8_10device_ptrIiEEEESG_SI_NS1_21lower_bound_search_opENS9_16wrapped_functionINS8_6system6detail7generic6detail18binary_search_lessEbEEEE10hipError_tPvRmT1_T2_T3_mmT4_T5_P12ihipStream_tbEUlRKiE_EESV_SZ_S10_mS11_S14_bEUlT_E_NS1_11comp_targetILNS1_3genE9ELNS1_11target_archE1100ELNS1_3gpuE3ELNS1_3repE0EEENS1_30default_config_static_selectorELNS0_4arch9wavefront6targetE0EEEvSY_,"axG",@progbits,_ZN7rocprim17ROCPRIM_400000_NS6detail17trampoline_kernelINS0_14default_configENS1_27lower_bound_config_selectorIilEEZNS1_14transform_implILb0ES3_S5_N6thrust23THRUST_200600_302600_NS6detail15normal_iteratorINS8_7pointerIiNS8_11hip_rocprim5par_tENS8_11use_defaultESE_EEEENSA_INSB_IlSD_SE_SE_EEEEZNS1_13binary_searchIS3_S5_NSA_INS8_10device_ptrIiEEEESG_SI_NS1_21lower_bound_search_opENS9_16wrapped_functionINS8_6system6detail7generic6detail18binary_search_lessEbEEEE10hipError_tPvRmT1_T2_T3_mmT4_T5_P12ihipStream_tbEUlRKiE_EESV_SZ_S10_mS11_S14_bEUlT_E_NS1_11comp_targetILNS1_3genE9ELNS1_11target_archE1100ELNS1_3gpuE3ELNS1_3repE0EEENS1_30default_config_static_selectorELNS0_4arch9wavefront6targetE0EEEvSY_,comdat
.Lfunc_end410:
	.size	_ZN7rocprim17ROCPRIM_400000_NS6detail17trampoline_kernelINS0_14default_configENS1_27lower_bound_config_selectorIilEEZNS1_14transform_implILb0ES3_S5_N6thrust23THRUST_200600_302600_NS6detail15normal_iteratorINS8_7pointerIiNS8_11hip_rocprim5par_tENS8_11use_defaultESE_EEEENSA_INSB_IlSD_SE_SE_EEEEZNS1_13binary_searchIS3_S5_NSA_INS8_10device_ptrIiEEEESG_SI_NS1_21lower_bound_search_opENS9_16wrapped_functionINS8_6system6detail7generic6detail18binary_search_lessEbEEEE10hipError_tPvRmT1_T2_T3_mmT4_T5_P12ihipStream_tbEUlRKiE_EESV_SZ_S10_mS11_S14_bEUlT_E_NS1_11comp_targetILNS1_3genE9ELNS1_11target_archE1100ELNS1_3gpuE3ELNS1_3repE0EEENS1_30default_config_static_selectorELNS0_4arch9wavefront6targetE0EEEvSY_, .Lfunc_end410-_ZN7rocprim17ROCPRIM_400000_NS6detail17trampoline_kernelINS0_14default_configENS1_27lower_bound_config_selectorIilEEZNS1_14transform_implILb0ES3_S5_N6thrust23THRUST_200600_302600_NS6detail15normal_iteratorINS8_7pointerIiNS8_11hip_rocprim5par_tENS8_11use_defaultESE_EEEENSA_INSB_IlSD_SE_SE_EEEEZNS1_13binary_searchIS3_S5_NSA_INS8_10device_ptrIiEEEESG_SI_NS1_21lower_bound_search_opENS9_16wrapped_functionINS8_6system6detail7generic6detail18binary_search_lessEbEEEE10hipError_tPvRmT1_T2_T3_mmT4_T5_P12ihipStream_tbEUlRKiE_EESV_SZ_S10_mS11_S14_bEUlT_E_NS1_11comp_targetILNS1_3genE9ELNS1_11target_archE1100ELNS1_3gpuE3ELNS1_3repE0EEENS1_30default_config_static_selectorELNS0_4arch9wavefront6targetE0EEEvSY_
                                        ; -- End function
	.set _ZN7rocprim17ROCPRIM_400000_NS6detail17trampoline_kernelINS0_14default_configENS1_27lower_bound_config_selectorIilEEZNS1_14transform_implILb0ES3_S5_N6thrust23THRUST_200600_302600_NS6detail15normal_iteratorINS8_7pointerIiNS8_11hip_rocprim5par_tENS8_11use_defaultESE_EEEENSA_INSB_IlSD_SE_SE_EEEEZNS1_13binary_searchIS3_S5_NSA_INS8_10device_ptrIiEEEESG_SI_NS1_21lower_bound_search_opENS9_16wrapped_functionINS8_6system6detail7generic6detail18binary_search_lessEbEEEE10hipError_tPvRmT1_T2_T3_mmT4_T5_P12ihipStream_tbEUlRKiE_EESV_SZ_S10_mS11_S14_bEUlT_E_NS1_11comp_targetILNS1_3genE9ELNS1_11target_archE1100ELNS1_3gpuE3ELNS1_3repE0EEENS1_30default_config_static_selectorELNS0_4arch9wavefront6targetE0EEEvSY_.num_vgpr, 0
	.set _ZN7rocprim17ROCPRIM_400000_NS6detail17trampoline_kernelINS0_14default_configENS1_27lower_bound_config_selectorIilEEZNS1_14transform_implILb0ES3_S5_N6thrust23THRUST_200600_302600_NS6detail15normal_iteratorINS8_7pointerIiNS8_11hip_rocprim5par_tENS8_11use_defaultESE_EEEENSA_INSB_IlSD_SE_SE_EEEEZNS1_13binary_searchIS3_S5_NSA_INS8_10device_ptrIiEEEESG_SI_NS1_21lower_bound_search_opENS9_16wrapped_functionINS8_6system6detail7generic6detail18binary_search_lessEbEEEE10hipError_tPvRmT1_T2_T3_mmT4_T5_P12ihipStream_tbEUlRKiE_EESV_SZ_S10_mS11_S14_bEUlT_E_NS1_11comp_targetILNS1_3genE9ELNS1_11target_archE1100ELNS1_3gpuE3ELNS1_3repE0EEENS1_30default_config_static_selectorELNS0_4arch9wavefront6targetE0EEEvSY_.num_agpr, 0
	.set _ZN7rocprim17ROCPRIM_400000_NS6detail17trampoline_kernelINS0_14default_configENS1_27lower_bound_config_selectorIilEEZNS1_14transform_implILb0ES3_S5_N6thrust23THRUST_200600_302600_NS6detail15normal_iteratorINS8_7pointerIiNS8_11hip_rocprim5par_tENS8_11use_defaultESE_EEEENSA_INSB_IlSD_SE_SE_EEEEZNS1_13binary_searchIS3_S5_NSA_INS8_10device_ptrIiEEEESG_SI_NS1_21lower_bound_search_opENS9_16wrapped_functionINS8_6system6detail7generic6detail18binary_search_lessEbEEEE10hipError_tPvRmT1_T2_T3_mmT4_T5_P12ihipStream_tbEUlRKiE_EESV_SZ_S10_mS11_S14_bEUlT_E_NS1_11comp_targetILNS1_3genE9ELNS1_11target_archE1100ELNS1_3gpuE3ELNS1_3repE0EEENS1_30default_config_static_selectorELNS0_4arch9wavefront6targetE0EEEvSY_.numbered_sgpr, 0
	.set _ZN7rocprim17ROCPRIM_400000_NS6detail17trampoline_kernelINS0_14default_configENS1_27lower_bound_config_selectorIilEEZNS1_14transform_implILb0ES3_S5_N6thrust23THRUST_200600_302600_NS6detail15normal_iteratorINS8_7pointerIiNS8_11hip_rocprim5par_tENS8_11use_defaultESE_EEEENSA_INSB_IlSD_SE_SE_EEEEZNS1_13binary_searchIS3_S5_NSA_INS8_10device_ptrIiEEEESG_SI_NS1_21lower_bound_search_opENS9_16wrapped_functionINS8_6system6detail7generic6detail18binary_search_lessEbEEEE10hipError_tPvRmT1_T2_T3_mmT4_T5_P12ihipStream_tbEUlRKiE_EESV_SZ_S10_mS11_S14_bEUlT_E_NS1_11comp_targetILNS1_3genE9ELNS1_11target_archE1100ELNS1_3gpuE3ELNS1_3repE0EEENS1_30default_config_static_selectorELNS0_4arch9wavefront6targetE0EEEvSY_.num_named_barrier, 0
	.set _ZN7rocprim17ROCPRIM_400000_NS6detail17trampoline_kernelINS0_14default_configENS1_27lower_bound_config_selectorIilEEZNS1_14transform_implILb0ES3_S5_N6thrust23THRUST_200600_302600_NS6detail15normal_iteratorINS8_7pointerIiNS8_11hip_rocprim5par_tENS8_11use_defaultESE_EEEENSA_INSB_IlSD_SE_SE_EEEEZNS1_13binary_searchIS3_S5_NSA_INS8_10device_ptrIiEEEESG_SI_NS1_21lower_bound_search_opENS9_16wrapped_functionINS8_6system6detail7generic6detail18binary_search_lessEbEEEE10hipError_tPvRmT1_T2_T3_mmT4_T5_P12ihipStream_tbEUlRKiE_EESV_SZ_S10_mS11_S14_bEUlT_E_NS1_11comp_targetILNS1_3genE9ELNS1_11target_archE1100ELNS1_3gpuE3ELNS1_3repE0EEENS1_30default_config_static_selectorELNS0_4arch9wavefront6targetE0EEEvSY_.private_seg_size, 0
	.set _ZN7rocprim17ROCPRIM_400000_NS6detail17trampoline_kernelINS0_14default_configENS1_27lower_bound_config_selectorIilEEZNS1_14transform_implILb0ES3_S5_N6thrust23THRUST_200600_302600_NS6detail15normal_iteratorINS8_7pointerIiNS8_11hip_rocprim5par_tENS8_11use_defaultESE_EEEENSA_INSB_IlSD_SE_SE_EEEEZNS1_13binary_searchIS3_S5_NSA_INS8_10device_ptrIiEEEESG_SI_NS1_21lower_bound_search_opENS9_16wrapped_functionINS8_6system6detail7generic6detail18binary_search_lessEbEEEE10hipError_tPvRmT1_T2_T3_mmT4_T5_P12ihipStream_tbEUlRKiE_EESV_SZ_S10_mS11_S14_bEUlT_E_NS1_11comp_targetILNS1_3genE9ELNS1_11target_archE1100ELNS1_3gpuE3ELNS1_3repE0EEENS1_30default_config_static_selectorELNS0_4arch9wavefront6targetE0EEEvSY_.uses_vcc, 0
	.set _ZN7rocprim17ROCPRIM_400000_NS6detail17trampoline_kernelINS0_14default_configENS1_27lower_bound_config_selectorIilEEZNS1_14transform_implILb0ES3_S5_N6thrust23THRUST_200600_302600_NS6detail15normal_iteratorINS8_7pointerIiNS8_11hip_rocprim5par_tENS8_11use_defaultESE_EEEENSA_INSB_IlSD_SE_SE_EEEEZNS1_13binary_searchIS3_S5_NSA_INS8_10device_ptrIiEEEESG_SI_NS1_21lower_bound_search_opENS9_16wrapped_functionINS8_6system6detail7generic6detail18binary_search_lessEbEEEE10hipError_tPvRmT1_T2_T3_mmT4_T5_P12ihipStream_tbEUlRKiE_EESV_SZ_S10_mS11_S14_bEUlT_E_NS1_11comp_targetILNS1_3genE9ELNS1_11target_archE1100ELNS1_3gpuE3ELNS1_3repE0EEENS1_30default_config_static_selectorELNS0_4arch9wavefront6targetE0EEEvSY_.uses_flat_scratch, 0
	.set _ZN7rocprim17ROCPRIM_400000_NS6detail17trampoline_kernelINS0_14default_configENS1_27lower_bound_config_selectorIilEEZNS1_14transform_implILb0ES3_S5_N6thrust23THRUST_200600_302600_NS6detail15normal_iteratorINS8_7pointerIiNS8_11hip_rocprim5par_tENS8_11use_defaultESE_EEEENSA_INSB_IlSD_SE_SE_EEEEZNS1_13binary_searchIS3_S5_NSA_INS8_10device_ptrIiEEEESG_SI_NS1_21lower_bound_search_opENS9_16wrapped_functionINS8_6system6detail7generic6detail18binary_search_lessEbEEEE10hipError_tPvRmT1_T2_T3_mmT4_T5_P12ihipStream_tbEUlRKiE_EESV_SZ_S10_mS11_S14_bEUlT_E_NS1_11comp_targetILNS1_3genE9ELNS1_11target_archE1100ELNS1_3gpuE3ELNS1_3repE0EEENS1_30default_config_static_selectorELNS0_4arch9wavefront6targetE0EEEvSY_.has_dyn_sized_stack, 0
	.set _ZN7rocprim17ROCPRIM_400000_NS6detail17trampoline_kernelINS0_14default_configENS1_27lower_bound_config_selectorIilEEZNS1_14transform_implILb0ES3_S5_N6thrust23THRUST_200600_302600_NS6detail15normal_iteratorINS8_7pointerIiNS8_11hip_rocprim5par_tENS8_11use_defaultESE_EEEENSA_INSB_IlSD_SE_SE_EEEEZNS1_13binary_searchIS3_S5_NSA_INS8_10device_ptrIiEEEESG_SI_NS1_21lower_bound_search_opENS9_16wrapped_functionINS8_6system6detail7generic6detail18binary_search_lessEbEEEE10hipError_tPvRmT1_T2_T3_mmT4_T5_P12ihipStream_tbEUlRKiE_EESV_SZ_S10_mS11_S14_bEUlT_E_NS1_11comp_targetILNS1_3genE9ELNS1_11target_archE1100ELNS1_3gpuE3ELNS1_3repE0EEENS1_30default_config_static_selectorELNS0_4arch9wavefront6targetE0EEEvSY_.has_recursion, 0
	.set _ZN7rocprim17ROCPRIM_400000_NS6detail17trampoline_kernelINS0_14default_configENS1_27lower_bound_config_selectorIilEEZNS1_14transform_implILb0ES3_S5_N6thrust23THRUST_200600_302600_NS6detail15normal_iteratorINS8_7pointerIiNS8_11hip_rocprim5par_tENS8_11use_defaultESE_EEEENSA_INSB_IlSD_SE_SE_EEEEZNS1_13binary_searchIS3_S5_NSA_INS8_10device_ptrIiEEEESG_SI_NS1_21lower_bound_search_opENS9_16wrapped_functionINS8_6system6detail7generic6detail18binary_search_lessEbEEEE10hipError_tPvRmT1_T2_T3_mmT4_T5_P12ihipStream_tbEUlRKiE_EESV_SZ_S10_mS11_S14_bEUlT_E_NS1_11comp_targetILNS1_3genE9ELNS1_11target_archE1100ELNS1_3gpuE3ELNS1_3repE0EEENS1_30default_config_static_selectorELNS0_4arch9wavefront6targetE0EEEvSY_.has_indirect_call, 0
	.section	.AMDGPU.csdata,"",@progbits
; Kernel info:
; codeLenInByte = 0
; TotalNumSgprs: 0
; NumVgprs: 0
; ScratchSize: 0
; MemoryBound: 0
; FloatMode: 240
; IeeeMode: 1
; LDSByteSize: 0 bytes/workgroup (compile time only)
; SGPRBlocks: 0
; VGPRBlocks: 0
; NumSGPRsForWavesPerEU: 1
; NumVGPRsForWavesPerEU: 1
; Occupancy: 16
; WaveLimiterHint : 0
; COMPUTE_PGM_RSRC2:SCRATCH_EN: 0
; COMPUTE_PGM_RSRC2:USER_SGPR: 6
; COMPUTE_PGM_RSRC2:TRAP_HANDLER: 0
; COMPUTE_PGM_RSRC2:TGID_X_EN: 1
; COMPUTE_PGM_RSRC2:TGID_Y_EN: 0
; COMPUTE_PGM_RSRC2:TGID_Z_EN: 0
; COMPUTE_PGM_RSRC2:TIDIG_COMP_CNT: 0
	.section	.text._ZN7rocprim17ROCPRIM_400000_NS6detail17trampoline_kernelINS0_14default_configENS1_27lower_bound_config_selectorIilEEZNS1_14transform_implILb0ES3_S5_N6thrust23THRUST_200600_302600_NS6detail15normal_iteratorINS8_7pointerIiNS8_11hip_rocprim5par_tENS8_11use_defaultESE_EEEENSA_INSB_IlSD_SE_SE_EEEEZNS1_13binary_searchIS3_S5_NSA_INS8_10device_ptrIiEEEESG_SI_NS1_21lower_bound_search_opENS9_16wrapped_functionINS8_6system6detail7generic6detail18binary_search_lessEbEEEE10hipError_tPvRmT1_T2_T3_mmT4_T5_P12ihipStream_tbEUlRKiE_EESV_SZ_S10_mS11_S14_bEUlT_E_NS1_11comp_targetILNS1_3genE8ELNS1_11target_archE1030ELNS1_3gpuE2ELNS1_3repE0EEENS1_30default_config_static_selectorELNS0_4arch9wavefront6targetE0EEEvSY_,"axG",@progbits,_ZN7rocprim17ROCPRIM_400000_NS6detail17trampoline_kernelINS0_14default_configENS1_27lower_bound_config_selectorIilEEZNS1_14transform_implILb0ES3_S5_N6thrust23THRUST_200600_302600_NS6detail15normal_iteratorINS8_7pointerIiNS8_11hip_rocprim5par_tENS8_11use_defaultESE_EEEENSA_INSB_IlSD_SE_SE_EEEEZNS1_13binary_searchIS3_S5_NSA_INS8_10device_ptrIiEEEESG_SI_NS1_21lower_bound_search_opENS9_16wrapped_functionINS8_6system6detail7generic6detail18binary_search_lessEbEEEE10hipError_tPvRmT1_T2_T3_mmT4_T5_P12ihipStream_tbEUlRKiE_EESV_SZ_S10_mS11_S14_bEUlT_E_NS1_11comp_targetILNS1_3genE8ELNS1_11target_archE1030ELNS1_3gpuE2ELNS1_3repE0EEENS1_30default_config_static_selectorELNS0_4arch9wavefront6targetE0EEEvSY_,comdat
	.protected	_ZN7rocprim17ROCPRIM_400000_NS6detail17trampoline_kernelINS0_14default_configENS1_27lower_bound_config_selectorIilEEZNS1_14transform_implILb0ES3_S5_N6thrust23THRUST_200600_302600_NS6detail15normal_iteratorINS8_7pointerIiNS8_11hip_rocprim5par_tENS8_11use_defaultESE_EEEENSA_INSB_IlSD_SE_SE_EEEEZNS1_13binary_searchIS3_S5_NSA_INS8_10device_ptrIiEEEESG_SI_NS1_21lower_bound_search_opENS9_16wrapped_functionINS8_6system6detail7generic6detail18binary_search_lessEbEEEE10hipError_tPvRmT1_T2_T3_mmT4_T5_P12ihipStream_tbEUlRKiE_EESV_SZ_S10_mS11_S14_bEUlT_E_NS1_11comp_targetILNS1_3genE8ELNS1_11target_archE1030ELNS1_3gpuE2ELNS1_3repE0EEENS1_30default_config_static_selectorELNS0_4arch9wavefront6targetE0EEEvSY_ ; -- Begin function _ZN7rocprim17ROCPRIM_400000_NS6detail17trampoline_kernelINS0_14default_configENS1_27lower_bound_config_selectorIilEEZNS1_14transform_implILb0ES3_S5_N6thrust23THRUST_200600_302600_NS6detail15normal_iteratorINS8_7pointerIiNS8_11hip_rocprim5par_tENS8_11use_defaultESE_EEEENSA_INSB_IlSD_SE_SE_EEEEZNS1_13binary_searchIS3_S5_NSA_INS8_10device_ptrIiEEEESG_SI_NS1_21lower_bound_search_opENS9_16wrapped_functionINS8_6system6detail7generic6detail18binary_search_lessEbEEEE10hipError_tPvRmT1_T2_T3_mmT4_T5_P12ihipStream_tbEUlRKiE_EESV_SZ_S10_mS11_S14_bEUlT_E_NS1_11comp_targetILNS1_3genE8ELNS1_11target_archE1030ELNS1_3gpuE2ELNS1_3repE0EEENS1_30default_config_static_selectorELNS0_4arch9wavefront6targetE0EEEvSY_
	.globl	_ZN7rocprim17ROCPRIM_400000_NS6detail17trampoline_kernelINS0_14default_configENS1_27lower_bound_config_selectorIilEEZNS1_14transform_implILb0ES3_S5_N6thrust23THRUST_200600_302600_NS6detail15normal_iteratorINS8_7pointerIiNS8_11hip_rocprim5par_tENS8_11use_defaultESE_EEEENSA_INSB_IlSD_SE_SE_EEEEZNS1_13binary_searchIS3_S5_NSA_INS8_10device_ptrIiEEEESG_SI_NS1_21lower_bound_search_opENS9_16wrapped_functionINS8_6system6detail7generic6detail18binary_search_lessEbEEEE10hipError_tPvRmT1_T2_T3_mmT4_T5_P12ihipStream_tbEUlRKiE_EESV_SZ_S10_mS11_S14_bEUlT_E_NS1_11comp_targetILNS1_3genE8ELNS1_11target_archE1030ELNS1_3gpuE2ELNS1_3repE0EEENS1_30default_config_static_selectorELNS0_4arch9wavefront6targetE0EEEvSY_
	.p2align	8
	.type	_ZN7rocprim17ROCPRIM_400000_NS6detail17trampoline_kernelINS0_14default_configENS1_27lower_bound_config_selectorIilEEZNS1_14transform_implILb0ES3_S5_N6thrust23THRUST_200600_302600_NS6detail15normal_iteratorINS8_7pointerIiNS8_11hip_rocprim5par_tENS8_11use_defaultESE_EEEENSA_INSB_IlSD_SE_SE_EEEEZNS1_13binary_searchIS3_S5_NSA_INS8_10device_ptrIiEEEESG_SI_NS1_21lower_bound_search_opENS9_16wrapped_functionINS8_6system6detail7generic6detail18binary_search_lessEbEEEE10hipError_tPvRmT1_T2_T3_mmT4_T5_P12ihipStream_tbEUlRKiE_EESV_SZ_S10_mS11_S14_bEUlT_E_NS1_11comp_targetILNS1_3genE8ELNS1_11target_archE1030ELNS1_3gpuE2ELNS1_3repE0EEENS1_30default_config_static_selectorELNS0_4arch9wavefront6targetE0EEEvSY_,@function
_ZN7rocprim17ROCPRIM_400000_NS6detail17trampoline_kernelINS0_14default_configENS1_27lower_bound_config_selectorIilEEZNS1_14transform_implILb0ES3_S5_N6thrust23THRUST_200600_302600_NS6detail15normal_iteratorINS8_7pointerIiNS8_11hip_rocprim5par_tENS8_11use_defaultESE_EEEENSA_INSB_IlSD_SE_SE_EEEEZNS1_13binary_searchIS3_S5_NSA_INS8_10device_ptrIiEEEESG_SI_NS1_21lower_bound_search_opENS9_16wrapped_functionINS8_6system6detail7generic6detail18binary_search_lessEbEEEE10hipError_tPvRmT1_T2_T3_mmT4_T5_P12ihipStream_tbEUlRKiE_EESV_SZ_S10_mS11_S14_bEUlT_E_NS1_11comp_targetILNS1_3genE8ELNS1_11target_archE1030ELNS1_3gpuE2ELNS1_3repE0EEENS1_30default_config_static_selectorELNS0_4arch9wavefront6targetE0EEEvSY_: ; @_ZN7rocprim17ROCPRIM_400000_NS6detail17trampoline_kernelINS0_14default_configENS1_27lower_bound_config_selectorIilEEZNS1_14transform_implILb0ES3_S5_N6thrust23THRUST_200600_302600_NS6detail15normal_iteratorINS8_7pointerIiNS8_11hip_rocprim5par_tENS8_11use_defaultESE_EEEENSA_INSB_IlSD_SE_SE_EEEEZNS1_13binary_searchIS3_S5_NSA_INS8_10device_ptrIiEEEESG_SI_NS1_21lower_bound_search_opENS9_16wrapped_functionINS8_6system6detail7generic6detail18binary_search_lessEbEEEE10hipError_tPvRmT1_T2_T3_mmT4_T5_P12ihipStream_tbEUlRKiE_EESV_SZ_S10_mS11_S14_bEUlT_E_NS1_11comp_targetILNS1_3genE8ELNS1_11target_archE1030ELNS1_3gpuE2ELNS1_3repE0EEENS1_30default_config_static_selectorELNS0_4arch9wavefront6targetE0EEEvSY_
; %bb.0:
	s_clause 0x3
	s_load_dwordx4 s[12:15], s[4:5], 0x0
	s_load_dwordx4 s[0:3], s[4:5], 0x18
	s_load_dword s16, s[4:5], 0x38
	s_load_dwordx2 s[10:11], s[4:5], 0x28
	s_waitcnt lgkmcnt(0)
	s_lshl_b64 s[8:9], s[14:15], 2
	s_add_u32 s12, s12, s8
	s_addc_u32 s13, s13, s9
	s_lshl_b64 s[8:9], s[14:15], 3
	s_add_u32 s7, s0, s8
	s_addc_u32 s1, s1, s9
	s_add_i32 s16, s16, -1
	s_lshl_b32 s8, s6, 8
	s_mov_b32 s9, 0
	s_cmp_lg_u32 s6, s16
	s_mov_b32 s0, -1
	s_cbranch_scc0 .LBB411_7
; %bb.1:
	s_cmp_eq_u64 s[10:11], 0
	s_cbranch_scc1 .LBB411_5
; %bb.2:
	v_lshlrev_b32_e32 v1, 2, v0
	s_lshl_b64 s[14:15], s[8:9], 2
	v_mov_b32_e32 v3, s10
	s_add_u32 s0, s12, s14
	s_addc_u32 s6, s13, s15
	v_add_co_u32 v1, s0, s0, v1
	v_add_co_ci_u32_e64 v2, null, s6, 0, s0
	v_mov_b32_e32 v4, s11
	s_mov_b32 s0, 0
	flat_load_dword v5, v[1:2]
	v_mov_b32_e32 v1, 0
	v_mov_b32_e32 v2, 0
	s_inst_prefetch 0x1
	.p2align	6
.LBB411_3:                              ; =>This Inner Loop Header: Depth=1
	v_sub_co_u32 v6, vcc_lo, v3, v1
	v_sub_co_ci_u32_e64 v7, null, v4, v2, vcc_lo
	v_lshrrev_b64 v[8:9], 1, v[6:7]
	v_lshrrev_b64 v[6:7], 6, v[6:7]
	v_add_co_u32 v8, vcc_lo, v8, v1
	v_add_co_ci_u32_e64 v9, null, v9, v2, vcc_lo
	v_add_co_u32 v6, vcc_lo, v8, v6
	v_add_co_ci_u32_e64 v7, null, v9, v7, vcc_lo
	v_lshlrev_b64 v[8:9], 2, v[6:7]
	v_add_co_u32 v8, vcc_lo, s2, v8
	v_add_co_ci_u32_e64 v9, null, s3, v9, vcc_lo
	global_load_dword v8, v[8:9], off
	v_add_co_u32 v9, vcc_lo, v6, 1
	v_add_co_ci_u32_e64 v10, null, 0, v7, vcc_lo
	s_waitcnt vmcnt(0) lgkmcnt(0)
	v_cmp_lt_i32_e32 vcc_lo, v8, v5
	v_cndmask_b32_e32 v4, v7, v4, vcc_lo
	v_cndmask_b32_e32 v3, v6, v3, vcc_lo
	;; [unrolled: 1-line block ×4, first 2 shown]
	v_cmp_ge_u64_e32 vcc_lo, v[1:2], v[3:4]
	s_or_b32 s0, vcc_lo, s0
	s_andn2_b32 exec_lo, exec_lo, s0
	s_cbranch_execnz .LBB411_3
; %bb.4:
	s_inst_prefetch 0x2
	s_or_b32 exec_lo, exec_lo, s0
	s_branch .LBB411_6
.LBB411_5:
	v_mov_b32_e32 v1, 0
	v_mov_b32_e32 v2, 0
.LBB411_6:
	v_lshlrev_b32_e32 v3, 3, v0
	s_lshl_b64 s[14:15], s[8:9], 3
	s_add_u32 s0, s7, s14
	s_addc_u32 s6, s1, s15
	v_add_co_u32 v3, s0, s0, v3
	v_add_co_ci_u32_e64 v4, null, s6, 0, s0
	s_mov_b32 s0, 0
	flat_store_dwordx2 v[3:4], v[1:2]
.LBB411_7:
	s_and_b32 vcc_lo, exec_lo, s0
	s_cbranch_vccz .LBB411_16
; %bb.8:
	s_load_dword s0, s[4:5], 0x10
                                        ; implicit-def: $vgpr5
	s_waitcnt lgkmcnt(0)
	s_sub_i32 s4, s0, s8
	v_cmp_le_u32_e64 s0, s4, v0
	v_cmp_gt_u32_e32 vcc_lo, s4, v0
	s_and_saveexec_b32 s4, vcc_lo
	s_cbranch_execz .LBB411_10
; %bb.9:
	v_lshlrev_b32_e32 v1, 2, v0
	s_lshl_b64 s[14:15], s[8:9], 2
	s_add_u32 s5, s12, s14
	s_addc_u32 s6, s13, s15
	v_add_co_u32 v1, s5, s5, v1
	v_add_co_ci_u32_e64 v2, null, s6, 0, s5
	flat_load_dword v5, v[1:2]
.LBB411_10:
	s_or_b32 exec_lo, exec_lo, s4
	s_cmp_lg_u64 s[10:11], 0
	v_mov_b32_e32 v1, 0
	v_mov_b32_e32 v2, 0
	s_cselect_b32 s4, -1, 0
	s_xor_b32 s0, s0, -1
	s_and_b32 s0, s0, s4
	s_and_saveexec_b32 s4, s0
	s_cbranch_execz .LBB411_14
; %bb.11:
	v_mov_b32_e32 v1, 0
	v_mov_b32_e32 v3, s10
	;; [unrolled: 1-line block ×4, first 2 shown]
	s_mov_b32 s5, 0
	s_inst_prefetch 0x1
	.p2align	6
.LBB411_12:                             ; =>This Inner Loop Header: Depth=1
	v_sub_co_u32 v6, s0, v3, v1
	v_sub_co_ci_u32_e64 v7, null, v4, v2, s0
	v_lshrrev_b64 v[8:9], 1, v[6:7]
	v_lshrrev_b64 v[6:7], 6, v[6:7]
	v_add_co_u32 v8, s0, v8, v1
	v_add_co_ci_u32_e64 v9, null, v9, v2, s0
	v_add_co_u32 v6, s0, v8, v6
	v_add_co_ci_u32_e64 v7, null, v9, v7, s0
	v_lshlrev_b64 v[8:9], 2, v[6:7]
	v_add_co_u32 v8, s0, s2, v8
	v_add_co_ci_u32_e64 v9, null, s3, v9, s0
	global_load_dword v8, v[8:9], off
	v_add_co_u32 v9, s0, v6, 1
	v_add_co_ci_u32_e64 v10, null, 0, v7, s0
	s_waitcnt vmcnt(0) lgkmcnt(0)
	v_cmp_lt_i32_e64 s0, v8, v5
	v_cndmask_b32_e64 v4, v7, v4, s0
	v_cndmask_b32_e64 v3, v6, v3, s0
	;; [unrolled: 1-line block ×4, first 2 shown]
	v_cmp_ge_u64_e64 s0, v[1:2], v[3:4]
	s_or_b32 s5, s0, s5
	s_andn2_b32 exec_lo, exec_lo, s5
	s_cbranch_execnz .LBB411_12
; %bb.13:
	s_inst_prefetch 0x2
	s_or_b32 exec_lo, exec_lo, s5
.LBB411_14:
	s_or_b32 exec_lo, exec_lo, s4
	s_and_saveexec_b32 s0, vcc_lo
	s_cbranch_execz .LBB411_16
; %bb.15:
	v_lshlrev_b32_e32 v0, 3, v0
	s_lshl_b64 s[2:3], s[8:9], 3
	s_add_u32 s0, s7, s2
	s_addc_u32 s1, s1, s3
	v_add_co_u32 v3, s0, s0, v0
	v_add_co_ci_u32_e64 v4, null, s1, 0, s0
	flat_store_dwordx2 v[3:4], v[1:2]
.LBB411_16:
	s_endpgm
	.section	.rodata,"a",@progbits
	.p2align	6, 0x0
	.amdhsa_kernel _ZN7rocprim17ROCPRIM_400000_NS6detail17trampoline_kernelINS0_14default_configENS1_27lower_bound_config_selectorIilEEZNS1_14transform_implILb0ES3_S5_N6thrust23THRUST_200600_302600_NS6detail15normal_iteratorINS8_7pointerIiNS8_11hip_rocprim5par_tENS8_11use_defaultESE_EEEENSA_INSB_IlSD_SE_SE_EEEEZNS1_13binary_searchIS3_S5_NSA_INS8_10device_ptrIiEEEESG_SI_NS1_21lower_bound_search_opENS9_16wrapped_functionINS8_6system6detail7generic6detail18binary_search_lessEbEEEE10hipError_tPvRmT1_T2_T3_mmT4_T5_P12ihipStream_tbEUlRKiE_EESV_SZ_S10_mS11_S14_bEUlT_E_NS1_11comp_targetILNS1_3genE8ELNS1_11target_archE1030ELNS1_3gpuE2ELNS1_3repE0EEENS1_30default_config_static_selectorELNS0_4arch9wavefront6targetE0EEEvSY_
		.amdhsa_group_segment_fixed_size 0
		.amdhsa_private_segment_fixed_size 0
		.amdhsa_kernarg_size 312
		.amdhsa_user_sgpr_count 6
		.amdhsa_user_sgpr_private_segment_buffer 1
		.amdhsa_user_sgpr_dispatch_ptr 0
		.amdhsa_user_sgpr_queue_ptr 0
		.amdhsa_user_sgpr_kernarg_segment_ptr 1
		.amdhsa_user_sgpr_dispatch_id 0
		.amdhsa_user_sgpr_flat_scratch_init 0
		.amdhsa_user_sgpr_private_segment_size 0
		.amdhsa_wavefront_size32 1
		.amdhsa_uses_dynamic_stack 0
		.amdhsa_system_sgpr_private_segment_wavefront_offset 0
		.amdhsa_system_sgpr_workgroup_id_x 1
		.amdhsa_system_sgpr_workgroup_id_y 0
		.amdhsa_system_sgpr_workgroup_id_z 0
		.amdhsa_system_sgpr_workgroup_info 0
		.amdhsa_system_vgpr_workitem_id 0
		.amdhsa_next_free_vgpr 11
		.amdhsa_next_free_sgpr 17
		.amdhsa_reserve_vcc 1
		.amdhsa_reserve_flat_scratch 0
		.amdhsa_float_round_mode_32 0
		.amdhsa_float_round_mode_16_64 0
		.amdhsa_float_denorm_mode_32 3
		.amdhsa_float_denorm_mode_16_64 3
		.amdhsa_dx10_clamp 1
		.amdhsa_ieee_mode 1
		.amdhsa_fp16_overflow 0
		.amdhsa_workgroup_processor_mode 1
		.amdhsa_memory_ordered 1
		.amdhsa_forward_progress 1
		.amdhsa_shared_vgpr_count 0
		.amdhsa_exception_fp_ieee_invalid_op 0
		.amdhsa_exception_fp_denorm_src 0
		.amdhsa_exception_fp_ieee_div_zero 0
		.amdhsa_exception_fp_ieee_overflow 0
		.amdhsa_exception_fp_ieee_underflow 0
		.amdhsa_exception_fp_ieee_inexact 0
		.amdhsa_exception_int_div_zero 0
	.end_amdhsa_kernel
	.section	.text._ZN7rocprim17ROCPRIM_400000_NS6detail17trampoline_kernelINS0_14default_configENS1_27lower_bound_config_selectorIilEEZNS1_14transform_implILb0ES3_S5_N6thrust23THRUST_200600_302600_NS6detail15normal_iteratorINS8_7pointerIiNS8_11hip_rocprim5par_tENS8_11use_defaultESE_EEEENSA_INSB_IlSD_SE_SE_EEEEZNS1_13binary_searchIS3_S5_NSA_INS8_10device_ptrIiEEEESG_SI_NS1_21lower_bound_search_opENS9_16wrapped_functionINS8_6system6detail7generic6detail18binary_search_lessEbEEEE10hipError_tPvRmT1_T2_T3_mmT4_T5_P12ihipStream_tbEUlRKiE_EESV_SZ_S10_mS11_S14_bEUlT_E_NS1_11comp_targetILNS1_3genE8ELNS1_11target_archE1030ELNS1_3gpuE2ELNS1_3repE0EEENS1_30default_config_static_selectorELNS0_4arch9wavefront6targetE0EEEvSY_,"axG",@progbits,_ZN7rocprim17ROCPRIM_400000_NS6detail17trampoline_kernelINS0_14default_configENS1_27lower_bound_config_selectorIilEEZNS1_14transform_implILb0ES3_S5_N6thrust23THRUST_200600_302600_NS6detail15normal_iteratorINS8_7pointerIiNS8_11hip_rocprim5par_tENS8_11use_defaultESE_EEEENSA_INSB_IlSD_SE_SE_EEEEZNS1_13binary_searchIS3_S5_NSA_INS8_10device_ptrIiEEEESG_SI_NS1_21lower_bound_search_opENS9_16wrapped_functionINS8_6system6detail7generic6detail18binary_search_lessEbEEEE10hipError_tPvRmT1_T2_T3_mmT4_T5_P12ihipStream_tbEUlRKiE_EESV_SZ_S10_mS11_S14_bEUlT_E_NS1_11comp_targetILNS1_3genE8ELNS1_11target_archE1030ELNS1_3gpuE2ELNS1_3repE0EEENS1_30default_config_static_selectorELNS0_4arch9wavefront6targetE0EEEvSY_,comdat
.Lfunc_end411:
	.size	_ZN7rocprim17ROCPRIM_400000_NS6detail17trampoline_kernelINS0_14default_configENS1_27lower_bound_config_selectorIilEEZNS1_14transform_implILb0ES3_S5_N6thrust23THRUST_200600_302600_NS6detail15normal_iteratorINS8_7pointerIiNS8_11hip_rocprim5par_tENS8_11use_defaultESE_EEEENSA_INSB_IlSD_SE_SE_EEEEZNS1_13binary_searchIS3_S5_NSA_INS8_10device_ptrIiEEEESG_SI_NS1_21lower_bound_search_opENS9_16wrapped_functionINS8_6system6detail7generic6detail18binary_search_lessEbEEEE10hipError_tPvRmT1_T2_T3_mmT4_T5_P12ihipStream_tbEUlRKiE_EESV_SZ_S10_mS11_S14_bEUlT_E_NS1_11comp_targetILNS1_3genE8ELNS1_11target_archE1030ELNS1_3gpuE2ELNS1_3repE0EEENS1_30default_config_static_selectorELNS0_4arch9wavefront6targetE0EEEvSY_, .Lfunc_end411-_ZN7rocprim17ROCPRIM_400000_NS6detail17trampoline_kernelINS0_14default_configENS1_27lower_bound_config_selectorIilEEZNS1_14transform_implILb0ES3_S5_N6thrust23THRUST_200600_302600_NS6detail15normal_iteratorINS8_7pointerIiNS8_11hip_rocprim5par_tENS8_11use_defaultESE_EEEENSA_INSB_IlSD_SE_SE_EEEEZNS1_13binary_searchIS3_S5_NSA_INS8_10device_ptrIiEEEESG_SI_NS1_21lower_bound_search_opENS9_16wrapped_functionINS8_6system6detail7generic6detail18binary_search_lessEbEEEE10hipError_tPvRmT1_T2_T3_mmT4_T5_P12ihipStream_tbEUlRKiE_EESV_SZ_S10_mS11_S14_bEUlT_E_NS1_11comp_targetILNS1_3genE8ELNS1_11target_archE1030ELNS1_3gpuE2ELNS1_3repE0EEENS1_30default_config_static_selectorELNS0_4arch9wavefront6targetE0EEEvSY_
                                        ; -- End function
	.set _ZN7rocprim17ROCPRIM_400000_NS6detail17trampoline_kernelINS0_14default_configENS1_27lower_bound_config_selectorIilEEZNS1_14transform_implILb0ES3_S5_N6thrust23THRUST_200600_302600_NS6detail15normal_iteratorINS8_7pointerIiNS8_11hip_rocprim5par_tENS8_11use_defaultESE_EEEENSA_INSB_IlSD_SE_SE_EEEEZNS1_13binary_searchIS3_S5_NSA_INS8_10device_ptrIiEEEESG_SI_NS1_21lower_bound_search_opENS9_16wrapped_functionINS8_6system6detail7generic6detail18binary_search_lessEbEEEE10hipError_tPvRmT1_T2_T3_mmT4_T5_P12ihipStream_tbEUlRKiE_EESV_SZ_S10_mS11_S14_bEUlT_E_NS1_11comp_targetILNS1_3genE8ELNS1_11target_archE1030ELNS1_3gpuE2ELNS1_3repE0EEENS1_30default_config_static_selectorELNS0_4arch9wavefront6targetE0EEEvSY_.num_vgpr, 11
	.set _ZN7rocprim17ROCPRIM_400000_NS6detail17trampoline_kernelINS0_14default_configENS1_27lower_bound_config_selectorIilEEZNS1_14transform_implILb0ES3_S5_N6thrust23THRUST_200600_302600_NS6detail15normal_iteratorINS8_7pointerIiNS8_11hip_rocprim5par_tENS8_11use_defaultESE_EEEENSA_INSB_IlSD_SE_SE_EEEEZNS1_13binary_searchIS3_S5_NSA_INS8_10device_ptrIiEEEESG_SI_NS1_21lower_bound_search_opENS9_16wrapped_functionINS8_6system6detail7generic6detail18binary_search_lessEbEEEE10hipError_tPvRmT1_T2_T3_mmT4_T5_P12ihipStream_tbEUlRKiE_EESV_SZ_S10_mS11_S14_bEUlT_E_NS1_11comp_targetILNS1_3genE8ELNS1_11target_archE1030ELNS1_3gpuE2ELNS1_3repE0EEENS1_30default_config_static_selectorELNS0_4arch9wavefront6targetE0EEEvSY_.num_agpr, 0
	.set _ZN7rocprim17ROCPRIM_400000_NS6detail17trampoline_kernelINS0_14default_configENS1_27lower_bound_config_selectorIilEEZNS1_14transform_implILb0ES3_S5_N6thrust23THRUST_200600_302600_NS6detail15normal_iteratorINS8_7pointerIiNS8_11hip_rocprim5par_tENS8_11use_defaultESE_EEEENSA_INSB_IlSD_SE_SE_EEEEZNS1_13binary_searchIS3_S5_NSA_INS8_10device_ptrIiEEEESG_SI_NS1_21lower_bound_search_opENS9_16wrapped_functionINS8_6system6detail7generic6detail18binary_search_lessEbEEEE10hipError_tPvRmT1_T2_T3_mmT4_T5_P12ihipStream_tbEUlRKiE_EESV_SZ_S10_mS11_S14_bEUlT_E_NS1_11comp_targetILNS1_3genE8ELNS1_11target_archE1030ELNS1_3gpuE2ELNS1_3repE0EEENS1_30default_config_static_selectorELNS0_4arch9wavefront6targetE0EEEvSY_.numbered_sgpr, 17
	.set _ZN7rocprim17ROCPRIM_400000_NS6detail17trampoline_kernelINS0_14default_configENS1_27lower_bound_config_selectorIilEEZNS1_14transform_implILb0ES3_S5_N6thrust23THRUST_200600_302600_NS6detail15normal_iteratorINS8_7pointerIiNS8_11hip_rocprim5par_tENS8_11use_defaultESE_EEEENSA_INSB_IlSD_SE_SE_EEEEZNS1_13binary_searchIS3_S5_NSA_INS8_10device_ptrIiEEEESG_SI_NS1_21lower_bound_search_opENS9_16wrapped_functionINS8_6system6detail7generic6detail18binary_search_lessEbEEEE10hipError_tPvRmT1_T2_T3_mmT4_T5_P12ihipStream_tbEUlRKiE_EESV_SZ_S10_mS11_S14_bEUlT_E_NS1_11comp_targetILNS1_3genE8ELNS1_11target_archE1030ELNS1_3gpuE2ELNS1_3repE0EEENS1_30default_config_static_selectorELNS0_4arch9wavefront6targetE0EEEvSY_.num_named_barrier, 0
	.set _ZN7rocprim17ROCPRIM_400000_NS6detail17trampoline_kernelINS0_14default_configENS1_27lower_bound_config_selectorIilEEZNS1_14transform_implILb0ES3_S5_N6thrust23THRUST_200600_302600_NS6detail15normal_iteratorINS8_7pointerIiNS8_11hip_rocprim5par_tENS8_11use_defaultESE_EEEENSA_INSB_IlSD_SE_SE_EEEEZNS1_13binary_searchIS3_S5_NSA_INS8_10device_ptrIiEEEESG_SI_NS1_21lower_bound_search_opENS9_16wrapped_functionINS8_6system6detail7generic6detail18binary_search_lessEbEEEE10hipError_tPvRmT1_T2_T3_mmT4_T5_P12ihipStream_tbEUlRKiE_EESV_SZ_S10_mS11_S14_bEUlT_E_NS1_11comp_targetILNS1_3genE8ELNS1_11target_archE1030ELNS1_3gpuE2ELNS1_3repE0EEENS1_30default_config_static_selectorELNS0_4arch9wavefront6targetE0EEEvSY_.private_seg_size, 0
	.set _ZN7rocprim17ROCPRIM_400000_NS6detail17trampoline_kernelINS0_14default_configENS1_27lower_bound_config_selectorIilEEZNS1_14transform_implILb0ES3_S5_N6thrust23THRUST_200600_302600_NS6detail15normal_iteratorINS8_7pointerIiNS8_11hip_rocprim5par_tENS8_11use_defaultESE_EEEENSA_INSB_IlSD_SE_SE_EEEEZNS1_13binary_searchIS3_S5_NSA_INS8_10device_ptrIiEEEESG_SI_NS1_21lower_bound_search_opENS9_16wrapped_functionINS8_6system6detail7generic6detail18binary_search_lessEbEEEE10hipError_tPvRmT1_T2_T3_mmT4_T5_P12ihipStream_tbEUlRKiE_EESV_SZ_S10_mS11_S14_bEUlT_E_NS1_11comp_targetILNS1_3genE8ELNS1_11target_archE1030ELNS1_3gpuE2ELNS1_3repE0EEENS1_30default_config_static_selectorELNS0_4arch9wavefront6targetE0EEEvSY_.uses_vcc, 1
	.set _ZN7rocprim17ROCPRIM_400000_NS6detail17trampoline_kernelINS0_14default_configENS1_27lower_bound_config_selectorIilEEZNS1_14transform_implILb0ES3_S5_N6thrust23THRUST_200600_302600_NS6detail15normal_iteratorINS8_7pointerIiNS8_11hip_rocprim5par_tENS8_11use_defaultESE_EEEENSA_INSB_IlSD_SE_SE_EEEEZNS1_13binary_searchIS3_S5_NSA_INS8_10device_ptrIiEEEESG_SI_NS1_21lower_bound_search_opENS9_16wrapped_functionINS8_6system6detail7generic6detail18binary_search_lessEbEEEE10hipError_tPvRmT1_T2_T3_mmT4_T5_P12ihipStream_tbEUlRKiE_EESV_SZ_S10_mS11_S14_bEUlT_E_NS1_11comp_targetILNS1_3genE8ELNS1_11target_archE1030ELNS1_3gpuE2ELNS1_3repE0EEENS1_30default_config_static_selectorELNS0_4arch9wavefront6targetE0EEEvSY_.uses_flat_scratch, 0
	.set _ZN7rocprim17ROCPRIM_400000_NS6detail17trampoline_kernelINS0_14default_configENS1_27lower_bound_config_selectorIilEEZNS1_14transform_implILb0ES3_S5_N6thrust23THRUST_200600_302600_NS6detail15normal_iteratorINS8_7pointerIiNS8_11hip_rocprim5par_tENS8_11use_defaultESE_EEEENSA_INSB_IlSD_SE_SE_EEEEZNS1_13binary_searchIS3_S5_NSA_INS8_10device_ptrIiEEEESG_SI_NS1_21lower_bound_search_opENS9_16wrapped_functionINS8_6system6detail7generic6detail18binary_search_lessEbEEEE10hipError_tPvRmT1_T2_T3_mmT4_T5_P12ihipStream_tbEUlRKiE_EESV_SZ_S10_mS11_S14_bEUlT_E_NS1_11comp_targetILNS1_3genE8ELNS1_11target_archE1030ELNS1_3gpuE2ELNS1_3repE0EEENS1_30default_config_static_selectorELNS0_4arch9wavefront6targetE0EEEvSY_.has_dyn_sized_stack, 0
	.set _ZN7rocprim17ROCPRIM_400000_NS6detail17trampoline_kernelINS0_14default_configENS1_27lower_bound_config_selectorIilEEZNS1_14transform_implILb0ES3_S5_N6thrust23THRUST_200600_302600_NS6detail15normal_iteratorINS8_7pointerIiNS8_11hip_rocprim5par_tENS8_11use_defaultESE_EEEENSA_INSB_IlSD_SE_SE_EEEEZNS1_13binary_searchIS3_S5_NSA_INS8_10device_ptrIiEEEESG_SI_NS1_21lower_bound_search_opENS9_16wrapped_functionINS8_6system6detail7generic6detail18binary_search_lessEbEEEE10hipError_tPvRmT1_T2_T3_mmT4_T5_P12ihipStream_tbEUlRKiE_EESV_SZ_S10_mS11_S14_bEUlT_E_NS1_11comp_targetILNS1_3genE8ELNS1_11target_archE1030ELNS1_3gpuE2ELNS1_3repE0EEENS1_30default_config_static_selectorELNS0_4arch9wavefront6targetE0EEEvSY_.has_recursion, 0
	.set _ZN7rocprim17ROCPRIM_400000_NS6detail17trampoline_kernelINS0_14default_configENS1_27lower_bound_config_selectorIilEEZNS1_14transform_implILb0ES3_S5_N6thrust23THRUST_200600_302600_NS6detail15normal_iteratorINS8_7pointerIiNS8_11hip_rocprim5par_tENS8_11use_defaultESE_EEEENSA_INSB_IlSD_SE_SE_EEEEZNS1_13binary_searchIS3_S5_NSA_INS8_10device_ptrIiEEEESG_SI_NS1_21lower_bound_search_opENS9_16wrapped_functionINS8_6system6detail7generic6detail18binary_search_lessEbEEEE10hipError_tPvRmT1_T2_T3_mmT4_T5_P12ihipStream_tbEUlRKiE_EESV_SZ_S10_mS11_S14_bEUlT_E_NS1_11comp_targetILNS1_3genE8ELNS1_11target_archE1030ELNS1_3gpuE2ELNS1_3repE0EEENS1_30default_config_static_selectorELNS0_4arch9wavefront6targetE0EEEvSY_.has_indirect_call, 0
	.section	.AMDGPU.csdata,"",@progbits
; Kernel info:
; codeLenInByte = 816
; TotalNumSgprs: 19
; NumVgprs: 11
; ScratchSize: 0
; MemoryBound: 0
; FloatMode: 240
; IeeeMode: 1
; LDSByteSize: 0 bytes/workgroup (compile time only)
; SGPRBlocks: 0
; VGPRBlocks: 1
; NumSGPRsForWavesPerEU: 19
; NumVGPRsForWavesPerEU: 11
; Occupancy: 16
; WaveLimiterHint : 0
; COMPUTE_PGM_RSRC2:SCRATCH_EN: 0
; COMPUTE_PGM_RSRC2:USER_SGPR: 6
; COMPUTE_PGM_RSRC2:TRAP_HANDLER: 0
; COMPUTE_PGM_RSRC2:TGID_X_EN: 1
; COMPUTE_PGM_RSRC2:TGID_Y_EN: 0
; COMPUTE_PGM_RSRC2:TGID_Z_EN: 0
; COMPUTE_PGM_RSRC2:TIDIG_COMP_CNT: 0
	.section	.text._ZN7rocprim17ROCPRIM_400000_NS6detail17trampoline_kernelINS0_14default_configENS1_27lower_bound_config_selectorIslEEZNS1_14transform_implILb0ES3_S5_N6thrust23THRUST_200600_302600_NS6detail15normal_iteratorINS8_7pointerIsNS8_11hip_rocprim5par_tENS8_11use_defaultESE_EEEENSA_INSB_IlSD_SE_SE_EEEEZNS1_13binary_searchIS3_S5_NSA_INS8_10device_ptrIsEEEESG_SI_NS1_21lower_bound_search_opENS9_16wrapped_functionINS8_6system6detail7generic6detail18binary_search_lessEbEEEE10hipError_tPvRmT1_T2_T3_mmT4_T5_P12ihipStream_tbEUlRKsE_EESV_SZ_S10_mS11_S14_bEUlT_E_NS1_11comp_targetILNS1_3genE0ELNS1_11target_archE4294967295ELNS1_3gpuE0ELNS1_3repE0EEENS1_30default_config_static_selectorELNS0_4arch9wavefront6targetE0EEEvSY_,"axG",@progbits,_ZN7rocprim17ROCPRIM_400000_NS6detail17trampoline_kernelINS0_14default_configENS1_27lower_bound_config_selectorIslEEZNS1_14transform_implILb0ES3_S5_N6thrust23THRUST_200600_302600_NS6detail15normal_iteratorINS8_7pointerIsNS8_11hip_rocprim5par_tENS8_11use_defaultESE_EEEENSA_INSB_IlSD_SE_SE_EEEEZNS1_13binary_searchIS3_S5_NSA_INS8_10device_ptrIsEEEESG_SI_NS1_21lower_bound_search_opENS9_16wrapped_functionINS8_6system6detail7generic6detail18binary_search_lessEbEEEE10hipError_tPvRmT1_T2_T3_mmT4_T5_P12ihipStream_tbEUlRKsE_EESV_SZ_S10_mS11_S14_bEUlT_E_NS1_11comp_targetILNS1_3genE0ELNS1_11target_archE4294967295ELNS1_3gpuE0ELNS1_3repE0EEENS1_30default_config_static_selectorELNS0_4arch9wavefront6targetE0EEEvSY_,comdat
	.protected	_ZN7rocprim17ROCPRIM_400000_NS6detail17trampoline_kernelINS0_14default_configENS1_27lower_bound_config_selectorIslEEZNS1_14transform_implILb0ES3_S5_N6thrust23THRUST_200600_302600_NS6detail15normal_iteratorINS8_7pointerIsNS8_11hip_rocprim5par_tENS8_11use_defaultESE_EEEENSA_INSB_IlSD_SE_SE_EEEEZNS1_13binary_searchIS3_S5_NSA_INS8_10device_ptrIsEEEESG_SI_NS1_21lower_bound_search_opENS9_16wrapped_functionINS8_6system6detail7generic6detail18binary_search_lessEbEEEE10hipError_tPvRmT1_T2_T3_mmT4_T5_P12ihipStream_tbEUlRKsE_EESV_SZ_S10_mS11_S14_bEUlT_E_NS1_11comp_targetILNS1_3genE0ELNS1_11target_archE4294967295ELNS1_3gpuE0ELNS1_3repE0EEENS1_30default_config_static_selectorELNS0_4arch9wavefront6targetE0EEEvSY_ ; -- Begin function _ZN7rocprim17ROCPRIM_400000_NS6detail17trampoline_kernelINS0_14default_configENS1_27lower_bound_config_selectorIslEEZNS1_14transform_implILb0ES3_S5_N6thrust23THRUST_200600_302600_NS6detail15normal_iteratorINS8_7pointerIsNS8_11hip_rocprim5par_tENS8_11use_defaultESE_EEEENSA_INSB_IlSD_SE_SE_EEEEZNS1_13binary_searchIS3_S5_NSA_INS8_10device_ptrIsEEEESG_SI_NS1_21lower_bound_search_opENS9_16wrapped_functionINS8_6system6detail7generic6detail18binary_search_lessEbEEEE10hipError_tPvRmT1_T2_T3_mmT4_T5_P12ihipStream_tbEUlRKsE_EESV_SZ_S10_mS11_S14_bEUlT_E_NS1_11comp_targetILNS1_3genE0ELNS1_11target_archE4294967295ELNS1_3gpuE0ELNS1_3repE0EEENS1_30default_config_static_selectorELNS0_4arch9wavefront6targetE0EEEvSY_
	.globl	_ZN7rocprim17ROCPRIM_400000_NS6detail17trampoline_kernelINS0_14default_configENS1_27lower_bound_config_selectorIslEEZNS1_14transform_implILb0ES3_S5_N6thrust23THRUST_200600_302600_NS6detail15normal_iteratorINS8_7pointerIsNS8_11hip_rocprim5par_tENS8_11use_defaultESE_EEEENSA_INSB_IlSD_SE_SE_EEEEZNS1_13binary_searchIS3_S5_NSA_INS8_10device_ptrIsEEEESG_SI_NS1_21lower_bound_search_opENS9_16wrapped_functionINS8_6system6detail7generic6detail18binary_search_lessEbEEEE10hipError_tPvRmT1_T2_T3_mmT4_T5_P12ihipStream_tbEUlRKsE_EESV_SZ_S10_mS11_S14_bEUlT_E_NS1_11comp_targetILNS1_3genE0ELNS1_11target_archE4294967295ELNS1_3gpuE0ELNS1_3repE0EEENS1_30default_config_static_selectorELNS0_4arch9wavefront6targetE0EEEvSY_
	.p2align	8
	.type	_ZN7rocprim17ROCPRIM_400000_NS6detail17trampoline_kernelINS0_14default_configENS1_27lower_bound_config_selectorIslEEZNS1_14transform_implILb0ES3_S5_N6thrust23THRUST_200600_302600_NS6detail15normal_iteratorINS8_7pointerIsNS8_11hip_rocprim5par_tENS8_11use_defaultESE_EEEENSA_INSB_IlSD_SE_SE_EEEEZNS1_13binary_searchIS3_S5_NSA_INS8_10device_ptrIsEEEESG_SI_NS1_21lower_bound_search_opENS9_16wrapped_functionINS8_6system6detail7generic6detail18binary_search_lessEbEEEE10hipError_tPvRmT1_T2_T3_mmT4_T5_P12ihipStream_tbEUlRKsE_EESV_SZ_S10_mS11_S14_bEUlT_E_NS1_11comp_targetILNS1_3genE0ELNS1_11target_archE4294967295ELNS1_3gpuE0ELNS1_3repE0EEENS1_30default_config_static_selectorELNS0_4arch9wavefront6targetE0EEEvSY_,@function
_ZN7rocprim17ROCPRIM_400000_NS6detail17trampoline_kernelINS0_14default_configENS1_27lower_bound_config_selectorIslEEZNS1_14transform_implILb0ES3_S5_N6thrust23THRUST_200600_302600_NS6detail15normal_iteratorINS8_7pointerIsNS8_11hip_rocprim5par_tENS8_11use_defaultESE_EEEENSA_INSB_IlSD_SE_SE_EEEEZNS1_13binary_searchIS3_S5_NSA_INS8_10device_ptrIsEEEESG_SI_NS1_21lower_bound_search_opENS9_16wrapped_functionINS8_6system6detail7generic6detail18binary_search_lessEbEEEE10hipError_tPvRmT1_T2_T3_mmT4_T5_P12ihipStream_tbEUlRKsE_EESV_SZ_S10_mS11_S14_bEUlT_E_NS1_11comp_targetILNS1_3genE0ELNS1_11target_archE4294967295ELNS1_3gpuE0ELNS1_3repE0EEENS1_30default_config_static_selectorELNS0_4arch9wavefront6targetE0EEEvSY_: ; @_ZN7rocprim17ROCPRIM_400000_NS6detail17trampoline_kernelINS0_14default_configENS1_27lower_bound_config_selectorIslEEZNS1_14transform_implILb0ES3_S5_N6thrust23THRUST_200600_302600_NS6detail15normal_iteratorINS8_7pointerIsNS8_11hip_rocprim5par_tENS8_11use_defaultESE_EEEENSA_INSB_IlSD_SE_SE_EEEEZNS1_13binary_searchIS3_S5_NSA_INS8_10device_ptrIsEEEESG_SI_NS1_21lower_bound_search_opENS9_16wrapped_functionINS8_6system6detail7generic6detail18binary_search_lessEbEEEE10hipError_tPvRmT1_T2_T3_mmT4_T5_P12ihipStream_tbEUlRKsE_EESV_SZ_S10_mS11_S14_bEUlT_E_NS1_11comp_targetILNS1_3genE0ELNS1_11target_archE4294967295ELNS1_3gpuE0ELNS1_3repE0EEENS1_30default_config_static_selectorELNS0_4arch9wavefront6targetE0EEEvSY_
; %bb.0:
	.section	.rodata,"a",@progbits
	.p2align	6, 0x0
	.amdhsa_kernel _ZN7rocprim17ROCPRIM_400000_NS6detail17trampoline_kernelINS0_14default_configENS1_27lower_bound_config_selectorIslEEZNS1_14transform_implILb0ES3_S5_N6thrust23THRUST_200600_302600_NS6detail15normal_iteratorINS8_7pointerIsNS8_11hip_rocprim5par_tENS8_11use_defaultESE_EEEENSA_INSB_IlSD_SE_SE_EEEEZNS1_13binary_searchIS3_S5_NSA_INS8_10device_ptrIsEEEESG_SI_NS1_21lower_bound_search_opENS9_16wrapped_functionINS8_6system6detail7generic6detail18binary_search_lessEbEEEE10hipError_tPvRmT1_T2_T3_mmT4_T5_P12ihipStream_tbEUlRKsE_EESV_SZ_S10_mS11_S14_bEUlT_E_NS1_11comp_targetILNS1_3genE0ELNS1_11target_archE4294967295ELNS1_3gpuE0ELNS1_3repE0EEENS1_30default_config_static_selectorELNS0_4arch9wavefront6targetE0EEEvSY_
		.amdhsa_group_segment_fixed_size 0
		.amdhsa_private_segment_fixed_size 0
		.amdhsa_kernarg_size 56
		.amdhsa_user_sgpr_count 6
		.amdhsa_user_sgpr_private_segment_buffer 1
		.amdhsa_user_sgpr_dispatch_ptr 0
		.amdhsa_user_sgpr_queue_ptr 0
		.amdhsa_user_sgpr_kernarg_segment_ptr 1
		.amdhsa_user_sgpr_dispatch_id 0
		.amdhsa_user_sgpr_flat_scratch_init 0
		.amdhsa_user_sgpr_private_segment_size 0
		.amdhsa_wavefront_size32 1
		.amdhsa_uses_dynamic_stack 0
		.amdhsa_system_sgpr_private_segment_wavefront_offset 0
		.amdhsa_system_sgpr_workgroup_id_x 1
		.amdhsa_system_sgpr_workgroup_id_y 0
		.amdhsa_system_sgpr_workgroup_id_z 0
		.amdhsa_system_sgpr_workgroup_info 0
		.amdhsa_system_vgpr_workitem_id 0
		.amdhsa_next_free_vgpr 1
		.amdhsa_next_free_sgpr 1
		.amdhsa_reserve_vcc 0
		.amdhsa_reserve_flat_scratch 0
		.amdhsa_float_round_mode_32 0
		.amdhsa_float_round_mode_16_64 0
		.amdhsa_float_denorm_mode_32 3
		.amdhsa_float_denorm_mode_16_64 3
		.amdhsa_dx10_clamp 1
		.amdhsa_ieee_mode 1
		.amdhsa_fp16_overflow 0
		.amdhsa_workgroup_processor_mode 1
		.amdhsa_memory_ordered 1
		.amdhsa_forward_progress 1
		.amdhsa_shared_vgpr_count 0
		.amdhsa_exception_fp_ieee_invalid_op 0
		.amdhsa_exception_fp_denorm_src 0
		.amdhsa_exception_fp_ieee_div_zero 0
		.amdhsa_exception_fp_ieee_overflow 0
		.amdhsa_exception_fp_ieee_underflow 0
		.amdhsa_exception_fp_ieee_inexact 0
		.amdhsa_exception_int_div_zero 0
	.end_amdhsa_kernel
	.section	.text._ZN7rocprim17ROCPRIM_400000_NS6detail17trampoline_kernelINS0_14default_configENS1_27lower_bound_config_selectorIslEEZNS1_14transform_implILb0ES3_S5_N6thrust23THRUST_200600_302600_NS6detail15normal_iteratorINS8_7pointerIsNS8_11hip_rocprim5par_tENS8_11use_defaultESE_EEEENSA_INSB_IlSD_SE_SE_EEEEZNS1_13binary_searchIS3_S5_NSA_INS8_10device_ptrIsEEEESG_SI_NS1_21lower_bound_search_opENS9_16wrapped_functionINS8_6system6detail7generic6detail18binary_search_lessEbEEEE10hipError_tPvRmT1_T2_T3_mmT4_T5_P12ihipStream_tbEUlRKsE_EESV_SZ_S10_mS11_S14_bEUlT_E_NS1_11comp_targetILNS1_3genE0ELNS1_11target_archE4294967295ELNS1_3gpuE0ELNS1_3repE0EEENS1_30default_config_static_selectorELNS0_4arch9wavefront6targetE0EEEvSY_,"axG",@progbits,_ZN7rocprim17ROCPRIM_400000_NS6detail17trampoline_kernelINS0_14default_configENS1_27lower_bound_config_selectorIslEEZNS1_14transform_implILb0ES3_S5_N6thrust23THRUST_200600_302600_NS6detail15normal_iteratorINS8_7pointerIsNS8_11hip_rocprim5par_tENS8_11use_defaultESE_EEEENSA_INSB_IlSD_SE_SE_EEEEZNS1_13binary_searchIS3_S5_NSA_INS8_10device_ptrIsEEEESG_SI_NS1_21lower_bound_search_opENS9_16wrapped_functionINS8_6system6detail7generic6detail18binary_search_lessEbEEEE10hipError_tPvRmT1_T2_T3_mmT4_T5_P12ihipStream_tbEUlRKsE_EESV_SZ_S10_mS11_S14_bEUlT_E_NS1_11comp_targetILNS1_3genE0ELNS1_11target_archE4294967295ELNS1_3gpuE0ELNS1_3repE0EEENS1_30default_config_static_selectorELNS0_4arch9wavefront6targetE0EEEvSY_,comdat
.Lfunc_end412:
	.size	_ZN7rocprim17ROCPRIM_400000_NS6detail17trampoline_kernelINS0_14default_configENS1_27lower_bound_config_selectorIslEEZNS1_14transform_implILb0ES3_S5_N6thrust23THRUST_200600_302600_NS6detail15normal_iteratorINS8_7pointerIsNS8_11hip_rocprim5par_tENS8_11use_defaultESE_EEEENSA_INSB_IlSD_SE_SE_EEEEZNS1_13binary_searchIS3_S5_NSA_INS8_10device_ptrIsEEEESG_SI_NS1_21lower_bound_search_opENS9_16wrapped_functionINS8_6system6detail7generic6detail18binary_search_lessEbEEEE10hipError_tPvRmT1_T2_T3_mmT4_T5_P12ihipStream_tbEUlRKsE_EESV_SZ_S10_mS11_S14_bEUlT_E_NS1_11comp_targetILNS1_3genE0ELNS1_11target_archE4294967295ELNS1_3gpuE0ELNS1_3repE0EEENS1_30default_config_static_selectorELNS0_4arch9wavefront6targetE0EEEvSY_, .Lfunc_end412-_ZN7rocprim17ROCPRIM_400000_NS6detail17trampoline_kernelINS0_14default_configENS1_27lower_bound_config_selectorIslEEZNS1_14transform_implILb0ES3_S5_N6thrust23THRUST_200600_302600_NS6detail15normal_iteratorINS8_7pointerIsNS8_11hip_rocprim5par_tENS8_11use_defaultESE_EEEENSA_INSB_IlSD_SE_SE_EEEEZNS1_13binary_searchIS3_S5_NSA_INS8_10device_ptrIsEEEESG_SI_NS1_21lower_bound_search_opENS9_16wrapped_functionINS8_6system6detail7generic6detail18binary_search_lessEbEEEE10hipError_tPvRmT1_T2_T3_mmT4_T5_P12ihipStream_tbEUlRKsE_EESV_SZ_S10_mS11_S14_bEUlT_E_NS1_11comp_targetILNS1_3genE0ELNS1_11target_archE4294967295ELNS1_3gpuE0ELNS1_3repE0EEENS1_30default_config_static_selectorELNS0_4arch9wavefront6targetE0EEEvSY_
                                        ; -- End function
	.set _ZN7rocprim17ROCPRIM_400000_NS6detail17trampoline_kernelINS0_14default_configENS1_27lower_bound_config_selectorIslEEZNS1_14transform_implILb0ES3_S5_N6thrust23THRUST_200600_302600_NS6detail15normal_iteratorINS8_7pointerIsNS8_11hip_rocprim5par_tENS8_11use_defaultESE_EEEENSA_INSB_IlSD_SE_SE_EEEEZNS1_13binary_searchIS3_S5_NSA_INS8_10device_ptrIsEEEESG_SI_NS1_21lower_bound_search_opENS9_16wrapped_functionINS8_6system6detail7generic6detail18binary_search_lessEbEEEE10hipError_tPvRmT1_T2_T3_mmT4_T5_P12ihipStream_tbEUlRKsE_EESV_SZ_S10_mS11_S14_bEUlT_E_NS1_11comp_targetILNS1_3genE0ELNS1_11target_archE4294967295ELNS1_3gpuE0ELNS1_3repE0EEENS1_30default_config_static_selectorELNS0_4arch9wavefront6targetE0EEEvSY_.num_vgpr, 0
	.set _ZN7rocprim17ROCPRIM_400000_NS6detail17trampoline_kernelINS0_14default_configENS1_27lower_bound_config_selectorIslEEZNS1_14transform_implILb0ES3_S5_N6thrust23THRUST_200600_302600_NS6detail15normal_iteratorINS8_7pointerIsNS8_11hip_rocprim5par_tENS8_11use_defaultESE_EEEENSA_INSB_IlSD_SE_SE_EEEEZNS1_13binary_searchIS3_S5_NSA_INS8_10device_ptrIsEEEESG_SI_NS1_21lower_bound_search_opENS9_16wrapped_functionINS8_6system6detail7generic6detail18binary_search_lessEbEEEE10hipError_tPvRmT1_T2_T3_mmT4_T5_P12ihipStream_tbEUlRKsE_EESV_SZ_S10_mS11_S14_bEUlT_E_NS1_11comp_targetILNS1_3genE0ELNS1_11target_archE4294967295ELNS1_3gpuE0ELNS1_3repE0EEENS1_30default_config_static_selectorELNS0_4arch9wavefront6targetE0EEEvSY_.num_agpr, 0
	.set _ZN7rocprim17ROCPRIM_400000_NS6detail17trampoline_kernelINS0_14default_configENS1_27lower_bound_config_selectorIslEEZNS1_14transform_implILb0ES3_S5_N6thrust23THRUST_200600_302600_NS6detail15normal_iteratorINS8_7pointerIsNS8_11hip_rocprim5par_tENS8_11use_defaultESE_EEEENSA_INSB_IlSD_SE_SE_EEEEZNS1_13binary_searchIS3_S5_NSA_INS8_10device_ptrIsEEEESG_SI_NS1_21lower_bound_search_opENS9_16wrapped_functionINS8_6system6detail7generic6detail18binary_search_lessEbEEEE10hipError_tPvRmT1_T2_T3_mmT4_T5_P12ihipStream_tbEUlRKsE_EESV_SZ_S10_mS11_S14_bEUlT_E_NS1_11comp_targetILNS1_3genE0ELNS1_11target_archE4294967295ELNS1_3gpuE0ELNS1_3repE0EEENS1_30default_config_static_selectorELNS0_4arch9wavefront6targetE0EEEvSY_.numbered_sgpr, 0
	.set _ZN7rocprim17ROCPRIM_400000_NS6detail17trampoline_kernelINS0_14default_configENS1_27lower_bound_config_selectorIslEEZNS1_14transform_implILb0ES3_S5_N6thrust23THRUST_200600_302600_NS6detail15normal_iteratorINS8_7pointerIsNS8_11hip_rocprim5par_tENS8_11use_defaultESE_EEEENSA_INSB_IlSD_SE_SE_EEEEZNS1_13binary_searchIS3_S5_NSA_INS8_10device_ptrIsEEEESG_SI_NS1_21lower_bound_search_opENS9_16wrapped_functionINS8_6system6detail7generic6detail18binary_search_lessEbEEEE10hipError_tPvRmT1_T2_T3_mmT4_T5_P12ihipStream_tbEUlRKsE_EESV_SZ_S10_mS11_S14_bEUlT_E_NS1_11comp_targetILNS1_3genE0ELNS1_11target_archE4294967295ELNS1_3gpuE0ELNS1_3repE0EEENS1_30default_config_static_selectorELNS0_4arch9wavefront6targetE0EEEvSY_.num_named_barrier, 0
	.set _ZN7rocprim17ROCPRIM_400000_NS6detail17trampoline_kernelINS0_14default_configENS1_27lower_bound_config_selectorIslEEZNS1_14transform_implILb0ES3_S5_N6thrust23THRUST_200600_302600_NS6detail15normal_iteratorINS8_7pointerIsNS8_11hip_rocprim5par_tENS8_11use_defaultESE_EEEENSA_INSB_IlSD_SE_SE_EEEEZNS1_13binary_searchIS3_S5_NSA_INS8_10device_ptrIsEEEESG_SI_NS1_21lower_bound_search_opENS9_16wrapped_functionINS8_6system6detail7generic6detail18binary_search_lessEbEEEE10hipError_tPvRmT1_T2_T3_mmT4_T5_P12ihipStream_tbEUlRKsE_EESV_SZ_S10_mS11_S14_bEUlT_E_NS1_11comp_targetILNS1_3genE0ELNS1_11target_archE4294967295ELNS1_3gpuE0ELNS1_3repE0EEENS1_30default_config_static_selectorELNS0_4arch9wavefront6targetE0EEEvSY_.private_seg_size, 0
	.set _ZN7rocprim17ROCPRIM_400000_NS6detail17trampoline_kernelINS0_14default_configENS1_27lower_bound_config_selectorIslEEZNS1_14transform_implILb0ES3_S5_N6thrust23THRUST_200600_302600_NS6detail15normal_iteratorINS8_7pointerIsNS8_11hip_rocprim5par_tENS8_11use_defaultESE_EEEENSA_INSB_IlSD_SE_SE_EEEEZNS1_13binary_searchIS3_S5_NSA_INS8_10device_ptrIsEEEESG_SI_NS1_21lower_bound_search_opENS9_16wrapped_functionINS8_6system6detail7generic6detail18binary_search_lessEbEEEE10hipError_tPvRmT1_T2_T3_mmT4_T5_P12ihipStream_tbEUlRKsE_EESV_SZ_S10_mS11_S14_bEUlT_E_NS1_11comp_targetILNS1_3genE0ELNS1_11target_archE4294967295ELNS1_3gpuE0ELNS1_3repE0EEENS1_30default_config_static_selectorELNS0_4arch9wavefront6targetE0EEEvSY_.uses_vcc, 0
	.set _ZN7rocprim17ROCPRIM_400000_NS6detail17trampoline_kernelINS0_14default_configENS1_27lower_bound_config_selectorIslEEZNS1_14transform_implILb0ES3_S5_N6thrust23THRUST_200600_302600_NS6detail15normal_iteratorINS8_7pointerIsNS8_11hip_rocprim5par_tENS8_11use_defaultESE_EEEENSA_INSB_IlSD_SE_SE_EEEEZNS1_13binary_searchIS3_S5_NSA_INS8_10device_ptrIsEEEESG_SI_NS1_21lower_bound_search_opENS9_16wrapped_functionINS8_6system6detail7generic6detail18binary_search_lessEbEEEE10hipError_tPvRmT1_T2_T3_mmT4_T5_P12ihipStream_tbEUlRKsE_EESV_SZ_S10_mS11_S14_bEUlT_E_NS1_11comp_targetILNS1_3genE0ELNS1_11target_archE4294967295ELNS1_3gpuE0ELNS1_3repE0EEENS1_30default_config_static_selectorELNS0_4arch9wavefront6targetE0EEEvSY_.uses_flat_scratch, 0
	.set _ZN7rocprim17ROCPRIM_400000_NS6detail17trampoline_kernelINS0_14default_configENS1_27lower_bound_config_selectorIslEEZNS1_14transform_implILb0ES3_S5_N6thrust23THRUST_200600_302600_NS6detail15normal_iteratorINS8_7pointerIsNS8_11hip_rocprim5par_tENS8_11use_defaultESE_EEEENSA_INSB_IlSD_SE_SE_EEEEZNS1_13binary_searchIS3_S5_NSA_INS8_10device_ptrIsEEEESG_SI_NS1_21lower_bound_search_opENS9_16wrapped_functionINS8_6system6detail7generic6detail18binary_search_lessEbEEEE10hipError_tPvRmT1_T2_T3_mmT4_T5_P12ihipStream_tbEUlRKsE_EESV_SZ_S10_mS11_S14_bEUlT_E_NS1_11comp_targetILNS1_3genE0ELNS1_11target_archE4294967295ELNS1_3gpuE0ELNS1_3repE0EEENS1_30default_config_static_selectorELNS0_4arch9wavefront6targetE0EEEvSY_.has_dyn_sized_stack, 0
	.set _ZN7rocprim17ROCPRIM_400000_NS6detail17trampoline_kernelINS0_14default_configENS1_27lower_bound_config_selectorIslEEZNS1_14transform_implILb0ES3_S5_N6thrust23THRUST_200600_302600_NS6detail15normal_iteratorINS8_7pointerIsNS8_11hip_rocprim5par_tENS8_11use_defaultESE_EEEENSA_INSB_IlSD_SE_SE_EEEEZNS1_13binary_searchIS3_S5_NSA_INS8_10device_ptrIsEEEESG_SI_NS1_21lower_bound_search_opENS9_16wrapped_functionINS8_6system6detail7generic6detail18binary_search_lessEbEEEE10hipError_tPvRmT1_T2_T3_mmT4_T5_P12ihipStream_tbEUlRKsE_EESV_SZ_S10_mS11_S14_bEUlT_E_NS1_11comp_targetILNS1_3genE0ELNS1_11target_archE4294967295ELNS1_3gpuE0ELNS1_3repE0EEENS1_30default_config_static_selectorELNS0_4arch9wavefront6targetE0EEEvSY_.has_recursion, 0
	.set _ZN7rocprim17ROCPRIM_400000_NS6detail17trampoline_kernelINS0_14default_configENS1_27lower_bound_config_selectorIslEEZNS1_14transform_implILb0ES3_S5_N6thrust23THRUST_200600_302600_NS6detail15normal_iteratorINS8_7pointerIsNS8_11hip_rocprim5par_tENS8_11use_defaultESE_EEEENSA_INSB_IlSD_SE_SE_EEEEZNS1_13binary_searchIS3_S5_NSA_INS8_10device_ptrIsEEEESG_SI_NS1_21lower_bound_search_opENS9_16wrapped_functionINS8_6system6detail7generic6detail18binary_search_lessEbEEEE10hipError_tPvRmT1_T2_T3_mmT4_T5_P12ihipStream_tbEUlRKsE_EESV_SZ_S10_mS11_S14_bEUlT_E_NS1_11comp_targetILNS1_3genE0ELNS1_11target_archE4294967295ELNS1_3gpuE0ELNS1_3repE0EEENS1_30default_config_static_selectorELNS0_4arch9wavefront6targetE0EEEvSY_.has_indirect_call, 0
	.section	.AMDGPU.csdata,"",@progbits
; Kernel info:
; codeLenInByte = 0
; TotalNumSgprs: 0
; NumVgprs: 0
; ScratchSize: 0
; MemoryBound: 0
; FloatMode: 240
; IeeeMode: 1
; LDSByteSize: 0 bytes/workgroup (compile time only)
; SGPRBlocks: 0
; VGPRBlocks: 0
; NumSGPRsForWavesPerEU: 1
; NumVGPRsForWavesPerEU: 1
; Occupancy: 16
; WaveLimiterHint : 0
; COMPUTE_PGM_RSRC2:SCRATCH_EN: 0
; COMPUTE_PGM_RSRC2:USER_SGPR: 6
; COMPUTE_PGM_RSRC2:TRAP_HANDLER: 0
; COMPUTE_PGM_RSRC2:TGID_X_EN: 1
; COMPUTE_PGM_RSRC2:TGID_Y_EN: 0
; COMPUTE_PGM_RSRC2:TGID_Z_EN: 0
; COMPUTE_PGM_RSRC2:TIDIG_COMP_CNT: 0
	.section	.text._ZN7rocprim17ROCPRIM_400000_NS6detail17trampoline_kernelINS0_14default_configENS1_27lower_bound_config_selectorIslEEZNS1_14transform_implILb0ES3_S5_N6thrust23THRUST_200600_302600_NS6detail15normal_iteratorINS8_7pointerIsNS8_11hip_rocprim5par_tENS8_11use_defaultESE_EEEENSA_INSB_IlSD_SE_SE_EEEEZNS1_13binary_searchIS3_S5_NSA_INS8_10device_ptrIsEEEESG_SI_NS1_21lower_bound_search_opENS9_16wrapped_functionINS8_6system6detail7generic6detail18binary_search_lessEbEEEE10hipError_tPvRmT1_T2_T3_mmT4_T5_P12ihipStream_tbEUlRKsE_EESV_SZ_S10_mS11_S14_bEUlT_E_NS1_11comp_targetILNS1_3genE5ELNS1_11target_archE942ELNS1_3gpuE9ELNS1_3repE0EEENS1_30default_config_static_selectorELNS0_4arch9wavefront6targetE0EEEvSY_,"axG",@progbits,_ZN7rocprim17ROCPRIM_400000_NS6detail17trampoline_kernelINS0_14default_configENS1_27lower_bound_config_selectorIslEEZNS1_14transform_implILb0ES3_S5_N6thrust23THRUST_200600_302600_NS6detail15normal_iteratorINS8_7pointerIsNS8_11hip_rocprim5par_tENS8_11use_defaultESE_EEEENSA_INSB_IlSD_SE_SE_EEEEZNS1_13binary_searchIS3_S5_NSA_INS8_10device_ptrIsEEEESG_SI_NS1_21lower_bound_search_opENS9_16wrapped_functionINS8_6system6detail7generic6detail18binary_search_lessEbEEEE10hipError_tPvRmT1_T2_T3_mmT4_T5_P12ihipStream_tbEUlRKsE_EESV_SZ_S10_mS11_S14_bEUlT_E_NS1_11comp_targetILNS1_3genE5ELNS1_11target_archE942ELNS1_3gpuE9ELNS1_3repE0EEENS1_30default_config_static_selectorELNS0_4arch9wavefront6targetE0EEEvSY_,comdat
	.protected	_ZN7rocprim17ROCPRIM_400000_NS6detail17trampoline_kernelINS0_14default_configENS1_27lower_bound_config_selectorIslEEZNS1_14transform_implILb0ES3_S5_N6thrust23THRUST_200600_302600_NS6detail15normal_iteratorINS8_7pointerIsNS8_11hip_rocprim5par_tENS8_11use_defaultESE_EEEENSA_INSB_IlSD_SE_SE_EEEEZNS1_13binary_searchIS3_S5_NSA_INS8_10device_ptrIsEEEESG_SI_NS1_21lower_bound_search_opENS9_16wrapped_functionINS8_6system6detail7generic6detail18binary_search_lessEbEEEE10hipError_tPvRmT1_T2_T3_mmT4_T5_P12ihipStream_tbEUlRKsE_EESV_SZ_S10_mS11_S14_bEUlT_E_NS1_11comp_targetILNS1_3genE5ELNS1_11target_archE942ELNS1_3gpuE9ELNS1_3repE0EEENS1_30default_config_static_selectorELNS0_4arch9wavefront6targetE0EEEvSY_ ; -- Begin function _ZN7rocprim17ROCPRIM_400000_NS6detail17trampoline_kernelINS0_14default_configENS1_27lower_bound_config_selectorIslEEZNS1_14transform_implILb0ES3_S5_N6thrust23THRUST_200600_302600_NS6detail15normal_iteratorINS8_7pointerIsNS8_11hip_rocprim5par_tENS8_11use_defaultESE_EEEENSA_INSB_IlSD_SE_SE_EEEEZNS1_13binary_searchIS3_S5_NSA_INS8_10device_ptrIsEEEESG_SI_NS1_21lower_bound_search_opENS9_16wrapped_functionINS8_6system6detail7generic6detail18binary_search_lessEbEEEE10hipError_tPvRmT1_T2_T3_mmT4_T5_P12ihipStream_tbEUlRKsE_EESV_SZ_S10_mS11_S14_bEUlT_E_NS1_11comp_targetILNS1_3genE5ELNS1_11target_archE942ELNS1_3gpuE9ELNS1_3repE0EEENS1_30default_config_static_selectorELNS0_4arch9wavefront6targetE0EEEvSY_
	.globl	_ZN7rocprim17ROCPRIM_400000_NS6detail17trampoline_kernelINS0_14default_configENS1_27lower_bound_config_selectorIslEEZNS1_14transform_implILb0ES3_S5_N6thrust23THRUST_200600_302600_NS6detail15normal_iteratorINS8_7pointerIsNS8_11hip_rocprim5par_tENS8_11use_defaultESE_EEEENSA_INSB_IlSD_SE_SE_EEEEZNS1_13binary_searchIS3_S5_NSA_INS8_10device_ptrIsEEEESG_SI_NS1_21lower_bound_search_opENS9_16wrapped_functionINS8_6system6detail7generic6detail18binary_search_lessEbEEEE10hipError_tPvRmT1_T2_T3_mmT4_T5_P12ihipStream_tbEUlRKsE_EESV_SZ_S10_mS11_S14_bEUlT_E_NS1_11comp_targetILNS1_3genE5ELNS1_11target_archE942ELNS1_3gpuE9ELNS1_3repE0EEENS1_30default_config_static_selectorELNS0_4arch9wavefront6targetE0EEEvSY_
	.p2align	8
	.type	_ZN7rocprim17ROCPRIM_400000_NS6detail17trampoline_kernelINS0_14default_configENS1_27lower_bound_config_selectorIslEEZNS1_14transform_implILb0ES3_S5_N6thrust23THRUST_200600_302600_NS6detail15normal_iteratorINS8_7pointerIsNS8_11hip_rocprim5par_tENS8_11use_defaultESE_EEEENSA_INSB_IlSD_SE_SE_EEEEZNS1_13binary_searchIS3_S5_NSA_INS8_10device_ptrIsEEEESG_SI_NS1_21lower_bound_search_opENS9_16wrapped_functionINS8_6system6detail7generic6detail18binary_search_lessEbEEEE10hipError_tPvRmT1_T2_T3_mmT4_T5_P12ihipStream_tbEUlRKsE_EESV_SZ_S10_mS11_S14_bEUlT_E_NS1_11comp_targetILNS1_3genE5ELNS1_11target_archE942ELNS1_3gpuE9ELNS1_3repE0EEENS1_30default_config_static_selectorELNS0_4arch9wavefront6targetE0EEEvSY_,@function
_ZN7rocprim17ROCPRIM_400000_NS6detail17trampoline_kernelINS0_14default_configENS1_27lower_bound_config_selectorIslEEZNS1_14transform_implILb0ES3_S5_N6thrust23THRUST_200600_302600_NS6detail15normal_iteratorINS8_7pointerIsNS8_11hip_rocprim5par_tENS8_11use_defaultESE_EEEENSA_INSB_IlSD_SE_SE_EEEEZNS1_13binary_searchIS3_S5_NSA_INS8_10device_ptrIsEEEESG_SI_NS1_21lower_bound_search_opENS9_16wrapped_functionINS8_6system6detail7generic6detail18binary_search_lessEbEEEE10hipError_tPvRmT1_T2_T3_mmT4_T5_P12ihipStream_tbEUlRKsE_EESV_SZ_S10_mS11_S14_bEUlT_E_NS1_11comp_targetILNS1_3genE5ELNS1_11target_archE942ELNS1_3gpuE9ELNS1_3repE0EEENS1_30default_config_static_selectorELNS0_4arch9wavefront6targetE0EEEvSY_: ; @_ZN7rocprim17ROCPRIM_400000_NS6detail17trampoline_kernelINS0_14default_configENS1_27lower_bound_config_selectorIslEEZNS1_14transform_implILb0ES3_S5_N6thrust23THRUST_200600_302600_NS6detail15normal_iteratorINS8_7pointerIsNS8_11hip_rocprim5par_tENS8_11use_defaultESE_EEEENSA_INSB_IlSD_SE_SE_EEEEZNS1_13binary_searchIS3_S5_NSA_INS8_10device_ptrIsEEEESG_SI_NS1_21lower_bound_search_opENS9_16wrapped_functionINS8_6system6detail7generic6detail18binary_search_lessEbEEEE10hipError_tPvRmT1_T2_T3_mmT4_T5_P12ihipStream_tbEUlRKsE_EESV_SZ_S10_mS11_S14_bEUlT_E_NS1_11comp_targetILNS1_3genE5ELNS1_11target_archE942ELNS1_3gpuE9ELNS1_3repE0EEENS1_30default_config_static_selectorELNS0_4arch9wavefront6targetE0EEEvSY_
; %bb.0:
	.section	.rodata,"a",@progbits
	.p2align	6, 0x0
	.amdhsa_kernel _ZN7rocprim17ROCPRIM_400000_NS6detail17trampoline_kernelINS0_14default_configENS1_27lower_bound_config_selectorIslEEZNS1_14transform_implILb0ES3_S5_N6thrust23THRUST_200600_302600_NS6detail15normal_iteratorINS8_7pointerIsNS8_11hip_rocprim5par_tENS8_11use_defaultESE_EEEENSA_INSB_IlSD_SE_SE_EEEEZNS1_13binary_searchIS3_S5_NSA_INS8_10device_ptrIsEEEESG_SI_NS1_21lower_bound_search_opENS9_16wrapped_functionINS8_6system6detail7generic6detail18binary_search_lessEbEEEE10hipError_tPvRmT1_T2_T3_mmT4_T5_P12ihipStream_tbEUlRKsE_EESV_SZ_S10_mS11_S14_bEUlT_E_NS1_11comp_targetILNS1_3genE5ELNS1_11target_archE942ELNS1_3gpuE9ELNS1_3repE0EEENS1_30default_config_static_selectorELNS0_4arch9wavefront6targetE0EEEvSY_
		.amdhsa_group_segment_fixed_size 0
		.amdhsa_private_segment_fixed_size 0
		.amdhsa_kernarg_size 56
		.amdhsa_user_sgpr_count 6
		.amdhsa_user_sgpr_private_segment_buffer 1
		.amdhsa_user_sgpr_dispatch_ptr 0
		.amdhsa_user_sgpr_queue_ptr 0
		.amdhsa_user_sgpr_kernarg_segment_ptr 1
		.amdhsa_user_sgpr_dispatch_id 0
		.amdhsa_user_sgpr_flat_scratch_init 0
		.amdhsa_user_sgpr_private_segment_size 0
		.amdhsa_wavefront_size32 1
		.amdhsa_uses_dynamic_stack 0
		.amdhsa_system_sgpr_private_segment_wavefront_offset 0
		.amdhsa_system_sgpr_workgroup_id_x 1
		.amdhsa_system_sgpr_workgroup_id_y 0
		.amdhsa_system_sgpr_workgroup_id_z 0
		.amdhsa_system_sgpr_workgroup_info 0
		.amdhsa_system_vgpr_workitem_id 0
		.amdhsa_next_free_vgpr 1
		.amdhsa_next_free_sgpr 1
		.amdhsa_reserve_vcc 0
		.amdhsa_reserve_flat_scratch 0
		.amdhsa_float_round_mode_32 0
		.amdhsa_float_round_mode_16_64 0
		.amdhsa_float_denorm_mode_32 3
		.amdhsa_float_denorm_mode_16_64 3
		.amdhsa_dx10_clamp 1
		.amdhsa_ieee_mode 1
		.amdhsa_fp16_overflow 0
		.amdhsa_workgroup_processor_mode 1
		.amdhsa_memory_ordered 1
		.amdhsa_forward_progress 1
		.amdhsa_shared_vgpr_count 0
		.amdhsa_exception_fp_ieee_invalid_op 0
		.amdhsa_exception_fp_denorm_src 0
		.amdhsa_exception_fp_ieee_div_zero 0
		.amdhsa_exception_fp_ieee_overflow 0
		.amdhsa_exception_fp_ieee_underflow 0
		.amdhsa_exception_fp_ieee_inexact 0
		.amdhsa_exception_int_div_zero 0
	.end_amdhsa_kernel
	.section	.text._ZN7rocprim17ROCPRIM_400000_NS6detail17trampoline_kernelINS0_14default_configENS1_27lower_bound_config_selectorIslEEZNS1_14transform_implILb0ES3_S5_N6thrust23THRUST_200600_302600_NS6detail15normal_iteratorINS8_7pointerIsNS8_11hip_rocprim5par_tENS8_11use_defaultESE_EEEENSA_INSB_IlSD_SE_SE_EEEEZNS1_13binary_searchIS3_S5_NSA_INS8_10device_ptrIsEEEESG_SI_NS1_21lower_bound_search_opENS9_16wrapped_functionINS8_6system6detail7generic6detail18binary_search_lessEbEEEE10hipError_tPvRmT1_T2_T3_mmT4_T5_P12ihipStream_tbEUlRKsE_EESV_SZ_S10_mS11_S14_bEUlT_E_NS1_11comp_targetILNS1_3genE5ELNS1_11target_archE942ELNS1_3gpuE9ELNS1_3repE0EEENS1_30default_config_static_selectorELNS0_4arch9wavefront6targetE0EEEvSY_,"axG",@progbits,_ZN7rocprim17ROCPRIM_400000_NS6detail17trampoline_kernelINS0_14default_configENS1_27lower_bound_config_selectorIslEEZNS1_14transform_implILb0ES3_S5_N6thrust23THRUST_200600_302600_NS6detail15normal_iteratorINS8_7pointerIsNS8_11hip_rocprim5par_tENS8_11use_defaultESE_EEEENSA_INSB_IlSD_SE_SE_EEEEZNS1_13binary_searchIS3_S5_NSA_INS8_10device_ptrIsEEEESG_SI_NS1_21lower_bound_search_opENS9_16wrapped_functionINS8_6system6detail7generic6detail18binary_search_lessEbEEEE10hipError_tPvRmT1_T2_T3_mmT4_T5_P12ihipStream_tbEUlRKsE_EESV_SZ_S10_mS11_S14_bEUlT_E_NS1_11comp_targetILNS1_3genE5ELNS1_11target_archE942ELNS1_3gpuE9ELNS1_3repE0EEENS1_30default_config_static_selectorELNS0_4arch9wavefront6targetE0EEEvSY_,comdat
.Lfunc_end413:
	.size	_ZN7rocprim17ROCPRIM_400000_NS6detail17trampoline_kernelINS0_14default_configENS1_27lower_bound_config_selectorIslEEZNS1_14transform_implILb0ES3_S5_N6thrust23THRUST_200600_302600_NS6detail15normal_iteratorINS8_7pointerIsNS8_11hip_rocprim5par_tENS8_11use_defaultESE_EEEENSA_INSB_IlSD_SE_SE_EEEEZNS1_13binary_searchIS3_S5_NSA_INS8_10device_ptrIsEEEESG_SI_NS1_21lower_bound_search_opENS9_16wrapped_functionINS8_6system6detail7generic6detail18binary_search_lessEbEEEE10hipError_tPvRmT1_T2_T3_mmT4_T5_P12ihipStream_tbEUlRKsE_EESV_SZ_S10_mS11_S14_bEUlT_E_NS1_11comp_targetILNS1_3genE5ELNS1_11target_archE942ELNS1_3gpuE9ELNS1_3repE0EEENS1_30default_config_static_selectorELNS0_4arch9wavefront6targetE0EEEvSY_, .Lfunc_end413-_ZN7rocprim17ROCPRIM_400000_NS6detail17trampoline_kernelINS0_14default_configENS1_27lower_bound_config_selectorIslEEZNS1_14transform_implILb0ES3_S5_N6thrust23THRUST_200600_302600_NS6detail15normal_iteratorINS8_7pointerIsNS8_11hip_rocprim5par_tENS8_11use_defaultESE_EEEENSA_INSB_IlSD_SE_SE_EEEEZNS1_13binary_searchIS3_S5_NSA_INS8_10device_ptrIsEEEESG_SI_NS1_21lower_bound_search_opENS9_16wrapped_functionINS8_6system6detail7generic6detail18binary_search_lessEbEEEE10hipError_tPvRmT1_T2_T3_mmT4_T5_P12ihipStream_tbEUlRKsE_EESV_SZ_S10_mS11_S14_bEUlT_E_NS1_11comp_targetILNS1_3genE5ELNS1_11target_archE942ELNS1_3gpuE9ELNS1_3repE0EEENS1_30default_config_static_selectorELNS0_4arch9wavefront6targetE0EEEvSY_
                                        ; -- End function
	.set _ZN7rocprim17ROCPRIM_400000_NS6detail17trampoline_kernelINS0_14default_configENS1_27lower_bound_config_selectorIslEEZNS1_14transform_implILb0ES3_S5_N6thrust23THRUST_200600_302600_NS6detail15normal_iteratorINS8_7pointerIsNS8_11hip_rocprim5par_tENS8_11use_defaultESE_EEEENSA_INSB_IlSD_SE_SE_EEEEZNS1_13binary_searchIS3_S5_NSA_INS8_10device_ptrIsEEEESG_SI_NS1_21lower_bound_search_opENS9_16wrapped_functionINS8_6system6detail7generic6detail18binary_search_lessEbEEEE10hipError_tPvRmT1_T2_T3_mmT4_T5_P12ihipStream_tbEUlRKsE_EESV_SZ_S10_mS11_S14_bEUlT_E_NS1_11comp_targetILNS1_3genE5ELNS1_11target_archE942ELNS1_3gpuE9ELNS1_3repE0EEENS1_30default_config_static_selectorELNS0_4arch9wavefront6targetE0EEEvSY_.num_vgpr, 0
	.set _ZN7rocprim17ROCPRIM_400000_NS6detail17trampoline_kernelINS0_14default_configENS1_27lower_bound_config_selectorIslEEZNS1_14transform_implILb0ES3_S5_N6thrust23THRUST_200600_302600_NS6detail15normal_iteratorINS8_7pointerIsNS8_11hip_rocprim5par_tENS8_11use_defaultESE_EEEENSA_INSB_IlSD_SE_SE_EEEEZNS1_13binary_searchIS3_S5_NSA_INS8_10device_ptrIsEEEESG_SI_NS1_21lower_bound_search_opENS9_16wrapped_functionINS8_6system6detail7generic6detail18binary_search_lessEbEEEE10hipError_tPvRmT1_T2_T3_mmT4_T5_P12ihipStream_tbEUlRKsE_EESV_SZ_S10_mS11_S14_bEUlT_E_NS1_11comp_targetILNS1_3genE5ELNS1_11target_archE942ELNS1_3gpuE9ELNS1_3repE0EEENS1_30default_config_static_selectorELNS0_4arch9wavefront6targetE0EEEvSY_.num_agpr, 0
	.set _ZN7rocprim17ROCPRIM_400000_NS6detail17trampoline_kernelINS0_14default_configENS1_27lower_bound_config_selectorIslEEZNS1_14transform_implILb0ES3_S5_N6thrust23THRUST_200600_302600_NS6detail15normal_iteratorINS8_7pointerIsNS8_11hip_rocprim5par_tENS8_11use_defaultESE_EEEENSA_INSB_IlSD_SE_SE_EEEEZNS1_13binary_searchIS3_S5_NSA_INS8_10device_ptrIsEEEESG_SI_NS1_21lower_bound_search_opENS9_16wrapped_functionINS8_6system6detail7generic6detail18binary_search_lessEbEEEE10hipError_tPvRmT1_T2_T3_mmT4_T5_P12ihipStream_tbEUlRKsE_EESV_SZ_S10_mS11_S14_bEUlT_E_NS1_11comp_targetILNS1_3genE5ELNS1_11target_archE942ELNS1_3gpuE9ELNS1_3repE0EEENS1_30default_config_static_selectorELNS0_4arch9wavefront6targetE0EEEvSY_.numbered_sgpr, 0
	.set _ZN7rocprim17ROCPRIM_400000_NS6detail17trampoline_kernelINS0_14default_configENS1_27lower_bound_config_selectorIslEEZNS1_14transform_implILb0ES3_S5_N6thrust23THRUST_200600_302600_NS6detail15normal_iteratorINS8_7pointerIsNS8_11hip_rocprim5par_tENS8_11use_defaultESE_EEEENSA_INSB_IlSD_SE_SE_EEEEZNS1_13binary_searchIS3_S5_NSA_INS8_10device_ptrIsEEEESG_SI_NS1_21lower_bound_search_opENS9_16wrapped_functionINS8_6system6detail7generic6detail18binary_search_lessEbEEEE10hipError_tPvRmT1_T2_T3_mmT4_T5_P12ihipStream_tbEUlRKsE_EESV_SZ_S10_mS11_S14_bEUlT_E_NS1_11comp_targetILNS1_3genE5ELNS1_11target_archE942ELNS1_3gpuE9ELNS1_3repE0EEENS1_30default_config_static_selectorELNS0_4arch9wavefront6targetE0EEEvSY_.num_named_barrier, 0
	.set _ZN7rocprim17ROCPRIM_400000_NS6detail17trampoline_kernelINS0_14default_configENS1_27lower_bound_config_selectorIslEEZNS1_14transform_implILb0ES3_S5_N6thrust23THRUST_200600_302600_NS6detail15normal_iteratorINS8_7pointerIsNS8_11hip_rocprim5par_tENS8_11use_defaultESE_EEEENSA_INSB_IlSD_SE_SE_EEEEZNS1_13binary_searchIS3_S5_NSA_INS8_10device_ptrIsEEEESG_SI_NS1_21lower_bound_search_opENS9_16wrapped_functionINS8_6system6detail7generic6detail18binary_search_lessEbEEEE10hipError_tPvRmT1_T2_T3_mmT4_T5_P12ihipStream_tbEUlRKsE_EESV_SZ_S10_mS11_S14_bEUlT_E_NS1_11comp_targetILNS1_3genE5ELNS1_11target_archE942ELNS1_3gpuE9ELNS1_3repE0EEENS1_30default_config_static_selectorELNS0_4arch9wavefront6targetE0EEEvSY_.private_seg_size, 0
	.set _ZN7rocprim17ROCPRIM_400000_NS6detail17trampoline_kernelINS0_14default_configENS1_27lower_bound_config_selectorIslEEZNS1_14transform_implILb0ES3_S5_N6thrust23THRUST_200600_302600_NS6detail15normal_iteratorINS8_7pointerIsNS8_11hip_rocprim5par_tENS8_11use_defaultESE_EEEENSA_INSB_IlSD_SE_SE_EEEEZNS1_13binary_searchIS3_S5_NSA_INS8_10device_ptrIsEEEESG_SI_NS1_21lower_bound_search_opENS9_16wrapped_functionINS8_6system6detail7generic6detail18binary_search_lessEbEEEE10hipError_tPvRmT1_T2_T3_mmT4_T5_P12ihipStream_tbEUlRKsE_EESV_SZ_S10_mS11_S14_bEUlT_E_NS1_11comp_targetILNS1_3genE5ELNS1_11target_archE942ELNS1_3gpuE9ELNS1_3repE0EEENS1_30default_config_static_selectorELNS0_4arch9wavefront6targetE0EEEvSY_.uses_vcc, 0
	.set _ZN7rocprim17ROCPRIM_400000_NS6detail17trampoline_kernelINS0_14default_configENS1_27lower_bound_config_selectorIslEEZNS1_14transform_implILb0ES3_S5_N6thrust23THRUST_200600_302600_NS6detail15normal_iteratorINS8_7pointerIsNS8_11hip_rocprim5par_tENS8_11use_defaultESE_EEEENSA_INSB_IlSD_SE_SE_EEEEZNS1_13binary_searchIS3_S5_NSA_INS8_10device_ptrIsEEEESG_SI_NS1_21lower_bound_search_opENS9_16wrapped_functionINS8_6system6detail7generic6detail18binary_search_lessEbEEEE10hipError_tPvRmT1_T2_T3_mmT4_T5_P12ihipStream_tbEUlRKsE_EESV_SZ_S10_mS11_S14_bEUlT_E_NS1_11comp_targetILNS1_3genE5ELNS1_11target_archE942ELNS1_3gpuE9ELNS1_3repE0EEENS1_30default_config_static_selectorELNS0_4arch9wavefront6targetE0EEEvSY_.uses_flat_scratch, 0
	.set _ZN7rocprim17ROCPRIM_400000_NS6detail17trampoline_kernelINS0_14default_configENS1_27lower_bound_config_selectorIslEEZNS1_14transform_implILb0ES3_S5_N6thrust23THRUST_200600_302600_NS6detail15normal_iteratorINS8_7pointerIsNS8_11hip_rocprim5par_tENS8_11use_defaultESE_EEEENSA_INSB_IlSD_SE_SE_EEEEZNS1_13binary_searchIS3_S5_NSA_INS8_10device_ptrIsEEEESG_SI_NS1_21lower_bound_search_opENS9_16wrapped_functionINS8_6system6detail7generic6detail18binary_search_lessEbEEEE10hipError_tPvRmT1_T2_T3_mmT4_T5_P12ihipStream_tbEUlRKsE_EESV_SZ_S10_mS11_S14_bEUlT_E_NS1_11comp_targetILNS1_3genE5ELNS1_11target_archE942ELNS1_3gpuE9ELNS1_3repE0EEENS1_30default_config_static_selectorELNS0_4arch9wavefront6targetE0EEEvSY_.has_dyn_sized_stack, 0
	.set _ZN7rocprim17ROCPRIM_400000_NS6detail17trampoline_kernelINS0_14default_configENS1_27lower_bound_config_selectorIslEEZNS1_14transform_implILb0ES3_S5_N6thrust23THRUST_200600_302600_NS6detail15normal_iteratorINS8_7pointerIsNS8_11hip_rocprim5par_tENS8_11use_defaultESE_EEEENSA_INSB_IlSD_SE_SE_EEEEZNS1_13binary_searchIS3_S5_NSA_INS8_10device_ptrIsEEEESG_SI_NS1_21lower_bound_search_opENS9_16wrapped_functionINS8_6system6detail7generic6detail18binary_search_lessEbEEEE10hipError_tPvRmT1_T2_T3_mmT4_T5_P12ihipStream_tbEUlRKsE_EESV_SZ_S10_mS11_S14_bEUlT_E_NS1_11comp_targetILNS1_3genE5ELNS1_11target_archE942ELNS1_3gpuE9ELNS1_3repE0EEENS1_30default_config_static_selectorELNS0_4arch9wavefront6targetE0EEEvSY_.has_recursion, 0
	.set _ZN7rocprim17ROCPRIM_400000_NS6detail17trampoline_kernelINS0_14default_configENS1_27lower_bound_config_selectorIslEEZNS1_14transform_implILb0ES3_S5_N6thrust23THRUST_200600_302600_NS6detail15normal_iteratorINS8_7pointerIsNS8_11hip_rocprim5par_tENS8_11use_defaultESE_EEEENSA_INSB_IlSD_SE_SE_EEEEZNS1_13binary_searchIS3_S5_NSA_INS8_10device_ptrIsEEEESG_SI_NS1_21lower_bound_search_opENS9_16wrapped_functionINS8_6system6detail7generic6detail18binary_search_lessEbEEEE10hipError_tPvRmT1_T2_T3_mmT4_T5_P12ihipStream_tbEUlRKsE_EESV_SZ_S10_mS11_S14_bEUlT_E_NS1_11comp_targetILNS1_3genE5ELNS1_11target_archE942ELNS1_3gpuE9ELNS1_3repE0EEENS1_30default_config_static_selectorELNS0_4arch9wavefront6targetE0EEEvSY_.has_indirect_call, 0
	.section	.AMDGPU.csdata,"",@progbits
; Kernel info:
; codeLenInByte = 0
; TotalNumSgprs: 0
; NumVgprs: 0
; ScratchSize: 0
; MemoryBound: 0
; FloatMode: 240
; IeeeMode: 1
; LDSByteSize: 0 bytes/workgroup (compile time only)
; SGPRBlocks: 0
; VGPRBlocks: 0
; NumSGPRsForWavesPerEU: 1
; NumVGPRsForWavesPerEU: 1
; Occupancy: 16
; WaveLimiterHint : 0
; COMPUTE_PGM_RSRC2:SCRATCH_EN: 0
; COMPUTE_PGM_RSRC2:USER_SGPR: 6
; COMPUTE_PGM_RSRC2:TRAP_HANDLER: 0
; COMPUTE_PGM_RSRC2:TGID_X_EN: 1
; COMPUTE_PGM_RSRC2:TGID_Y_EN: 0
; COMPUTE_PGM_RSRC2:TGID_Z_EN: 0
; COMPUTE_PGM_RSRC2:TIDIG_COMP_CNT: 0
	.section	.text._ZN7rocprim17ROCPRIM_400000_NS6detail17trampoline_kernelINS0_14default_configENS1_27lower_bound_config_selectorIslEEZNS1_14transform_implILb0ES3_S5_N6thrust23THRUST_200600_302600_NS6detail15normal_iteratorINS8_7pointerIsNS8_11hip_rocprim5par_tENS8_11use_defaultESE_EEEENSA_INSB_IlSD_SE_SE_EEEEZNS1_13binary_searchIS3_S5_NSA_INS8_10device_ptrIsEEEESG_SI_NS1_21lower_bound_search_opENS9_16wrapped_functionINS8_6system6detail7generic6detail18binary_search_lessEbEEEE10hipError_tPvRmT1_T2_T3_mmT4_T5_P12ihipStream_tbEUlRKsE_EESV_SZ_S10_mS11_S14_bEUlT_E_NS1_11comp_targetILNS1_3genE4ELNS1_11target_archE910ELNS1_3gpuE8ELNS1_3repE0EEENS1_30default_config_static_selectorELNS0_4arch9wavefront6targetE0EEEvSY_,"axG",@progbits,_ZN7rocprim17ROCPRIM_400000_NS6detail17trampoline_kernelINS0_14default_configENS1_27lower_bound_config_selectorIslEEZNS1_14transform_implILb0ES3_S5_N6thrust23THRUST_200600_302600_NS6detail15normal_iteratorINS8_7pointerIsNS8_11hip_rocprim5par_tENS8_11use_defaultESE_EEEENSA_INSB_IlSD_SE_SE_EEEEZNS1_13binary_searchIS3_S5_NSA_INS8_10device_ptrIsEEEESG_SI_NS1_21lower_bound_search_opENS9_16wrapped_functionINS8_6system6detail7generic6detail18binary_search_lessEbEEEE10hipError_tPvRmT1_T2_T3_mmT4_T5_P12ihipStream_tbEUlRKsE_EESV_SZ_S10_mS11_S14_bEUlT_E_NS1_11comp_targetILNS1_3genE4ELNS1_11target_archE910ELNS1_3gpuE8ELNS1_3repE0EEENS1_30default_config_static_selectorELNS0_4arch9wavefront6targetE0EEEvSY_,comdat
	.protected	_ZN7rocprim17ROCPRIM_400000_NS6detail17trampoline_kernelINS0_14default_configENS1_27lower_bound_config_selectorIslEEZNS1_14transform_implILb0ES3_S5_N6thrust23THRUST_200600_302600_NS6detail15normal_iteratorINS8_7pointerIsNS8_11hip_rocprim5par_tENS8_11use_defaultESE_EEEENSA_INSB_IlSD_SE_SE_EEEEZNS1_13binary_searchIS3_S5_NSA_INS8_10device_ptrIsEEEESG_SI_NS1_21lower_bound_search_opENS9_16wrapped_functionINS8_6system6detail7generic6detail18binary_search_lessEbEEEE10hipError_tPvRmT1_T2_T3_mmT4_T5_P12ihipStream_tbEUlRKsE_EESV_SZ_S10_mS11_S14_bEUlT_E_NS1_11comp_targetILNS1_3genE4ELNS1_11target_archE910ELNS1_3gpuE8ELNS1_3repE0EEENS1_30default_config_static_selectorELNS0_4arch9wavefront6targetE0EEEvSY_ ; -- Begin function _ZN7rocprim17ROCPRIM_400000_NS6detail17trampoline_kernelINS0_14default_configENS1_27lower_bound_config_selectorIslEEZNS1_14transform_implILb0ES3_S5_N6thrust23THRUST_200600_302600_NS6detail15normal_iteratorINS8_7pointerIsNS8_11hip_rocprim5par_tENS8_11use_defaultESE_EEEENSA_INSB_IlSD_SE_SE_EEEEZNS1_13binary_searchIS3_S5_NSA_INS8_10device_ptrIsEEEESG_SI_NS1_21lower_bound_search_opENS9_16wrapped_functionINS8_6system6detail7generic6detail18binary_search_lessEbEEEE10hipError_tPvRmT1_T2_T3_mmT4_T5_P12ihipStream_tbEUlRKsE_EESV_SZ_S10_mS11_S14_bEUlT_E_NS1_11comp_targetILNS1_3genE4ELNS1_11target_archE910ELNS1_3gpuE8ELNS1_3repE0EEENS1_30default_config_static_selectorELNS0_4arch9wavefront6targetE0EEEvSY_
	.globl	_ZN7rocprim17ROCPRIM_400000_NS6detail17trampoline_kernelINS0_14default_configENS1_27lower_bound_config_selectorIslEEZNS1_14transform_implILb0ES3_S5_N6thrust23THRUST_200600_302600_NS6detail15normal_iteratorINS8_7pointerIsNS8_11hip_rocprim5par_tENS8_11use_defaultESE_EEEENSA_INSB_IlSD_SE_SE_EEEEZNS1_13binary_searchIS3_S5_NSA_INS8_10device_ptrIsEEEESG_SI_NS1_21lower_bound_search_opENS9_16wrapped_functionINS8_6system6detail7generic6detail18binary_search_lessEbEEEE10hipError_tPvRmT1_T2_T3_mmT4_T5_P12ihipStream_tbEUlRKsE_EESV_SZ_S10_mS11_S14_bEUlT_E_NS1_11comp_targetILNS1_3genE4ELNS1_11target_archE910ELNS1_3gpuE8ELNS1_3repE0EEENS1_30default_config_static_selectorELNS0_4arch9wavefront6targetE0EEEvSY_
	.p2align	8
	.type	_ZN7rocprim17ROCPRIM_400000_NS6detail17trampoline_kernelINS0_14default_configENS1_27lower_bound_config_selectorIslEEZNS1_14transform_implILb0ES3_S5_N6thrust23THRUST_200600_302600_NS6detail15normal_iteratorINS8_7pointerIsNS8_11hip_rocprim5par_tENS8_11use_defaultESE_EEEENSA_INSB_IlSD_SE_SE_EEEEZNS1_13binary_searchIS3_S5_NSA_INS8_10device_ptrIsEEEESG_SI_NS1_21lower_bound_search_opENS9_16wrapped_functionINS8_6system6detail7generic6detail18binary_search_lessEbEEEE10hipError_tPvRmT1_T2_T3_mmT4_T5_P12ihipStream_tbEUlRKsE_EESV_SZ_S10_mS11_S14_bEUlT_E_NS1_11comp_targetILNS1_3genE4ELNS1_11target_archE910ELNS1_3gpuE8ELNS1_3repE0EEENS1_30default_config_static_selectorELNS0_4arch9wavefront6targetE0EEEvSY_,@function
_ZN7rocprim17ROCPRIM_400000_NS6detail17trampoline_kernelINS0_14default_configENS1_27lower_bound_config_selectorIslEEZNS1_14transform_implILb0ES3_S5_N6thrust23THRUST_200600_302600_NS6detail15normal_iteratorINS8_7pointerIsNS8_11hip_rocprim5par_tENS8_11use_defaultESE_EEEENSA_INSB_IlSD_SE_SE_EEEEZNS1_13binary_searchIS3_S5_NSA_INS8_10device_ptrIsEEEESG_SI_NS1_21lower_bound_search_opENS9_16wrapped_functionINS8_6system6detail7generic6detail18binary_search_lessEbEEEE10hipError_tPvRmT1_T2_T3_mmT4_T5_P12ihipStream_tbEUlRKsE_EESV_SZ_S10_mS11_S14_bEUlT_E_NS1_11comp_targetILNS1_3genE4ELNS1_11target_archE910ELNS1_3gpuE8ELNS1_3repE0EEENS1_30default_config_static_selectorELNS0_4arch9wavefront6targetE0EEEvSY_: ; @_ZN7rocprim17ROCPRIM_400000_NS6detail17trampoline_kernelINS0_14default_configENS1_27lower_bound_config_selectorIslEEZNS1_14transform_implILb0ES3_S5_N6thrust23THRUST_200600_302600_NS6detail15normal_iteratorINS8_7pointerIsNS8_11hip_rocprim5par_tENS8_11use_defaultESE_EEEENSA_INSB_IlSD_SE_SE_EEEEZNS1_13binary_searchIS3_S5_NSA_INS8_10device_ptrIsEEEESG_SI_NS1_21lower_bound_search_opENS9_16wrapped_functionINS8_6system6detail7generic6detail18binary_search_lessEbEEEE10hipError_tPvRmT1_T2_T3_mmT4_T5_P12ihipStream_tbEUlRKsE_EESV_SZ_S10_mS11_S14_bEUlT_E_NS1_11comp_targetILNS1_3genE4ELNS1_11target_archE910ELNS1_3gpuE8ELNS1_3repE0EEENS1_30default_config_static_selectorELNS0_4arch9wavefront6targetE0EEEvSY_
; %bb.0:
	.section	.rodata,"a",@progbits
	.p2align	6, 0x0
	.amdhsa_kernel _ZN7rocprim17ROCPRIM_400000_NS6detail17trampoline_kernelINS0_14default_configENS1_27lower_bound_config_selectorIslEEZNS1_14transform_implILb0ES3_S5_N6thrust23THRUST_200600_302600_NS6detail15normal_iteratorINS8_7pointerIsNS8_11hip_rocprim5par_tENS8_11use_defaultESE_EEEENSA_INSB_IlSD_SE_SE_EEEEZNS1_13binary_searchIS3_S5_NSA_INS8_10device_ptrIsEEEESG_SI_NS1_21lower_bound_search_opENS9_16wrapped_functionINS8_6system6detail7generic6detail18binary_search_lessEbEEEE10hipError_tPvRmT1_T2_T3_mmT4_T5_P12ihipStream_tbEUlRKsE_EESV_SZ_S10_mS11_S14_bEUlT_E_NS1_11comp_targetILNS1_3genE4ELNS1_11target_archE910ELNS1_3gpuE8ELNS1_3repE0EEENS1_30default_config_static_selectorELNS0_4arch9wavefront6targetE0EEEvSY_
		.amdhsa_group_segment_fixed_size 0
		.amdhsa_private_segment_fixed_size 0
		.amdhsa_kernarg_size 56
		.amdhsa_user_sgpr_count 6
		.amdhsa_user_sgpr_private_segment_buffer 1
		.amdhsa_user_sgpr_dispatch_ptr 0
		.amdhsa_user_sgpr_queue_ptr 0
		.amdhsa_user_sgpr_kernarg_segment_ptr 1
		.amdhsa_user_sgpr_dispatch_id 0
		.amdhsa_user_sgpr_flat_scratch_init 0
		.amdhsa_user_sgpr_private_segment_size 0
		.amdhsa_wavefront_size32 1
		.amdhsa_uses_dynamic_stack 0
		.amdhsa_system_sgpr_private_segment_wavefront_offset 0
		.amdhsa_system_sgpr_workgroup_id_x 1
		.amdhsa_system_sgpr_workgroup_id_y 0
		.amdhsa_system_sgpr_workgroup_id_z 0
		.amdhsa_system_sgpr_workgroup_info 0
		.amdhsa_system_vgpr_workitem_id 0
		.amdhsa_next_free_vgpr 1
		.amdhsa_next_free_sgpr 1
		.amdhsa_reserve_vcc 0
		.amdhsa_reserve_flat_scratch 0
		.amdhsa_float_round_mode_32 0
		.amdhsa_float_round_mode_16_64 0
		.amdhsa_float_denorm_mode_32 3
		.amdhsa_float_denorm_mode_16_64 3
		.amdhsa_dx10_clamp 1
		.amdhsa_ieee_mode 1
		.amdhsa_fp16_overflow 0
		.amdhsa_workgroup_processor_mode 1
		.amdhsa_memory_ordered 1
		.amdhsa_forward_progress 1
		.amdhsa_shared_vgpr_count 0
		.amdhsa_exception_fp_ieee_invalid_op 0
		.amdhsa_exception_fp_denorm_src 0
		.amdhsa_exception_fp_ieee_div_zero 0
		.amdhsa_exception_fp_ieee_overflow 0
		.amdhsa_exception_fp_ieee_underflow 0
		.amdhsa_exception_fp_ieee_inexact 0
		.amdhsa_exception_int_div_zero 0
	.end_amdhsa_kernel
	.section	.text._ZN7rocprim17ROCPRIM_400000_NS6detail17trampoline_kernelINS0_14default_configENS1_27lower_bound_config_selectorIslEEZNS1_14transform_implILb0ES3_S5_N6thrust23THRUST_200600_302600_NS6detail15normal_iteratorINS8_7pointerIsNS8_11hip_rocprim5par_tENS8_11use_defaultESE_EEEENSA_INSB_IlSD_SE_SE_EEEEZNS1_13binary_searchIS3_S5_NSA_INS8_10device_ptrIsEEEESG_SI_NS1_21lower_bound_search_opENS9_16wrapped_functionINS8_6system6detail7generic6detail18binary_search_lessEbEEEE10hipError_tPvRmT1_T2_T3_mmT4_T5_P12ihipStream_tbEUlRKsE_EESV_SZ_S10_mS11_S14_bEUlT_E_NS1_11comp_targetILNS1_3genE4ELNS1_11target_archE910ELNS1_3gpuE8ELNS1_3repE0EEENS1_30default_config_static_selectorELNS0_4arch9wavefront6targetE0EEEvSY_,"axG",@progbits,_ZN7rocprim17ROCPRIM_400000_NS6detail17trampoline_kernelINS0_14default_configENS1_27lower_bound_config_selectorIslEEZNS1_14transform_implILb0ES3_S5_N6thrust23THRUST_200600_302600_NS6detail15normal_iteratorINS8_7pointerIsNS8_11hip_rocprim5par_tENS8_11use_defaultESE_EEEENSA_INSB_IlSD_SE_SE_EEEEZNS1_13binary_searchIS3_S5_NSA_INS8_10device_ptrIsEEEESG_SI_NS1_21lower_bound_search_opENS9_16wrapped_functionINS8_6system6detail7generic6detail18binary_search_lessEbEEEE10hipError_tPvRmT1_T2_T3_mmT4_T5_P12ihipStream_tbEUlRKsE_EESV_SZ_S10_mS11_S14_bEUlT_E_NS1_11comp_targetILNS1_3genE4ELNS1_11target_archE910ELNS1_3gpuE8ELNS1_3repE0EEENS1_30default_config_static_selectorELNS0_4arch9wavefront6targetE0EEEvSY_,comdat
.Lfunc_end414:
	.size	_ZN7rocprim17ROCPRIM_400000_NS6detail17trampoline_kernelINS0_14default_configENS1_27lower_bound_config_selectorIslEEZNS1_14transform_implILb0ES3_S5_N6thrust23THRUST_200600_302600_NS6detail15normal_iteratorINS8_7pointerIsNS8_11hip_rocprim5par_tENS8_11use_defaultESE_EEEENSA_INSB_IlSD_SE_SE_EEEEZNS1_13binary_searchIS3_S5_NSA_INS8_10device_ptrIsEEEESG_SI_NS1_21lower_bound_search_opENS9_16wrapped_functionINS8_6system6detail7generic6detail18binary_search_lessEbEEEE10hipError_tPvRmT1_T2_T3_mmT4_T5_P12ihipStream_tbEUlRKsE_EESV_SZ_S10_mS11_S14_bEUlT_E_NS1_11comp_targetILNS1_3genE4ELNS1_11target_archE910ELNS1_3gpuE8ELNS1_3repE0EEENS1_30default_config_static_selectorELNS0_4arch9wavefront6targetE0EEEvSY_, .Lfunc_end414-_ZN7rocprim17ROCPRIM_400000_NS6detail17trampoline_kernelINS0_14default_configENS1_27lower_bound_config_selectorIslEEZNS1_14transform_implILb0ES3_S5_N6thrust23THRUST_200600_302600_NS6detail15normal_iteratorINS8_7pointerIsNS8_11hip_rocprim5par_tENS8_11use_defaultESE_EEEENSA_INSB_IlSD_SE_SE_EEEEZNS1_13binary_searchIS3_S5_NSA_INS8_10device_ptrIsEEEESG_SI_NS1_21lower_bound_search_opENS9_16wrapped_functionINS8_6system6detail7generic6detail18binary_search_lessEbEEEE10hipError_tPvRmT1_T2_T3_mmT4_T5_P12ihipStream_tbEUlRKsE_EESV_SZ_S10_mS11_S14_bEUlT_E_NS1_11comp_targetILNS1_3genE4ELNS1_11target_archE910ELNS1_3gpuE8ELNS1_3repE0EEENS1_30default_config_static_selectorELNS0_4arch9wavefront6targetE0EEEvSY_
                                        ; -- End function
	.set _ZN7rocprim17ROCPRIM_400000_NS6detail17trampoline_kernelINS0_14default_configENS1_27lower_bound_config_selectorIslEEZNS1_14transform_implILb0ES3_S5_N6thrust23THRUST_200600_302600_NS6detail15normal_iteratorINS8_7pointerIsNS8_11hip_rocprim5par_tENS8_11use_defaultESE_EEEENSA_INSB_IlSD_SE_SE_EEEEZNS1_13binary_searchIS3_S5_NSA_INS8_10device_ptrIsEEEESG_SI_NS1_21lower_bound_search_opENS9_16wrapped_functionINS8_6system6detail7generic6detail18binary_search_lessEbEEEE10hipError_tPvRmT1_T2_T3_mmT4_T5_P12ihipStream_tbEUlRKsE_EESV_SZ_S10_mS11_S14_bEUlT_E_NS1_11comp_targetILNS1_3genE4ELNS1_11target_archE910ELNS1_3gpuE8ELNS1_3repE0EEENS1_30default_config_static_selectorELNS0_4arch9wavefront6targetE0EEEvSY_.num_vgpr, 0
	.set _ZN7rocprim17ROCPRIM_400000_NS6detail17trampoline_kernelINS0_14default_configENS1_27lower_bound_config_selectorIslEEZNS1_14transform_implILb0ES3_S5_N6thrust23THRUST_200600_302600_NS6detail15normal_iteratorINS8_7pointerIsNS8_11hip_rocprim5par_tENS8_11use_defaultESE_EEEENSA_INSB_IlSD_SE_SE_EEEEZNS1_13binary_searchIS3_S5_NSA_INS8_10device_ptrIsEEEESG_SI_NS1_21lower_bound_search_opENS9_16wrapped_functionINS8_6system6detail7generic6detail18binary_search_lessEbEEEE10hipError_tPvRmT1_T2_T3_mmT4_T5_P12ihipStream_tbEUlRKsE_EESV_SZ_S10_mS11_S14_bEUlT_E_NS1_11comp_targetILNS1_3genE4ELNS1_11target_archE910ELNS1_3gpuE8ELNS1_3repE0EEENS1_30default_config_static_selectorELNS0_4arch9wavefront6targetE0EEEvSY_.num_agpr, 0
	.set _ZN7rocprim17ROCPRIM_400000_NS6detail17trampoline_kernelINS0_14default_configENS1_27lower_bound_config_selectorIslEEZNS1_14transform_implILb0ES3_S5_N6thrust23THRUST_200600_302600_NS6detail15normal_iteratorINS8_7pointerIsNS8_11hip_rocprim5par_tENS8_11use_defaultESE_EEEENSA_INSB_IlSD_SE_SE_EEEEZNS1_13binary_searchIS3_S5_NSA_INS8_10device_ptrIsEEEESG_SI_NS1_21lower_bound_search_opENS9_16wrapped_functionINS8_6system6detail7generic6detail18binary_search_lessEbEEEE10hipError_tPvRmT1_T2_T3_mmT4_T5_P12ihipStream_tbEUlRKsE_EESV_SZ_S10_mS11_S14_bEUlT_E_NS1_11comp_targetILNS1_3genE4ELNS1_11target_archE910ELNS1_3gpuE8ELNS1_3repE0EEENS1_30default_config_static_selectorELNS0_4arch9wavefront6targetE0EEEvSY_.numbered_sgpr, 0
	.set _ZN7rocprim17ROCPRIM_400000_NS6detail17trampoline_kernelINS0_14default_configENS1_27lower_bound_config_selectorIslEEZNS1_14transform_implILb0ES3_S5_N6thrust23THRUST_200600_302600_NS6detail15normal_iteratorINS8_7pointerIsNS8_11hip_rocprim5par_tENS8_11use_defaultESE_EEEENSA_INSB_IlSD_SE_SE_EEEEZNS1_13binary_searchIS3_S5_NSA_INS8_10device_ptrIsEEEESG_SI_NS1_21lower_bound_search_opENS9_16wrapped_functionINS8_6system6detail7generic6detail18binary_search_lessEbEEEE10hipError_tPvRmT1_T2_T3_mmT4_T5_P12ihipStream_tbEUlRKsE_EESV_SZ_S10_mS11_S14_bEUlT_E_NS1_11comp_targetILNS1_3genE4ELNS1_11target_archE910ELNS1_3gpuE8ELNS1_3repE0EEENS1_30default_config_static_selectorELNS0_4arch9wavefront6targetE0EEEvSY_.num_named_barrier, 0
	.set _ZN7rocprim17ROCPRIM_400000_NS6detail17trampoline_kernelINS0_14default_configENS1_27lower_bound_config_selectorIslEEZNS1_14transform_implILb0ES3_S5_N6thrust23THRUST_200600_302600_NS6detail15normal_iteratorINS8_7pointerIsNS8_11hip_rocprim5par_tENS8_11use_defaultESE_EEEENSA_INSB_IlSD_SE_SE_EEEEZNS1_13binary_searchIS3_S5_NSA_INS8_10device_ptrIsEEEESG_SI_NS1_21lower_bound_search_opENS9_16wrapped_functionINS8_6system6detail7generic6detail18binary_search_lessEbEEEE10hipError_tPvRmT1_T2_T3_mmT4_T5_P12ihipStream_tbEUlRKsE_EESV_SZ_S10_mS11_S14_bEUlT_E_NS1_11comp_targetILNS1_3genE4ELNS1_11target_archE910ELNS1_3gpuE8ELNS1_3repE0EEENS1_30default_config_static_selectorELNS0_4arch9wavefront6targetE0EEEvSY_.private_seg_size, 0
	.set _ZN7rocprim17ROCPRIM_400000_NS6detail17trampoline_kernelINS0_14default_configENS1_27lower_bound_config_selectorIslEEZNS1_14transform_implILb0ES3_S5_N6thrust23THRUST_200600_302600_NS6detail15normal_iteratorINS8_7pointerIsNS8_11hip_rocprim5par_tENS8_11use_defaultESE_EEEENSA_INSB_IlSD_SE_SE_EEEEZNS1_13binary_searchIS3_S5_NSA_INS8_10device_ptrIsEEEESG_SI_NS1_21lower_bound_search_opENS9_16wrapped_functionINS8_6system6detail7generic6detail18binary_search_lessEbEEEE10hipError_tPvRmT1_T2_T3_mmT4_T5_P12ihipStream_tbEUlRKsE_EESV_SZ_S10_mS11_S14_bEUlT_E_NS1_11comp_targetILNS1_3genE4ELNS1_11target_archE910ELNS1_3gpuE8ELNS1_3repE0EEENS1_30default_config_static_selectorELNS0_4arch9wavefront6targetE0EEEvSY_.uses_vcc, 0
	.set _ZN7rocprim17ROCPRIM_400000_NS6detail17trampoline_kernelINS0_14default_configENS1_27lower_bound_config_selectorIslEEZNS1_14transform_implILb0ES3_S5_N6thrust23THRUST_200600_302600_NS6detail15normal_iteratorINS8_7pointerIsNS8_11hip_rocprim5par_tENS8_11use_defaultESE_EEEENSA_INSB_IlSD_SE_SE_EEEEZNS1_13binary_searchIS3_S5_NSA_INS8_10device_ptrIsEEEESG_SI_NS1_21lower_bound_search_opENS9_16wrapped_functionINS8_6system6detail7generic6detail18binary_search_lessEbEEEE10hipError_tPvRmT1_T2_T3_mmT4_T5_P12ihipStream_tbEUlRKsE_EESV_SZ_S10_mS11_S14_bEUlT_E_NS1_11comp_targetILNS1_3genE4ELNS1_11target_archE910ELNS1_3gpuE8ELNS1_3repE0EEENS1_30default_config_static_selectorELNS0_4arch9wavefront6targetE0EEEvSY_.uses_flat_scratch, 0
	.set _ZN7rocprim17ROCPRIM_400000_NS6detail17trampoline_kernelINS0_14default_configENS1_27lower_bound_config_selectorIslEEZNS1_14transform_implILb0ES3_S5_N6thrust23THRUST_200600_302600_NS6detail15normal_iteratorINS8_7pointerIsNS8_11hip_rocprim5par_tENS8_11use_defaultESE_EEEENSA_INSB_IlSD_SE_SE_EEEEZNS1_13binary_searchIS3_S5_NSA_INS8_10device_ptrIsEEEESG_SI_NS1_21lower_bound_search_opENS9_16wrapped_functionINS8_6system6detail7generic6detail18binary_search_lessEbEEEE10hipError_tPvRmT1_T2_T3_mmT4_T5_P12ihipStream_tbEUlRKsE_EESV_SZ_S10_mS11_S14_bEUlT_E_NS1_11comp_targetILNS1_3genE4ELNS1_11target_archE910ELNS1_3gpuE8ELNS1_3repE0EEENS1_30default_config_static_selectorELNS0_4arch9wavefront6targetE0EEEvSY_.has_dyn_sized_stack, 0
	.set _ZN7rocprim17ROCPRIM_400000_NS6detail17trampoline_kernelINS0_14default_configENS1_27lower_bound_config_selectorIslEEZNS1_14transform_implILb0ES3_S5_N6thrust23THRUST_200600_302600_NS6detail15normal_iteratorINS8_7pointerIsNS8_11hip_rocprim5par_tENS8_11use_defaultESE_EEEENSA_INSB_IlSD_SE_SE_EEEEZNS1_13binary_searchIS3_S5_NSA_INS8_10device_ptrIsEEEESG_SI_NS1_21lower_bound_search_opENS9_16wrapped_functionINS8_6system6detail7generic6detail18binary_search_lessEbEEEE10hipError_tPvRmT1_T2_T3_mmT4_T5_P12ihipStream_tbEUlRKsE_EESV_SZ_S10_mS11_S14_bEUlT_E_NS1_11comp_targetILNS1_3genE4ELNS1_11target_archE910ELNS1_3gpuE8ELNS1_3repE0EEENS1_30default_config_static_selectorELNS0_4arch9wavefront6targetE0EEEvSY_.has_recursion, 0
	.set _ZN7rocprim17ROCPRIM_400000_NS6detail17trampoline_kernelINS0_14default_configENS1_27lower_bound_config_selectorIslEEZNS1_14transform_implILb0ES3_S5_N6thrust23THRUST_200600_302600_NS6detail15normal_iteratorINS8_7pointerIsNS8_11hip_rocprim5par_tENS8_11use_defaultESE_EEEENSA_INSB_IlSD_SE_SE_EEEEZNS1_13binary_searchIS3_S5_NSA_INS8_10device_ptrIsEEEESG_SI_NS1_21lower_bound_search_opENS9_16wrapped_functionINS8_6system6detail7generic6detail18binary_search_lessEbEEEE10hipError_tPvRmT1_T2_T3_mmT4_T5_P12ihipStream_tbEUlRKsE_EESV_SZ_S10_mS11_S14_bEUlT_E_NS1_11comp_targetILNS1_3genE4ELNS1_11target_archE910ELNS1_3gpuE8ELNS1_3repE0EEENS1_30default_config_static_selectorELNS0_4arch9wavefront6targetE0EEEvSY_.has_indirect_call, 0
	.section	.AMDGPU.csdata,"",@progbits
; Kernel info:
; codeLenInByte = 0
; TotalNumSgprs: 0
; NumVgprs: 0
; ScratchSize: 0
; MemoryBound: 0
; FloatMode: 240
; IeeeMode: 1
; LDSByteSize: 0 bytes/workgroup (compile time only)
; SGPRBlocks: 0
; VGPRBlocks: 0
; NumSGPRsForWavesPerEU: 1
; NumVGPRsForWavesPerEU: 1
; Occupancy: 16
; WaveLimiterHint : 0
; COMPUTE_PGM_RSRC2:SCRATCH_EN: 0
; COMPUTE_PGM_RSRC2:USER_SGPR: 6
; COMPUTE_PGM_RSRC2:TRAP_HANDLER: 0
; COMPUTE_PGM_RSRC2:TGID_X_EN: 1
; COMPUTE_PGM_RSRC2:TGID_Y_EN: 0
; COMPUTE_PGM_RSRC2:TGID_Z_EN: 0
; COMPUTE_PGM_RSRC2:TIDIG_COMP_CNT: 0
	.section	.text._ZN7rocprim17ROCPRIM_400000_NS6detail17trampoline_kernelINS0_14default_configENS1_27lower_bound_config_selectorIslEEZNS1_14transform_implILb0ES3_S5_N6thrust23THRUST_200600_302600_NS6detail15normal_iteratorINS8_7pointerIsNS8_11hip_rocprim5par_tENS8_11use_defaultESE_EEEENSA_INSB_IlSD_SE_SE_EEEEZNS1_13binary_searchIS3_S5_NSA_INS8_10device_ptrIsEEEESG_SI_NS1_21lower_bound_search_opENS9_16wrapped_functionINS8_6system6detail7generic6detail18binary_search_lessEbEEEE10hipError_tPvRmT1_T2_T3_mmT4_T5_P12ihipStream_tbEUlRKsE_EESV_SZ_S10_mS11_S14_bEUlT_E_NS1_11comp_targetILNS1_3genE3ELNS1_11target_archE908ELNS1_3gpuE7ELNS1_3repE0EEENS1_30default_config_static_selectorELNS0_4arch9wavefront6targetE0EEEvSY_,"axG",@progbits,_ZN7rocprim17ROCPRIM_400000_NS6detail17trampoline_kernelINS0_14default_configENS1_27lower_bound_config_selectorIslEEZNS1_14transform_implILb0ES3_S5_N6thrust23THRUST_200600_302600_NS6detail15normal_iteratorINS8_7pointerIsNS8_11hip_rocprim5par_tENS8_11use_defaultESE_EEEENSA_INSB_IlSD_SE_SE_EEEEZNS1_13binary_searchIS3_S5_NSA_INS8_10device_ptrIsEEEESG_SI_NS1_21lower_bound_search_opENS9_16wrapped_functionINS8_6system6detail7generic6detail18binary_search_lessEbEEEE10hipError_tPvRmT1_T2_T3_mmT4_T5_P12ihipStream_tbEUlRKsE_EESV_SZ_S10_mS11_S14_bEUlT_E_NS1_11comp_targetILNS1_3genE3ELNS1_11target_archE908ELNS1_3gpuE7ELNS1_3repE0EEENS1_30default_config_static_selectorELNS0_4arch9wavefront6targetE0EEEvSY_,comdat
	.protected	_ZN7rocprim17ROCPRIM_400000_NS6detail17trampoline_kernelINS0_14default_configENS1_27lower_bound_config_selectorIslEEZNS1_14transform_implILb0ES3_S5_N6thrust23THRUST_200600_302600_NS6detail15normal_iteratorINS8_7pointerIsNS8_11hip_rocprim5par_tENS8_11use_defaultESE_EEEENSA_INSB_IlSD_SE_SE_EEEEZNS1_13binary_searchIS3_S5_NSA_INS8_10device_ptrIsEEEESG_SI_NS1_21lower_bound_search_opENS9_16wrapped_functionINS8_6system6detail7generic6detail18binary_search_lessEbEEEE10hipError_tPvRmT1_T2_T3_mmT4_T5_P12ihipStream_tbEUlRKsE_EESV_SZ_S10_mS11_S14_bEUlT_E_NS1_11comp_targetILNS1_3genE3ELNS1_11target_archE908ELNS1_3gpuE7ELNS1_3repE0EEENS1_30default_config_static_selectorELNS0_4arch9wavefront6targetE0EEEvSY_ ; -- Begin function _ZN7rocprim17ROCPRIM_400000_NS6detail17trampoline_kernelINS0_14default_configENS1_27lower_bound_config_selectorIslEEZNS1_14transform_implILb0ES3_S5_N6thrust23THRUST_200600_302600_NS6detail15normal_iteratorINS8_7pointerIsNS8_11hip_rocprim5par_tENS8_11use_defaultESE_EEEENSA_INSB_IlSD_SE_SE_EEEEZNS1_13binary_searchIS3_S5_NSA_INS8_10device_ptrIsEEEESG_SI_NS1_21lower_bound_search_opENS9_16wrapped_functionINS8_6system6detail7generic6detail18binary_search_lessEbEEEE10hipError_tPvRmT1_T2_T3_mmT4_T5_P12ihipStream_tbEUlRKsE_EESV_SZ_S10_mS11_S14_bEUlT_E_NS1_11comp_targetILNS1_3genE3ELNS1_11target_archE908ELNS1_3gpuE7ELNS1_3repE0EEENS1_30default_config_static_selectorELNS0_4arch9wavefront6targetE0EEEvSY_
	.globl	_ZN7rocprim17ROCPRIM_400000_NS6detail17trampoline_kernelINS0_14default_configENS1_27lower_bound_config_selectorIslEEZNS1_14transform_implILb0ES3_S5_N6thrust23THRUST_200600_302600_NS6detail15normal_iteratorINS8_7pointerIsNS8_11hip_rocprim5par_tENS8_11use_defaultESE_EEEENSA_INSB_IlSD_SE_SE_EEEEZNS1_13binary_searchIS3_S5_NSA_INS8_10device_ptrIsEEEESG_SI_NS1_21lower_bound_search_opENS9_16wrapped_functionINS8_6system6detail7generic6detail18binary_search_lessEbEEEE10hipError_tPvRmT1_T2_T3_mmT4_T5_P12ihipStream_tbEUlRKsE_EESV_SZ_S10_mS11_S14_bEUlT_E_NS1_11comp_targetILNS1_3genE3ELNS1_11target_archE908ELNS1_3gpuE7ELNS1_3repE0EEENS1_30default_config_static_selectorELNS0_4arch9wavefront6targetE0EEEvSY_
	.p2align	8
	.type	_ZN7rocprim17ROCPRIM_400000_NS6detail17trampoline_kernelINS0_14default_configENS1_27lower_bound_config_selectorIslEEZNS1_14transform_implILb0ES3_S5_N6thrust23THRUST_200600_302600_NS6detail15normal_iteratorINS8_7pointerIsNS8_11hip_rocprim5par_tENS8_11use_defaultESE_EEEENSA_INSB_IlSD_SE_SE_EEEEZNS1_13binary_searchIS3_S5_NSA_INS8_10device_ptrIsEEEESG_SI_NS1_21lower_bound_search_opENS9_16wrapped_functionINS8_6system6detail7generic6detail18binary_search_lessEbEEEE10hipError_tPvRmT1_T2_T3_mmT4_T5_P12ihipStream_tbEUlRKsE_EESV_SZ_S10_mS11_S14_bEUlT_E_NS1_11comp_targetILNS1_3genE3ELNS1_11target_archE908ELNS1_3gpuE7ELNS1_3repE0EEENS1_30default_config_static_selectorELNS0_4arch9wavefront6targetE0EEEvSY_,@function
_ZN7rocprim17ROCPRIM_400000_NS6detail17trampoline_kernelINS0_14default_configENS1_27lower_bound_config_selectorIslEEZNS1_14transform_implILb0ES3_S5_N6thrust23THRUST_200600_302600_NS6detail15normal_iteratorINS8_7pointerIsNS8_11hip_rocprim5par_tENS8_11use_defaultESE_EEEENSA_INSB_IlSD_SE_SE_EEEEZNS1_13binary_searchIS3_S5_NSA_INS8_10device_ptrIsEEEESG_SI_NS1_21lower_bound_search_opENS9_16wrapped_functionINS8_6system6detail7generic6detail18binary_search_lessEbEEEE10hipError_tPvRmT1_T2_T3_mmT4_T5_P12ihipStream_tbEUlRKsE_EESV_SZ_S10_mS11_S14_bEUlT_E_NS1_11comp_targetILNS1_3genE3ELNS1_11target_archE908ELNS1_3gpuE7ELNS1_3repE0EEENS1_30default_config_static_selectorELNS0_4arch9wavefront6targetE0EEEvSY_: ; @_ZN7rocprim17ROCPRIM_400000_NS6detail17trampoline_kernelINS0_14default_configENS1_27lower_bound_config_selectorIslEEZNS1_14transform_implILb0ES3_S5_N6thrust23THRUST_200600_302600_NS6detail15normal_iteratorINS8_7pointerIsNS8_11hip_rocprim5par_tENS8_11use_defaultESE_EEEENSA_INSB_IlSD_SE_SE_EEEEZNS1_13binary_searchIS3_S5_NSA_INS8_10device_ptrIsEEEESG_SI_NS1_21lower_bound_search_opENS9_16wrapped_functionINS8_6system6detail7generic6detail18binary_search_lessEbEEEE10hipError_tPvRmT1_T2_T3_mmT4_T5_P12ihipStream_tbEUlRKsE_EESV_SZ_S10_mS11_S14_bEUlT_E_NS1_11comp_targetILNS1_3genE3ELNS1_11target_archE908ELNS1_3gpuE7ELNS1_3repE0EEENS1_30default_config_static_selectorELNS0_4arch9wavefront6targetE0EEEvSY_
; %bb.0:
	.section	.rodata,"a",@progbits
	.p2align	6, 0x0
	.amdhsa_kernel _ZN7rocprim17ROCPRIM_400000_NS6detail17trampoline_kernelINS0_14default_configENS1_27lower_bound_config_selectorIslEEZNS1_14transform_implILb0ES3_S5_N6thrust23THRUST_200600_302600_NS6detail15normal_iteratorINS8_7pointerIsNS8_11hip_rocprim5par_tENS8_11use_defaultESE_EEEENSA_INSB_IlSD_SE_SE_EEEEZNS1_13binary_searchIS3_S5_NSA_INS8_10device_ptrIsEEEESG_SI_NS1_21lower_bound_search_opENS9_16wrapped_functionINS8_6system6detail7generic6detail18binary_search_lessEbEEEE10hipError_tPvRmT1_T2_T3_mmT4_T5_P12ihipStream_tbEUlRKsE_EESV_SZ_S10_mS11_S14_bEUlT_E_NS1_11comp_targetILNS1_3genE3ELNS1_11target_archE908ELNS1_3gpuE7ELNS1_3repE0EEENS1_30default_config_static_selectorELNS0_4arch9wavefront6targetE0EEEvSY_
		.amdhsa_group_segment_fixed_size 0
		.amdhsa_private_segment_fixed_size 0
		.amdhsa_kernarg_size 56
		.amdhsa_user_sgpr_count 6
		.amdhsa_user_sgpr_private_segment_buffer 1
		.amdhsa_user_sgpr_dispatch_ptr 0
		.amdhsa_user_sgpr_queue_ptr 0
		.amdhsa_user_sgpr_kernarg_segment_ptr 1
		.amdhsa_user_sgpr_dispatch_id 0
		.amdhsa_user_sgpr_flat_scratch_init 0
		.amdhsa_user_sgpr_private_segment_size 0
		.amdhsa_wavefront_size32 1
		.amdhsa_uses_dynamic_stack 0
		.amdhsa_system_sgpr_private_segment_wavefront_offset 0
		.amdhsa_system_sgpr_workgroup_id_x 1
		.amdhsa_system_sgpr_workgroup_id_y 0
		.amdhsa_system_sgpr_workgroup_id_z 0
		.amdhsa_system_sgpr_workgroup_info 0
		.amdhsa_system_vgpr_workitem_id 0
		.amdhsa_next_free_vgpr 1
		.amdhsa_next_free_sgpr 1
		.amdhsa_reserve_vcc 0
		.amdhsa_reserve_flat_scratch 0
		.amdhsa_float_round_mode_32 0
		.amdhsa_float_round_mode_16_64 0
		.amdhsa_float_denorm_mode_32 3
		.amdhsa_float_denorm_mode_16_64 3
		.amdhsa_dx10_clamp 1
		.amdhsa_ieee_mode 1
		.amdhsa_fp16_overflow 0
		.amdhsa_workgroup_processor_mode 1
		.amdhsa_memory_ordered 1
		.amdhsa_forward_progress 1
		.amdhsa_shared_vgpr_count 0
		.amdhsa_exception_fp_ieee_invalid_op 0
		.amdhsa_exception_fp_denorm_src 0
		.amdhsa_exception_fp_ieee_div_zero 0
		.amdhsa_exception_fp_ieee_overflow 0
		.amdhsa_exception_fp_ieee_underflow 0
		.amdhsa_exception_fp_ieee_inexact 0
		.amdhsa_exception_int_div_zero 0
	.end_amdhsa_kernel
	.section	.text._ZN7rocprim17ROCPRIM_400000_NS6detail17trampoline_kernelINS0_14default_configENS1_27lower_bound_config_selectorIslEEZNS1_14transform_implILb0ES3_S5_N6thrust23THRUST_200600_302600_NS6detail15normal_iteratorINS8_7pointerIsNS8_11hip_rocprim5par_tENS8_11use_defaultESE_EEEENSA_INSB_IlSD_SE_SE_EEEEZNS1_13binary_searchIS3_S5_NSA_INS8_10device_ptrIsEEEESG_SI_NS1_21lower_bound_search_opENS9_16wrapped_functionINS8_6system6detail7generic6detail18binary_search_lessEbEEEE10hipError_tPvRmT1_T2_T3_mmT4_T5_P12ihipStream_tbEUlRKsE_EESV_SZ_S10_mS11_S14_bEUlT_E_NS1_11comp_targetILNS1_3genE3ELNS1_11target_archE908ELNS1_3gpuE7ELNS1_3repE0EEENS1_30default_config_static_selectorELNS0_4arch9wavefront6targetE0EEEvSY_,"axG",@progbits,_ZN7rocprim17ROCPRIM_400000_NS6detail17trampoline_kernelINS0_14default_configENS1_27lower_bound_config_selectorIslEEZNS1_14transform_implILb0ES3_S5_N6thrust23THRUST_200600_302600_NS6detail15normal_iteratorINS8_7pointerIsNS8_11hip_rocprim5par_tENS8_11use_defaultESE_EEEENSA_INSB_IlSD_SE_SE_EEEEZNS1_13binary_searchIS3_S5_NSA_INS8_10device_ptrIsEEEESG_SI_NS1_21lower_bound_search_opENS9_16wrapped_functionINS8_6system6detail7generic6detail18binary_search_lessEbEEEE10hipError_tPvRmT1_T2_T3_mmT4_T5_P12ihipStream_tbEUlRKsE_EESV_SZ_S10_mS11_S14_bEUlT_E_NS1_11comp_targetILNS1_3genE3ELNS1_11target_archE908ELNS1_3gpuE7ELNS1_3repE0EEENS1_30default_config_static_selectorELNS0_4arch9wavefront6targetE0EEEvSY_,comdat
.Lfunc_end415:
	.size	_ZN7rocprim17ROCPRIM_400000_NS6detail17trampoline_kernelINS0_14default_configENS1_27lower_bound_config_selectorIslEEZNS1_14transform_implILb0ES3_S5_N6thrust23THRUST_200600_302600_NS6detail15normal_iteratorINS8_7pointerIsNS8_11hip_rocprim5par_tENS8_11use_defaultESE_EEEENSA_INSB_IlSD_SE_SE_EEEEZNS1_13binary_searchIS3_S5_NSA_INS8_10device_ptrIsEEEESG_SI_NS1_21lower_bound_search_opENS9_16wrapped_functionINS8_6system6detail7generic6detail18binary_search_lessEbEEEE10hipError_tPvRmT1_T2_T3_mmT4_T5_P12ihipStream_tbEUlRKsE_EESV_SZ_S10_mS11_S14_bEUlT_E_NS1_11comp_targetILNS1_3genE3ELNS1_11target_archE908ELNS1_3gpuE7ELNS1_3repE0EEENS1_30default_config_static_selectorELNS0_4arch9wavefront6targetE0EEEvSY_, .Lfunc_end415-_ZN7rocprim17ROCPRIM_400000_NS6detail17trampoline_kernelINS0_14default_configENS1_27lower_bound_config_selectorIslEEZNS1_14transform_implILb0ES3_S5_N6thrust23THRUST_200600_302600_NS6detail15normal_iteratorINS8_7pointerIsNS8_11hip_rocprim5par_tENS8_11use_defaultESE_EEEENSA_INSB_IlSD_SE_SE_EEEEZNS1_13binary_searchIS3_S5_NSA_INS8_10device_ptrIsEEEESG_SI_NS1_21lower_bound_search_opENS9_16wrapped_functionINS8_6system6detail7generic6detail18binary_search_lessEbEEEE10hipError_tPvRmT1_T2_T3_mmT4_T5_P12ihipStream_tbEUlRKsE_EESV_SZ_S10_mS11_S14_bEUlT_E_NS1_11comp_targetILNS1_3genE3ELNS1_11target_archE908ELNS1_3gpuE7ELNS1_3repE0EEENS1_30default_config_static_selectorELNS0_4arch9wavefront6targetE0EEEvSY_
                                        ; -- End function
	.set _ZN7rocprim17ROCPRIM_400000_NS6detail17trampoline_kernelINS0_14default_configENS1_27lower_bound_config_selectorIslEEZNS1_14transform_implILb0ES3_S5_N6thrust23THRUST_200600_302600_NS6detail15normal_iteratorINS8_7pointerIsNS8_11hip_rocprim5par_tENS8_11use_defaultESE_EEEENSA_INSB_IlSD_SE_SE_EEEEZNS1_13binary_searchIS3_S5_NSA_INS8_10device_ptrIsEEEESG_SI_NS1_21lower_bound_search_opENS9_16wrapped_functionINS8_6system6detail7generic6detail18binary_search_lessEbEEEE10hipError_tPvRmT1_T2_T3_mmT4_T5_P12ihipStream_tbEUlRKsE_EESV_SZ_S10_mS11_S14_bEUlT_E_NS1_11comp_targetILNS1_3genE3ELNS1_11target_archE908ELNS1_3gpuE7ELNS1_3repE0EEENS1_30default_config_static_selectorELNS0_4arch9wavefront6targetE0EEEvSY_.num_vgpr, 0
	.set _ZN7rocprim17ROCPRIM_400000_NS6detail17trampoline_kernelINS0_14default_configENS1_27lower_bound_config_selectorIslEEZNS1_14transform_implILb0ES3_S5_N6thrust23THRUST_200600_302600_NS6detail15normal_iteratorINS8_7pointerIsNS8_11hip_rocprim5par_tENS8_11use_defaultESE_EEEENSA_INSB_IlSD_SE_SE_EEEEZNS1_13binary_searchIS3_S5_NSA_INS8_10device_ptrIsEEEESG_SI_NS1_21lower_bound_search_opENS9_16wrapped_functionINS8_6system6detail7generic6detail18binary_search_lessEbEEEE10hipError_tPvRmT1_T2_T3_mmT4_T5_P12ihipStream_tbEUlRKsE_EESV_SZ_S10_mS11_S14_bEUlT_E_NS1_11comp_targetILNS1_3genE3ELNS1_11target_archE908ELNS1_3gpuE7ELNS1_3repE0EEENS1_30default_config_static_selectorELNS0_4arch9wavefront6targetE0EEEvSY_.num_agpr, 0
	.set _ZN7rocprim17ROCPRIM_400000_NS6detail17trampoline_kernelINS0_14default_configENS1_27lower_bound_config_selectorIslEEZNS1_14transform_implILb0ES3_S5_N6thrust23THRUST_200600_302600_NS6detail15normal_iteratorINS8_7pointerIsNS8_11hip_rocprim5par_tENS8_11use_defaultESE_EEEENSA_INSB_IlSD_SE_SE_EEEEZNS1_13binary_searchIS3_S5_NSA_INS8_10device_ptrIsEEEESG_SI_NS1_21lower_bound_search_opENS9_16wrapped_functionINS8_6system6detail7generic6detail18binary_search_lessEbEEEE10hipError_tPvRmT1_T2_T3_mmT4_T5_P12ihipStream_tbEUlRKsE_EESV_SZ_S10_mS11_S14_bEUlT_E_NS1_11comp_targetILNS1_3genE3ELNS1_11target_archE908ELNS1_3gpuE7ELNS1_3repE0EEENS1_30default_config_static_selectorELNS0_4arch9wavefront6targetE0EEEvSY_.numbered_sgpr, 0
	.set _ZN7rocprim17ROCPRIM_400000_NS6detail17trampoline_kernelINS0_14default_configENS1_27lower_bound_config_selectorIslEEZNS1_14transform_implILb0ES3_S5_N6thrust23THRUST_200600_302600_NS6detail15normal_iteratorINS8_7pointerIsNS8_11hip_rocprim5par_tENS8_11use_defaultESE_EEEENSA_INSB_IlSD_SE_SE_EEEEZNS1_13binary_searchIS3_S5_NSA_INS8_10device_ptrIsEEEESG_SI_NS1_21lower_bound_search_opENS9_16wrapped_functionINS8_6system6detail7generic6detail18binary_search_lessEbEEEE10hipError_tPvRmT1_T2_T3_mmT4_T5_P12ihipStream_tbEUlRKsE_EESV_SZ_S10_mS11_S14_bEUlT_E_NS1_11comp_targetILNS1_3genE3ELNS1_11target_archE908ELNS1_3gpuE7ELNS1_3repE0EEENS1_30default_config_static_selectorELNS0_4arch9wavefront6targetE0EEEvSY_.num_named_barrier, 0
	.set _ZN7rocprim17ROCPRIM_400000_NS6detail17trampoline_kernelINS0_14default_configENS1_27lower_bound_config_selectorIslEEZNS1_14transform_implILb0ES3_S5_N6thrust23THRUST_200600_302600_NS6detail15normal_iteratorINS8_7pointerIsNS8_11hip_rocprim5par_tENS8_11use_defaultESE_EEEENSA_INSB_IlSD_SE_SE_EEEEZNS1_13binary_searchIS3_S5_NSA_INS8_10device_ptrIsEEEESG_SI_NS1_21lower_bound_search_opENS9_16wrapped_functionINS8_6system6detail7generic6detail18binary_search_lessEbEEEE10hipError_tPvRmT1_T2_T3_mmT4_T5_P12ihipStream_tbEUlRKsE_EESV_SZ_S10_mS11_S14_bEUlT_E_NS1_11comp_targetILNS1_3genE3ELNS1_11target_archE908ELNS1_3gpuE7ELNS1_3repE0EEENS1_30default_config_static_selectorELNS0_4arch9wavefront6targetE0EEEvSY_.private_seg_size, 0
	.set _ZN7rocprim17ROCPRIM_400000_NS6detail17trampoline_kernelINS0_14default_configENS1_27lower_bound_config_selectorIslEEZNS1_14transform_implILb0ES3_S5_N6thrust23THRUST_200600_302600_NS6detail15normal_iteratorINS8_7pointerIsNS8_11hip_rocprim5par_tENS8_11use_defaultESE_EEEENSA_INSB_IlSD_SE_SE_EEEEZNS1_13binary_searchIS3_S5_NSA_INS8_10device_ptrIsEEEESG_SI_NS1_21lower_bound_search_opENS9_16wrapped_functionINS8_6system6detail7generic6detail18binary_search_lessEbEEEE10hipError_tPvRmT1_T2_T3_mmT4_T5_P12ihipStream_tbEUlRKsE_EESV_SZ_S10_mS11_S14_bEUlT_E_NS1_11comp_targetILNS1_3genE3ELNS1_11target_archE908ELNS1_3gpuE7ELNS1_3repE0EEENS1_30default_config_static_selectorELNS0_4arch9wavefront6targetE0EEEvSY_.uses_vcc, 0
	.set _ZN7rocprim17ROCPRIM_400000_NS6detail17trampoline_kernelINS0_14default_configENS1_27lower_bound_config_selectorIslEEZNS1_14transform_implILb0ES3_S5_N6thrust23THRUST_200600_302600_NS6detail15normal_iteratorINS8_7pointerIsNS8_11hip_rocprim5par_tENS8_11use_defaultESE_EEEENSA_INSB_IlSD_SE_SE_EEEEZNS1_13binary_searchIS3_S5_NSA_INS8_10device_ptrIsEEEESG_SI_NS1_21lower_bound_search_opENS9_16wrapped_functionINS8_6system6detail7generic6detail18binary_search_lessEbEEEE10hipError_tPvRmT1_T2_T3_mmT4_T5_P12ihipStream_tbEUlRKsE_EESV_SZ_S10_mS11_S14_bEUlT_E_NS1_11comp_targetILNS1_3genE3ELNS1_11target_archE908ELNS1_3gpuE7ELNS1_3repE0EEENS1_30default_config_static_selectorELNS0_4arch9wavefront6targetE0EEEvSY_.uses_flat_scratch, 0
	.set _ZN7rocprim17ROCPRIM_400000_NS6detail17trampoline_kernelINS0_14default_configENS1_27lower_bound_config_selectorIslEEZNS1_14transform_implILb0ES3_S5_N6thrust23THRUST_200600_302600_NS6detail15normal_iteratorINS8_7pointerIsNS8_11hip_rocprim5par_tENS8_11use_defaultESE_EEEENSA_INSB_IlSD_SE_SE_EEEEZNS1_13binary_searchIS3_S5_NSA_INS8_10device_ptrIsEEEESG_SI_NS1_21lower_bound_search_opENS9_16wrapped_functionINS8_6system6detail7generic6detail18binary_search_lessEbEEEE10hipError_tPvRmT1_T2_T3_mmT4_T5_P12ihipStream_tbEUlRKsE_EESV_SZ_S10_mS11_S14_bEUlT_E_NS1_11comp_targetILNS1_3genE3ELNS1_11target_archE908ELNS1_3gpuE7ELNS1_3repE0EEENS1_30default_config_static_selectorELNS0_4arch9wavefront6targetE0EEEvSY_.has_dyn_sized_stack, 0
	.set _ZN7rocprim17ROCPRIM_400000_NS6detail17trampoline_kernelINS0_14default_configENS1_27lower_bound_config_selectorIslEEZNS1_14transform_implILb0ES3_S5_N6thrust23THRUST_200600_302600_NS6detail15normal_iteratorINS8_7pointerIsNS8_11hip_rocprim5par_tENS8_11use_defaultESE_EEEENSA_INSB_IlSD_SE_SE_EEEEZNS1_13binary_searchIS3_S5_NSA_INS8_10device_ptrIsEEEESG_SI_NS1_21lower_bound_search_opENS9_16wrapped_functionINS8_6system6detail7generic6detail18binary_search_lessEbEEEE10hipError_tPvRmT1_T2_T3_mmT4_T5_P12ihipStream_tbEUlRKsE_EESV_SZ_S10_mS11_S14_bEUlT_E_NS1_11comp_targetILNS1_3genE3ELNS1_11target_archE908ELNS1_3gpuE7ELNS1_3repE0EEENS1_30default_config_static_selectorELNS0_4arch9wavefront6targetE0EEEvSY_.has_recursion, 0
	.set _ZN7rocprim17ROCPRIM_400000_NS6detail17trampoline_kernelINS0_14default_configENS1_27lower_bound_config_selectorIslEEZNS1_14transform_implILb0ES3_S5_N6thrust23THRUST_200600_302600_NS6detail15normal_iteratorINS8_7pointerIsNS8_11hip_rocprim5par_tENS8_11use_defaultESE_EEEENSA_INSB_IlSD_SE_SE_EEEEZNS1_13binary_searchIS3_S5_NSA_INS8_10device_ptrIsEEEESG_SI_NS1_21lower_bound_search_opENS9_16wrapped_functionINS8_6system6detail7generic6detail18binary_search_lessEbEEEE10hipError_tPvRmT1_T2_T3_mmT4_T5_P12ihipStream_tbEUlRKsE_EESV_SZ_S10_mS11_S14_bEUlT_E_NS1_11comp_targetILNS1_3genE3ELNS1_11target_archE908ELNS1_3gpuE7ELNS1_3repE0EEENS1_30default_config_static_selectorELNS0_4arch9wavefront6targetE0EEEvSY_.has_indirect_call, 0
	.section	.AMDGPU.csdata,"",@progbits
; Kernel info:
; codeLenInByte = 0
; TotalNumSgprs: 0
; NumVgprs: 0
; ScratchSize: 0
; MemoryBound: 0
; FloatMode: 240
; IeeeMode: 1
; LDSByteSize: 0 bytes/workgroup (compile time only)
; SGPRBlocks: 0
; VGPRBlocks: 0
; NumSGPRsForWavesPerEU: 1
; NumVGPRsForWavesPerEU: 1
; Occupancy: 16
; WaveLimiterHint : 0
; COMPUTE_PGM_RSRC2:SCRATCH_EN: 0
; COMPUTE_PGM_RSRC2:USER_SGPR: 6
; COMPUTE_PGM_RSRC2:TRAP_HANDLER: 0
; COMPUTE_PGM_RSRC2:TGID_X_EN: 1
; COMPUTE_PGM_RSRC2:TGID_Y_EN: 0
; COMPUTE_PGM_RSRC2:TGID_Z_EN: 0
; COMPUTE_PGM_RSRC2:TIDIG_COMP_CNT: 0
	.section	.text._ZN7rocprim17ROCPRIM_400000_NS6detail17trampoline_kernelINS0_14default_configENS1_27lower_bound_config_selectorIslEEZNS1_14transform_implILb0ES3_S5_N6thrust23THRUST_200600_302600_NS6detail15normal_iteratorINS8_7pointerIsNS8_11hip_rocprim5par_tENS8_11use_defaultESE_EEEENSA_INSB_IlSD_SE_SE_EEEEZNS1_13binary_searchIS3_S5_NSA_INS8_10device_ptrIsEEEESG_SI_NS1_21lower_bound_search_opENS9_16wrapped_functionINS8_6system6detail7generic6detail18binary_search_lessEbEEEE10hipError_tPvRmT1_T2_T3_mmT4_T5_P12ihipStream_tbEUlRKsE_EESV_SZ_S10_mS11_S14_bEUlT_E_NS1_11comp_targetILNS1_3genE2ELNS1_11target_archE906ELNS1_3gpuE6ELNS1_3repE0EEENS1_30default_config_static_selectorELNS0_4arch9wavefront6targetE0EEEvSY_,"axG",@progbits,_ZN7rocprim17ROCPRIM_400000_NS6detail17trampoline_kernelINS0_14default_configENS1_27lower_bound_config_selectorIslEEZNS1_14transform_implILb0ES3_S5_N6thrust23THRUST_200600_302600_NS6detail15normal_iteratorINS8_7pointerIsNS8_11hip_rocprim5par_tENS8_11use_defaultESE_EEEENSA_INSB_IlSD_SE_SE_EEEEZNS1_13binary_searchIS3_S5_NSA_INS8_10device_ptrIsEEEESG_SI_NS1_21lower_bound_search_opENS9_16wrapped_functionINS8_6system6detail7generic6detail18binary_search_lessEbEEEE10hipError_tPvRmT1_T2_T3_mmT4_T5_P12ihipStream_tbEUlRKsE_EESV_SZ_S10_mS11_S14_bEUlT_E_NS1_11comp_targetILNS1_3genE2ELNS1_11target_archE906ELNS1_3gpuE6ELNS1_3repE0EEENS1_30default_config_static_selectorELNS0_4arch9wavefront6targetE0EEEvSY_,comdat
	.protected	_ZN7rocprim17ROCPRIM_400000_NS6detail17trampoline_kernelINS0_14default_configENS1_27lower_bound_config_selectorIslEEZNS1_14transform_implILb0ES3_S5_N6thrust23THRUST_200600_302600_NS6detail15normal_iteratorINS8_7pointerIsNS8_11hip_rocprim5par_tENS8_11use_defaultESE_EEEENSA_INSB_IlSD_SE_SE_EEEEZNS1_13binary_searchIS3_S5_NSA_INS8_10device_ptrIsEEEESG_SI_NS1_21lower_bound_search_opENS9_16wrapped_functionINS8_6system6detail7generic6detail18binary_search_lessEbEEEE10hipError_tPvRmT1_T2_T3_mmT4_T5_P12ihipStream_tbEUlRKsE_EESV_SZ_S10_mS11_S14_bEUlT_E_NS1_11comp_targetILNS1_3genE2ELNS1_11target_archE906ELNS1_3gpuE6ELNS1_3repE0EEENS1_30default_config_static_selectorELNS0_4arch9wavefront6targetE0EEEvSY_ ; -- Begin function _ZN7rocprim17ROCPRIM_400000_NS6detail17trampoline_kernelINS0_14default_configENS1_27lower_bound_config_selectorIslEEZNS1_14transform_implILb0ES3_S5_N6thrust23THRUST_200600_302600_NS6detail15normal_iteratorINS8_7pointerIsNS8_11hip_rocprim5par_tENS8_11use_defaultESE_EEEENSA_INSB_IlSD_SE_SE_EEEEZNS1_13binary_searchIS3_S5_NSA_INS8_10device_ptrIsEEEESG_SI_NS1_21lower_bound_search_opENS9_16wrapped_functionINS8_6system6detail7generic6detail18binary_search_lessEbEEEE10hipError_tPvRmT1_T2_T3_mmT4_T5_P12ihipStream_tbEUlRKsE_EESV_SZ_S10_mS11_S14_bEUlT_E_NS1_11comp_targetILNS1_3genE2ELNS1_11target_archE906ELNS1_3gpuE6ELNS1_3repE0EEENS1_30default_config_static_selectorELNS0_4arch9wavefront6targetE0EEEvSY_
	.globl	_ZN7rocprim17ROCPRIM_400000_NS6detail17trampoline_kernelINS0_14default_configENS1_27lower_bound_config_selectorIslEEZNS1_14transform_implILb0ES3_S5_N6thrust23THRUST_200600_302600_NS6detail15normal_iteratorINS8_7pointerIsNS8_11hip_rocprim5par_tENS8_11use_defaultESE_EEEENSA_INSB_IlSD_SE_SE_EEEEZNS1_13binary_searchIS3_S5_NSA_INS8_10device_ptrIsEEEESG_SI_NS1_21lower_bound_search_opENS9_16wrapped_functionINS8_6system6detail7generic6detail18binary_search_lessEbEEEE10hipError_tPvRmT1_T2_T3_mmT4_T5_P12ihipStream_tbEUlRKsE_EESV_SZ_S10_mS11_S14_bEUlT_E_NS1_11comp_targetILNS1_3genE2ELNS1_11target_archE906ELNS1_3gpuE6ELNS1_3repE0EEENS1_30default_config_static_selectorELNS0_4arch9wavefront6targetE0EEEvSY_
	.p2align	8
	.type	_ZN7rocprim17ROCPRIM_400000_NS6detail17trampoline_kernelINS0_14default_configENS1_27lower_bound_config_selectorIslEEZNS1_14transform_implILb0ES3_S5_N6thrust23THRUST_200600_302600_NS6detail15normal_iteratorINS8_7pointerIsNS8_11hip_rocprim5par_tENS8_11use_defaultESE_EEEENSA_INSB_IlSD_SE_SE_EEEEZNS1_13binary_searchIS3_S5_NSA_INS8_10device_ptrIsEEEESG_SI_NS1_21lower_bound_search_opENS9_16wrapped_functionINS8_6system6detail7generic6detail18binary_search_lessEbEEEE10hipError_tPvRmT1_T2_T3_mmT4_T5_P12ihipStream_tbEUlRKsE_EESV_SZ_S10_mS11_S14_bEUlT_E_NS1_11comp_targetILNS1_3genE2ELNS1_11target_archE906ELNS1_3gpuE6ELNS1_3repE0EEENS1_30default_config_static_selectorELNS0_4arch9wavefront6targetE0EEEvSY_,@function
_ZN7rocprim17ROCPRIM_400000_NS6detail17trampoline_kernelINS0_14default_configENS1_27lower_bound_config_selectorIslEEZNS1_14transform_implILb0ES3_S5_N6thrust23THRUST_200600_302600_NS6detail15normal_iteratorINS8_7pointerIsNS8_11hip_rocprim5par_tENS8_11use_defaultESE_EEEENSA_INSB_IlSD_SE_SE_EEEEZNS1_13binary_searchIS3_S5_NSA_INS8_10device_ptrIsEEEESG_SI_NS1_21lower_bound_search_opENS9_16wrapped_functionINS8_6system6detail7generic6detail18binary_search_lessEbEEEE10hipError_tPvRmT1_T2_T3_mmT4_T5_P12ihipStream_tbEUlRKsE_EESV_SZ_S10_mS11_S14_bEUlT_E_NS1_11comp_targetILNS1_3genE2ELNS1_11target_archE906ELNS1_3gpuE6ELNS1_3repE0EEENS1_30default_config_static_selectorELNS0_4arch9wavefront6targetE0EEEvSY_: ; @_ZN7rocprim17ROCPRIM_400000_NS6detail17trampoline_kernelINS0_14default_configENS1_27lower_bound_config_selectorIslEEZNS1_14transform_implILb0ES3_S5_N6thrust23THRUST_200600_302600_NS6detail15normal_iteratorINS8_7pointerIsNS8_11hip_rocprim5par_tENS8_11use_defaultESE_EEEENSA_INSB_IlSD_SE_SE_EEEEZNS1_13binary_searchIS3_S5_NSA_INS8_10device_ptrIsEEEESG_SI_NS1_21lower_bound_search_opENS9_16wrapped_functionINS8_6system6detail7generic6detail18binary_search_lessEbEEEE10hipError_tPvRmT1_T2_T3_mmT4_T5_P12ihipStream_tbEUlRKsE_EESV_SZ_S10_mS11_S14_bEUlT_E_NS1_11comp_targetILNS1_3genE2ELNS1_11target_archE906ELNS1_3gpuE6ELNS1_3repE0EEENS1_30default_config_static_selectorELNS0_4arch9wavefront6targetE0EEEvSY_
; %bb.0:
	.section	.rodata,"a",@progbits
	.p2align	6, 0x0
	.amdhsa_kernel _ZN7rocprim17ROCPRIM_400000_NS6detail17trampoline_kernelINS0_14default_configENS1_27lower_bound_config_selectorIslEEZNS1_14transform_implILb0ES3_S5_N6thrust23THRUST_200600_302600_NS6detail15normal_iteratorINS8_7pointerIsNS8_11hip_rocprim5par_tENS8_11use_defaultESE_EEEENSA_INSB_IlSD_SE_SE_EEEEZNS1_13binary_searchIS3_S5_NSA_INS8_10device_ptrIsEEEESG_SI_NS1_21lower_bound_search_opENS9_16wrapped_functionINS8_6system6detail7generic6detail18binary_search_lessEbEEEE10hipError_tPvRmT1_T2_T3_mmT4_T5_P12ihipStream_tbEUlRKsE_EESV_SZ_S10_mS11_S14_bEUlT_E_NS1_11comp_targetILNS1_3genE2ELNS1_11target_archE906ELNS1_3gpuE6ELNS1_3repE0EEENS1_30default_config_static_selectorELNS0_4arch9wavefront6targetE0EEEvSY_
		.amdhsa_group_segment_fixed_size 0
		.amdhsa_private_segment_fixed_size 0
		.amdhsa_kernarg_size 56
		.amdhsa_user_sgpr_count 6
		.amdhsa_user_sgpr_private_segment_buffer 1
		.amdhsa_user_sgpr_dispatch_ptr 0
		.amdhsa_user_sgpr_queue_ptr 0
		.amdhsa_user_sgpr_kernarg_segment_ptr 1
		.amdhsa_user_sgpr_dispatch_id 0
		.amdhsa_user_sgpr_flat_scratch_init 0
		.amdhsa_user_sgpr_private_segment_size 0
		.amdhsa_wavefront_size32 1
		.amdhsa_uses_dynamic_stack 0
		.amdhsa_system_sgpr_private_segment_wavefront_offset 0
		.amdhsa_system_sgpr_workgroup_id_x 1
		.amdhsa_system_sgpr_workgroup_id_y 0
		.amdhsa_system_sgpr_workgroup_id_z 0
		.amdhsa_system_sgpr_workgroup_info 0
		.amdhsa_system_vgpr_workitem_id 0
		.amdhsa_next_free_vgpr 1
		.amdhsa_next_free_sgpr 1
		.amdhsa_reserve_vcc 0
		.amdhsa_reserve_flat_scratch 0
		.amdhsa_float_round_mode_32 0
		.amdhsa_float_round_mode_16_64 0
		.amdhsa_float_denorm_mode_32 3
		.amdhsa_float_denorm_mode_16_64 3
		.amdhsa_dx10_clamp 1
		.amdhsa_ieee_mode 1
		.amdhsa_fp16_overflow 0
		.amdhsa_workgroup_processor_mode 1
		.amdhsa_memory_ordered 1
		.amdhsa_forward_progress 1
		.amdhsa_shared_vgpr_count 0
		.amdhsa_exception_fp_ieee_invalid_op 0
		.amdhsa_exception_fp_denorm_src 0
		.amdhsa_exception_fp_ieee_div_zero 0
		.amdhsa_exception_fp_ieee_overflow 0
		.amdhsa_exception_fp_ieee_underflow 0
		.amdhsa_exception_fp_ieee_inexact 0
		.amdhsa_exception_int_div_zero 0
	.end_amdhsa_kernel
	.section	.text._ZN7rocprim17ROCPRIM_400000_NS6detail17trampoline_kernelINS0_14default_configENS1_27lower_bound_config_selectorIslEEZNS1_14transform_implILb0ES3_S5_N6thrust23THRUST_200600_302600_NS6detail15normal_iteratorINS8_7pointerIsNS8_11hip_rocprim5par_tENS8_11use_defaultESE_EEEENSA_INSB_IlSD_SE_SE_EEEEZNS1_13binary_searchIS3_S5_NSA_INS8_10device_ptrIsEEEESG_SI_NS1_21lower_bound_search_opENS9_16wrapped_functionINS8_6system6detail7generic6detail18binary_search_lessEbEEEE10hipError_tPvRmT1_T2_T3_mmT4_T5_P12ihipStream_tbEUlRKsE_EESV_SZ_S10_mS11_S14_bEUlT_E_NS1_11comp_targetILNS1_3genE2ELNS1_11target_archE906ELNS1_3gpuE6ELNS1_3repE0EEENS1_30default_config_static_selectorELNS0_4arch9wavefront6targetE0EEEvSY_,"axG",@progbits,_ZN7rocprim17ROCPRIM_400000_NS6detail17trampoline_kernelINS0_14default_configENS1_27lower_bound_config_selectorIslEEZNS1_14transform_implILb0ES3_S5_N6thrust23THRUST_200600_302600_NS6detail15normal_iteratorINS8_7pointerIsNS8_11hip_rocprim5par_tENS8_11use_defaultESE_EEEENSA_INSB_IlSD_SE_SE_EEEEZNS1_13binary_searchIS3_S5_NSA_INS8_10device_ptrIsEEEESG_SI_NS1_21lower_bound_search_opENS9_16wrapped_functionINS8_6system6detail7generic6detail18binary_search_lessEbEEEE10hipError_tPvRmT1_T2_T3_mmT4_T5_P12ihipStream_tbEUlRKsE_EESV_SZ_S10_mS11_S14_bEUlT_E_NS1_11comp_targetILNS1_3genE2ELNS1_11target_archE906ELNS1_3gpuE6ELNS1_3repE0EEENS1_30default_config_static_selectorELNS0_4arch9wavefront6targetE0EEEvSY_,comdat
.Lfunc_end416:
	.size	_ZN7rocprim17ROCPRIM_400000_NS6detail17trampoline_kernelINS0_14default_configENS1_27lower_bound_config_selectorIslEEZNS1_14transform_implILb0ES3_S5_N6thrust23THRUST_200600_302600_NS6detail15normal_iteratorINS8_7pointerIsNS8_11hip_rocprim5par_tENS8_11use_defaultESE_EEEENSA_INSB_IlSD_SE_SE_EEEEZNS1_13binary_searchIS3_S5_NSA_INS8_10device_ptrIsEEEESG_SI_NS1_21lower_bound_search_opENS9_16wrapped_functionINS8_6system6detail7generic6detail18binary_search_lessEbEEEE10hipError_tPvRmT1_T2_T3_mmT4_T5_P12ihipStream_tbEUlRKsE_EESV_SZ_S10_mS11_S14_bEUlT_E_NS1_11comp_targetILNS1_3genE2ELNS1_11target_archE906ELNS1_3gpuE6ELNS1_3repE0EEENS1_30default_config_static_selectorELNS0_4arch9wavefront6targetE0EEEvSY_, .Lfunc_end416-_ZN7rocprim17ROCPRIM_400000_NS6detail17trampoline_kernelINS0_14default_configENS1_27lower_bound_config_selectorIslEEZNS1_14transform_implILb0ES3_S5_N6thrust23THRUST_200600_302600_NS6detail15normal_iteratorINS8_7pointerIsNS8_11hip_rocprim5par_tENS8_11use_defaultESE_EEEENSA_INSB_IlSD_SE_SE_EEEEZNS1_13binary_searchIS3_S5_NSA_INS8_10device_ptrIsEEEESG_SI_NS1_21lower_bound_search_opENS9_16wrapped_functionINS8_6system6detail7generic6detail18binary_search_lessEbEEEE10hipError_tPvRmT1_T2_T3_mmT4_T5_P12ihipStream_tbEUlRKsE_EESV_SZ_S10_mS11_S14_bEUlT_E_NS1_11comp_targetILNS1_3genE2ELNS1_11target_archE906ELNS1_3gpuE6ELNS1_3repE0EEENS1_30default_config_static_selectorELNS0_4arch9wavefront6targetE0EEEvSY_
                                        ; -- End function
	.set _ZN7rocprim17ROCPRIM_400000_NS6detail17trampoline_kernelINS0_14default_configENS1_27lower_bound_config_selectorIslEEZNS1_14transform_implILb0ES3_S5_N6thrust23THRUST_200600_302600_NS6detail15normal_iteratorINS8_7pointerIsNS8_11hip_rocprim5par_tENS8_11use_defaultESE_EEEENSA_INSB_IlSD_SE_SE_EEEEZNS1_13binary_searchIS3_S5_NSA_INS8_10device_ptrIsEEEESG_SI_NS1_21lower_bound_search_opENS9_16wrapped_functionINS8_6system6detail7generic6detail18binary_search_lessEbEEEE10hipError_tPvRmT1_T2_T3_mmT4_T5_P12ihipStream_tbEUlRKsE_EESV_SZ_S10_mS11_S14_bEUlT_E_NS1_11comp_targetILNS1_3genE2ELNS1_11target_archE906ELNS1_3gpuE6ELNS1_3repE0EEENS1_30default_config_static_selectorELNS0_4arch9wavefront6targetE0EEEvSY_.num_vgpr, 0
	.set _ZN7rocprim17ROCPRIM_400000_NS6detail17trampoline_kernelINS0_14default_configENS1_27lower_bound_config_selectorIslEEZNS1_14transform_implILb0ES3_S5_N6thrust23THRUST_200600_302600_NS6detail15normal_iteratorINS8_7pointerIsNS8_11hip_rocprim5par_tENS8_11use_defaultESE_EEEENSA_INSB_IlSD_SE_SE_EEEEZNS1_13binary_searchIS3_S5_NSA_INS8_10device_ptrIsEEEESG_SI_NS1_21lower_bound_search_opENS9_16wrapped_functionINS8_6system6detail7generic6detail18binary_search_lessEbEEEE10hipError_tPvRmT1_T2_T3_mmT4_T5_P12ihipStream_tbEUlRKsE_EESV_SZ_S10_mS11_S14_bEUlT_E_NS1_11comp_targetILNS1_3genE2ELNS1_11target_archE906ELNS1_3gpuE6ELNS1_3repE0EEENS1_30default_config_static_selectorELNS0_4arch9wavefront6targetE0EEEvSY_.num_agpr, 0
	.set _ZN7rocprim17ROCPRIM_400000_NS6detail17trampoline_kernelINS0_14default_configENS1_27lower_bound_config_selectorIslEEZNS1_14transform_implILb0ES3_S5_N6thrust23THRUST_200600_302600_NS6detail15normal_iteratorINS8_7pointerIsNS8_11hip_rocprim5par_tENS8_11use_defaultESE_EEEENSA_INSB_IlSD_SE_SE_EEEEZNS1_13binary_searchIS3_S5_NSA_INS8_10device_ptrIsEEEESG_SI_NS1_21lower_bound_search_opENS9_16wrapped_functionINS8_6system6detail7generic6detail18binary_search_lessEbEEEE10hipError_tPvRmT1_T2_T3_mmT4_T5_P12ihipStream_tbEUlRKsE_EESV_SZ_S10_mS11_S14_bEUlT_E_NS1_11comp_targetILNS1_3genE2ELNS1_11target_archE906ELNS1_3gpuE6ELNS1_3repE0EEENS1_30default_config_static_selectorELNS0_4arch9wavefront6targetE0EEEvSY_.numbered_sgpr, 0
	.set _ZN7rocprim17ROCPRIM_400000_NS6detail17trampoline_kernelINS0_14default_configENS1_27lower_bound_config_selectorIslEEZNS1_14transform_implILb0ES3_S5_N6thrust23THRUST_200600_302600_NS6detail15normal_iteratorINS8_7pointerIsNS8_11hip_rocprim5par_tENS8_11use_defaultESE_EEEENSA_INSB_IlSD_SE_SE_EEEEZNS1_13binary_searchIS3_S5_NSA_INS8_10device_ptrIsEEEESG_SI_NS1_21lower_bound_search_opENS9_16wrapped_functionINS8_6system6detail7generic6detail18binary_search_lessEbEEEE10hipError_tPvRmT1_T2_T3_mmT4_T5_P12ihipStream_tbEUlRKsE_EESV_SZ_S10_mS11_S14_bEUlT_E_NS1_11comp_targetILNS1_3genE2ELNS1_11target_archE906ELNS1_3gpuE6ELNS1_3repE0EEENS1_30default_config_static_selectorELNS0_4arch9wavefront6targetE0EEEvSY_.num_named_barrier, 0
	.set _ZN7rocprim17ROCPRIM_400000_NS6detail17trampoline_kernelINS0_14default_configENS1_27lower_bound_config_selectorIslEEZNS1_14transform_implILb0ES3_S5_N6thrust23THRUST_200600_302600_NS6detail15normal_iteratorINS8_7pointerIsNS8_11hip_rocprim5par_tENS8_11use_defaultESE_EEEENSA_INSB_IlSD_SE_SE_EEEEZNS1_13binary_searchIS3_S5_NSA_INS8_10device_ptrIsEEEESG_SI_NS1_21lower_bound_search_opENS9_16wrapped_functionINS8_6system6detail7generic6detail18binary_search_lessEbEEEE10hipError_tPvRmT1_T2_T3_mmT4_T5_P12ihipStream_tbEUlRKsE_EESV_SZ_S10_mS11_S14_bEUlT_E_NS1_11comp_targetILNS1_3genE2ELNS1_11target_archE906ELNS1_3gpuE6ELNS1_3repE0EEENS1_30default_config_static_selectorELNS0_4arch9wavefront6targetE0EEEvSY_.private_seg_size, 0
	.set _ZN7rocprim17ROCPRIM_400000_NS6detail17trampoline_kernelINS0_14default_configENS1_27lower_bound_config_selectorIslEEZNS1_14transform_implILb0ES3_S5_N6thrust23THRUST_200600_302600_NS6detail15normal_iteratorINS8_7pointerIsNS8_11hip_rocprim5par_tENS8_11use_defaultESE_EEEENSA_INSB_IlSD_SE_SE_EEEEZNS1_13binary_searchIS3_S5_NSA_INS8_10device_ptrIsEEEESG_SI_NS1_21lower_bound_search_opENS9_16wrapped_functionINS8_6system6detail7generic6detail18binary_search_lessEbEEEE10hipError_tPvRmT1_T2_T3_mmT4_T5_P12ihipStream_tbEUlRKsE_EESV_SZ_S10_mS11_S14_bEUlT_E_NS1_11comp_targetILNS1_3genE2ELNS1_11target_archE906ELNS1_3gpuE6ELNS1_3repE0EEENS1_30default_config_static_selectorELNS0_4arch9wavefront6targetE0EEEvSY_.uses_vcc, 0
	.set _ZN7rocprim17ROCPRIM_400000_NS6detail17trampoline_kernelINS0_14default_configENS1_27lower_bound_config_selectorIslEEZNS1_14transform_implILb0ES3_S5_N6thrust23THRUST_200600_302600_NS6detail15normal_iteratorINS8_7pointerIsNS8_11hip_rocprim5par_tENS8_11use_defaultESE_EEEENSA_INSB_IlSD_SE_SE_EEEEZNS1_13binary_searchIS3_S5_NSA_INS8_10device_ptrIsEEEESG_SI_NS1_21lower_bound_search_opENS9_16wrapped_functionINS8_6system6detail7generic6detail18binary_search_lessEbEEEE10hipError_tPvRmT1_T2_T3_mmT4_T5_P12ihipStream_tbEUlRKsE_EESV_SZ_S10_mS11_S14_bEUlT_E_NS1_11comp_targetILNS1_3genE2ELNS1_11target_archE906ELNS1_3gpuE6ELNS1_3repE0EEENS1_30default_config_static_selectorELNS0_4arch9wavefront6targetE0EEEvSY_.uses_flat_scratch, 0
	.set _ZN7rocprim17ROCPRIM_400000_NS6detail17trampoline_kernelINS0_14default_configENS1_27lower_bound_config_selectorIslEEZNS1_14transform_implILb0ES3_S5_N6thrust23THRUST_200600_302600_NS6detail15normal_iteratorINS8_7pointerIsNS8_11hip_rocprim5par_tENS8_11use_defaultESE_EEEENSA_INSB_IlSD_SE_SE_EEEEZNS1_13binary_searchIS3_S5_NSA_INS8_10device_ptrIsEEEESG_SI_NS1_21lower_bound_search_opENS9_16wrapped_functionINS8_6system6detail7generic6detail18binary_search_lessEbEEEE10hipError_tPvRmT1_T2_T3_mmT4_T5_P12ihipStream_tbEUlRKsE_EESV_SZ_S10_mS11_S14_bEUlT_E_NS1_11comp_targetILNS1_3genE2ELNS1_11target_archE906ELNS1_3gpuE6ELNS1_3repE0EEENS1_30default_config_static_selectorELNS0_4arch9wavefront6targetE0EEEvSY_.has_dyn_sized_stack, 0
	.set _ZN7rocprim17ROCPRIM_400000_NS6detail17trampoline_kernelINS0_14default_configENS1_27lower_bound_config_selectorIslEEZNS1_14transform_implILb0ES3_S5_N6thrust23THRUST_200600_302600_NS6detail15normal_iteratorINS8_7pointerIsNS8_11hip_rocprim5par_tENS8_11use_defaultESE_EEEENSA_INSB_IlSD_SE_SE_EEEEZNS1_13binary_searchIS3_S5_NSA_INS8_10device_ptrIsEEEESG_SI_NS1_21lower_bound_search_opENS9_16wrapped_functionINS8_6system6detail7generic6detail18binary_search_lessEbEEEE10hipError_tPvRmT1_T2_T3_mmT4_T5_P12ihipStream_tbEUlRKsE_EESV_SZ_S10_mS11_S14_bEUlT_E_NS1_11comp_targetILNS1_3genE2ELNS1_11target_archE906ELNS1_3gpuE6ELNS1_3repE0EEENS1_30default_config_static_selectorELNS0_4arch9wavefront6targetE0EEEvSY_.has_recursion, 0
	.set _ZN7rocprim17ROCPRIM_400000_NS6detail17trampoline_kernelINS0_14default_configENS1_27lower_bound_config_selectorIslEEZNS1_14transform_implILb0ES3_S5_N6thrust23THRUST_200600_302600_NS6detail15normal_iteratorINS8_7pointerIsNS8_11hip_rocprim5par_tENS8_11use_defaultESE_EEEENSA_INSB_IlSD_SE_SE_EEEEZNS1_13binary_searchIS3_S5_NSA_INS8_10device_ptrIsEEEESG_SI_NS1_21lower_bound_search_opENS9_16wrapped_functionINS8_6system6detail7generic6detail18binary_search_lessEbEEEE10hipError_tPvRmT1_T2_T3_mmT4_T5_P12ihipStream_tbEUlRKsE_EESV_SZ_S10_mS11_S14_bEUlT_E_NS1_11comp_targetILNS1_3genE2ELNS1_11target_archE906ELNS1_3gpuE6ELNS1_3repE0EEENS1_30default_config_static_selectorELNS0_4arch9wavefront6targetE0EEEvSY_.has_indirect_call, 0
	.section	.AMDGPU.csdata,"",@progbits
; Kernel info:
; codeLenInByte = 0
; TotalNumSgprs: 0
; NumVgprs: 0
; ScratchSize: 0
; MemoryBound: 0
; FloatMode: 240
; IeeeMode: 1
; LDSByteSize: 0 bytes/workgroup (compile time only)
; SGPRBlocks: 0
; VGPRBlocks: 0
; NumSGPRsForWavesPerEU: 1
; NumVGPRsForWavesPerEU: 1
; Occupancy: 16
; WaveLimiterHint : 0
; COMPUTE_PGM_RSRC2:SCRATCH_EN: 0
; COMPUTE_PGM_RSRC2:USER_SGPR: 6
; COMPUTE_PGM_RSRC2:TRAP_HANDLER: 0
; COMPUTE_PGM_RSRC2:TGID_X_EN: 1
; COMPUTE_PGM_RSRC2:TGID_Y_EN: 0
; COMPUTE_PGM_RSRC2:TGID_Z_EN: 0
; COMPUTE_PGM_RSRC2:TIDIG_COMP_CNT: 0
	.section	.text._ZN7rocprim17ROCPRIM_400000_NS6detail17trampoline_kernelINS0_14default_configENS1_27lower_bound_config_selectorIslEEZNS1_14transform_implILb0ES3_S5_N6thrust23THRUST_200600_302600_NS6detail15normal_iteratorINS8_7pointerIsNS8_11hip_rocprim5par_tENS8_11use_defaultESE_EEEENSA_INSB_IlSD_SE_SE_EEEEZNS1_13binary_searchIS3_S5_NSA_INS8_10device_ptrIsEEEESG_SI_NS1_21lower_bound_search_opENS9_16wrapped_functionINS8_6system6detail7generic6detail18binary_search_lessEbEEEE10hipError_tPvRmT1_T2_T3_mmT4_T5_P12ihipStream_tbEUlRKsE_EESV_SZ_S10_mS11_S14_bEUlT_E_NS1_11comp_targetILNS1_3genE10ELNS1_11target_archE1201ELNS1_3gpuE5ELNS1_3repE0EEENS1_30default_config_static_selectorELNS0_4arch9wavefront6targetE0EEEvSY_,"axG",@progbits,_ZN7rocprim17ROCPRIM_400000_NS6detail17trampoline_kernelINS0_14default_configENS1_27lower_bound_config_selectorIslEEZNS1_14transform_implILb0ES3_S5_N6thrust23THRUST_200600_302600_NS6detail15normal_iteratorINS8_7pointerIsNS8_11hip_rocprim5par_tENS8_11use_defaultESE_EEEENSA_INSB_IlSD_SE_SE_EEEEZNS1_13binary_searchIS3_S5_NSA_INS8_10device_ptrIsEEEESG_SI_NS1_21lower_bound_search_opENS9_16wrapped_functionINS8_6system6detail7generic6detail18binary_search_lessEbEEEE10hipError_tPvRmT1_T2_T3_mmT4_T5_P12ihipStream_tbEUlRKsE_EESV_SZ_S10_mS11_S14_bEUlT_E_NS1_11comp_targetILNS1_3genE10ELNS1_11target_archE1201ELNS1_3gpuE5ELNS1_3repE0EEENS1_30default_config_static_selectorELNS0_4arch9wavefront6targetE0EEEvSY_,comdat
	.protected	_ZN7rocprim17ROCPRIM_400000_NS6detail17trampoline_kernelINS0_14default_configENS1_27lower_bound_config_selectorIslEEZNS1_14transform_implILb0ES3_S5_N6thrust23THRUST_200600_302600_NS6detail15normal_iteratorINS8_7pointerIsNS8_11hip_rocprim5par_tENS8_11use_defaultESE_EEEENSA_INSB_IlSD_SE_SE_EEEEZNS1_13binary_searchIS3_S5_NSA_INS8_10device_ptrIsEEEESG_SI_NS1_21lower_bound_search_opENS9_16wrapped_functionINS8_6system6detail7generic6detail18binary_search_lessEbEEEE10hipError_tPvRmT1_T2_T3_mmT4_T5_P12ihipStream_tbEUlRKsE_EESV_SZ_S10_mS11_S14_bEUlT_E_NS1_11comp_targetILNS1_3genE10ELNS1_11target_archE1201ELNS1_3gpuE5ELNS1_3repE0EEENS1_30default_config_static_selectorELNS0_4arch9wavefront6targetE0EEEvSY_ ; -- Begin function _ZN7rocprim17ROCPRIM_400000_NS6detail17trampoline_kernelINS0_14default_configENS1_27lower_bound_config_selectorIslEEZNS1_14transform_implILb0ES3_S5_N6thrust23THRUST_200600_302600_NS6detail15normal_iteratorINS8_7pointerIsNS8_11hip_rocprim5par_tENS8_11use_defaultESE_EEEENSA_INSB_IlSD_SE_SE_EEEEZNS1_13binary_searchIS3_S5_NSA_INS8_10device_ptrIsEEEESG_SI_NS1_21lower_bound_search_opENS9_16wrapped_functionINS8_6system6detail7generic6detail18binary_search_lessEbEEEE10hipError_tPvRmT1_T2_T3_mmT4_T5_P12ihipStream_tbEUlRKsE_EESV_SZ_S10_mS11_S14_bEUlT_E_NS1_11comp_targetILNS1_3genE10ELNS1_11target_archE1201ELNS1_3gpuE5ELNS1_3repE0EEENS1_30default_config_static_selectorELNS0_4arch9wavefront6targetE0EEEvSY_
	.globl	_ZN7rocprim17ROCPRIM_400000_NS6detail17trampoline_kernelINS0_14default_configENS1_27lower_bound_config_selectorIslEEZNS1_14transform_implILb0ES3_S5_N6thrust23THRUST_200600_302600_NS6detail15normal_iteratorINS8_7pointerIsNS8_11hip_rocprim5par_tENS8_11use_defaultESE_EEEENSA_INSB_IlSD_SE_SE_EEEEZNS1_13binary_searchIS3_S5_NSA_INS8_10device_ptrIsEEEESG_SI_NS1_21lower_bound_search_opENS9_16wrapped_functionINS8_6system6detail7generic6detail18binary_search_lessEbEEEE10hipError_tPvRmT1_T2_T3_mmT4_T5_P12ihipStream_tbEUlRKsE_EESV_SZ_S10_mS11_S14_bEUlT_E_NS1_11comp_targetILNS1_3genE10ELNS1_11target_archE1201ELNS1_3gpuE5ELNS1_3repE0EEENS1_30default_config_static_selectorELNS0_4arch9wavefront6targetE0EEEvSY_
	.p2align	8
	.type	_ZN7rocprim17ROCPRIM_400000_NS6detail17trampoline_kernelINS0_14default_configENS1_27lower_bound_config_selectorIslEEZNS1_14transform_implILb0ES3_S5_N6thrust23THRUST_200600_302600_NS6detail15normal_iteratorINS8_7pointerIsNS8_11hip_rocprim5par_tENS8_11use_defaultESE_EEEENSA_INSB_IlSD_SE_SE_EEEEZNS1_13binary_searchIS3_S5_NSA_INS8_10device_ptrIsEEEESG_SI_NS1_21lower_bound_search_opENS9_16wrapped_functionINS8_6system6detail7generic6detail18binary_search_lessEbEEEE10hipError_tPvRmT1_T2_T3_mmT4_T5_P12ihipStream_tbEUlRKsE_EESV_SZ_S10_mS11_S14_bEUlT_E_NS1_11comp_targetILNS1_3genE10ELNS1_11target_archE1201ELNS1_3gpuE5ELNS1_3repE0EEENS1_30default_config_static_selectorELNS0_4arch9wavefront6targetE0EEEvSY_,@function
_ZN7rocprim17ROCPRIM_400000_NS6detail17trampoline_kernelINS0_14default_configENS1_27lower_bound_config_selectorIslEEZNS1_14transform_implILb0ES3_S5_N6thrust23THRUST_200600_302600_NS6detail15normal_iteratorINS8_7pointerIsNS8_11hip_rocprim5par_tENS8_11use_defaultESE_EEEENSA_INSB_IlSD_SE_SE_EEEEZNS1_13binary_searchIS3_S5_NSA_INS8_10device_ptrIsEEEESG_SI_NS1_21lower_bound_search_opENS9_16wrapped_functionINS8_6system6detail7generic6detail18binary_search_lessEbEEEE10hipError_tPvRmT1_T2_T3_mmT4_T5_P12ihipStream_tbEUlRKsE_EESV_SZ_S10_mS11_S14_bEUlT_E_NS1_11comp_targetILNS1_3genE10ELNS1_11target_archE1201ELNS1_3gpuE5ELNS1_3repE0EEENS1_30default_config_static_selectorELNS0_4arch9wavefront6targetE0EEEvSY_: ; @_ZN7rocprim17ROCPRIM_400000_NS6detail17trampoline_kernelINS0_14default_configENS1_27lower_bound_config_selectorIslEEZNS1_14transform_implILb0ES3_S5_N6thrust23THRUST_200600_302600_NS6detail15normal_iteratorINS8_7pointerIsNS8_11hip_rocprim5par_tENS8_11use_defaultESE_EEEENSA_INSB_IlSD_SE_SE_EEEEZNS1_13binary_searchIS3_S5_NSA_INS8_10device_ptrIsEEEESG_SI_NS1_21lower_bound_search_opENS9_16wrapped_functionINS8_6system6detail7generic6detail18binary_search_lessEbEEEE10hipError_tPvRmT1_T2_T3_mmT4_T5_P12ihipStream_tbEUlRKsE_EESV_SZ_S10_mS11_S14_bEUlT_E_NS1_11comp_targetILNS1_3genE10ELNS1_11target_archE1201ELNS1_3gpuE5ELNS1_3repE0EEENS1_30default_config_static_selectorELNS0_4arch9wavefront6targetE0EEEvSY_
; %bb.0:
	.section	.rodata,"a",@progbits
	.p2align	6, 0x0
	.amdhsa_kernel _ZN7rocprim17ROCPRIM_400000_NS6detail17trampoline_kernelINS0_14default_configENS1_27lower_bound_config_selectorIslEEZNS1_14transform_implILb0ES3_S5_N6thrust23THRUST_200600_302600_NS6detail15normal_iteratorINS8_7pointerIsNS8_11hip_rocprim5par_tENS8_11use_defaultESE_EEEENSA_INSB_IlSD_SE_SE_EEEEZNS1_13binary_searchIS3_S5_NSA_INS8_10device_ptrIsEEEESG_SI_NS1_21lower_bound_search_opENS9_16wrapped_functionINS8_6system6detail7generic6detail18binary_search_lessEbEEEE10hipError_tPvRmT1_T2_T3_mmT4_T5_P12ihipStream_tbEUlRKsE_EESV_SZ_S10_mS11_S14_bEUlT_E_NS1_11comp_targetILNS1_3genE10ELNS1_11target_archE1201ELNS1_3gpuE5ELNS1_3repE0EEENS1_30default_config_static_selectorELNS0_4arch9wavefront6targetE0EEEvSY_
		.amdhsa_group_segment_fixed_size 0
		.amdhsa_private_segment_fixed_size 0
		.amdhsa_kernarg_size 56
		.amdhsa_user_sgpr_count 6
		.amdhsa_user_sgpr_private_segment_buffer 1
		.amdhsa_user_sgpr_dispatch_ptr 0
		.amdhsa_user_sgpr_queue_ptr 0
		.amdhsa_user_sgpr_kernarg_segment_ptr 1
		.amdhsa_user_sgpr_dispatch_id 0
		.amdhsa_user_sgpr_flat_scratch_init 0
		.amdhsa_user_sgpr_private_segment_size 0
		.amdhsa_wavefront_size32 1
		.amdhsa_uses_dynamic_stack 0
		.amdhsa_system_sgpr_private_segment_wavefront_offset 0
		.amdhsa_system_sgpr_workgroup_id_x 1
		.amdhsa_system_sgpr_workgroup_id_y 0
		.amdhsa_system_sgpr_workgroup_id_z 0
		.amdhsa_system_sgpr_workgroup_info 0
		.amdhsa_system_vgpr_workitem_id 0
		.amdhsa_next_free_vgpr 1
		.amdhsa_next_free_sgpr 1
		.amdhsa_reserve_vcc 0
		.amdhsa_reserve_flat_scratch 0
		.amdhsa_float_round_mode_32 0
		.amdhsa_float_round_mode_16_64 0
		.amdhsa_float_denorm_mode_32 3
		.amdhsa_float_denorm_mode_16_64 3
		.amdhsa_dx10_clamp 1
		.amdhsa_ieee_mode 1
		.amdhsa_fp16_overflow 0
		.amdhsa_workgroup_processor_mode 1
		.amdhsa_memory_ordered 1
		.amdhsa_forward_progress 1
		.amdhsa_shared_vgpr_count 0
		.amdhsa_exception_fp_ieee_invalid_op 0
		.amdhsa_exception_fp_denorm_src 0
		.amdhsa_exception_fp_ieee_div_zero 0
		.amdhsa_exception_fp_ieee_overflow 0
		.amdhsa_exception_fp_ieee_underflow 0
		.amdhsa_exception_fp_ieee_inexact 0
		.amdhsa_exception_int_div_zero 0
	.end_amdhsa_kernel
	.section	.text._ZN7rocprim17ROCPRIM_400000_NS6detail17trampoline_kernelINS0_14default_configENS1_27lower_bound_config_selectorIslEEZNS1_14transform_implILb0ES3_S5_N6thrust23THRUST_200600_302600_NS6detail15normal_iteratorINS8_7pointerIsNS8_11hip_rocprim5par_tENS8_11use_defaultESE_EEEENSA_INSB_IlSD_SE_SE_EEEEZNS1_13binary_searchIS3_S5_NSA_INS8_10device_ptrIsEEEESG_SI_NS1_21lower_bound_search_opENS9_16wrapped_functionINS8_6system6detail7generic6detail18binary_search_lessEbEEEE10hipError_tPvRmT1_T2_T3_mmT4_T5_P12ihipStream_tbEUlRKsE_EESV_SZ_S10_mS11_S14_bEUlT_E_NS1_11comp_targetILNS1_3genE10ELNS1_11target_archE1201ELNS1_3gpuE5ELNS1_3repE0EEENS1_30default_config_static_selectorELNS0_4arch9wavefront6targetE0EEEvSY_,"axG",@progbits,_ZN7rocprim17ROCPRIM_400000_NS6detail17trampoline_kernelINS0_14default_configENS1_27lower_bound_config_selectorIslEEZNS1_14transform_implILb0ES3_S5_N6thrust23THRUST_200600_302600_NS6detail15normal_iteratorINS8_7pointerIsNS8_11hip_rocprim5par_tENS8_11use_defaultESE_EEEENSA_INSB_IlSD_SE_SE_EEEEZNS1_13binary_searchIS3_S5_NSA_INS8_10device_ptrIsEEEESG_SI_NS1_21lower_bound_search_opENS9_16wrapped_functionINS8_6system6detail7generic6detail18binary_search_lessEbEEEE10hipError_tPvRmT1_T2_T3_mmT4_T5_P12ihipStream_tbEUlRKsE_EESV_SZ_S10_mS11_S14_bEUlT_E_NS1_11comp_targetILNS1_3genE10ELNS1_11target_archE1201ELNS1_3gpuE5ELNS1_3repE0EEENS1_30default_config_static_selectorELNS0_4arch9wavefront6targetE0EEEvSY_,comdat
.Lfunc_end417:
	.size	_ZN7rocprim17ROCPRIM_400000_NS6detail17trampoline_kernelINS0_14default_configENS1_27lower_bound_config_selectorIslEEZNS1_14transform_implILb0ES3_S5_N6thrust23THRUST_200600_302600_NS6detail15normal_iteratorINS8_7pointerIsNS8_11hip_rocprim5par_tENS8_11use_defaultESE_EEEENSA_INSB_IlSD_SE_SE_EEEEZNS1_13binary_searchIS3_S5_NSA_INS8_10device_ptrIsEEEESG_SI_NS1_21lower_bound_search_opENS9_16wrapped_functionINS8_6system6detail7generic6detail18binary_search_lessEbEEEE10hipError_tPvRmT1_T2_T3_mmT4_T5_P12ihipStream_tbEUlRKsE_EESV_SZ_S10_mS11_S14_bEUlT_E_NS1_11comp_targetILNS1_3genE10ELNS1_11target_archE1201ELNS1_3gpuE5ELNS1_3repE0EEENS1_30default_config_static_selectorELNS0_4arch9wavefront6targetE0EEEvSY_, .Lfunc_end417-_ZN7rocprim17ROCPRIM_400000_NS6detail17trampoline_kernelINS0_14default_configENS1_27lower_bound_config_selectorIslEEZNS1_14transform_implILb0ES3_S5_N6thrust23THRUST_200600_302600_NS6detail15normal_iteratorINS8_7pointerIsNS8_11hip_rocprim5par_tENS8_11use_defaultESE_EEEENSA_INSB_IlSD_SE_SE_EEEEZNS1_13binary_searchIS3_S5_NSA_INS8_10device_ptrIsEEEESG_SI_NS1_21lower_bound_search_opENS9_16wrapped_functionINS8_6system6detail7generic6detail18binary_search_lessEbEEEE10hipError_tPvRmT1_T2_T3_mmT4_T5_P12ihipStream_tbEUlRKsE_EESV_SZ_S10_mS11_S14_bEUlT_E_NS1_11comp_targetILNS1_3genE10ELNS1_11target_archE1201ELNS1_3gpuE5ELNS1_3repE0EEENS1_30default_config_static_selectorELNS0_4arch9wavefront6targetE0EEEvSY_
                                        ; -- End function
	.set _ZN7rocprim17ROCPRIM_400000_NS6detail17trampoline_kernelINS0_14default_configENS1_27lower_bound_config_selectorIslEEZNS1_14transform_implILb0ES3_S5_N6thrust23THRUST_200600_302600_NS6detail15normal_iteratorINS8_7pointerIsNS8_11hip_rocprim5par_tENS8_11use_defaultESE_EEEENSA_INSB_IlSD_SE_SE_EEEEZNS1_13binary_searchIS3_S5_NSA_INS8_10device_ptrIsEEEESG_SI_NS1_21lower_bound_search_opENS9_16wrapped_functionINS8_6system6detail7generic6detail18binary_search_lessEbEEEE10hipError_tPvRmT1_T2_T3_mmT4_T5_P12ihipStream_tbEUlRKsE_EESV_SZ_S10_mS11_S14_bEUlT_E_NS1_11comp_targetILNS1_3genE10ELNS1_11target_archE1201ELNS1_3gpuE5ELNS1_3repE0EEENS1_30default_config_static_selectorELNS0_4arch9wavefront6targetE0EEEvSY_.num_vgpr, 0
	.set _ZN7rocprim17ROCPRIM_400000_NS6detail17trampoline_kernelINS0_14default_configENS1_27lower_bound_config_selectorIslEEZNS1_14transform_implILb0ES3_S5_N6thrust23THRUST_200600_302600_NS6detail15normal_iteratorINS8_7pointerIsNS8_11hip_rocprim5par_tENS8_11use_defaultESE_EEEENSA_INSB_IlSD_SE_SE_EEEEZNS1_13binary_searchIS3_S5_NSA_INS8_10device_ptrIsEEEESG_SI_NS1_21lower_bound_search_opENS9_16wrapped_functionINS8_6system6detail7generic6detail18binary_search_lessEbEEEE10hipError_tPvRmT1_T2_T3_mmT4_T5_P12ihipStream_tbEUlRKsE_EESV_SZ_S10_mS11_S14_bEUlT_E_NS1_11comp_targetILNS1_3genE10ELNS1_11target_archE1201ELNS1_3gpuE5ELNS1_3repE0EEENS1_30default_config_static_selectorELNS0_4arch9wavefront6targetE0EEEvSY_.num_agpr, 0
	.set _ZN7rocprim17ROCPRIM_400000_NS6detail17trampoline_kernelINS0_14default_configENS1_27lower_bound_config_selectorIslEEZNS1_14transform_implILb0ES3_S5_N6thrust23THRUST_200600_302600_NS6detail15normal_iteratorINS8_7pointerIsNS8_11hip_rocprim5par_tENS8_11use_defaultESE_EEEENSA_INSB_IlSD_SE_SE_EEEEZNS1_13binary_searchIS3_S5_NSA_INS8_10device_ptrIsEEEESG_SI_NS1_21lower_bound_search_opENS9_16wrapped_functionINS8_6system6detail7generic6detail18binary_search_lessEbEEEE10hipError_tPvRmT1_T2_T3_mmT4_T5_P12ihipStream_tbEUlRKsE_EESV_SZ_S10_mS11_S14_bEUlT_E_NS1_11comp_targetILNS1_3genE10ELNS1_11target_archE1201ELNS1_3gpuE5ELNS1_3repE0EEENS1_30default_config_static_selectorELNS0_4arch9wavefront6targetE0EEEvSY_.numbered_sgpr, 0
	.set _ZN7rocprim17ROCPRIM_400000_NS6detail17trampoline_kernelINS0_14default_configENS1_27lower_bound_config_selectorIslEEZNS1_14transform_implILb0ES3_S5_N6thrust23THRUST_200600_302600_NS6detail15normal_iteratorINS8_7pointerIsNS8_11hip_rocprim5par_tENS8_11use_defaultESE_EEEENSA_INSB_IlSD_SE_SE_EEEEZNS1_13binary_searchIS3_S5_NSA_INS8_10device_ptrIsEEEESG_SI_NS1_21lower_bound_search_opENS9_16wrapped_functionINS8_6system6detail7generic6detail18binary_search_lessEbEEEE10hipError_tPvRmT1_T2_T3_mmT4_T5_P12ihipStream_tbEUlRKsE_EESV_SZ_S10_mS11_S14_bEUlT_E_NS1_11comp_targetILNS1_3genE10ELNS1_11target_archE1201ELNS1_3gpuE5ELNS1_3repE0EEENS1_30default_config_static_selectorELNS0_4arch9wavefront6targetE0EEEvSY_.num_named_barrier, 0
	.set _ZN7rocprim17ROCPRIM_400000_NS6detail17trampoline_kernelINS0_14default_configENS1_27lower_bound_config_selectorIslEEZNS1_14transform_implILb0ES3_S5_N6thrust23THRUST_200600_302600_NS6detail15normal_iteratorINS8_7pointerIsNS8_11hip_rocprim5par_tENS8_11use_defaultESE_EEEENSA_INSB_IlSD_SE_SE_EEEEZNS1_13binary_searchIS3_S5_NSA_INS8_10device_ptrIsEEEESG_SI_NS1_21lower_bound_search_opENS9_16wrapped_functionINS8_6system6detail7generic6detail18binary_search_lessEbEEEE10hipError_tPvRmT1_T2_T3_mmT4_T5_P12ihipStream_tbEUlRKsE_EESV_SZ_S10_mS11_S14_bEUlT_E_NS1_11comp_targetILNS1_3genE10ELNS1_11target_archE1201ELNS1_3gpuE5ELNS1_3repE0EEENS1_30default_config_static_selectorELNS0_4arch9wavefront6targetE0EEEvSY_.private_seg_size, 0
	.set _ZN7rocprim17ROCPRIM_400000_NS6detail17trampoline_kernelINS0_14default_configENS1_27lower_bound_config_selectorIslEEZNS1_14transform_implILb0ES3_S5_N6thrust23THRUST_200600_302600_NS6detail15normal_iteratorINS8_7pointerIsNS8_11hip_rocprim5par_tENS8_11use_defaultESE_EEEENSA_INSB_IlSD_SE_SE_EEEEZNS1_13binary_searchIS3_S5_NSA_INS8_10device_ptrIsEEEESG_SI_NS1_21lower_bound_search_opENS9_16wrapped_functionINS8_6system6detail7generic6detail18binary_search_lessEbEEEE10hipError_tPvRmT1_T2_T3_mmT4_T5_P12ihipStream_tbEUlRKsE_EESV_SZ_S10_mS11_S14_bEUlT_E_NS1_11comp_targetILNS1_3genE10ELNS1_11target_archE1201ELNS1_3gpuE5ELNS1_3repE0EEENS1_30default_config_static_selectorELNS0_4arch9wavefront6targetE0EEEvSY_.uses_vcc, 0
	.set _ZN7rocprim17ROCPRIM_400000_NS6detail17trampoline_kernelINS0_14default_configENS1_27lower_bound_config_selectorIslEEZNS1_14transform_implILb0ES3_S5_N6thrust23THRUST_200600_302600_NS6detail15normal_iteratorINS8_7pointerIsNS8_11hip_rocprim5par_tENS8_11use_defaultESE_EEEENSA_INSB_IlSD_SE_SE_EEEEZNS1_13binary_searchIS3_S5_NSA_INS8_10device_ptrIsEEEESG_SI_NS1_21lower_bound_search_opENS9_16wrapped_functionINS8_6system6detail7generic6detail18binary_search_lessEbEEEE10hipError_tPvRmT1_T2_T3_mmT4_T5_P12ihipStream_tbEUlRKsE_EESV_SZ_S10_mS11_S14_bEUlT_E_NS1_11comp_targetILNS1_3genE10ELNS1_11target_archE1201ELNS1_3gpuE5ELNS1_3repE0EEENS1_30default_config_static_selectorELNS0_4arch9wavefront6targetE0EEEvSY_.uses_flat_scratch, 0
	.set _ZN7rocprim17ROCPRIM_400000_NS6detail17trampoline_kernelINS0_14default_configENS1_27lower_bound_config_selectorIslEEZNS1_14transform_implILb0ES3_S5_N6thrust23THRUST_200600_302600_NS6detail15normal_iteratorINS8_7pointerIsNS8_11hip_rocprim5par_tENS8_11use_defaultESE_EEEENSA_INSB_IlSD_SE_SE_EEEEZNS1_13binary_searchIS3_S5_NSA_INS8_10device_ptrIsEEEESG_SI_NS1_21lower_bound_search_opENS9_16wrapped_functionINS8_6system6detail7generic6detail18binary_search_lessEbEEEE10hipError_tPvRmT1_T2_T3_mmT4_T5_P12ihipStream_tbEUlRKsE_EESV_SZ_S10_mS11_S14_bEUlT_E_NS1_11comp_targetILNS1_3genE10ELNS1_11target_archE1201ELNS1_3gpuE5ELNS1_3repE0EEENS1_30default_config_static_selectorELNS0_4arch9wavefront6targetE0EEEvSY_.has_dyn_sized_stack, 0
	.set _ZN7rocprim17ROCPRIM_400000_NS6detail17trampoline_kernelINS0_14default_configENS1_27lower_bound_config_selectorIslEEZNS1_14transform_implILb0ES3_S5_N6thrust23THRUST_200600_302600_NS6detail15normal_iteratorINS8_7pointerIsNS8_11hip_rocprim5par_tENS8_11use_defaultESE_EEEENSA_INSB_IlSD_SE_SE_EEEEZNS1_13binary_searchIS3_S5_NSA_INS8_10device_ptrIsEEEESG_SI_NS1_21lower_bound_search_opENS9_16wrapped_functionINS8_6system6detail7generic6detail18binary_search_lessEbEEEE10hipError_tPvRmT1_T2_T3_mmT4_T5_P12ihipStream_tbEUlRKsE_EESV_SZ_S10_mS11_S14_bEUlT_E_NS1_11comp_targetILNS1_3genE10ELNS1_11target_archE1201ELNS1_3gpuE5ELNS1_3repE0EEENS1_30default_config_static_selectorELNS0_4arch9wavefront6targetE0EEEvSY_.has_recursion, 0
	.set _ZN7rocprim17ROCPRIM_400000_NS6detail17trampoline_kernelINS0_14default_configENS1_27lower_bound_config_selectorIslEEZNS1_14transform_implILb0ES3_S5_N6thrust23THRUST_200600_302600_NS6detail15normal_iteratorINS8_7pointerIsNS8_11hip_rocprim5par_tENS8_11use_defaultESE_EEEENSA_INSB_IlSD_SE_SE_EEEEZNS1_13binary_searchIS3_S5_NSA_INS8_10device_ptrIsEEEESG_SI_NS1_21lower_bound_search_opENS9_16wrapped_functionINS8_6system6detail7generic6detail18binary_search_lessEbEEEE10hipError_tPvRmT1_T2_T3_mmT4_T5_P12ihipStream_tbEUlRKsE_EESV_SZ_S10_mS11_S14_bEUlT_E_NS1_11comp_targetILNS1_3genE10ELNS1_11target_archE1201ELNS1_3gpuE5ELNS1_3repE0EEENS1_30default_config_static_selectorELNS0_4arch9wavefront6targetE0EEEvSY_.has_indirect_call, 0
	.section	.AMDGPU.csdata,"",@progbits
; Kernel info:
; codeLenInByte = 0
; TotalNumSgprs: 0
; NumVgprs: 0
; ScratchSize: 0
; MemoryBound: 0
; FloatMode: 240
; IeeeMode: 1
; LDSByteSize: 0 bytes/workgroup (compile time only)
; SGPRBlocks: 0
; VGPRBlocks: 0
; NumSGPRsForWavesPerEU: 1
; NumVGPRsForWavesPerEU: 1
; Occupancy: 16
; WaveLimiterHint : 0
; COMPUTE_PGM_RSRC2:SCRATCH_EN: 0
; COMPUTE_PGM_RSRC2:USER_SGPR: 6
; COMPUTE_PGM_RSRC2:TRAP_HANDLER: 0
; COMPUTE_PGM_RSRC2:TGID_X_EN: 1
; COMPUTE_PGM_RSRC2:TGID_Y_EN: 0
; COMPUTE_PGM_RSRC2:TGID_Z_EN: 0
; COMPUTE_PGM_RSRC2:TIDIG_COMP_CNT: 0
	.section	.text._ZN7rocprim17ROCPRIM_400000_NS6detail17trampoline_kernelINS0_14default_configENS1_27lower_bound_config_selectorIslEEZNS1_14transform_implILb0ES3_S5_N6thrust23THRUST_200600_302600_NS6detail15normal_iteratorINS8_7pointerIsNS8_11hip_rocprim5par_tENS8_11use_defaultESE_EEEENSA_INSB_IlSD_SE_SE_EEEEZNS1_13binary_searchIS3_S5_NSA_INS8_10device_ptrIsEEEESG_SI_NS1_21lower_bound_search_opENS9_16wrapped_functionINS8_6system6detail7generic6detail18binary_search_lessEbEEEE10hipError_tPvRmT1_T2_T3_mmT4_T5_P12ihipStream_tbEUlRKsE_EESV_SZ_S10_mS11_S14_bEUlT_E_NS1_11comp_targetILNS1_3genE10ELNS1_11target_archE1200ELNS1_3gpuE4ELNS1_3repE0EEENS1_30default_config_static_selectorELNS0_4arch9wavefront6targetE0EEEvSY_,"axG",@progbits,_ZN7rocprim17ROCPRIM_400000_NS6detail17trampoline_kernelINS0_14default_configENS1_27lower_bound_config_selectorIslEEZNS1_14transform_implILb0ES3_S5_N6thrust23THRUST_200600_302600_NS6detail15normal_iteratorINS8_7pointerIsNS8_11hip_rocprim5par_tENS8_11use_defaultESE_EEEENSA_INSB_IlSD_SE_SE_EEEEZNS1_13binary_searchIS3_S5_NSA_INS8_10device_ptrIsEEEESG_SI_NS1_21lower_bound_search_opENS9_16wrapped_functionINS8_6system6detail7generic6detail18binary_search_lessEbEEEE10hipError_tPvRmT1_T2_T3_mmT4_T5_P12ihipStream_tbEUlRKsE_EESV_SZ_S10_mS11_S14_bEUlT_E_NS1_11comp_targetILNS1_3genE10ELNS1_11target_archE1200ELNS1_3gpuE4ELNS1_3repE0EEENS1_30default_config_static_selectorELNS0_4arch9wavefront6targetE0EEEvSY_,comdat
	.protected	_ZN7rocprim17ROCPRIM_400000_NS6detail17trampoline_kernelINS0_14default_configENS1_27lower_bound_config_selectorIslEEZNS1_14transform_implILb0ES3_S5_N6thrust23THRUST_200600_302600_NS6detail15normal_iteratorINS8_7pointerIsNS8_11hip_rocprim5par_tENS8_11use_defaultESE_EEEENSA_INSB_IlSD_SE_SE_EEEEZNS1_13binary_searchIS3_S5_NSA_INS8_10device_ptrIsEEEESG_SI_NS1_21lower_bound_search_opENS9_16wrapped_functionINS8_6system6detail7generic6detail18binary_search_lessEbEEEE10hipError_tPvRmT1_T2_T3_mmT4_T5_P12ihipStream_tbEUlRKsE_EESV_SZ_S10_mS11_S14_bEUlT_E_NS1_11comp_targetILNS1_3genE10ELNS1_11target_archE1200ELNS1_3gpuE4ELNS1_3repE0EEENS1_30default_config_static_selectorELNS0_4arch9wavefront6targetE0EEEvSY_ ; -- Begin function _ZN7rocprim17ROCPRIM_400000_NS6detail17trampoline_kernelINS0_14default_configENS1_27lower_bound_config_selectorIslEEZNS1_14transform_implILb0ES3_S5_N6thrust23THRUST_200600_302600_NS6detail15normal_iteratorINS8_7pointerIsNS8_11hip_rocprim5par_tENS8_11use_defaultESE_EEEENSA_INSB_IlSD_SE_SE_EEEEZNS1_13binary_searchIS3_S5_NSA_INS8_10device_ptrIsEEEESG_SI_NS1_21lower_bound_search_opENS9_16wrapped_functionINS8_6system6detail7generic6detail18binary_search_lessEbEEEE10hipError_tPvRmT1_T2_T3_mmT4_T5_P12ihipStream_tbEUlRKsE_EESV_SZ_S10_mS11_S14_bEUlT_E_NS1_11comp_targetILNS1_3genE10ELNS1_11target_archE1200ELNS1_3gpuE4ELNS1_3repE0EEENS1_30default_config_static_selectorELNS0_4arch9wavefront6targetE0EEEvSY_
	.globl	_ZN7rocprim17ROCPRIM_400000_NS6detail17trampoline_kernelINS0_14default_configENS1_27lower_bound_config_selectorIslEEZNS1_14transform_implILb0ES3_S5_N6thrust23THRUST_200600_302600_NS6detail15normal_iteratorINS8_7pointerIsNS8_11hip_rocprim5par_tENS8_11use_defaultESE_EEEENSA_INSB_IlSD_SE_SE_EEEEZNS1_13binary_searchIS3_S5_NSA_INS8_10device_ptrIsEEEESG_SI_NS1_21lower_bound_search_opENS9_16wrapped_functionINS8_6system6detail7generic6detail18binary_search_lessEbEEEE10hipError_tPvRmT1_T2_T3_mmT4_T5_P12ihipStream_tbEUlRKsE_EESV_SZ_S10_mS11_S14_bEUlT_E_NS1_11comp_targetILNS1_3genE10ELNS1_11target_archE1200ELNS1_3gpuE4ELNS1_3repE0EEENS1_30default_config_static_selectorELNS0_4arch9wavefront6targetE0EEEvSY_
	.p2align	8
	.type	_ZN7rocprim17ROCPRIM_400000_NS6detail17trampoline_kernelINS0_14default_configENS1_27lower_bound_config_selectorIslEEZNS1_14transform_implILb0ES3_S5_N6thrust23THRUST_200600_302600_NS6detail15normal_iteratorINS8_7pointerIsNS8_11hip_rocprim5par_tENS8_11use_defaultESE_EEEENSA_INSB_IlSD_SE_SE_EEEEZNS1_13binary_searchIS3_S5_NSA_INS8_10device_ptrIsEEEESG_SI_NS1_21lower_bound_search_opENS9_16wrapped_functionINS8_6system6detail7generic6detail18binary_search_lessEbEEEE10hipError_tPvRmT1_T2_T3_mmT4_T5_P12ihipStream_tbEUlRKsE_EESV_SZ_S10_mS11_S14_bEUlT_E_NS1_11comp_targetILNS1_3genE10ELNS1_11target_archE1200ELNS1_3gpuE4ELNS1_3repE0EEENS1_30default_config_static_selectorELNS0_4arch9wavefront6targetE0EEEvSY_,@function
_ZN7rocprim17ROCPRIM_400000_NS6detail17trampoline_kernelINS0_14default_configENS1_27lower_bound_config_selectorIslEEZNS1_14transform_implILb0ES3_S5_N6thrust23THRUST_200600_302600_NS6detail15normal_iteratorINS8_7pointerIsNS8_11hip_rocprim5par_tENS8_11use_defaultESE_EEEENSA_INSB_IlSD_SE_SE_EEEEZNS1_13binary_searchIS3_S5_NSA_INS8_10device_ptrIsEEEESG_SI_NS1_21lower_bound_search_opENS9_16wrapped_functionINS8_6system6detail7generic6detail18binary_search_lessEbEEEE10hipError_tPvRmT1_T2_T3_mmT4_T5_P12ihipStream_tbEUlRKsE_EESV_SZ_S10_mS11_S14_bEUlT_E_NS1_11comp_targetILNS1_3genE10ELNS1_11target_archE1200ELNS1_3gpuE4ELNS1_3repE0EEENS1_30default_config_static_selectorELNS0_4arch9wavefront6targetE0EEEvSY_: ; @_ZN7rocprim17ROCPRIM_400000_NS6detail17trampoline_kernelINS0_14default_configENS1_27lower_bound_config_selectorIslEEZNS1_14transform_implILb0ES3_S5_N6thrust23THRUST_200600_302600_NS6detail15normal_iteratorINS8_7pointerIsNS8_11hip_rocprim5par_tENS8_11use_defaultESE_EEEENSA_INSB_IlSD_SE_SE_EEEEZNS1_13binary_searchIS3_S5_NSA_INS8_10device_ptrIsEEEESG_SI_NS1_21lower_bound_search_opENS9_16wrapped_functionINS8_6system6detail7generic6detail18binary_search_lessEbEEEE10hipError_tPvRmT1_T2_T3_mmT4_T5_P12ihipStream_tbEUlRKsE_EESV_SZ_S10_mS11_S14_bEUlT_E_NS1_11comp_targetILNS1_3genE10ELNS1_11target_archE1200ELNS1_3gpuE4ELNS1_3repE0EEENS1_30default_config_static_selectorELNS0_4arch9wavefront6targetE0EEEvSY_
; %bb.0:
	.section	.rodata,"a",@progbits
	.p2align	6, 0x0
	.amdhsa_kernel _ZN7rocprim17ROCPRIM_400000_NS6detail17trampoline_kernelINS0_14default_configENS1_27lower_bound_config_selectorIslEEZNS1_14transform_implILb0ES3_S5_N6thrust23THRUST_200600_302600_NS6detail15normal_iteratorINS8_7pointerIsNS8_11hip_rocprim5par_tENS8_11use_defaultESE_EEEENSA_INSB_IlSD_SE_SE_EEEEZNS1_13binary_searchIS3_S5_NSA_INS8_10device_ptrIsEEEESG_SI_NS1_21lower_bound_search_opENS9_16wrapped_functionINS8_6system6detail7generic6detail18binary_search_lessEbEEEE10hipError_tPvRmT1_T2_T3_mmT4_T5_P12ihipStream_tbEUlRKsE_EESV_SZ_S10_mS11_S14_bEUlT_E_NS1_11comp_targetILNS1_3genE10ELNS1_11target_archE1200ELNS1_3gpuE4ELNS1_3repE0EEENS1_30default_config_static_selectorELNS0_4arch9wavefront6targetE0EEEvSY_
		.amdhsa_group_segment_fixed_size 0
		.amdhsa_private_segment_fixed_size 0
		.amdhsa_kernarg_size 56
		.amdhsa_user_sgpr_count 6
		.amdhsa_user_sgpr_private_segment_buffer 1
		.amdhsa_user_sgpr_dispatch_ptr 0
		.amdhsa_user_sgpr_queue_ptr 0
		.amdhsa_user_sgpr_kernarg_segment_ptr 1
		.amdhsa_user_sgpr_dispatch_id 0
		.amdhsa_user_sgpr_flat_scratch_init 0
		.amdhsa_user_sgpr_private_segment_size 0
		.amdhsa_wavefront_size32 1
		.amdhsa_uses_dynamic_stack 0
		.amdhsa_system_sgpr_private_segment_wavefront_offset 0
		.amdhsa_system_sgpr_workgroup_id_x 1
		.amdhsa_system_sgpr_workgroup_id_y 0
		.amdhsa_system_sgpr_workgroup_id_z 0
		.amdhsa_system_sgpr_workgroup_info 0
		.amdhsa_system_vgpr_workitem_id 0
		.amdhsa_next_free_vgpr 1
		.amdhsa_next_free_sgpr 1
		.amdhsa_reserve_vcc 0
		.amdhsa_reserve_flat_scratch 0
		.amdhsa_float_round_mode_32 0
		.amdhsa_float_round_mode_16_64 0
		.amdhsa_float_denorm_mode_32 3
		.amdhsa_float_denorm_mode_16_64 3
		.amdhsa_dx10_clamp 1
		.amdhsa_ieee_mode 1
		.amdhsa_fp16_overflow 0
		.amdhsa_workgroup_processor_mode 1
		.amdhsa_memory_ordered 1
		.amdhsa_forward_progress 1
		.amdhsa_shared_vgpr_count 0
		.amdhsa_exception_fp_ieee_invalid_op 0
		.amdhsa_exception_fp_denorm_src 0
		.amdhsa_exception_fp_ieee_div_zero 0
		.amdhsa_exception_fp_ieee_overflow 0
		.amdhsa_exception_fp_ieee_underflow 0
		.amdhsa_exception_fp_ieee_inexact 0
		.amdhsa_exception_int_div_zero 0
	.end_amdhsa_kernel
	.section	.text._ZN7rocprim17ROCPRIM_400000_NS6detail17trampoline_kernelINS0_14default_configENS1_27lower_bound_config_selectorIslEEZNS1_14transform_implILb0ES3_S5_N6thrust23THRUST_200600_302600_NS6detail15normal_iteratorINS8_7pointerIsNS8_11hip_rocprim5par_tENS8_11use_defaultESE_EEEENSA_INSB_IlSD_SE_SE_EEEEZNS1_13binary_searchIS3_S5_NSA_INS8_10device_ptrIsEEEESG_SI_NS1_21lower_bound_search_opENS9_16wrapped_functionINS8_6system6detail7generic6detail18binary_search_lessEbEEEE10hipError_tPvRmT1_T2_T3_mmT4_T5_P12ihipStream_tbEUlRKsE_EESV_SZ_S10_mS11_S14_bEUlT_E_NS1_11comp_targetILNS1_3genE10ELNS1_11target_archE1200ELNS1_3gpuE4ELNS1_3repE0EEENS1_30default_config_static_selectorELNS0_4arch9wavefront6targetE0EEEvSY_,"axG",@progbits,_ZN7rocprim17ROCPRIM_400000_NS6detail17trampoline_kernelINS0_14default_configENS1_27lower_bound_config_selectorIslEEZNS1_14transform_implILb0ES3_S5_N6thrust23THRUST_200600_302600_NS6detail15normal_iteratorINS8_7pointerIsNS8_11hip_rocprim5par_tENS8_11use_defaultESE_EEEENSA_INSB_IlSD_SE_SE_EEEEZNS1_13binary_searchIS3_S5_NSA_INS8_10device_ptrIsEEEESG_SI_NS1_21lower_bound_search_opENS9_16wrapped_functionINS8_6system6detail7generic6detail18binary_search_lessEbEEEE10hipError_tPvRmT1_T2_T3_mmT4_T5_P12ihipStream_tbEUlRKsE_EESV_SZ_S10_mS11_S14_bEUlT_E_NS1_11comp_targetILNS1_3genE10ELNS1_11target_archE1200ELNS1_3gpuE4ELNS1_3repE0EEENS1_30default_config_static_selectorELNS0_4arch9wavefront6targetE0EEEvSY_,comdat
.Lfunc_end418:
	.size	_ZN7rocprim17ROCPRIM_400000_NS6detail17trampoline_kernelINS0_14default_configENS1_27lower_bound_config_selectorIslEEZNS1_14transform_implILb0ES3_S5_N6thrust23THRUST_200600_302600_NS6detail15normal_iteratorINS8_7pointerIsNS8_11hip_rocprim5par_tENS8_11use_defaultESE_EEEENSA_INSB_IlSD_SE_SE_EEEEZNS1_13binary_searchIS3_S5_NSA_INS8_10device_ptrIsEEEESG_SI_NS1_21lower_bound_search_opENS9_16wrapped_functionINS8_6system6detail7generic6detail18binary_search_lessEbEEEE10hipError_tPvRmT1_T2_T3_mmT4_T5_P12ihipStream_tbEUlRKsE_EESV_SZ_S10_mS11_S14_bEUlT_E_NS1_11comp_targetILNS1_3genE10ELNS1_11target_archE1200ELNS1_3gpuE4ELNS1_3repE0EEENS1_30default_config_static_selectorELNS0_4arch9wavefront6targetE0EEEvSY_, .Lfunc_end418-_ZN7rocprim17ROCPRIM_400000_NS6detail17trampoline_kernelINS0_14default_configENS1_27lower_bound_config_selectorIslEEZNS1_14transform_implILb0ES3_S5_N6thrust23THRUST_200600_302600_NS6detail15normal_iteratorINS8_7pointerIsNS8_11hip_rocprim5par_tENS8_11use_defaultESE_EEEENSA_INSB_IlSD_SE_SE_EEEEZNS1_13binary_searchIS3_S5_NSA_INS8_10device_ptrIsEEEESG_SI_NS1_21lower_bound_search_opENS9_16wrapped_functionINS8_6system6detail7generic6detail18binary_search_lessEbEEEE10hipError_tPvRmT1_T2_T3_mmT4_T5_P12ihipStream_tbEUlRKsE_EESV_SZ_S10_mS11_S14_bEUlT_E_NS1_11comp_targetILNS1_3genE10ELNS1_11target_archE1200ELNS1_3gpuE4ELNS1_3repE0EEENS1_30default_config_static_selectorELNS0_4arch9wavefront6targetE0EEEvSY_
                                        ; -- End function
	.set _ZN7rocprim17ROCPRIM_400000_NS6detail17trampoline_kernelINS0_14default_configENS1_27lower_bound_config_selectorIslEEZNS1_14transform_implILb0ES3_S5_N6thrust23THRUST_200600_302600_NS6detail15normal_iteratorINS8_7pointerIsNS8_11hip_rocprim5par_tENS8_11use_defaultESE_EEEENSA_INSB_IlSD_SE_SE_EEEEZNS1_13binary_searchIS3_S5_NSA_INS8_10device_ptrIsEEEESG_SI_NS1_21lower_bound_search_opENS9_16wrapped_functionINS8_6system6detail7generic6detail18binary_search_lessEbEEEE10hipError_tPvRmT1_T2_T3_mmT4_T5_P12ihipStream_tbEUlRKsE_EESV_SZ_S10_mS11_S14_bEUlT_E_NS1_11comp_targetILNS1_3genE10ELNS1_11target_archE1200ELNS1_3gpuE4ELNS1_3repE0EEENS1_30default_config_static_selectorELNS0_4arch9wavefront6targetE0EEEvSY_.num_vgpr, 0
	.set _ZN7rocprim17ROCPRIM_400000_NS6detail17trampoline_kernelINS0_14default_configENS1_27lower_bound_config_selectorIslEEZNS1_14transform_implILb0ES3_S5_N6thrust23THRUST_200600_302600_NS6detail15normal_iteratorINS8_7pointerIsNS8_11hip_rocprim5par_tENS8_11use_defaultESE_EEEENSA_INSB_IlSD_SE_SE_EEEEZNS1_13binary_searchIS3_S5_NSA_INS8_10device_ptrIsEEEESG_SI_NS1_21lower_bound_search_opENS9_16wrapped_functionINS8_6system6detail7generic6detail18binary_search_lessEbEEEE10hipError_tPvRmT1_T2_T3_mmT4_T5_P12ihipStream_tbEUlRKsE_EESV_SZ_S10_mS11_S14_bEUlT_E_NS1_11comp_targetILNS1_3genE10ELNS1_11target_archE1200ELNS1_3gpuE4ELNS1_3repE0EEENS1_30default_config_static_selectorELNS0_4arch9wavefront6targetE0EEEvSY_.num_agpr, 0
	.set _ZN7rocprim17ROCPRIM_400000_NS6detail17trampoline_kernelINS0_14default_configENS1_27lower_bound_config_selectorIslEEZNS1_14transform_implILb0ES3_S5_N6thrust23THRUST_200600_302600_NS6detail15normal_iteratorINS8_7pointerIsNS8_11hip_rocprim5par_tENS8_11use_defaultESE_EEEENSA_INSB_IlSD_SE_SE_EEEEZNS1_13binary_searchIS3_S5_NSA_INS8_10device_ptrIsEEEESG_SI_NS1_21lower_bound_search_opENS9_16wrapped_functionINS8_6system6detail7generic6detail18binary_search_lessEbEEEE10hipError_tPvRmT1_T2_T3_mmT4_T5_P12ihipStream_tbEUlRKsE_EESV_SZ_S10_mS11_S14_bEUlT_E_NS1_11comp_targetILNS1_3genE10ELNS1_11target_archE1200ELNS1_3gpuE4ELNS1_3repE0EEENS1_30default_config_static_selectorELNS0_4arch9wavefront6targetE0EEEvSY_.numbered_sgpr, 0
	.set _ZN7rocprim17ROCPRIM_400000_NS6detail17trampoline_kernelINS0_14default_configENS1_27lower_bound_config_selectorIslEEZNS1_14transform_implILb0ES3_S5_N6thrust23THRUST_200600_302600_NS6detail15normal_iteratorINS8_7pointerIsNS8_11hip_rocprim5par_tENS8_11use_defaultESE_EEEENSA_INSB_IlSD_SE_SE_EEEEZNS1_13binary_searchIS3_S5_NSA_INS8_10device_ptrIsEEEESG_SI_NS1_21lower_bound_search_opENS9_16wrapped_functionINS8_6system6detail7generic6detail18binary_search_lessEbEEEE10hipError_tPvRmT1_T2_T3_mmT4_T5_P12ihipStream_tbEUlRKsE_EESV_SZ_S10_mS11_S14_bEUlT_E_NS1_11comp_targetILNS1_3genE10ELNS1_11target_archE1200ELNS1_3gpuE4ELNS1_3repE0EEENS1_30default_config_static_selectorELNS0_4arch9wavefront6targetE0EEEvSY_.num_named_barrier, 0
	.set _ZN7rocprim17ROCPRIM_400000_NS6detail17trampoline_kernelINS0_14default_configENS1_27lower_bound_config_selectorIslEEZNS1_14transform_implILb0ES3_S5_N6thrust23THRUST_200600_302600_NS6detail15normal_iteratorINS8_7pointerIsNS8_11hip_rocprim5par_tENS8_11use_defaultESE_EEEENSA_INSB_IlSD_SE_SE_EEEEZNS1_13binary_searchIS3_S5_NSA_INS8_10device_ptrIsEEEESG_SI_NS1_21lower_bound_search_opENS9_16wrapped_functionINS8_6system6detail7generic6detail18binary_search_lessEbEEEE10hipError_tPvRmT1_T2_T3_mmT4_T5_P12ihipStream_tbEUlRKsE_EESV_SZ_S10_mS11_S14_bEUlT_E_NS1_11comp_targetILNS1_3genE10ELNS1_11target_archE1200ELNS1_3gpuE4ELNS1_3repE0EEENS1_30default_config_static_selectorELNS0_4arch9wavefront6targetE0EEEvSY_.private_seg_size, 0
	.set _ZN7rocprim17ROCPRIM_400000_NS6detail17trampoline_kernelINS0_14default_configENS1_27lower_bound_config_selectorIslEEZNS1_14transform_implILb0ES3_S5_N6thrust23THRUST_200600_302600_NS6detail15normal_iteratorINS8_7pointerIsNS8_11hip_rocprim5par_tENS8_11use_defaultESE_EEEENSA_INSB_IlSD_SE_SE_EEEEZNS1_13binary_searchIS3_S5_NSA_INS8_10device_ptrIsEEEESG_SI_NS1_21lower_bound_search_opENS9_16wrapped_functionINS8_6system6detail7generic6detail18binary_search_lessEbEEEE10hipError_tPvRmT1_T2_T3_mmT4_T5_P12ihipStream_tbEUlRKsE_EESV_SZ_S10_mS11_S14_bEUlT_E_NS1_11comp_targetILNS1_3genE10ELNS1_11target_archE1200ELNS1_3gpuE4ELNS1_3repE0EEENS1_30default_config_static_selectorELNS0_4arch9wavefront6targetE0EEEvSY_.uses_vcc, 0
	.set _ZN7rocprim17ROCPRIM_400000_NS6detail17trampoline_kernelINS0_14default_configENS1_27lower_bound_config_selectorIslEEZNS1_14transform_implILb0ES3_S5_N6thrust23THRUST_200600_302600_NS6detail15normal_iteratorINS8_7pointerIsNS8_11hip_rocprim5par_tENS8_11use_defaultESE_EEEENSA_INSB_IlSD_SE_SE_EEEEZNS1_13binary_searchIS3_S5_NSA_INS8_10device_ptrIsEEEESG_SI_NS1_21lower_bound_search_opENS9_16wrapped_functionINS8_6system6detail7generic6detail18binary_search_lessEbEEEE10hipError_tPvRmT1_T2_T3_mmT4_T5_P12ihipStream_tbEUlRKsE_EESV_SZ_S10_mS11_S14_bEUlT_E_NS1_11comp_targetILNS1_3genE10ELNS1_11target_archE1200ELNS1_3gpuE4ELNS1_3repE0EEENS1_30default_config_static_selectorELNS0_4arch9wavefront6targetE0EEEvSY_.uses_flat_scratch, 0
	.set _ZN7rocprim17ROCPRIM_400000_NS6detail17trampoline_kernelINS0_14default_configENS1_27lower_bound_config_selectorIslEEZNS1_14transform_implILb0ES3_S5_N6thrust23THRUST_200600_302600_NS6detail15normal_iteratorINS8_7pointerIsNS8_11hip_rocprim5par_tENS8_11use_defaultESE_EEEENSA_INSB_IlSD_SE_SE_EEEEZNS1_13binary_searchIS3_S5_NSA_INS8_10device_ptrIsEEEESG_SI_NS1_21lower_bound_search_opENS9_16wrapped_functionINS8_6system6detail7generic6detail18binary_search_lessEbEEEE10hipError_tPvRmT1_T2_T3_mmT4_T5_P12ihipStream_tbEUlRKsE_EESV_SZ_S10_mS11_S14_bEUlT_E_NS1_11comp_targetILNS1_3genE10ELNS1_11target_archE1200ELNS1_3gpuE4ELNS1_3repE0EEENS1_30default_config_static_selectorELNS0_4arch9wavefront6targetE0EEEvSY_.has_dyn_sized_stack, 0
	.set _ZN7rocprim17ROCPRIM_400000_NS6detail17trampoline_kernelINS0_14default_configENS1_27lower_bound_config_selectorIslEEZNS1_14transform_implILb0ES3_S5_N6thrust23THRUST_200600_302600_NS6detail15normal_iteratorINS8_7pointerIsNS8_11hip_rocprim5par_tENS8_11use_defaultESE_EEEENSA_INSB_IlSD_SE_SE_EEEEZNS1_13binary_searchIS3_S5_NSA_INS8_10device_ptrIsEEEESG_SI_NS1_21lower_bound_search_opENS9_16wrapped_functionINS8_6system6detail7generic6detail18binary_search_lessEbEEEE10hipError_tPvRmT1_T2_T3_mmT4_T5_P12ihipStream_tbEUlRKsE_EESV_SZ_S10_mS11_S14_bEUlT_E_NS1_11comp_targetILNS1_3genE10ELNS1_11target_archE1200ELNS1_3gpuE4ELNS1_3repE0EEENS1_30default_config_static_selectorELNS0_4arch9wavefront6targetE0EEEvSY_.has_recursion, 0
	.set _ZN7rocprim17ROCPRIM_400000_NS6detail17trampoline_kernelINS0_14default_configENS1_27lower_bound_config_selectorIslEEZNS1_14transform_implILb0ES3_S5_N6thrust23THRUST_200600_302600_NS6detail15normal_iteratorINS8_7pointerIsNS8_11hip_rocprim5par_tENS8_11use_defaultESE_EEEENSA_INSB_IlSD_SE_SE_EEEEZNS1_13binary_searchIS3_S5_NSA_INS8_10device_ptrIsEEEESG_SI_NS1_21lower_bound_search_opENS9_16wrapped_functionINS8_6system6detail7generic6detail18binary_search_lessEbEEEE10hipError_tPvRmT1_T2_T3_mmT4_T5_P12ihipStream_tbEUlRKsE_EESV_SZ_S10_mS11_S14_bEUlT_E_NS1_11comp_targetILNS1_3genE10ELNS1_11target_archE1200ELNS1_3gpuE4ELNS1_3repE0EEENS1_30default_config_static_selectorELNS0_4arch9wavefront6targetE0EEEvSY_.has_indirect_call, 0
	.section	.AMDGPU.csdata,"",@progbits
; Kernel info:
; codeLenInByte = 0
; TotalNumSgprs: 0
; NumVgprs: 0
; ScratchSize: 0
; MemoryBound: 0
; FloatMode: 240
; IeeeMode: 1
; LDSByteSize: 0 bytes/workgroup (compile time only)
; SGPRBlocks: 0
; VGPRBlocks: 0
; NumSGPRsForWavesPerEU: 1
; NumVGPRsForWavesPerEU: 1
; Occupancy: 16
; WaveLimiterHint : 0
; COMPUTE_PGM_RSRC2:SCRATCH_EN: 0
; COMPUTE_PGM_RSRC2:USER_SGPR: 6
; COMPUTE_PGM_RSRC2:TRAP_HANDLER: 0
; COMPUTE_PGM_RSRC2:TGID_X_EN: 1
; COMPUTE_PGM_RSRC2:TGID_Y_EN: 0
; COMPUTE_PGM_RSRC2:TGID_Z_EN: 0
; COMPUTE_PGM_RSRC2:TIDIG_COMP_CNT: 0
	.section	.text._ZN7rocprim17ROCPRIM_400000_NS6detail17trampoline_kernelINS0_14default_configENS1_27lower_bound_config_selectorIslEEZNS1_14transform_implILb0ES3_S5_N6thrust23THRUST_200600_302600_NS6detail15normal_iteratorINS8_7pointerIsNS8_11hip_rocprim5par_tENS8_11use_defaultESE_EEEENSA_INSB_IlSD_SE_SE_EEEEZNS1_13binary_searchIS3_S5_NSA_INS8_10device_ptrIsEEEESG_SI_NS1_21lower_bound_search_opENS9_16wrapped_functionINS8_6system6detail7generic6detail18binary_search_lessEbEEEE10hipError_tPvRmT1_T2_T3_mmT4_T5_P12ihipStream_tbEUlRKsE_EESV_SZ_S10_mS11_S14_bEUlT_E_NS1_11comp_targetILNS1_3genE9ELNS1_11target_archE1100ELNS1_3gpuE3ELNS1_3repE0EEENS1_30default_config_static_selectorELNS0_4arch9wavefront6targetE0EEEvSY_,"axG",@progbits,_ZN7rocprim17ROCPRIM_400000_NS6detail17trampoline_kernelINS0_14default_configENS1_27lower_bound_config_selectorIslEEZNS1_14transform_implILb0ES3_S5_N6thrust23THRUST_200600_302600_NS6detail15normal_iteratorINS8_7pointerIsNS8_11hip_rocprim5par_tENS8_11use_defaultESE_EEEENSA_INSB_IlSD_SE_SE_EEEEZNS1_13binary_searchIS3_S5_NSA_INS8_10device_ptrIsEEEESG_SI_NS1_21lower_bound_search_opENS9_16wrapped_functionINS8_6system6detail7generic6detail18binary_search_lessEbEEEE10hipError_tPvRmT1_T2_T3_mmT4_T5_P12ihipStream_tbEUlRKsE_EESV_SZ_S10_mS11_S14_bEUlT_E_NS1_11comp_targetILNS1_3genE9ELNS1_11target_archE1100ELNS1_3gpuE3ELNS1_3repE0EEENS1_30default_config_static_selectorELNS0_4arch9wavefront6targetE0EEEvSY_,comdat
	.protected	_ZN7rocprim17ROCPRIM_400000_NS6detail17trampoline_kernelINS0_14default_configENS1_27lower_bound_config_selectorIslEEZNS1_14transform_implILb0ES3_S5_N6thrust23THRUST_200600_302600_NS6detail15normal_iteratorINS8_7pointerIsNS8_11hip_rocprim5par_tENS8_11use_defaultESE_EEEENSA_INSB_IlSD_SE_SE_EEEEZNS1_13binary_searchIS3_S5_NSA_INS8_10device_ptrIsEEEESG_SI_NS1_21lower_bound_search_opENS9_16wrapped_functionINS8_6system6detail7generic6detail18binary_search_lessEbEEEE10hipError_tPvRmT1_T2_T3_mmT4_T5_P12ihipStream_tbEUlRKsE_EESV_SZ_S10_mS11_S14_bEUlT_E_NS1_11comp_targetILNS1_3genE9ELNS1_11target_archE1100ELNS1_3gpuE3ELNS1_3repE0EEENS1_30default_config_static_selectorELNS0_4arch9wavefront6targetE0EEEvSY_ ; -- Begin function _ZN7rocprim17ROCPRIM_400000_NS6detail17trampoline_kernelINS0_14default_configENS1_27lower_bound_config_selectorIslEEZNS1_14transform_implILb0ES3_S5_N6thrust23THRUST_200600_302600_NS6detail15normal_iteratorINS8_7pointerIsNS8_11hip_rocprim5par_tENS8_11use_defaultESE_EEEENSA_INSB_IlSD_SE_SE_EEEEZNS1_13binary_searchIS3_S5_NSA_INS8_10device_ptrIsEEEESG_SI_NS1_21lower_bound_search_opENS9_16wrapped_functionINS8_6system6detail7generic6detail18binary_search_lessEbEEEE10hipError_tPvRmT1_T2_T3_mmT4_T5_P12ihipStream_tbEUlRKsE_EESV_SZ_S10_mS11_S14_bEUlT_E_NS1_11comp_targetILNS1_3genE9ELNS1_11target_archE1100ELNS1_3gpuE3ELNS1_3repE0EEENS1_30default_config_static_selectorELNS0_4arch9wavefront6targetE0EEEvSY_
	.globl	_ZN7rocprim17ROCPRIM_400000_NS6detail17trampoline_kernelINS0_14default_configENS1_27lower_bound_config_selectorIslEEZNS1_14transform_implILb0ES3_S5_N6thrust23THRUST_200600_302600_NS6detail15normal_iteratorINS8_7pointerIsNS8_11hip_rocprim5par_tENS8_11use_defaultESE_EEEENSA_INSB_IlSD_SE_SE_EEEEZNS1_13binary_searchIS3_S5_NSA_INS8_10device_ptrIsEEEESG_SI_NS1_21lower_bound_search_opENS9_16wrapped_functionINS8_6system6detail7generic6detail18binary_search_lessEbEEEE10hipError_tPvRmT1_T2_T3_mmT4_T5_P12ihipStream_tbEUlRKsE_EESV_SZ_S10_mS11_S14_bEUlT_E_NS1_11comp_targetILNS1_3genE9ELNS1_11target_archE1100ELNS1_3gpuE3ELNS1_3repE0EEENS1_30default_config_static_selectorELNS0_4arch9wavefront6targetE0EEEvSY_
	.p2align	8
	.type	_ZN7rocprim17ROCPRIM_400000_NS6detail17trampoline_kernelINS0_14default_configENS1_27lower_bound_config_selectorIslEEZNS1_14transform_implILb0ES3_S5_N6thrust23THRUST_200600_302600_NS6detail15normal_iteratorINS8_7pointerIsNS8_11hip_rocprim5par_tENS8_11use_defaultESE_EEEENSA_INSB_IlSD_SE_SE_EEEEZNS1_13binary_searchIS3_S5_NSA_INS8_10device_ptrIsEEEESG_SI_NS1_21lower_bound_search_opENS9_16wrapped_functionINS8_6system6detail7generic6detail18binary_search_lessEbEEEE10hipError_tPvRmT1_T2_T3_mmT4_T5_P12ihipStream_tbEUlRKsE_EESV_SZ_S10_mS11_S14_bEUlT_E_NS1_11comp_targetILNS1_3genE9ELNS1_11target_archE1100ELNS1_3gpuE3ELNS1_3repE0EEENS1_30default_config_static_selectorELNS0_4arch9wavefront6targetE0EEEvSY_,@function
_ZN7rocprim17ROCPRIM_400000_NS6detail17trampoline_kernelINS0_14default_configENS1_27lower_bound_config_selectorIslEEZNS1_14transform_implILb0ES3_S5_N6thrust23THRUST_200600_302600_NS6detail15normal_iteratorINS8_7pointerIsNS8_11hip_rocprim5par_tENS8_11use_defaultESE_EEEENSA_INSB_IlSD_SE_SE_EEEEZNS1_13binary_searchIS3_S5_NSA_INS8_10device_ptrIsEEEESG_SI_NS1_21lower_bound_search_opENS9_16wrapped_functionINS8_6system6detail7generic6detail18binary_search_lessEbEEEE10hipError_tPvRmT1_T2_T3_mmT4_T5_P12ihipStream_tbEUlRKsE_EESV_SZ_S10_mS11_S14_bEUlT_E_NS1_11comp_targetILNS1_3genE9ELNS1_11target_archE1100ELNS1_3gpuE3ELNS1_3repE0EEENS1_30default_config_static_selectorELNS0_4arch9wavefront6targetE0EEEvSY_: ; @_ZN7rocprim17ROCPRIM_400000_NS6detail17trampoline_kernelINS0_14default_configENS1_27lower_bound_config_selectorIslEEZNS1_14transform_implILb0ES3_S5_N6thrust23THRUST_200600_302600_NS6detail15normal_iteratorINS8_7pointerIsNS8_11hip_rocprim5par_tENS8_11use_defaultESE_EEEENSA_INSB_IlSD_SE_SE_EEEEZNS1_13binary_searchIS3_S5_NSA_INS8_10device_ptrIsEEEESG_SI_NS1_21lower_bound_search_opENS9_16wrapped_functionINS8_6system6detail7generic6detail18binary_search_lessEbEEEE10hipError_tPvRmT1_T2_T3_mmT4_T5_P12ihipStream_tbEUlRKsE_EESV_SZ_S10_mS11_S14_bEUlT_E_NS1_11comp_targetILNS1_3genE9ELNS1_11target_archE1100ELNS1_3gpuE3ELNS1_3repE0EEENS1_30default_config_static_selectorELNS0_4arch9wavefront6targetE0EEEvSY_
; %bb.0:
	.section	.rodata,"a",@progbits
	.p2align	6, 0x0
	.amdhsa_kernel _ZN7rocprim17ROCPRIM_400000_NS6detail17trampoline_kernelINS0_14default_configENS1_27lower_bound_config_selectorIslEEZNS1_14transform_implILb0ES3_S5_N6thrust23THRUST_200600_302600_NS6detail15normal_iteratorINS8_7pointerIsNS8_11hip_rocprim5par_tENS8_11use_defaultESE_EEEENSA_INSB_IlSD_SE_SE_EEEEZNS1_13binary_searchIS3_S5_NSA_INS8_10device_ptrIsEEEESG_SI_NS1_21lower_bound_search_opENS9_16wrapped_functionINS8_6system6detail7generic6detail18binary_search_lessEbEEEE10hipError_tPvRmT1_T2_T3_mmT4_T5_P12ihipStream_tbEUlRKsE_EESV_SZ_S10_mS11_S14_bEUlT_E_NS1_11comp_targetILNS1_3genE9ELNS1_11target_archE1100ELNS1_3gpuE3ELNS1_3repE0EEENS1_30default_config_static_selectorELNS0_4arch9wavefront6targetE0EEEvSY_
		.amdhsa_group_segment_fixed_size 0
		.amdhsa_private_segment_fixed_size 0
		.amdhsa_kernarg_size 56
		.amdhsa_user_sgpr_count 6
		.amdhsa_user_sgpr_private_segment_buffer 1
		.amdhsa_user_sgpr_dispatch_ptr 0
		.amdhsa_user_sgpr_queue_ptr 0
		.amdhsa_user_sgpr_kernarg_segment_ptr 1
		.amdhsa_user_sgpr_dispatch_id 0
		.amdhsa_user_sgpr_flat_scratch_init 0
		.amdhsa_user_sgpr_private_segment_size 0
		.amdhsa_wavefront_size32 1
		.amdhsa_uses_dynamic_stack 0
		.amdhsa_system_sgpr_private_segment_wavefront_offset 0
		.amdhsa_system_sgpr_workgroup_id_x 1
		.amdhsa_system_sgpr_workgroup_id_y 0
		.amdhsa_system_sgpr_workgroup_id_z 0
		.amdhsa_system_sgpr_workgroup_info 0
		.amdhsa_system_vgpr_workitem_id 0
		.amdhsa_next_free_vgpr 1
		.amdhsa_next_free_sgpr 1
		.amdhsa_reserve_vcc 0
		.amdhsa_reserve_flat_scratch 0
		.amdhsa_float_round_mode_32 0
		.amdhsa_float_round_mode_16_64 0
		.amdhsa_float_denorm_mode_32 3
		.amdhsa_float_denorm_mode_16_64 3
		.amdhsa_dx10_clamp 1
		.amdhsa_ieee_mode 1
		.amdhsa_fp16_overflow 0
		.amdhsa_workgroup_processor_mode 1
		.amdhsa_memory_ordered 1
		.amdhsa_forward_progress 1
		.amdhsa_shared_vgpr_count 0
		.amdhsa_exception_fp_ieee_invalid_op 0
		.amdhsa_exception_fp_denorm_src 0
		.amdhsa_exception_fp_ieee_div_zero 0
		.amdhsa_exception_fp_ieee_overflow 0
		.amdhsa_exception_fp_ieee_underflow 0
		.amdhsa_exception_fp_ieee_inexact 0
		.amdhsa_exception_int_div_zero 0
	.end_amdhsa_kernel
	.section	.text._ZN7rocprim17ROCPRIM_400000_NS6detail17trampoline_kernelINS0_14default_configENS1_27lower_bound_config_selectorIslEEZNS1_14transform_implILb0ES3_S5_N6thrust23THRUST_200600_302600_NS6detail15normal_iteratorINS8_7pointerIsNS8_11hip_rocprim5par_tENS8_11use_defaultESE_EEEENSA_INSB_IlSD_SE_SE_EEEEZNS1_13binary_searchIS3_S5_NSA_INS8_10device_ptrIsEEEESG_SI_NS1_21lower_bound_search_opENS9_16wrapped_functionINS8_6system6detail7generic6detail18binary_search_lessEbEEEE10hipError_tPvRmT1_T2_T3_mmT4_T5_P12ihipStream_tbEUlRKsE_EESV_SZ_S10_mS11_S14_bEUlT_E_NS1_11comp_targetILNS1_3genE9ELNS1_11target_archE1100ELNS1_3gpuE3ELNS1_3repE0EEENS1_30default_config_static_selectorELNS0_4arch9wavefront6targetE0EEEvSY_,"axG",@progbits,_ZN7rocprim17ROCPRIM_400000_NS6detail17trampoline_kernelINS0_14default_configENS1_27lower_bound_config_selectorIslEEZNS1_14transform_implILb0ES3_S5_N6thrust23THRUST_200600_302600_NS6detail15normal_iteratorINS8_7pointerIsNS8_11hip_rocprim5par_tENS8_11use_defaultESE_EEEENSA_INSB_IlSD_SE_SE_EEEEZNS1_13binary_searchIS3_S5_NSA_INS8_10device_ptrIsEEEESG_SI_NS1_21lower_bound_search_opENS9_16wrapped_functionINS8_6system6detail7generic6detail18binary_search_lessEbEEEE10hipError_tPvRmT1_T2_T3_mmT4_T5_P12ihipStream_tbEUlRKsE_EESV_SZ_S10_mS11_S14_bEUlT_E_NS1_11comp_targetILNS1_3genE9ELNS1_11target_archE1100ELNS1_3gpuE3ELNS1_3repE0EEENS1_30default_config_static_selectorELNS0_4arch9wavefront6targetE0EEEvSY_,comdat
.Lfunc_end419:
	.size	_ZN7rocprim17ROCPRIM_400000_NS6detail17trampoline_kernelINS0_14default_configENS1_27lower_bound_config_selectorIslEEZNS1_14transform_implILb0ES3_S5_N6thrust23THRUST_200600_302600_NS6detail15normal_iteratorINS8_7pointerIsNS8_11hip_rocprim5par_tENS8_11use_defaultESE_EEEENSA_INSB_IlSD_SE_SE_EEEEZNS1_13binary_searchIS3_S5_NSA_INS8_10device_ptrIsEEEESG_SI_NS1_21lower_bound_search_opENS9_16wrapped_functionINS8_6system6detail7generic6detail18binary_search_lessEbEEEE10hipError_tPvRmT1_T2_T3_mmT4_T5_P12ihipStream_tbEUlRKsE_EESV_SZ_S10_mS11_S14_bEUlT_E_NS1_11comp_targetILNS1_3genE9ELNS1_11target_archE1100ELNS1_3gpuE3ELNS1_3repE0EEENS1_30default_config_static_selectorELNS0_4arch9wavefront6targetE0EEEvSY_, .Lfunc_end419-_ZN7rocprim17ROCPRIM_400000_NS6detail17trampoline_kernelINS0_14default_configENS1_27lower_bound_config_selectorIslEEZNS1_14transform_implILb0ES3_S5_N6thrust23THRUST_200600_302600_NS6detail15normal_iteratorINS8_7pointerIsNS8_11hip_rocprim5par_tENS8_11use_defaultESE_EEEENSA_INSB_IlSD_SE_SE_EEEEZNS1_13binary_searchIS3_S5_NSA_INS8_10device_ptrIsEEEESG_SI_NS1_21lower_bound_search_opENS9_16wrapped_functionINS8_6system6detail7generic6detail18binary_search_lessEbEEEE10hipError_tPvRmT1_T2_T3_mmT4_T5_P12ihipStream_tbEUlRKsE_EESV_SZ_S10_mS11_S14_bEUlT_E_NS1_11comp_targetILNS1_3genE9ELNS1_11target_archE1100ELNS1_3gpuE3ELNS1_3repE0EEENS1_30default_config_static_selectorELNS0_4arch9wavefront6targetE0EEEvSY_
                                        ; -- End function
	.set _ZN7rocprim17ROCPRIM_400000_NS6detail17trampoline_kernelINS0_14default_configENS1_27lower_bound_config_selectorIslEEZNS1_14transform_implILb0ES3_S5_N6thrust23THRUST_200600_302600_NS6detail15normal_iteratorINS8_7pointerIsNS8_11hip_rocprim5par_tENS8_11use_defaultESE_EEEENSA_INSB_IlSD_SE_SE_EEEEZNS1_13binary_searchIS3_S5_NSA_INS8_10device_ptrIsEEEESG_SI_NS1_21lower_bound_search_opENS9_16wrapped_functionINS8_6system6detail7generic6detail18binary_search_lessEbEEEE10hipError_tPvRmT1_T2_T3_mmT4_T5_P12ihipStream_tbEUlRKsE_EESV_SZ_S10_mS11_S14_bEUlT_E_NS1_11comp_targetILNS1_3genE9ELNS1_11target_archE1100ELNS1_3gpuE3ELNS1_3repE0EEENS1_30default_config_static_selectorELNS0_4arch9wavefront6targetE0EEEvSY_.num_vgpr, 0
	.set _ZN7rocprim17ROCPRIM_400000_NS6detail17trampoline_kernelINS0_14default_configENS1_27lower_bound_config_selectorIslEEZNS1_14transform_implILb0ES3_S5_N6thrust23THRUST_200600_302600_NS6detail15normal_iteratorINS8_7pointerIsNS8_11hip_rocprim5par_tENS8_11use_defaultESE_EEEENSA_INSB_IlSD_SE_SE_EEEEZNS1_13binary_searchIS3_S5_NSA_INS8_10device_ptrIsEEEESG_SI_NS1_21lower_bound_search_opENS9_16wrapped_functionINS8_6system6detail7generic6detail18binary_search_lessEbEEEE10hipError_tPvRmT1_T2_T3_mmT4_T5_P12ihipStream_tbEUlRKsE_EESV_SZ_S10_mS11_S14_bEUlT_E_NS1_11comp_targetILNS1_3genE9ELNS1_11target_archE1100ELNS1_3gpuE3ELNS1_3repE0EEENS1_30default_config_static_selectorELNS0_4arch9wavefront6targetE0EEEvSY_.num_agpr, 0
	.set _ZN7rocprim17ROCPRIM_400000_NS6detail17trampoline_kernelINS0_14default_configENS1_27lower_bound_config_selectorIslEEZNS1_14transform_implILb0ES3_S5_N6thrust23THRUST_200600_302600_NS6detail15normal_iteratorINS8_7pointerIsNS8_11hip_rocprim5par_tENS8_11use_defaultESE_EEEENSA_INSB_IlSD_SE_SE_EEEEZNS1_13binary_searchIS3_S5_NSA_INS8_10device_ptrIsEEEESG_SI_NS1_21lower_bound_search_opENS9_16wrapped_functionINS8_6system6detail7generic6detail18binary_search_lessEbEEEE10hipError_tPvRmT1_T2_T3_mmT4_T5_P12ihipStream_tbEUlRKsE_EESV_SZ_S10_mS11_S14_bEUlT_E_NS1_11comp_targetILNS1_3genE9ELNS1_11target_archE1100ELNS1_3gpuE3ELNS1_3repE0EEENS1_30default_config_static_selectorELNS0_4arch9wavefront6targetE0EEEvSY_.numbered_sgpr, 0
	.set _ZN7rocprim17ROCPRIM_400000_NS6detail17trampoline_kernelINS0_14default_configENS1_27lower_bound_config_selectorIslEEZNS1_14transform_implILb0ES3_S5_N6thrust23THRUST_200600_302600_NS6detail15normal_iteratorINS8_7pointerIsNS8_11hip_rocprim5par_tENS8_11use_defaultESE_EEEENSA_INSB_IlSD_SE_SE_EEEEZNS1_13binary_searchIS3_S5_NSA_INS8_10device_ptrIsEEEESG_SI_NS1_21lower_bound_search_opENS9_16wrapped_functionINS8_6system6detail7generic6detail18binary_search_lessEbEEEE10hipError_tPvRmT1_T2_T3_mmT4_T5_P12ihipStream_tbEUlRKsE_EESV_SZ_S10_mS11_S14_bEUlT_E_NS1_11comp_targetILNS1_3genE9ELNS1_11target_archE1100ELNS1_3gpuE3ELNS1_3repE0EEENS1_30default_config_static_selectorELNS0_4arch9wavefront6targetE0EEEvSY_.num_named_barrier, 0
	.set _ZN7rocprim17ROCPRIM_400000_NS6detail17trampoline_kernelINS0_14default_configENS1_27lower_bound_config_selectorIslEEZNS1_14transform_implILb0ES3_S5_N6thrust23THRUST_200600_302600_NS6detail15normal_iteratorINS8_7pointerIsNS8_11hip_rocprim5par_tENS8_11use_defaultESE_EEEENSA_INSB_IlSD_SE_SE_EEEEZNS1_13binary_searchIS3_S5_NSA_INS8_10device_ptrIsEEEESG_SI_NS1_21lower_bound_search_opENS9_16wrapped_functionINS8_6system6detail7generic6detail18binary_search_lessEbEEEE10hipError_tPvRmT1_T2_T3_mmT4_T5_P12ihipStream_tbEUlRKsE_EESV_SZ_S10_mS11_S14_bEUlT_E_NS1_11comp_targetILNS1_3genE9ELNS1_11target_archE1100ELNS1_3gpuE3ELNS1_3repE0EEENS1_30default_config_static_selectorELNS0_4arch9wavefront6targetE0EEEvSY_.private_seg_size, 0
	.set _ZN7rocprim17ROCPRIM_400000_NS6detail17trampoline_kernelINS0_14default_configENS1_27lower_bound_config_selectorIslEEZNS1_14transform_implILb0ES3_S5_N6thrust23THRUST_200600_302600_NS6detail15normal_iteratorINS8_7pointerIsNS8_11hip_rocprim5par_tENS8_11use_defaultESE_EEEENSA_INSB_IlSD_SE_SE_EEEEZNS1_13binary_searchIS3_S5_NSA_INS8_10device_ptrIsEEEESG_SI_NS1_21lower_bound_search_opENS9_16wrapped_functionINS8_6system6detail7generic6detail18binary_search_lessEbEEEE10hipError_tPvRmT1_T2_T3_mmT4_T5_P12ihipStream_tbEUlRKsE_EESV_SZ_S10_mS11_S14_bEUlT_E_NS1_11comp_targetILNS1_3genE9ELNS1_11target_archE1100ELNS1_3gpuE3ELNS1_3repE0EEENS1_30default_config_static_selectorELNS0_4arch9wavefront6targetE0EEEvSY_.uses_vcc, 0
	.set _ZN7rocprim17ROCPRIM_400000_NS6detail17trampoline_kernelINS0_14default_configENS1_27lower_bound_config_selectorIslEEZNS1_14transform_implILb0ES3_S5_N6thrust23THRUST_200600_302600_NS6detail15normal_iteratorINS8_7pointerIsNS8_11hip_rocprim5par_tENS8_11use_defaultESE_EEEENSA_INSB_IlSD_SE_SE_EEEEZNS1_13binary_searchIS3_S5_NSA_INS8_10device_ptrIsEEEESG_SI_NS1_21lower_bound_search_opENS9_16wrapped_functionINS8_6system6detail7generic6detail18binary_search_lessEbEEEE10hipError_tPvRmT1_T2_T3_mmT4_T5_P12ihipStream_tbEUlRKsE_EESV_SZ_S10_mS11_S14_bEUlT_E_NS1_11comp_targetILNS1_3genE9ELNS1_11target_archE1100ELNS1_3gpuE3ELNS1_3repE0EEENS1_30default_config_static_selectorELNS0_4arch9wavefront6targetE0EEEvSY_.uses_flat_scratch, 0
	.set _ZN7rocprim17ROCPRIM_400000_NS6detail17trampoline_kernelINS0_14default_configENS1_27lower_bound_config_selectorIslEEZNS1_14transform_implILb0ES3_S5_N6thrust23THRUST_200600_302600_NS6detail15normal_iteratorINS8_7pointerIsNS8_11hip_rocprim5par_tENS8_11use_defaultESE_EEEENSA_INSB_IlSD_SE_SE_EEEEZNS1_13binary_searchIS3_S5_NSA_INS8_10device_ptrIsEEEESG_SI_NS1_21lower_bound_search_opENS9_16wrapped_functionINS8_6system6detail7generic6detail18binary_search_lessEbEEEE10hipError_tPvRmT1_T2_T3_mmT4_T5_P12ihipStream_tbEUlRKsE_EESV_SZ_S10_mS11_S14_bEUlT_E_NS1_11comp_targetILNS1_3genE9ELNS1_11target_archE1100ELNS1_3gpuE3ELNS1_3repE0EEENS1_30default_config_static_selectorELNS0_4arch9wavefront6targetE0EEEvSY_.has_dyn_sized_stack, 0
	.set _ZN7rocprim17ROCPRIM_400000_NS6detail17trampoline_kernelINS0_14default_configENS1_27lower_bound_config_selectorIslEEZNS1_14transform_implILb0ES3_S5_N6thrust23THRUST_200600_302600_NS6detail15normal_iteratorINS8_7pointerIsNS8_11hip_rocprim5par_tENS8_11use_defaultESE_EEEENSA_INSB_IlSD_SE_SE_EEEEZNS1_13binary_searchIS3_S5_NSA_INS8_10device_ptrIsEEEESG_SI_NS1_21lower_bound_search_opENS9_16wrapped_functionINS8_6system6detail7generic6detail18binary_search_lessEbEEEE10hipError_tPvRmT1_T2_T3_mmT4_T5_P12ihipStream_tbEUlRKsE_EESV_SZ_S10_mS11_S14_bEUlT_E_NS1_11comp_targetILNS1_3genE9ELNS1_11target_archE1100ELNS1_3gpuE3ELNS1_3repE0EEENS1_30default_config_static_selectorELNS0_4arch9wavefront6targetE0EEEvSY_.has_recursion, 0
	.set _ZN7rocprim17ROCPRIM_400000_NS6detail17trampoline_kernelINS0_14default_configENS1_27lower_bound_config_selectorIslEEZNS1_14transform_implILb0ES3_S5_N6thrust23THRUST_200600_302600_NS6detail15normal_iteratorINS8_7pointerIsNS8_11hip_rocprim5par_tENS8_11use_defaultESE_EEEENSA_INSB_IlSD_SE_SE_EEEEZNS1_13binary_searchIS3_S5_NSA_INS8_10device_ptrIsEEEESG_SI_NS1_21lower_bound_search_opENS9_16wrapped_functionINS8_6system6detail7generic6detail18binary_search_lessEbEEEE10hipError_tPvRmT1_T2_T3_mmT4_T5_P12ihipStream_tbEUlRKsE_EESV_SZ_S10_mS11_S14_bEUlT_E_NS1_11comp_targetILNS1_3genE9ELNS1_11target_archE1100ELNS1_3gpuE3ELNS1_3repE0EEENS1_30default_config_static_selectorELNS0_4arch9wavefront6targetE0EEEvSY_.has_indirect_call, 0
	.section	.AMDGPU.csdata,"",@progbits
; Kernel info:
; codeLenInByte = 0
; TotalNumSgprs: 0
; NumVgprs: 0
; ScratchSize: 0
; MemoryBound: 0
; FloatMode: 240
; IeeeMode: 1
; LDSByteSize: 0 bytes/workgroup (compile time only)
; SGPRBlocks: 0
; VGPRBlocks: 0
; NumSGPRsForWavesPerEU: 1
; NumVGPRsForWavesPerEU: 1
; Occupancy: 16
; WaveLimiterHint : 0
; COMPUTE_PGM_RSRC2:SCRATCH_EN: 0
; COMPUTE_PGM_RSRC2:USER_SGPR: 6
; COMPUTE_PGM_RSRC2:TRAP_HANDLER: 0
; COMPUTE_PGM_RSRC2:TGID_X_EN: 1
; COMPUTE_PGM_RSRC2:TGID_Y_EN: 0
; COMPUTE_PGM_RSRC2:TGID_Z_EN: 0
; COMPUTE_PGM_RSRC2:TIDIG_COMP_CNT: 0
	.section	.text._ZN7rocprim17ROCPRIM_400000_NS6detail17trampoline_kernelINS0_14default_configENS1_27lower_bound_config_selectorIslEEZNS1_14transform_implILb0ES3_S5_N6thrust23THRUST_200600_302600_NS6detail15normal_iteratorINS8_7pointerIsNS8_11hip_rocprim5par_tENS8_11use_defaultESE_EEEENSA_INSB_IlSD_SE_SE_EEEEZNS1_13binary_searchIS3_S5_NSA_INS8_10device_ptrIsEEEESG_SI_NS1_21lower_bound_search_opENS9_16wrapped_functionINS8_6system6detail7generic6detail18binary_search_lessEbEEEE10hipError_tPvRmT1_T2_T3_mmT4_T5_P12ihipStream_tbEUlRKsE_EESV_SZ_S10_mS11_S14_bEUlT_E_NS1_11comp_targetILNS1_3genE8ELNS1_11target_archE1030ELNS1_3gpuE2ELNS1_3repE0EEENS1_30default_config_static_selectorELNS0_4arch9wavefront6targetE0EEEvSY_,"axG",@progbits,_ZN7rocprim17ROCPRIM_400000_NS6detail17trampoline_kernelINS0_14default_configENS1_27lower_bound_config_selectorIslEEZNS1_14transform_implILb0ES3_S5_N6thrust23THRUST_200600_302600_NS6detail15normal_iteratorINS8_7pointerIsNS8_11hip_rocprim5par_tENS8_11use_defaultESE_EEEENSA_INSB_IlSD_SE_SE_EEEEZNS1_13binary_searchIS3_S5_NSA_INS8_10device_ptrIsEEEESG_SI_NS1_21lower_bound_search_opENS9_16wrapped_functionINS8_6system6detail7generic6detail18binary_search_lessEbEEEE10hipError_tPvRmT1_T2_T3_mmT4_T5_P12ihipStream_tbEUlRKsE_EESV_SZ_S10_mS11_S14_bEUlT_E_NS1_11comp_targetILNS1_3genE8ELNS1_11target_archE1030ELNS1_3gpuE2ELNS1_3repE0EEENS1_30default_config_static_selectorELNS0_4arch9wavefront6targetE0EEEvSY_,comdat
	.protected	_ZN7rocprim17ROCPRIM_400000_NS6detail17trampoline_kernelINS0_14default_configENS1_27lower_bound_config_selectorIslEEZNS1_14transform_implILb0ES3_S5_N6thrust23THRUST_200600_302600_NS6detail15normal_iteratorINS8_7pointerIsNS8_11hip_rocprim5par_tENS8_11use_defaultESE_EEEENSA_INSB_IlSD_SE_SE_EEEEZNS1_13binary_searchIS3_S5_NSA_INS8_10device_ptrIsEEEESG_SI_NS1_21lower_bound_search_opENS9_16wrapped_functionINS8_6system6detail7generic6detail18binary_search_lessEbEEEE10hipError_tPvRmT1_T2_T3_mmT4_T5_P12ihipStream_tbEUlRKsE_EESV_SZ_S10_mS11_S14_bEUlT_E_NS1_11comp_targetILNS1_3genE8ELNS1_11target_archE1030ELNS1_3gpuE2ELNS1_3repE0EEENS1_30default_config_static_selectorELNS0_4arch9wavefront6targetE0EEEvSY_ ; -- Begin function _ZN7rocprim17ROCPRIM_400000_NS6detail17trampoline_kernelINS0_14default_configENS1_27lower_bound_config_selectorIslEEZNS1_14transform_implILb0ES3_S5_N6thrust23THRUST_200600_302600_NS6detail15normal_iteratorINS8_7pointerIsNS8_11hip_rocprim5par_tENS8_11use_defaultESE_EEEENSA_INSB_IlSD_SE_SE_EEEEZNS1_13binary_searchIS3_S5_NSA_INS8_10device_ptrIsEEEESG_SI_NS1_21lower_bound_search_opENS9_16wrapped_functionINS8_6system6detail7generic6detail18binary_search_lessEbEEEE10hipError_tPvRmT1_T2_T3_mmT4_T5_P12ihipStream_tbEUlRKsE_EESV_SZ_S10_mS11_S14_bEUlT_E_NS1_11comp_targetILNS1_3genE8ELNS1_11target_archE1030ELNS1_3gpuE2ELNS1_3repE0EEENS1_30default_config_static_selectorELNS0_4arch9wavefront6targetE0EEEvSY_
	.globl	_ZN7rocprim17ROCPRIM_400000_NS6detail17trampoline_kernelINS0_14default_configENS1_27lower_bound_config_selectorIslEEZNS1_14transform_implILb0ES3_S5_N6thrust23THRUST_200600_302600_NS6detail15normal_iteratorINS8_7pointerIsNS8_11hip_rocprim5par_tENS8_11use_defaultESE_EEEENSA_INSB_IlSD_SE_SE_EEEEZNS1_13binary_searchIS3_S5_NSA_INS8_10device_ptrIsEEEESG_SI_NS1_21lower_bound_search_opENS9_16wrapped_functionINS8_6system6detail7generic6detail18binary_search_lessEbEEEE10hipError_tPvRmT1_T2_T3_mmT4_T5_P12ihipStream_tbEUlRKsE_EESV_SZ_S10_mS11_S14_bEUlT_E_NS1_11comp_targetILNS1_3genE8ELNS1_11target_archE1030ELNS1_3gpuE2ELNS1_3repE0EEENS1_30default_config_static_selectorELNS0_4arch9wavefront6targetE0EEEvSY_
	.p2align	8
	.type	_ZN7rocprim17ROCPRIM_400000_NS6detail17trampoline_kernelINS0_14default_configENS1_27lower_bound_config_selectorIslEEZNS1_14transform_implILb0ES3_S5_N6thrust23THRUST_200600_302600_NS6detail15normal_iteratorINS8_7pointerIsNS8_11hip_rocprim5par_tENS8_11use_defaultESE_EEEENSA_INSB_IlSD_SE_SE_EEEEZNS1_13binary_searchIS3_S5_NSA_INS8_10device_ptrIsEEEESG_SI_NS1_21lower_bound_search_opENS9_16wrapped_functionINS8_6system6detail7generic6detail18binary_search_lessEbEEEE10hipError_tPvRmT1_T2_T3_mmT4_T5_P12ihipStream_tbEUlRKsE_EESV_SZ_S10_mS11_S14_bEUlT_E_NS1_11comp_targetILNS1_3genE8ELNS1_11target_archE1030ELNS1_3gpuE2ELNS1_3repE0EEENS1_30default_config_static_selectorELNS0_4arch9wavefront6targetE0EEEvSY_,@function
_ZN7rocprim17ROCPRIM_400000_NS6detail17trampoline_kernelINS0_14default_configENS1_27lower_bound_config_selectorIslEEZNS1_14transform_implILb0ES3_S5_N6thrust23THRUST_200600_302600_NS6detail15normal_iteratorINS8_7pointerIsNS8_11hip_rocprim5par_tENS8_11use_defaultESE_EEEENSA_INSB_IlSD_SE_SE_EEEEZNS1_13binary_searchIS3_S5_NSA_INS8_10device_ptrIsEEEESG_SI_NS1_21lower_bound_search_opENS9_16wrapped_functionINS8_6system6detail7generic6detail18binary_search_lessEbEEEE10hipError_tPvRmT1_T2_T3_mmT4_T5_P12ihipStream_tbEUlRKsE_EESV_SZ_S10_mS11_S14_bEUlT_E_NS1_11comp_targetILNS1_3genE8ELNS1_11target_archE1030ELNS1_3gpuE2ELNS1_3repE0EEENS1_30default_config_static_selectorELNS0_4arch9wavefront6targetE0EEEvSY_: ; @_ZN7rocprim17ROCPRIM_400000_NS6detail17trampoline_kernelINS0_14default_configENS1_27lower_bound_config_selectorIslEEZNS1_14transform_implILb0ES3_S5_N6thrust23THRUST_200600_302600_NS6detail15normal_iteratorINS8_7pointerIsNS8_11hip_rocprim5par_tENS8_11use_defaultESE_EEEENSA_INSB_IlSD_SE_SE_EEEEZNS1_13binary_searchIS3_S5_NSA_INS8_10device_ptrIsEEEESG_SI_NS1_21lower_bound_search_opENS9_16wrapped_functionINS8_6system6detail7generic6detail18binary_search_lessEbEEEE10hipError_tPvRmT1_T2_T3_mmT4_T5_P12ihipStream_tbEUlRKsE_EESV_SZ_S10_mS11_S14_bEUlT_E_NS1_11comp_targetILNS1_3genE8ELNS1_11target_archE1030ELNS1_3gpuE2ELNS1_3repE0EEENS1_30default_config_static_selectorELNS0_4arch9wavefront6targetE0EEEvSY_
; %bb.0:
	s_clause 0x2
	s_load_dwordx8 s[8:15], s[4:5], 0x0
	s_load_dword s2, s[4:5], 0x38
	s_load_dwordx4 s[16:19], s[4:5], 0x20
	s_mov_b32 s5, 0
	s_waitcnt lgkmcnt(0)
	s_lshl_b64 s[0:1], s[10:11], 1
	s_add_u32 s8, s8, s0
	s_addc_u32 s9, s9, s1
	s_lshl_b64 s[0:1], s[10:11], 3
	s_add_u32 s3, s14, s0
	s_addc_u32 s7, s15, s1
	s_lshl_b32 s4, s6, 9
	s_add_i32 s2, s2, -1
	s_lshl_b64 s[0:1], s[4:5], 1
	s_add_u32 s8, s8, s0
	s_addc_u32 s9, s9, s1
	s_cmp_lg_u32 s6, s2
	s_mov_b32 s0, -1
	s_cbranch_scc0 .LBB420_5
; %bb.1:
	v_lshlrev_b32_e32 v1, 1, v0
	s_cmp_lg_u64 s[18:19], 0
	v_add_co_u32 v1, s0, s8, v1
	v_add_co_ci_u32_e64 v2, null, s9, 0, s0
	s_cselect_b32 s0, -1, 0
	s_cmp_eq_u64 s[18:19], 0
	s_clause 0x2
	flat_load_ushort v7, v[1:2] offset:256
	flat_load_ushort v9, v[1:2] offset:512
	;; [unrolled: 1-line block ×3, first 2 shown]
	s_cbranch_scc1 .LBB420_6
; %bb.2:
	flat_load_ushort v5, v[1:2]
	v_mov_b32_e32 v1, 0
	v_mov_b32_e32 v3, s18
	;; [unrolled: 1-line block ×4, first 2 shown]
	s_mov_b32 s1, 0
	s_inst_prefetch 0x1
	.p2align	6
.LBB420_3:                              ; =>This Inner Loop Header: Depth=1
	v_sub_co_u32 v12, vcc_lo, v3, v1
	v_sub_co_ci_u32_e64 v13, null, v4, v2, vcc_lo
	v_lshrrev_b64 v[14:15], 1, v[12:13]
	v_lshrrev_b64 v[12:13], 6, v[12:13]
	v_add_co_u32 v6, vcc_lo, v14, v1
	v_add_co_ci_u32_e64 v8, null, v15, v2, vcc_lo
	v_add_co_u32 v12, vcc_lo, v6, v12
	v_add_co_ci_u32_e64 v13, null, v8, v13, vcc_lo
	v_lshlrev_b64 v[14:15], 1, v[12:13]
	v_add_co_u32 v14, vcc_lo, s16, v14
	v_add_co_ci_u32_e64 v15, null, s17, v15, vcc_lo
	v_add_co_u32 v8, vcc_lo, v12, 1
	v_add_co_ci_u32_e64 v10, null, 0, v13, vcc_lo
	global_load_ushort v6, v[14:15], off
	s_waitcnt vmcnt(0) lgkmcnt(0)
	v_cmp_lt_i16_e32 vcc_lo, v6, v5
	v_cndmask_b32_e32 v4, v13, v4, vcc_lo
	v_cndmask_b32_e32 v3, v12, v3, vcc_lo
	;; [unrolled: 1-line block ×4, first 2 shown]
	v_cmp_ge_u64_e32 vcc_lo, v[1:2], v[3:4]
	s_or_b32 s1, vcc_lo, s1
	s_andn2_b32 exec_lo, exec_lo, s1
	s_cbranch_execnz .LBB420_3
; %bb.4:
	s_inst_prefetch 0x2
	s_or_b32 exec_lo, exec_lo, s1
	s_branch .LBB420_7
.LBB420_5:
	s_mov_b32 s6, s5
                                        ; implicit-def: $vgpr7_vgpr8
                                        ; implicit-def: $vgpr11_vgpr12
	s_and_b32 vcc_lo, exec_lo, s0
	s_cbranch_vccnz .LBB420_20
	s_branch .LBB420_53
.LBB420_6:
	v_mov_b32_e32 v1, 0
	v_mov_b32_e32 v2, 0
.LBB420_7:
	v_mov_b32_e32 v3, 0
	v_cndmask_b32_e64 v10, 0, 1, s0
	v_mov_b32_e32 v4, 0
	s_andn2_b32 vcc_lo, exec_lo, s0
	s_cbranch_vccnz .LBB420_11
; %bb.8:
	v_mov_b32_e32 v5, s18
	v_mov_b32_e32 v6, s19
	s_mov_b32 s0, 0
	s_inst_prefetch 0x1
	.p2align	6
.LBB420_9:                              ; =>This Inner Loop Header: Depth=1
	v_sub_co_u32 v12, vcc_lo, v5, v3
	v_sub_co_ci_u32_e64 v13, null, v6, v4, vcc_lo
	v_lshrrev_b64 v[14:15], 1, v[12:13]
	v_lshrrev_b64 v[12:13], 6, v[12:13]
	v_add_co_u32 v8, vcc_lo, v14, v3
	v_add_co_ci_u32_e64 v14, null, v15, v4, vcc_lo
	v_add_co_u32 v12, vcc_lo, v8, v12
	v_add_co_ci_u32_e64 v13, null, v14, v13, vcc_lo
	v_lshlrev_b64 v[14:15], 1, v[12:13]
	v_add_co_u32 v14, vcc_lo, s16, v14
	v_add_co_ci_u32_e64 v15, null, s17, v15, vcc_lo
	global_load_ushort v8, v[14:15], off
	v_add_co_u32 v14, vcc_lo, v12, 1
	v_add_co_ci_u32_e64 v15, null, 0, v13, vcc_lo
	s_waitcnt vmcnt(0) lgkmcnt(2)
	v_cmp_lt_i16_e32 vcc_lo, v8, v7
	v_cndmask_b32_e32 v6, v13, v6, vcc_lo
	v_cndmask_b32_e32 v5, v12, v5, vcc_lo
	;; [unrolled: 1-line block ×4, first 2 shown]
	v_cmp_ge_u64_e32 vcc_lo, v[3:4], v[5:6]
	s_or_b32 s0, vcc_lo, s0
	s_andn2_b32 exec_lo, exec_lo, s0
	s_cbranch_execnz .LBB420_9
; %bb.10:
	s_inst_prefetch 0x2
	s_or_b32 exec_lo, exec_lo, s0
.LBB420_11:
	v_cmp_ne_u32_e32 vcc_lo, 1, v10
	v_mov_b32_e32 v5, 0
	v_mov_b32_e32 v6, 0
	s_cbranch_vccnz .LBB420_15
; %bb.12:
	s_waitcnt vmcnt(2) lgkmcnt(2)
	v_mov_b32_e32 v7, s18
	v_mov_b32_e32 v8, s19
	s_mov_b32 s0, 0
	s_inst_prefetch 0x1
	.p2align	6
.LBB420_13:                             ; =>This Inner Loop Header: Depth=1
	v_sub_co_u32 v12, vcc_lo, v7, v5
	v_sub_co_ci_u32_e64 v13, null, v8, v6, vcc_lo
	v_lshrrev_b64 v[14:15], 1, v[12:13]
	v_lshrrev_b64 v[12:13], 6, v[12:13]
	v_add_co_u32 v14, vcc_lo, v14, v5
	v_add_co_ci_u32_e64 v15, null, v15, v6, vcc_lo
	v_add_co_u32 v12, vcc_lo, v14, v12
	v_add_co_ci_u32_e64 v13, null, v15, v13, vcc_lo
	v_lshlrev_b64 v[14:15], 1, v[12:13]
	v_add_co_u32 v14, vcc_lo, s16, v14
	v_add_co_ci_u32_e64 v15, null, s17, v15, vcc_lo
	global_load_ushort v14, v[14:15], off
	v_add_co_u32 v15, vcc_lo, v12, 1
	v_add_co_ci_u32_e64 v16, null, 0, v13, vcc_lo
	s_waitcnt vmcnt(0) lgkmcnt(1)
	v_cmp_lt_i16_e32 vcc_lo, v14, v9
	v_cndmask_b32_e32 v8, v13, v8, vcc_lo
	v_cndmask_b32_e32 v7, v12, v7, vcc_lo
	;; [unrolled: 1-line block ×4, first 2 shown]
	v_cmp_ge_u64_e32 vcc_lo, v[5:6], v[7:8]
	s_or_b32 s0, vcc_lo, s0
	s_andn2_b32 exec_lo, exec_lo, s0
	s_cbranch_execnz .LBB420_13
; %bb.14:
	s_inst_prefetch 0x2
	s_or_b32 exec_lo, exec_lo, s0
.LBB420_15:
	v_cmp_ne_u32_e32 vcc_lo, 1, v10
	s_waitcnt vmcnt(2) lgkmcnt(2)
	v_mov_b32_e32 v7, 0
	v_mov_b32_e32 v8, 0
	s_cbranch_vccnz .LBB420_19
; %bb.16:
	s_waitcnt vmcnt(1) lgkmcnt(1)
	v_mov_b32_e32 v9, s18
	v_mov_b32_e32 v10, s19
	s_mov_b32 s0, 0
	s_inst_prefetch 0x1
	.p2align	6
.LBB420_17:                             ; =>This Inner Loop Header: Depth=1
	v_sub_co_u32 v12, vcc_lo, v9, v7
	v_sub_co_ci_u32_e64 v13, null, v10, v8, vcc_lo
	v_lshrrev_b64 v[14:15], 1, v[12:13]
	v_lshrrev_b64 v[12:13], 6, v[12:13]
	v_add_co_u32 v14, vcc_lo, v14, v7
	v_add_co_ci_u32_e64 v15, null, v15, v8, vcc_lo
	v_add_co_u32 v12, vcc_lo, v14, v12
	v_add_co_ci_u32_e64 v13, null, v15, v13, vcc_lo
	v_lshlrev_b64 v[14:15], 1, v[12:13]
	v_add_co_u32 v14, vcc_lo, s16, v14
	v_add_co_ci_u32_e64 v15, null, s17, v15, vcc_lo
	global_load_ushort v14, v[14:15], off
	v_add_co_u32 v15, vcc_lo, v12, 1
	v_add_co_ci_u32_e64 v16, null, 0, v13, vcc_lo
	s_waitcnt vmcnt(0) lgkmcnt(0)
	v_cmp_lt_i16_e32 vcc_lo, v14, v11
	v_cndmask_b32_e32 v10, v13, v10, vcc_lo
	v_cndmask_b32_e32 v9, v12, v9, vcc_lo
	;; [unrolled: 1-line block ×4, first 2 shown]
	v_cmp_ge_u64_e32 vcc_lo, v[7:8], v[9:10]
	s_or_b32 s0, vcc_lo, s0
	s_andn2_b32 exec_lo, exec_lo, s0
	s_cbranch_execnz .LBB420_17
; %bb.18:
	s_inst_prefetch 0x2
	s_or_b32 exec_lo, exec_lo, s0
.LBB420_19:
	s_waitcnt vmcnt(1) lgkmcnt(1)
	v_lshlrev_b32_e32 v9, 3, v0
	s_lshl_b64 s[0:1], s[4:5], 3
	s_mov_b32 s6, -1
	s_add_u32 s0, s3, s0
	s_addc_u32 s1, s7, s1
	s_waitcnt vmcnt(0) lgkmcnt(0)
	v_add_co_u32 v11, s0, s0, v9
	v_add_co_ci_u32_e64 v12, null, s1, 0, s0
	v_add_co_u32 v9, vcc_lo, 0x800, v11
	v_add_co_ci_u32_e64 v10, null, 0, v12, vcc_lo
	flat_store_dwordx2 v[11:12], v[1:2]
	flat_store_dwordx2 v[11:12], v[3:4] offset:1024
	flat_store_dwordx2 v[9:10], v[5:6]
	s_branch .LBB420_53
.LBB420_20:
	v_mov_b32_e32 v1, 0
	s_sub_i32 s6, s12, s4
	v_cmp_gt_u32_e64 s0, s6, v0
	v_mov_b32_e32 v2, v1
	s_and_saveexec_b32 s1, s0
	s_cbranch_execz .LBB420_22
; %bb.21:
	v_lshlrev_b32_e32 v2, 1, v0
	v_mov_b32_e32 v4, v1
	v_mov_b32_e32 v5, v1
	v_add_co_u32 v2, s2, s8, v2
	v_add_co_ci_u32_e64 v3, null, s9, 0, s2
	flat_load_short_d16 v4, v[2:3]
	s_waitcnt vmcnt(0) lgkmcnt(0)
	v_mov_b32_e32 v1, v4
	v_mov_b32_e32 v2, v5
.LBB420_22:
	s_or_b32 exec_lo, exec_lo, s1
	v_or_b32_e32 v3, 0x80, v0
	v_cmp_gt_u32_e64 s1, s6, v3
	s_and_saveexec_b32 s2, s1
	s_cbranch_execz .LBB420_24
; %bb.23:
	v_lshlrev_b32_e32 v3, 1, v0
	v_add_co_u32 v3, s10, s8, v3
	v_add_co_ci_u32_e64 v4, null, s9, 0, s10
	flat_load_short_d16_hi v1, v[3:4] offset:256
.LBB420_24:
	s_or_b32 exec_lo, exec_lo, s2
	v_or_b32_e32 v3, 0x100, v0
	v_cmp_gt_u32_e64 s2, s6, v3
	s_and_saveexec_b32 s10, s2
	s_cbranch_execz .LBB420_26
; %bb.25:
	v_lshlrev_b32_e32 v3, 1, v0
	v_add_co_u32 v3, s11, s8, v3
	v_add_co_ci_u32_e64 v4, null, s9, 0, s11
	flat_load_short_d16 v2, v[3:4] offset:512
.LBB420_26:
	s_or_b32 exec_lo, exec_lo, s10
	v_or_b32_e32 v3, 0x180, v0
	v_cmp_gt_u32_e64 s6, s6, v3
	s_and_saveexec_b32 s10, s6
	s_cbranch_execz .LBB420_28
; %bb.27:
	v_lshlrev_b32_e32 v3, 1, v0
	v_add_co_u32 v3, s8, s8, v3
	v_add_co_ci_u32_e64 v4, null, s9, 0, s8
	s_waitcnt vmcnt(0) lgkmcnt(0)
	flat_load_short_d16_hi v2, v[3:4] offset:768
.LBB420_28:
	s_or_b32 exec_lo, exec_lo, s10
	s_cmp_lg_u64 s[18:19], 0
                                        ; implicit-def: $vgpr3_vgpr4
	s_cselect_b32 s8, -1, 0
	s_and_saveexec_b32 s9, s0
	s_cbranch_execz .LBB420_33
; %bb.29:
	v_mov_b32_e32 v3, 0
	v_mov_b32_e32 v4, 0
	s_andn2_b32 vcc_lo, exec_lo, s8
	s_cbranch_vccnz .LBB420_33
; %bb.30:
	v_mov_b32_e32 v5, s18
	v_mov_b32_e32 v6, s19
	s_mov_b32 s10, 0
	s_inst_prefetch 0x1
	.p2align	6
.LBB420_31:                             ; =>This Inner Loop Header: Depth=1
	v_sub_co_u32 v7, vcc_lo, v5, v3
	v_sub_co_ci_u32_e64 v8, null, v6, v4, vcc_lo
	v_lshrrev_b64 v[9:10], 1, v[7:8]
	v_lshrrev_b64 v[7:8], 6, v[7:8]
	v_add_co_u32 v9, vcc_lo, v9, v3
	v_add_co_ci_u32_e64 v10, null, v10, v4, vcc_lo
	v_add_co_u32 v7, vcc_lo, v9, v7
	v_add_co_ci_u32_e64 v8, null, v10, v8, vcc_lo
	v_lshlrev_b64 v[9:10], 1, v[7:8]
	v_add_co_u32 v9, vcc_lo, s16, v9
	v_add_co_ci_u32_e64 v10, null, s17, v10, vcc_lo
	global_load_ushort v9, v[9:10], off
	v_add_co_u32 v10, vcc_lo, v7, 1
	v_add_co_ci_u32_e64 v11, null, 0, v8, vcc_lo
	s_waitcnt vmcnt(0) lgkmcnt(0)
	v_cmp_lt_i16_e32 vcc_lo, v9, v1
	v_cndmask_b32_e32 v6, v8, v6, vcc_lo
	v_cndmask_b32_e32 v5, v7, v5, vcc_lo
	;; [unrolled: 1-line block ×4, first 2 shown]
	v_cmp_ge_u64_e32 vcc_lo, v[3:4], v[5:6]
	s_or_b32 s10, vcc_lo, s10
	s_andn2_b32 exec_lo, exec_lo, s10
	s_cbranch_execnz .LBB420_31
; %bb.32:
	s_inst_prefetch 0x2
	s_or_b32 exec_lo, exec_lo, s10
.LBB420_33:
	s_or_b32 exec_lo, exec_lo, s9
                                        ; implicit-def: $vgpr5_vgpr6
	s_and_saveexec_b32 s9, s1
	s_cbranch_execz .LBB420_38
; %bb.34:
	v_mov_b32_e32 v5, 0
	v_mov_b32_e32 v6, 0
	s_andn2_b32 vcc_lo, exec_lo, s8
	s_cbranch_vccnz .LBB420_38
; %bb.35:
	v_mov_b32_e32 v7, s18
	v_mov_b32_e32 v8, s19
	s_mov_b32 s10, 0
	s_inst_prefetch 0x1
	.p2align	6
.LBB420_36:                             ; =>This Inner Loop Header: Depth=1
	v_sub_co_u32 v9, vcc_lo, v7, v5
	v_sub_co_ci_u32_e64 v10, null, v8, v6, vcc_lo
	v_lshrrev_b64 v[11:12], 1, v[9:10]
	v_lshrrev_b64 v[9:10], 6, v[9:10]
	v_add_co_u32 v11, vcc_lo, v11, v5
	v_add_co_ci_u32_e64 v12, null, v12, v6, vcc_lo
	v_add_co_u32 v9, vcc_lo, v11, v9
	v_add_co_ci_u32_e64 v10, null, v12, v10, vcc_lo
	v_lshlrev_b64 v[11:12], 1, v[9:10]
	v_add_co_u32 v11, vcc_lo, s16, v11
	v_add_co_ci_u32_e64 v12, null, s17, v12, vcc_lo
	global_load_ushort v11, v[11:12], off
	v_add_co_u32 v12, vcc_lo, v9, 1
	v_add_co_ci_u32_e64 v13, null, 0, v10, vcc_lo
	s_waitcnt vmcnt(0) lgkmcnt(0)
	v_cmp_lt_i16_sdwa vcc_lo, v11, v1 src0_sel:DWORD src1_sel:WORD_1
	v_cndmask_b32_e32 v8, v10, v8, vcc_lo
	v_cndmask_b32_e32 v7, v9, v7, vcc_lo
	;; [unrolled: 1-line block ×4, first 2 shown]
	v_cmp_ge_u64_e32 vcc_lo, v[5:6], v[7:8]
	s_or_b32 s10, vcc_lo, s10
	s_andn2_b32 exec_lo, exec_lo, s10
	s_cbranch_execnz .LBB420_36
; %bb.37:
	s_inst_prefetch 0x2
	s_or_b32 exec_lo, exec_lo, s10
.LBB420_38:
	s_or_b32 exec_lo, exec_lo, s9
                                        ; implicit-def: $vgpr9_vgpr10
	s_and_saveexec_b32 s9, s2
	s_cbranch_execz .LBB420_43
; %bb.39:
	v_mov_b32_e32 v9, 0
	v_mov_b32_e32 v10, 0
	s_andn2_b32 vcc_lo, exec_lo, s8
	s_cbranch_vccnz .LBB420_43
; %bb.40:
	v_mov_b32_e32 v7, s18
	v_mov_b32_e32 v8, s19
	s_mov_b32 s10, 0
	s_inst_prefetch 0x1
	.p2align	6
.LBB420_41:                             ; =>This Inner Loop Header: Depth=1
	v_sub_co_u32 v11, vcc_lo, v7, v9
	v_sub_co_ci_u32_e64 v12, null, v8, v10, vcc_lo
	v_lshrrev_b64 v[13:14], 1, v[11:12]
	v_lshrrev_b64 v[11:12], 6, v[11:12]
	s_waitcnt vmcnt(0) lgkmcnt(0)
	v_add_co_u32 v1, vcc_lo, v13, v9
	v_add_co_ci_u32_e64 v13, null, v14, v10, vcc_lo
	v_add_co_u32 v11, vcc_lo, v1, v11
	v_add_co_ci_u32_e64 v12, null, v13, v12, vcc_lo
	v_lshlrev_b64 v[13:14], 1, v[11:12]
	v_add_co_u32 v13, vcc_lo, s16, v13
	v_add_co_ci_u32_e64 v14, null, s17, v14, vcc_lo
	global_load_ushort v1, v[13:14], off
	v_add_co_u32 v13, vcc_lo, v11, 1
	v_add_co_ci_u32_e64 v14, null, 0, v12, vcc_lo
	s_waitcnt vmcnt(0)
	v_cmp_lt_i16_e32 vcc_lo, v1, v2
	v_cndmask_b32_e32 v8, v12, v8, vcc_lo
	v_cndmask_b32_e32 v7, v11, v7, vcc_lo
	;; [unrolled: 1-line block ×4, first 2 shown]
	v_cmp_ge_u64_e32 vcc_lo, v[9:10], v[7:8]
	s_or_b32 s10, vcc_lo, s10
	s_andn2_b32 exec_lo, exec_lo, s10
	s_cbranch_execnz .LBB420_41
; %bb.42:
	s_inst_prefetch 0x2
	s_or_b32 exec_lo, exec_lo, s10
.LBB420_43:
	s_or_b32 exec_lo, exec_lo, s9
                                        ; implicit-def: $vgpr7_vgpr8
	s_and_saveexec_b32 s9, s6
	s_cbranch_execz .LBB420_48
; %bb.44:
	v_mov_b32_e32 v7, 0
	v_mov_b32_e32 v8, 0
	s_andn2_b32 vcc_lo, exec_lo, s8
	s_cbranch_vccnz .LBB420_48
; %bb.45:
	v_mov_b32_e32 v11, s18
	v_mov_b32_e32 v12, s19
	s_mov_b32 s8, 0
	s_inst_prefetch 0x1
	.p2align	6
.LBB420_46:                             ; =>This Inner Loop Header: Depth=1
	v_sub_co_u32 v13, vcc_lo, v11, v7
	v_sub_co_ci_u32_e64 v14, null, v12, v8, vcc_lo
	v_lshrrev_b64 v[15:16], 1, v[13:14]
	v_lshrrev_b64 v[13:14], 6, v[13:14]
	s_waitcnt vmcnt(0) lgkmcnt(0)
	v_add_co_u32 v1, vcc_lo, v15, v7
	v_add_co_ci_u32_e64 v15, null, v16, v8, vcc_lo
	v_add_co_u32 v13, vcc_lo, v1, v13
	v_add_co_ci_u32_e64 v14, null, v15, v14, vcc_lo
	v_lshlrev_b64 v[15:16], 1, v[13:14]
	v_add_co_u32 v15, vcc_lo, s16, v15
	v_add_co_ci_u32_e64 v16, null, s17, v16, vcc_lo
	global_load_ushort v1, v[15:16], off
	v_add_co_u32 v15, vcc_lo, v13, 1
	v_add_co_ci_u32_e64 v16, null, 0, v14, vcc_lo
	s_waitcnt vmcnt(0)
	v_cmp_lt_i16_sdwa vcc_lo, v1, v2 src0_sel:DWORD src1_sel:WORD_1
	v_cndmask_b32_e32 v12, v14, v12, vcc_lo
	v_cndmask_b32_e32 v11, v13, v11, vcc_lo
	;; [unrolled: 1-line block ×4, first 2 shown]
	v_cmp_ge_u64_e32 vcc_lo, v[7:8], v[11:12]
	s_or_b32 s8, vcc_lo, s8
	s_andn2_b32 exec_lo, exec_lo, s8
	s_cbranch_execnz .LBB420_46
; %bb.47:
	s_inst_prefetch 0x2
	s_or_b32 exec_lo, exec_lo, s8
.LBB420_48:
	s_or_b32 exec_lo, exec_lo, s9
	v_lshlrev_b32_e32 v0, 3, v0
	s_lshl_b64 s[4:5], s[4:5], 3
	s_add_u32 s3, s3, s4
	s_addc_u32 s4, s7, s5
	v_add_co_u32 v11, s3, s3, v0
	v_add_co_ci_u32_e64 v12, null, s4, 0, s3
	s_and_saveexec_b32 s3, s0
	s_xor_b32 s0, exec_lo, s3
	s_cbranch_execnz .LBB420_56
; %bb.49:
	s_or_b32 exec_lo, exec_lo, s0
	s_and_saveexec_b32 s0, s1
	s_cbranch_execnz .LBB420_57
.LBB420_50:
	s_or_b32 exec_lo, exec_lo, s0
	s_and_saveexec_b32 s0, s2
	s_cbranch_execz .LBB420_52
.LBB420_51:
	v_add_co_u32 v0, vcc_lo, 0x800, v11
	s_waitcnt vmcnt(0) lgkmcnt(0)
	v_add_co_ci_u32_e64 v1, null, 0, v12, vcc_lo
	flat_store_dwordx2 v[0:1], v[9:10]
.LBB420_52:
	s_or_b32 exec_lo, exec_lo, s0
.LBB420_53:
	s_and_saveexec_b32 s0, s6
	s_cbranch_execnz .LBB420_55
; %bb.54:
	s_endpgm
.LBB420_55:
	v_add_co_u32 v0, vcc_lo, 0x800, v11
	s_waitcnt vmcnt(0) lgkmcnt(0)
	v_add_co_ci_u32_e64 v1, null, 0, v12, vcc_lo
	flat_store_dwordx2 v[0:1], v[7:8] offset:1024
	s_endpgm
.LBB420_56:
	flat_store_dwordx2 v[11:12], v[3:4]
	s_or_b32 exec_lo, exec_lo, s0
	s_and_saveexec_b32 s0, s1
	s_cbranch_execz .LBB420_50
.LBB420_57:
	flat_store_dwordx2 v[11:12], v[5:6] offset:1024
	s_or_b32 exec_lo, exec_lo, s0
	s_and_saveexec_b32 s0, s2
	s_cbranch_execnz .LBB420_51
	s_branch .LBB420_52
	.section	.rodata,"a",@progbits
	.p2align	6, 0x0
	.amdhsa_kernel _ZN7rocprim17ROCPRIM_400000_NS6detail17trampoline_kernelINS0_14default_configENS1_27lower_bound_config_selectorIslEEZNS1_14transform_implILb0ES3_S5_N6thrust23THRUST_200600_302600_NS6detail15normal_iteratorINS8_7pointerIsNS8_11hip_rocprim5par_tENS8_11use_defaultESE_EEEENSA_INSB_IlSD_SE_SE_EEEEZNS1_13binary_searchIS3_S5_NSA_INS8_10device_ptrIsEEEESG_SI_NS1_21lower_bound_search_opENS9_16wrapped_functionINS8_6system6detail7generic6detail18binary_search_lessEbEEEE10hipError_tPvRmT1_T2_T3_mmT4_T5_P12ihipStream_tbEUlRKsE_EESV_SZ_S10_mS11_S14_bEUlT_E_NS1_11comp_targetILNS1_3genE8ELNS1_11target_archE1030ELNS1_3gpuE2ELNS1_3repE0EEENS1_30default_config_static_selectorELNS0_4arch9wavefront6targetE0EEEvSY_
		.amdhsa_group_segment_fixed_size 0
		.amdhsa_private_segment_fixed_size 0
		.amdhsa_kernarg_size 312
		.amdhsa_user_sgpr_count 6
		.amdhsa_user_sgpr_private_segment_buffer 1
		.amdhsa_user_sgpr_dispatch_ptr 0
		.amdhsa_user_sgpr_queue_ptr 0
		.amdhsa_user_sgpr_kernarg_segment_ptr 1
		.amdhsa_user_sgpr_dispatch_id 0
		.amdhsa_user_sgpr_flat_scratch_init 0
		.amdhsa_user_sgpr_private_segment_size 0
		.amdhsa_wavefront_size32 1
		.amdhsa_uses_dynamic_stack 0
		.amdhsa_system_sgpr_private_segment_wavefront_offset 0
		.amdhsa_system_sgpr_workgroup_id_x 1
		.amdhsa_system_sgpr_workgroup_id_y 0
		.amdhsa_system_sgpr_workgroup_id_z 0
		.amdhsa_system_sgpr_workgroup_info 0
		.amdhsa_system_vgpr_workitem_id 0
		.amdhsa_next_free_vgpr 17
		.amdhsa_next_free_sgpr 20
		.amdhsa_reserve_vcc 1
		.amdhsa_reserve_flat_scratch 1
		.amdhsa_float_round_mode_32 0
		.amdhsa_float_round_mode_16_64 0
		.amdhsa_float_denorm_mode_32 3
		.amdhsa_float_denorm_mode_16_64 3
		.amdhsa_dx10_clamp 1
		.amdhsa_ieee_mode 1
		.amdhsa_fp16_overflow 0
		.amdhsa_workgroup_processor_mode 1
		.amdhsa_memory_ordered 1
		.amdhsa_forward_progress 1
		.amdhsa_shared_vgpr_count 0
		.amdhsa_exception_fp_ieee_invalid_op 0
		.amdhsa_exception_fp_denorm_src 0
		.amdhsa_exception_fp_ieee_div_zero 0
		.amdhsa_exception_fp_ieee_overflow 0
		.amdhsa_exception_fp_ieee_underflow 0
		.amdhsa_exception_fp_ieee_inexact 0
		.amdhsa_exception_int_div_zero 0
	.end_amdhsa_kernel
	.section	.text._ZN7rocprim17ROCPRIM_400000_NS6detail17trampoline_kernelINS0_14default_configENS1_27lower_bound_config_selectorIslEEZNS1_14transform_implILb0ES3_S5_N6thrust23THRUST_200600_302600_NS6detail15normal_iteratorINS8_7pointerIsNS8_11hip_rocprim5par_tENS8_11use_defaultESE_EEEENSA_INSB_IlSD_SE_SE_EEEEZNS1_13binary_searchIS3_S5_NSA_INS8_10device_ptrIsEEEESG_SI_NS1_21lower_bound_search_opENS9_16wrapped_functionINS8_6system6detail7generic6detail18binary_search_lessEbEEEE10hipError_tPvRmT1_T2_T3_mmT4_T5_P12ihipStream_tbEUlRKsE_EESV_SZ_S10_mS11_S14_bEUlT_E_NS1_11comp_targetILNS1_3genE8ELNS1_11target_archE1030ELNS1_3gpuE2ELNS1_3repE0EEENS1_30default_config_static_selectorELNS0_4arch9wavefront6targetE0EEEvSY_,"axG",@progbits,_ZN7rocprim17ROCPRIM_400000_NS6detail17trampoline_kernelINS0_14default_configENS1_27lower_bound_config_selectorIslEEZNS1_14transform_implILb0ES3_S5_N6thrust23THRUST_200600_302600_NS6detail15normal_iteratorINS8_7pointerIsNS8_11hip_rocprim5par_tENS8_11use_defaultESE_EEEENSA_INSB_IlSD_SE_SE_EEEEZNS1_13binary_searchIS3_S5_NSA_INS8_10device_ptrIsEEEESG_SI_NS1_21lower_bound_search_opENS9_16wrapped_functionINS8_6system6detail7generic6detail18binary_search_lessEbEEEE10hipError_tPvRmT1_T2_T3_mmT4_T5_P12ihipStream_tbEUlRKsE_EESV_SZ_S10_mS11_S14_bEUlT_E_NS1_11comp_targetILNS1_3genE8ELNS1_11target_archE1030ELNS1_3gpuE2ELNS1_3repE0EEENS1_30default_config_static_selectorELNS0_4arch9wavefront6targetE0EEEvSY_,comdat
.Lfunc_end420:
	.size	_ZN7rocprim17ROCPRIM_400000_NS6detail17trampoline_kernelINS0_14default_configENS1_27lower_bound_config_selectorIslEEZNS1_14transform_implILb0ES3_S5_N6thrust23THRUST_200600_302600_NS6detail15normal_iteratorINS8_7pointerIsNS8_11hip_rocprim5par_tENS8_11use_defaultESE_EEEENSA_INSB_IlSD_SE_SE_EEEEZNS1_13binary_searchIS3_S5_NSA_INS8_10device_ptrIsEEEESG_SI_NS1_21lower_bound_search_opENS9_16wrapped_functionINS8_6system6detail7generic6detail18binary_search_lessEbEEEE10hipError_tPvRmT1_T2_T3_mmT4_T5_P12ihipStream_tbEUlRKsE_EESV_SZ_S10_mS11_S14_bEUlT_E_NS1_11comp_targetILNS1_3genE8ELNS1_11target_archE1030ELNS1_3gpuE2ELNS1_3repE0EEENS1_30default_config_static_selectorELNS0_4arch9wavefront6targetE0EEEvSY_, .Lfunc_end420-_ZN7rocprim17ROCPRIM_400000_NS6detail17trampoline_kernelINS0_14default_configENS1_27lower_bound_config_selectorIslEEZNS1_14transform_implILb0ES3_S5_N6thrust23THRUST_200600_302600_NS6detail15normal_iteratorINS8_7pointerIsNS8_11hip_rocprim5par_tENS8_11use_defaultESE_EEEENSA_INSB_IlSD_SE_SE_EEEEZNS1_13binary_searchIS3_S5_NSA_INS8_10device_ptrIsEEEESG_SI_NS1_21lower_bound_search_opENS9_16wrapped_functionINS8_6system6detail7generic6detail18binary_search_lessEbEEEE10hipError_tPvRmT1_T2_T3_mmT4_T5_P12ihipStream_tbEUlRKsE_EESV_SZ_S10_mS11_S14_bEUlT_E_NS1_11comp_targetILNS1_3genE8ELNS1_11target_archE1030ELNS1_3gpuE2ELNS1_3repE0EEENS1_30default_config_static_selectorELNS0_4arch9wavefront6targetE0EEEvSY_
                                        ; -- End function
	.set _ZN7rocprim17ROCPRIM_400000_NS6detail17trampoline_kernelINS0_14default_configENS1_27lower_bound_config_selectorIslEEZNS1_14transform_implILb0ES3_S5_N6thrust23THRUST_200600_302600_NS6detail15normal_iteratorINS8_7pointerIsNS8_11hip_rocprim5par_tENS8_11use_defaultESE_EEEENSA_INSB_IlSD_SE_SE_EEEEZNS1_13binary_searchIS3_S5_NSA_INS8_10device_ptrIsEEEESG_SI_NS1_21lower_bound_search_opENS9_16wrapped_functionINS8_6system6detail7generic6detail18binary_search_lessEbEEEE10hipError_tPvRmT1_T2_T3_mmT4_T5_P12ihipStream_tbEUlRKsE_EESV_SZ_S10_mS11_S14_bEUlT_E_NS1_11comp_targetILNS1_3genE8ELNS1_11target_archE1030ELNS1_3gpuE2ELNS1_3repE0EEENS1_30default_config_static_selectorELNS0_4arch9wavefront6targetE0EEEvSY_.num_vgpr, 17
	.set _ZN7rocprim17ROCPRIM_400000_NS6detail17trampoline_kernelINS0_14default_configENS1_27lower_bound_config_selectorIslEEZNS1_14transform_implILb0ES3_S5_N6thrust23THRUST_200600_302600_NS6detail15normal_iteratorINS8_7pointerIsNS8_11hip_rocprim5par_tENS8_11use_defaultESE_EEEENSA_INSB_IlSD_SE_SE_EEEEZNS1_13binary_searchIS3_S5_NSA_INS8_10device_ptrIsEEEESG_SI_NS1_21lower_bound_search_opENS9_16wrapped_functionINS8_6system6detail7generic6detail18binary_search_lessEbEEEE10hipError_tPvRmT1_T2_T3_mmT4_T5_P12ihipStream_tbEUlRKsE_EESV_SZ_S10_mS11_S14_bEUlT_E_NS1_11comp_targetILNS1_3genE8ELNS1_11target_archE1030ELNS1_3gpuE2ELNS1_3repE0EEENS1_30default_config_static_selectorELNS0_4arch9wavefront6targetE0EEEvSY_.num_agpr, 0
	.set _ZN7rocprim17ROCPRIM_400000_NS6detail17trampoline_kernelINS0_14default_configENS1_27lower_bound_config_selectorIslEEZNS1_14transform_implILb0ES3_S5_N6thrust23THRUST_200600_302600_NS6detail15normal_iteratorINS8_7pointerIsNS8_11hip_rocprim5par_tENS8_11use_defaultESE_EEEENSA_INSB_IlSD_SE_SE_EEEEZNS1_13binary_searchIS3_S5_NSA_INS8_10device_ptrIsEEEESG_SI_NS1_21lower_bound_search_opENS9_16wrapped_functionINS8_6system6detail7generic6detail18binary_search_lessEbEEEE10hipError_tPvRmT1_T2_T3_mmT4_T5_P12ihipStream_tbEUlRKsE_EESV_SZ_S10_mS11_S14_bEUlT_E_NS1_11comp_targetILNS1_3genE8ELNS1_11target_archE1030ELNS1_3gpuE2ELNS1_3repE0EEENS1_30default_config_static_selectorELNS0_4arch9wavefront6targetE0EEEvSY_.numbered_sgpr, 20
	.set _ZN7rocprim17ROCPRIM_400000_NS6detail17trampoline_kernelINS0_14default_configENS1_27lower_bound_config_selectorIslEEZNS1_14transform_implILb0ES3_S5_N6thrust23THRUST_200600_302600_NS6detail15normal_iteratorINS8_7pointerIsNS8_11hip_rocprim5par_tENS8_11use_defaultESE_EEEENSA_INSB_IlSD_SE_SE_EEEEZNS1_13binary_searchIS3_S5_NSA_INS8_10device_ptrIsEEEESG_SI_NS1_21lower_bound_search_opENS9_16wrapped_functionINS8_6system6detail7generic6detail18binary_search_lessEbEEEE10hipError_tPvRmT1_T2_T3_mmT4_T5_P12ihipStream_tbEUlRKsE_EESV_SZ_S10_mS11_S14_bEUlT_E_NS1_11comp_targetILNS1_3genE8ELNS1_11target_archE1030ELNS1_3gpuE2ELNS1_3repE0EEENS1_30default_config_static_selectorELNS0_4arch9wavefront6targetE0EEEvSY_.num_named_barrier, 0
	.set _ZN7rocprim17ROCPRIM_400000_NS6detail17trampoline_kernelINS0_14default_configENS1_27lower_bound_config_selectorIslEEZNS1_14transform_implILb0ES3_S5_N6thrust23THRUST_200600_302600_NS6detail15normal_iteratorINS8_7pointerIsNS8_11hip_rocprim5par_tENS8_11use_defaultESE_EEEENSA_INSB_IlSD_SE_SE_EEEEZNS1_13binary_searchIS3_S5_NSA_INS8_10device_ptrIsEEEESG_SI_NS1_21lower_bound_search_opENS9_16wrapped_functionINS8_6system6detail7generic6detail18binary_search_lessEbEEEE10hipError_tPvRmT1_T2_T3_mmT4_T5_P12ihipStream_tbEUlRKsE_EESV_SZ_S10_mS11_S14_bEUlT_E_NS1_11comp_targetILNS1_3genE8ELNS1_11target_archE1030ELNS1_3gpuE2ELNS1_3repE0EEENS1_30default_config_static_selectorELNS0_4arch9wavefront6targetE0EEEvSY_.private_seg_size, 0
	.set _ZN7rocprim17ROCPRIM_400000_NS6detail17trampoline_kernelINS0_14default_configENS1_27lower_bound_config_selectorIslEEZNS1_14transform_implILb0ES3_S5_N6thrust23THRUST_200600_302600_NS6detail15normal_iteratorINS8_7pointerIsNS8_11hip_rocprim5par_tENS8_11use_defaultESE_EEEENSA_INSB_IlSD_SE_SE_EEEEZNS1_13binary_searchIS3_S5_NSA_INS8_10device_ptrIsEEEESG_SI_NS1_21lower_bound_search_opENS9_16wrapped_functionINS8_6system6detail7generic6detail18binary_search_lessEbEEEE10hipError_tPvRmT1_T2_T3_mmT4_T5_P12ihipStream_tbEUlRKsE_EESV_SZ_S10_mS11_S14_bEUlT_E_NS1_11comp_targetILNS1_3genE8ELNS1_11target_archE1030ELNS1_3gpuE2ELNS1_3repE0EEENS1_30default_config_static_selectorELNS0_4arch9wavefront6targetE0EEEvSY_.uses_vcc, 1
	.set _ZN7rocprim17ROCPRIM_400000_NS6detail17trampoline_kernelINS0_14default_configENS1_27lower_bound_config_selectorIslEEZNS1_14transform_implILb0ES3_S5_N6thrust23THRUST_200600_302600_NS6detail15normal_iteratorINS8_7pointerIsNS8_11hip_rocprim5par_tENS8_11use_defaultESE_EEEENSA_INSB_IlSD_SE_SE_EEEEZNS1_13binary_searchIS3_S5_NSA_INS8_10device_ptrIsEEEESG_SI_NS1_21lower_bound_search_opENS9_16wrapped_functionINS8_6system6detail7generic6detail18binary_search_lessEbEEEE10hipError_tPvRmT1_T2_T3_mmT4_T5_P12ihipStream_tbEUlRKsE_EESV_SZ_S10_mS11_S14_bEUlT_E_NS1_11comp_targetILNS1_3genE8ELNS1_11target_archE1030ELNS1_3gpuE2ELNS1_3repE0EEENS1_30default_config_static_selectorELNS0_4arch9wavefront6targetE0EEEvSY_.uses_flat_scratch, 1
	.set _ZN7rocprim17ROCPRIM_400000_NS6detail17trampoline_kernelINS0_14default_configENS1_27lower_bound_config_selectorIslEEZNS1_14transform_implILb0ES3_S5_N6thrust23THRUST_200600_302600_NS6detail15normal_iteratorINS8_7pointerIsNS8_11hip_rocprim5par_tENS8_11use_defaultESE_EEEENSA_INSB_IlSD_SE_SE_EEEEZNS1_13binary_searchIS3_S5_NSA_INS8_10device_ptrIsEEEESG_SI_NS1_21lower_bound_search_opENS9_16wrapped_functionINS8_6system6detail7generic6detail18binary_search_lessEbEEEE10hipError_tPvRmT1_T2_T3_mmT4_T5_P12ihipStream_tbEUlRKsE_EESV_SZ_S10_mS11_S14_bEUlT_E_NS1_11comp_targetILNS1_3genE8ELNS1_11target_archE1030ELNS1_3gpuE2ELNS1_3repE0EEENS1_30default_config_static_selectorELNS0_4arch9wavefront6targetE0EEEvSY_.has_dyn_sized_stack, 0
	.set _ZN7rocprim17ROCPRIM_400000_NS6detail17trampoline_kernelINS0_14default_configENS1_27lower_bound_config_selectorIslEEZNS1_14transform_implILb0ES3_S5_N6thrust23THRUST_200600_302600_NS6detail15normal_iteratorINS8_7pointerIsNS8_11hip_rocprim5par_tENS8_11use_defaultESE_EEEENSA_INSB_IlSD_SE_SE_EEEEZNS1_13binary_searchIS3_S5_NSA_INS8_10device_ptrIsEEEESG_SI_NS1_21lower_bound_search_opENS9_16wrapped_functionINS8_6system6detail7generic6detail18binary_search_lessEbEEEE10hipError_tPvRmT1_T2_T3_mmT4_T5_P12ihipStream_tbEUlRKsE_EESV_SZ_S10_mS11_S14_bEUlT_E_NS1_11comp_targetILNS1_3genE8ELNS1_11target_archE1030ELNS1_3gpuE2ELNS1_3repE0EEENS1_30default_config_static_selectorELNS0_4arch9wavefront6targetE0EEEvSY_.has_recursion, 0
	.set _ZN7rocprim17ROCPRIM_400000_NS6detail17trampoline_kernelINS0_14default_configENS1_27lower_bound_config_selectorIslEEZNS1_14transform_implILb0ES3_S5_N6thrust23THRUST_200600_302600_NS6detail15normal_iteratorINS8_7pointerIsNS8_11hip_rocprim5par_tENS8_11use_defaultESE_EEEENSA_INSB_IlSD_SE_SE_EEEEZNS1_13binary_searchIS3_S5_NSA_INS8_10device_ptrIsEEEESG_SI_NS1_21lower_bound_search_opENS9_16wrapped_functionINS8_6system6detail7generic6detail18binary_search_lessEbEEEE10hipError_tPvRmT1_T2_T3_mmT4_T5_P12ihipStream_tbEUlRKsE_EESV_SZ_S10_mS11_S14_bEUlT_E_NS1_11comp_targetILNS1_3genE8ELNS1_11target_archE1030ELNS1_3gpuE2ELNS1_3repE0EEENS1_30default_config_static_selectorELNS0_4arch9wavefront6targetE0EEEvSY_.has_indirect_call, 0
	.section	.AMDGPU.csdata,"",@progbits
; Kernel info:
; codeLenInByte = 2672
; TotalNumSgprs: 22
; NumVgprs: 17
; ScratchSize: 0
; MemoryBound: 0
; FloatMode: 240
; IeeeMode: 1
; LDSByteSize: 0 bytes/workgroup (compile time only)
; SGPRBlocks: 0
; VGPRBlocks: 2
; NumSGPRsForWavesPerEU: 22
; NumVGPRsForWavesPerEU: 17
; Occupancy: 16
; WaveLimiterHint : 1
; COMPUTE_PGM_RSRC2:SCRATCH_EN: 0
; COMPUTE_PGM_RSRC2:USER_SGPR: 6
; COMPUTE_PGM_RSRC2:TRAP_HANDLER: 0
; COMPUTE_PGM_RSRC2:TGID_X_EN: 1
; COMPUTE_PGM_RSRC2:TGID_Y_EN: 0
; COMPUTE_PGM_RSRC2:TGID_Z_EN: 0
; COMPUTE_PGM_RSRC2:TIDIG_COMP_CNT: 0
	.section	.text._ZN6thrust23THRUST_200600_302600_NS11hip_rocprim14__parallel_for6kernelILj256ENS1_10for_each_fINS0_10device_ptrINS0_5tupleIiiNS0_9null_typeES7_S7_S7_S7_S7_S7_S7_EEEENS0_6detail16wrapped_functionINSA_23allocator_traits_detail24construct1_via_allocatorINS0_16device_allocatorIS8_EEEEvEEEEmLj1EEEvT0_T1_SK_,"axG",@progbits,_ZN6thrust23THRUST_200600_302600_NS11hip_rocprim14__parallel_for6kernelILj256ENS1_10for_each_fINS0_10device_ptrINS0_5tupleIiiNS0_9null_typeES7_S7_S7_S7_S7_S7_S7_EEEENS0_6detail16wrapped_functionINSA_23allocator_traits_detail24construct1_via_allocatorINS0_16device_allocatorIS8_EEEEvEEEEmLj1EEEvT0_T1_SK_,comdat
	.protected	_ZN6thrust23THRUST_200600_302600_NS11hip_rocprim14__parallel_for6kernelILj256ENS1_10for_each_fINS0_10device_ptrINS0_5tupleIiiNS0_9null_typeES7_S7_S7_S7_S7_S7_S7_EEEENS0_6detail16wrapped_functionINSA_23allocator_traits_detail24construct1_via_allocatorINS0_16device_allocatorIS8_EEEEvEEEEmLj1EEEvT0_T1_SK_ ; -- Begin function _ZN6thrust23THRUST_200600_302600_NS11hip_rocprim14__parallel_for6kernelILj256ENS1_10for_each_fINS0_10device_ptrINS0_5tupleIiiNS0_9null_typeES7_S7_S7_S7_S7_S7_S7_EEEENS0_6detail16wrapped_functionINSA_23allocator_traits_detail24construct1_via_allocatorINS0_16device_allocatorIS8_EEEEvEEEEmLj1EEEvT0_T1_SK_
	.globl	_ZN6thrust23THRUST_200600_302600_NS11hip_rocprim14__parallel_for6kernelILj256ENS1_10for_each_fINS0_10device_ptrINS0_5tupleIiiNS0_9null_typeES7_S7_S7_S7_S7_S7_S7_EEEENS0_6detail16wrapped_functionINSA_23allocator_traits_detail24construct1_via_allocatorINS0_16device_allocatorIS8_EEEEvEEEEmLj1EEEvT0_T1_SK_
	.p2align	8
	.type	_ZN6thrust23THRUST_200600_302600_NS11hip_rocprim14__parallel_for6kernelILj256ENS1_10for_each_fINS0_10device_ptrINS0_5tupleIiiNS0_9null_typeES7_S7_S7_S7_S7_S7_S7_EEEENS0_6detail16wrapped_functionINSA_23allocator_traits_detail24construct1_via_allocatorINS0_16device_allocatorIS8_EEEEvEEEEmLj1EEEvT0_T1_SK_,@function
_ZN6thrust23THRUST_200600_302600_NS11hip_rocprim14__parallel_for6kernelILj256ENS1_10for_each_fINS0_10device_ptrINS0_5tupleIiiNS0_9null_typeES7_S7_S7_S7_S7_S7_S7_EEEENS0_6detail16wrapped_functionINSA_23allocator_traits_detail24construct1_via_allocatorINS0_16device_allocatorIS8_EEEEvEEEEmLj1EEEvT0_T1_SK_: ; @_ZN6thrust23THRUST_200600_302600_NS11hip_rocprim14__parallel_for6kernelILj256ENS1_10for_each_fINS0_10device_ptrINS0_5tupleIiiNS0_9null_typeES7_S7_S7_S7_S7_S7_S7_EEEENS0_6detail16wrapped_functionINSA_23allocator_traits_detail24construct1_via_allocatorINS0_16device_allocatorIS8_EEEEvEEEEmLj1EEEvT0_T1_SK_
; %bb.0:
	s_clause 0x1
	s_load_dwordx4 s[8:11], s[4:5], 0x10
	s_load_dwordx2 s[0:1], s[4:5], 0x0
	s_lshl_b32 s2, s6, 8
	s_waitcnt lgkmcnt(0)
	s_add_u32 s2, s10, s2
	s_addc_u32 s3, s11, 0
	s_sub_u32 s4, s8, s2
	s_subb_u32 s5, s9, s3
	v_cmp_lt_u64_e64 s5, 0xff, s[4:5]
	s_and_b32 vcc_lo, exec_lo, s5
	s_mov_b32 s5, -1
	s_cbranch_vccz .LBB421_3
; %bb.1:
	s_andn2_b32 vcc_lo, exec_lo, s5
	s_cbranch_vccz .LBB421_6
.LBB421_2:
	s_endpgm
.LBB421_3:
	v_cmp_gt_u32_e32 vcc_lo, s4, v0
	s_and_saveexec_b32 s4, vcc_lo
	s_cbranch_execz .LBB421_5
; %bb.4:
	v_lshlrev_b32_e32 v2, 3, v0
	s_lshl_b64 s[6:7], s[2:3], 3
	v_mov_b32_e32 v1, 0
	s_add_u32 s5, s0, s6
	s_addc_u32 s6, s1, s7
	v_add_co_u32 v3, s5, s5, v2
	v_add_co_ci_u32_e64 v4, null, s6, 0, s5
	v_mov_b32_e32 v2, v1
	flat_store_dwordx2 v[3:4], v[1:2]
.LBB421_5:
	s_or_b32 exec_lo, exec_lo, s4
	s_cbranch_execnz .LBB421_2
.LBB421_6:
	v_lshlrev_b32_e32 v1, 3, v0
	s_lshl_b64 s[2:3], s[2:3], 3
	v_mov_b32_e32 v0, 0
	s_add_u32 s0, s0, s2
	s_addc_u32 s1, s1, s3
	v_add_co_u32 v2, s0, s0, v1
	v_add_co_ci_u32_e64 v3, null, s1, 0, s0
	v_mov_b32_e32 v1, v0
	flat_store_dwordx2 v[2:3], v[0:1]
	s_endpgm
	.section	.rodata,"a",@progbits
	.p2align	6, 0x0
	.amdhsa_kernel _ZN6thrust23THRUST_200600_302600_NS11hip_rocprim14__parallel_for6kernelILj256ENS1_10for_each_fINS0_10device_ptrINS0_5tupleIiiNS0_9null_typeES7_S7_S7_S7_S7_S7_S7_EEEENS0_6detail16wrapped_functionINSA_23allocator_traits_detail24construct1_via_allocatorINS0_16device_allocatorIS8_EEEEvEEEEmLj1EEEvT0_T1_SK_
		.amdhsa_group_segment_fixed_size 0
		.amdhsa_private_segment_fixed_size 0
		.amdhsa_kernarg_size 32
		.amdhsa_user_sgpr_count 6
		.amdhsa_user_sgpr_private_segment_buffer 1
		.amdhsa_user_sgpr_dispatch_ptr 0
		.amdhsa_user_sgpr_queue_ptr 0
		.amdhsa_user_sgpr_kernarg_segment_ptr 1
		.amdhsa_user_sgpr_dispatch_id 0
		.amdhsa_user_sgpr_flat_scratch_init 0
		.amdhsa_user_sgpr_private_segment_size 0
		.amdhsa_wavefront_size32 1
		.amdhsa_uses_dynamic_stack 0
		.amdhsa_system_sgpr_private_segment_wavefront_offset 0
		.amdhsa_system_sgpr_workgroup_id_x 1
		.amdhsa_system_sgpr_workgroup_id_y 0
		.amdhsa_system_sgpr_workgroup_id_z 0
		.amdhsa_system_sgpr_workgroup_info 0
		.amdhsa_system_vgpr_workitem_id 0
		.amdhsa_next_free_vgpr 5
		.amdhsa_next_free_sgpr 12
		.amdhsa_reserve_vcc 1
		.amdhsa_reserve_flat_scratch 0
		.amdhsa_float_round_mode_32 0
		.amdhsa_float_round_mode_16_64 0
		.amdhsa_float_denorm_mode_32 3
		.amdhsa_float_denorm_mode_16_64 3
		.amdhsa_dx10_clamp 1
		.amdhsa_ieee_mode 1
		.amdhsa_fp16_overflow 0
		.amdhsa_workgroup_processor_mode 1
		.amdhsa_memory_ordered 1
		.amdhsa_forward_progress 1
		.amdhsa_shared_vgpr_count 0
		.amdhsa_exception_fp_ieee_invalid_op 0
		.amdhsa_exception_fp_denorm_src 0
		.amdhsa_exception_fp_ieee_div_zero 0
		.amdhsa_exception_fp_ieee_overflow 0
		.amdhsa_exception_fp_ieee_underflow 0
		.amdhsa_exception_fp_ieee_inexact 0
		.amdhsa_exception_int_div_zero 0
	.end_amdhsa_kernel
	.section	.text._ZN6thrust23THRUST_200600_302600_NS11hip_rocprim14__parallel_for6kernelILj256ENS1_10for_each_fINS0_10device_ptrINS0_5tupleIiiNS0_9null_typeES7_S7_S7_S7_S7_S7_S7_EEEENS0_6detail16wrapped_functionINSA_23allocator_traits_detail24construct1_via_allocatorINS0_16device_allocatorIS8_EEEEvEEEEmLj1EEEvT0_T1_SK_,"axG",@progbits,_ZN6thrust23THRUST_200600_302600_NS11hip_rocprim14__parallel_for6kernelILj256ENS1_10for_each_fINS0_10device_ptrINS0_5tupleIiiNS0_9null_typeES7_S7_S7_S7_S7_S7_S7_EEEENS0_6detail16wrapped_functionINSA_23allocator_traits_detail24construct1_via_allocatorINS0_16device_allocatorIS8_EEEEvEEEEmLj1EEEvT0_T1_SK_,comdat
.Lfunc_end421:
	.size	_ZN6thrust23THRUST_200600_302600_NS11hip_rocprim14__parallel_for6kernelILj256ENS1_10for_each_fINS0_10device_ptrINS0_5tupleIiiNS0_9null_typeES7_S7_S7_S7_S7_S7_S7_EEEENS0_6detail16wrapped_functionINSA_23allocator_traits_detail24construct1_via_allocatorINS0_16device_allocatorIS8_EEEEvEEEEmLj1EEEvT0_T1_SK_, .Lfunc_end421-_ZN6thrust23THRUST_200600_302600_NS11hip_rocprim14__parallel_for6kernelILj256ENS1_10for_each_fINS0_10device_ptrINS0_5tupleIiiNS0_9null_typeES7_S7_S7_S7_S7_S7_S7_EEEENS0_6detail16wrapped_functionINSA_23allocator_traits_detail24construct1_via_allocatorINS0_16device_allocatorIS8_EEEEvEEEEmLj1EEEvT0_T1_SK_
                                        ; -- End function
	.set _ZN6thrust23THRUST_200600_302600_NS11hip_rocprim14__parallel_for6kernelILj256ENS1_10for_each_fINS0_10device_ptrINS0_5tupleIiiNS0_9null_typeES7_S7_S7_S7_S7_S7_S7_EEEENS0_6detail16wrapped_functionINSA_23allocator_traits_detail24construct1_via_allocatorINS0_16device_allocatorIS8_EEEEvEEEEmLj1EEEvT0_T1_SK_.num_vgpr, 5
	.set _ZN6thrust23THRUST_200600_302600_NS11hip_rocprim14__parallel_for6kernelILj256ENS1_10for_each_fINS0_10device_ptrINS0_5tupleIiiNS0_9null_typeES7_S7_S7_S7_S7_S7_S7_EEEENS0_6detail16wrapped_functionINSA_23allocator_traits_detail24construct1_via_allocatorINS0_16device_allocatorIS8_EEEEvEEEEmLj1EEEvT0_T1_SK_.num_agpr, 0
	.set _ZN6thrust23THRUST_200600_302600_NS11hip_rocprim14__parallel_for6kernelILj256ENS1_10for_each_fINS0_10device_ptrINS0_5tupleIiiNS0_9null_typeES7_S7_S7_S7_S7_S7_S7_EEEENS0_6detail16wrapped_functionINSA_23allocator_traits_detail24construct1_via_allocatorINS0_16device_allocatorIS8_EEEEvEEEEmLj1EEEvT0_T1_SK_.numbered_sgpr, 12
	.set _ZN6thrust23THRUST_200600_302600_NS11hip_rocprim14__parallel_for6kernelILj256ENS1_10for_each_fINS0_10device_ptrINS0_5tupleIiiNS0_9null_typeES7_S7_S7_S7_S7_S7_S7_EEEENS0_6detail16wrapped_functionINSA_23allocator_traits_detail24construct1_via_allocatorINS0_16device_allocatorIS8_EEEEvEEEEmLj1EEEvT0_T1_SK_.num_named_barrier, 0
	.set _ZN6thrust23THRUST_200600_302600_NS11hip_rocprim14__parallel_for6kernelILj256ENS1_10for_each_fINS0_10device_ptrINS0_5tupleIiiNS0_9null_typeES7_S7_S7_S7_S7_S7_S7_EEEENS0_6detail16wrapped_functionINSA_23allocator_traits_detail24construct1_via_allocatorINS0_16device_allocatorIS8_EEEEvEEEEmLj1EEEvT0_T1_SK_.private_seg_size, 0
	.set _ZN6thrust23THRUST_200600_302600_NS11hip_rocprim14__parallel_for6kernelILj256ENS1_10for_each_fINS0_10device_ptrINS0_5tupleIiiNS0_9null_typeES7_S7_S7_S7_S7_S7_S7_EEEENS0_6detail16wrapped_functionINSA_23allocator_traits_detail24construct1_via_allocatorINS0_16device_allocatorIS8_EEEEvEEEEmLj1EEEvT0_T1_SK_.uses_vcc, 1
	.set _ZN6thrust23THRUST_200600_302600_NS11hip_rocprim14__parallel_for6kernelILj256ENS1_10for_each_fINS0_10device_ptrINS0_5tupleIiiNS0_9null_typeES7_S7_S7_S7_S7_S7_S7_EEEENS0_6detail16wrapped_functionINSA_23allocator_traits_detail24construct1_via_allocatorINS0_16device_allocatorIS8_EEEEvEEEEmLj1EEEvT0_T1_SK_.uses_flat_scratch, 0
	.set _ZN6thrust23THRUST_200600_302600_NS11hip_rocprim14__parallel_for6kernelILj256ENS1_10for_each_fINS0_10device_ptrINS0_5tupleIiiNS0_9null_typeES7_S7_S7_S7_S7_S7_S7_EEEENS0_6detail16wrapped_functionINSA_23allocator_traits_detail24construct1_via_allocatorINS0_16device_allocatorIS8_EEEEvEEEEmLj1EEEvT0_T1_SK_.has_dyn_sized_stack, 0
	.set _ZN6thrust23THRUST_200600_302600_NS11hip_rocprim14__parallel_for6kernelILj256ENS1_10for_each_fINS0_10device_ptrINS0_5tupleIiiNS0_9null_typeES7_S7_S7_S7_S7_S7_S7_EEEENS0_6detail16wrapped_functionINSA_23allocator_traits_detail24construct1_via_allocatorINS0_16device_allocatorIS8_EEEEvEEEEmLj1EEEvT0_T1_SK_.has_recursion, 0
	.set _ZN6thrust23THRUST_200600_302600_NS11hip_rocprim14__parallel_for6kernelILj256ENS1_10for_each_fINS0_10device_ptrINS0_5tupleIiiNS0_9null_typeES7_S7_S7_S7_S7_S7_S7_EEEENS0_6detail16wrapped_functionINSA_23allocator_traits_detail24construct1_via_allocatorINS0_16device_allocatorIS8_EEEEvEEEEmLj1EEEvT0_T1_SK_.has_indirect_call, 0
	.section	.AMDGPU.csdata,"",@progbits
; Kernel info:
; codeLenInByte = 200
; TotalNumSgprs: 14
; NumVgprs: 5
; ScratchSize: 0
; MemoryBound: 0
; FloatMode: 240
; IeeeMode: 1
; LDSByteSize: 0 bytes/workgroup (compile time only)
; SGPRBlocks: 0
; VGPRBlocks: 0
; NumSGPRsForWavesPerEU: 14
; NumVGPRsForWavesPerEU: 5
; Occupancy: 16
; WaveLimiterHint : 0
; COMPUTE_PGM_RSRC2:SCRATCH_EN: 0
; COMPUTE_PGM_RSRC2:USER_SGPR: 6
; COMPUTE_PGM_RSRC2:TRAP_HANDLER: 0
; COMPUTE_PGM_RSRC2:TGID_X_EN: 1
; COMPUTE_PGM_RSRC2:TGID_Y_EN: 0
; COMPUTE_PGM_RSRC2:TGID_Z_EN: 0
; COMPUTE_PGM_RSRC2:TIDIG_COMP_CNT: 0
	.section	.text._ZN6thrust23THRUST_200600_302600_NS11hip_rocprim14__parallel_for6kernelILj256ENS1_10for_each_fINS0_10device_ptrINS0_5tupleIiiNS0_9null_typeES7_S7_S7_S7_S7_S7_S7_EEEENS0_6detail16wrapped_functionINSA_23allocator_traits_detail5gozerEvEEEElLj1EEEvT0_T1_SH_,"axG",@progbits,_ZN6thrust23THRUST_200600_302600_NS11hip_rocprim14__parallel_for6kernelILj256ENS1_10for_each_fINS0_10device_ptrINS0_5tupleIiiNS0_9null_typeES7_S7_S7_S7_S7_S7_S7_EEEENS0_6detail16wrapped_functionINSA_23allocator_traits_detail5gozerEvEEEElLj1EEEvT0_T1_SH_,comdat
	.protected	_ZN6thrust23THRUST_200600_302600_NS11hip_rocprim14__parallel_for6kernelILj256ENS1_10for_each_fINS0_10device_ptrINS0_5tupleIiiNS0_9null_typeES7_S7_S7_S7_S7_S7_S7_EEEENS0_6detail16wrapped_functionINSA_23allocator_traits_detail5gozerEvEEEElLj1EEEvT0_T1_SH_ ; -- Begin function _ZN6thrust23THRUST_200600_302600_NS11hip_rocprim14__parallel_for6kernelILj256ENS1_10for_each_fINS0_10device_ptrINS0_5tupleIiiNS0_9null_typeES7_S7_S7_S7_S7_S7_S7_EEEENS0_6detail16wrapped_functionINSA_23allocator_traits_detail5gozerEvEEEElLj1EEEvT0_T1_SH_
	.globl	_ZN6thrust23THRUST_200600_302600_NS11hip_rocprim14__parallel_for6kernelILj256ENS1_10for_each_fINS0_10device_ptrINS0_5tupleIiiNS0_9null_typeES7_S7_S7_S7_S7_S7_S7_EEEENS0_6detail16wrapped_functionINSA_23allocator_traits_detail5gozerEvEEEElLj1EEEvT0_T1_SH_
	.p2align	8
	.type	_ZN6thrust23THRUST_200600_302600_NS11hip_rocprim14__parallel_for6kernelILj256ENS1_10for_each_fINS0_10device_ptrINS0_5tupleIiiNS0_9null_typeES7_S7_S7_S7_S7_S7_S7_EEEENS0_6detail16wrapped_functionINSA_23allocator_traits_detail5gozerEvEEEElLj1EEEvT0_T1_SH_,@function
_ZN6thrust23THRUST_200600_302600_NS11hip_rocprim14__parallel_for6kernelILj256ENS1_10for_each_fINS0_10device_ptrINS0_5tupleIiiNS0_9null_typeES7_S7_S7_S7_S7_S7_S7_EEEENS0_6detail16wrapped_functionINSA_23allocator_traits_detail5gozerEvEEEElLj1EEEvT0_T1_SH_: ; @_ZN6thrust23THRUST_200600_302600_NS11hip_rocprim14__parallel_for6kernelILj256ENS1_10for_each_fINS0_10device_ptrINS0_5tupleIiiNS0_9null_typeES7_S7_S7_S7_S7_S7_S7_EEEENS0_6detail16wrapped_functionINSA_23allocator_traits_detail5gozerEvEEEElLj1EEEvT0_T1_SH_
; %bb.0:
	s_endpgm
	.section	.rodata,"a",@progbits
	.p2align	6, 0x0
	.amdhsa_kernel _ZN6thrust23THRUST_200600_302600_NS11hip_rocprim14__parallel_for6kernelILj256ENS1_10for_each_fINS0_10device_ptrINS0_5tupleIiiNS0_9null_typeES7_S7_S7_S7_S7_S7_S7_EEEENS0_6detail16wrapped_functionINSA_23allocator_traits_detail5gozerEvEEEElLj1EEEvT0_T1_SH_
		.amdhsa_group_segment_fixed_size 0
		.amdhsa_private_segment_fixed_size 0
		.amdhsa_kernarg_size 32
		.amdhsa_user_sgpr_count 6
		.amdhsa_user_sgpr_private_segment_buffer 1
		.amdhsa_user_sgpr_dispatch_ptr 0
		.amdhsa_user_sgpr_queue_ptr 0
		.amdhsa_user_sgpr_kernarg_segment_ptr 1
		.amdhsa_user_sgpr_dispatch_id 0
		.amdhsa_user_sgpr_flat_scratch_init 0
		.amdhsa_user_sgpr_private_segment_size 0
		.amdhsa_wavefront_size32 1
		.amdhsa_uses_dynamic_stack 0
		.amdhsa_system_sgpr_private_segment_wavefront_offset 0
		.amdhsa_system_sgpr_workgroup_id_x 1
		.amdhsa_system_sgpr_workgroup_id_y 0
		.amdhsa_system_sgpr_workgroup_id_z 0
		.amdhsa_system_sgpr_workgroup_info 0
		.amdhsa_system_vgpr_workitem_id 0
		.amdhsa_next_free_vgpr 1
		.amdhsa_next_free_sgpr 1
		.amdhsa_reserve_vcc 0
		.amdhsa_reserve_flat_scratch 0
		.amdhsa_float_round_mode_32 0
		.amdhsa_float_round_mode_16_64 0
		.amdhsa_float_denorm_mode_32 3
		.amdhsa_float_denorm_mode_16_64 3
		.amdhsa_dx10_clamp 1
		.amdhsa_ieee_mode 1
		.amdhsa_fp16_overflow 0
		.amdhsa_workgroup_processor_mode 1
		.amdhsa_memory_ordered 1
		.amdhsa_forward_progress 1
		.amdhsa_shared_vgpr_count 0
		.amdhsa_exception_fp_ieee_invalid_op 0
		.amdhsa_exception_fp_denorm_src 0
		.amdhsa_exception_fp_ieee_div_zero 0
		.amdhsa_exception_fp_ieee_overflow 0
		.amdhsa_exception_fp_ieee_underflow 0
		.amdhsa_exception_fp_ieee_inexact 0
		.amdhsa_exception_int_div_zero 0
	.end_amdhsa_kernel
	.section	.text._ZN6thrust23THRUST_200600_302600_NS11hip_rocprim14__parallel_for6kernelILj256ENS1_10for_each_fINS0_10device_ptrINS0_5tupleIiiNS0_9null_typeES7_S7_S7_S7_S7_S7_S7_EEEENS0_6detail16wrapped_functionINSA_23allocator_traits_detail5gozerEvEEEElLj1EEEvT0_T1_SH_,"axG",@progbits,_ZN6thrust23THRUST_200600_302600_NS11hip_rocprim14__parallel_for6kernelILj256ENS1_10for_each_fINS0_10device_ptrINS0_5tupleIiiNS0_9null_typeES7_S7_S7_S7_S7_S7_S7_EEEENS0_6detail16wrapped_functionINSA_23allocator_traits_detail5gozerEvEEEElLj1EEEvT0_T1_SH_,comdat
.Lfunc_end422:
	.size	_ZN6thrust23THRUST_200600_302600_NS11hip_rocprim14__parallel_for6kernelILj256ENS1_10for_each_fINS0_10device_ptrINS0_5tupleIiiNS0_9null_typeES7_S7_S7_S7_S7_S7_S7_EEEENS0_6detail16wrapped_functionINSA_23allocator_traits_detail5gozerEvEEEElLj1EEEvT0_T1_SH_, .Lfunc_end422-_ZN6thrust23THRUST_200600_302600_NS11hip_rocprim14__parallel_for6kernelILj256ENS1_10for_each_fINS0_10device_ptrINS0_5tupleIiiNS0_9null_typeES7_S7_S7_S7_S7_S7_S7_EEEENS0_6detail16wrapped_functionINSA_23allocator_traits_detail5gozerEvEEEElLj1EEEvT0_T1_SH_
                                        ; -- End function
	.set _ZN6thrust23THRUST_200600_302600_NS11hip_rocprim14__parallel_for6kernelILj256ENS1_10for_each_fINS0_10device_ptrINS0_5tupleIiiNS0_9null_typeES7_S7_S7_S7_S7_S7_S7_EEEENS0_6detail16wrapped_functionINSA_23allocator_traits_detail5gozerEvEEEElLj1EEEvT0_T1_SH_.num_vgpr, 0
	.set _ZN6thrust23THRUST_200600_302600_NS11hip_rocprim14__parallel_for6kernelILj256ENS1_10for_each_fINS0_10device_ptrINS0_5tupleIiiNS0_9null_typeES7_S7_S7_S7_S7_S7_S7_EEEENS0_6detail16wrapped_functionINSA_23allocator_traits_detail5gozerEvEEEElLj1EEEvT0_T1_SH_.num_agpr, 0
	.set _ZN6thrust23THRUST_200600_302600_NS11hip_rocprim14__parallel_for6kernelILj256ENS1_10for_each_fINS0_10device_ptrINS0_5tupleIiiNS0_9null_typeES7_S7_S7_S7_S7_S7_S7_EEEENS0_6detail16wrapped_functionINSA_23allocator_traits_detail5gozerEvEEEElLj1EEEvT0_T1_SH_.numbered_sgpr, 0
	.set _ZN6thrust23THRUST_200600_302600_NS11hip_rocprim14__parallel_for6kernelILj256ENS1_10for_each_fINS0_10device_ptrINS0_5tupleIiiNS0_9null_typeES7_S7_S7_S7_S7_S7_S7_EEEENS0_6detail16wrapped_functionINSA_23allocator_traits_detail5gozerEvEEEElLj1EEEvT0_T1_SH_.num_named_barrier, 0
	.set _ZN6thrust23THRUST_200600_302600_NS11hip_rocprim14__parallel_for6kernelILj256ENS1_10for_each_fINS0_10device_ptrINS0_5tupleIiiNS0_9null_typeES7_S7_S7_S7_S7_S7_S7_EEEENS0_6detail16wrapped_functionINSA_23allocator_traits_detail5gozerEvEEEElLj1EEEvT0_T1_SH_.private_seg_size, 0
	.set _ZN6thrust23THRUST_200600_302600_NS11hip_rocprim14__parallel_for6kernelILj256ENS1_10for_each_fINS0_10device_ptrINS0_5tupleIiiNS0_9null_typeES7_S7_S7_S7_S7_S7_S7_EEEENS0_6detail16wrapped_functionINSA_23allocator_traits_detail5gozerEvEEEElLj1EEEvT0_T1_SH_.uses_vcc, 0
	.set _ZN6thrust23THRUST_200600_302600_NS11hip_rocprim14__parallel_for6kernelILj256ENS1_10for_each_fINS0_10device_ptrINS0_5tupleIiiNS0_9null_typeES7_S7_S7_S7_S7_S7_S7_EEEENS0_6detail16wrapped_functionINSA_23allocator_traits_detail5gozerEvEEEElLj1EEEvT0_T1_SH_.uses_flat_scratch, 0
	.set _ZN6thrust23THRUST_200600_302600_NS11hip_rocprim14__parallel_for6kernelILj256ENS1_10for_each_fINS0_10device_ptrINS0_5tupleIiiNS0_9null_typeES7_S7_S7_S7_S7_S7_S7_EEEENS0_6detail16wrapped_functionINSA_23allocator_traits_detail5gozerEvEEEElLj1EEEvT0_T1_SH_.has_dyn_sized_stack, 0
	.set _ZN6thrust23THRUST_200600_302600_NS11hip_rocprim14__parallel_for6kernelILj256ENS1_10for_each_fINS0_10device_ptrINS0_5tupleIiiNS0_9null_typeES7_S7_S7_S7_S7_S7_S7_EEEENS0_6detail16wrapped_functionINSA_23allocator_traits_detail5gozerEvEEEElLj1EEEvT0_T1_SH_.has_recursion, 0
	.set _ZN6thrust23THRUST_200600_302600_NS11hip_rocprim14__parallel_for6kernelILj256ENS1_10for_each_fINS0_10device_ptrINS0_5tupleIiiNS0_9null_typeES7_S7_S7_S7_S7_S7_S7_EEEENS0_6detail16wrapped_functionINSA_23allocator_traits_detail5gozerEvEEEElLj1EEEvT0_T1_SH_.has_indirect_call, 0
	.section	.AMDGPU.csdata,"",@progbits
; Kernel info:
; codeLenInByte = 4
; TotalNumSgprs: 0
; NumVgprs: 0
; ScratchSize: 0
; MemoryBound: 0
; FloatMode: 240
; IeeeMode: 1
; LDSByteSize: 0 bytes/workgroup (compile time only)
; SGPRBlocks: 0
; VGPRBlocks: 0
; NumSGPRsForWavesPerEU: 1
; NumVGPRsForWavesPerEU: 1
; Occupancy: 16
; WaveLimiterHint : 0
; COMPUTE_PGM_RSRC2:SCRATCH_EN: 0
; COMPUTE_PGM_RSRC2:USER_SGPR: 6
; COMPUTE_PGM_RSRC2:TRAP_HANDLER: 0
; COMPUTE_PGM_RSRC2:TGID_X_EN: 1
; COMPUTE_PGM_RSRC2:TGID_Y_EN: 0
; COMPUTE_PGM_RSRC2:TGID_Z_EN: 0
; COMPUTE_PGM_RSRC2:TIDIG_COMP_CNT: 0
	.section	.text._ZN6thrust23THRUST_200600_302600_NS11hip_rocprim14__parallel_for6kernelILj256ENS1_10for_each_fINS0_7pointerINS0_5tupleIiiNS0_9null_typeES7_S7_S7_S7_S7_S7_S7_EENS1_3tagENS0_11use_defaultESA_EENS0_6detail16wrapped_functionINSC_23allocator_traits_detail24construct1_via_allocatorINSC_18no_throw_allocatorINSC_19temporary_allocatorIS8_S9_EEEEEEvEEEEmLj1EEEvT0_T1_SO_,"axG",@progbits,_ZN6thrust23THRUST_200600_302600_NS11hip_rocprim14__parallel_for6kernelILj256ENS1_10for_each_fINS0_7pointerINS0_5tupleIiiNS0_9null_typeES7_S7_S7_S7_S7_S7_S7_EENS1_3tagENS0_11use_defaultESA_EENS0_6detail16wrapped_functionINSC_23allocator_traits_detail24construct1_via_allocatorINSC_18no_throw_allocatorINSC_19temporary_allocatorIS8_S9_EEEEEEvEEEEmLj1EEEvT0_T1_SO_,comdat
	.protected	_ZN6thrust23THRUST_200600_302600_NS11hip_rocprim14__parallel_for6kernelILj256ENS1_10for_each_fINS0_7pointerINS0_5tupleIiiNS0_9null_typeES7_S7_S7_S7_S7_S7_S7_EENS1_3tagENS0_11use_defaultESA_EENS0_6detail16wrapped_functionINSC_23allocator_traits_detail24construct1_via_allocatorINSC_18no_throw_allocatorINSC_19temporary_allocatorIS8_S9_EEEEEEvEEEEmLj1EEEvT0_T1_SO_ ; -- Begin function _ZN6thrust23THRUST_200600_302600_NS11hip_rocprim14__parallel_for6kernelILj256ENS1_10for_each_fINS0_7pointerINS0_5tupleIiiNS0_9null_typeES7_S7_S7_S7_S7_S7_S7_EENS1_3tagENS0_11use_defaultESA_EENS0_6detail16wrapped_functionINSC_23allocator_traits_detail24construct1_via_allocatorINSC_18no_throw_allocatorINSC_19temporary_allocatorIS8_S9_EEEEEEvEEEEmLj1EEEvT0_T1_SO_
	.globl	_ZN6thrust23THRUST_200600_302600_NS11hip_rocprim14__parallel_for6kernelILj256ENS1_10for_each_fINS0_7pointerINS0_5tupleIiiNS0_9null_typeES7_S7_S7_S7_S7_S7_S7_EENS1_3tagENS0_11use_defaultESA_EENS0_6detail16wrapped_functionINSC_23allocator_traits_detail24construct1_via_allocatorINSC_18no_throw_allocatorINSC_19temporary_allocatorIS8_S9_EEEEEEvEEEEmLj1EEEvT0_T1_SO_
	.p2align	8
	.type	_ZN6thrust23THRUST_200600_302600_NS11hip_rocprim14__parallel_for6kernelILj256ENS1_10for_each_fINS0_7pointerINS0_5tupleIiiNS0_9null_typeES7_S7_S7_S7_S7_S7_S7_EENS1_3tagENS0_11use_defaultESA_EENS0_6detail16wrapped_functionINSC_23allocator_traits_detail24construct1_via_allocatorINSC_18no_throw_allocatorINSC_19temporary_allocatorIS8_S9_EEEEEEvEEEEmLj1EEEvT0_T1_SO_,@function
_ZN6thrust23THRUST_200600_302600_NS11hip_rocprim14__parallel_for6kernelILj256ENS1_10for_each_fINS0_7pointerINS0_5tupleIiiNS0_9null_typeES7_S7_S7_S7_S7_S7_S7_EENS1_3tagENS0_11use_defaultESA_EENS0_6detail16wrapped_functionINSC_23allocator_traits_detail24construct1_via_allocatorINSC_18no_throw_allocatorINSC_19temporary_allocatorIS8_S9_EEEEEEvEEEEmLj1EEEvT0_T1_SO_: ; @_ZN6thrust23THRUST_200600_302600_NS11hip_rocprim14__parallel_for6kernelILj256ENS1_10for_each_fINS0_7pointerINS0_5tupleIiiNS0_9null_typeES7_S7_S7_S7_S7_S7_S7_EENS1_3tagENS0_11use_defaultESA_EENS0_6detail16wrapped_functionINSC_23allocator_traits_detail24construct1_via_allocatorINSC_18no_throw_allocatorINSC_19temporary_allocatorIS8_S9_EEEEEEvEEEEmLj1EEEvT0_T1_SO_
; %bb.0:
	s_clause 0x1
	s_load_dwordx4 s[8:11], s[4:5], 0x10
	s_load_dwordx2 s[0:1], s[4:5], 0x0
	s_lshl_b32 s2, s6, 8
	s_waitcnt lgkmcnt(0)
	s_add_u32 s2, s10, s2
	s_addc_u32 s3, s11, 0
	s_sub_u32 s4, s8, s2
	s_subb_u32 s5, s9, s3
	v_cmp_lt_u64_e64 s5, 0xff, s[4:5]
	s_and_b32 vcc_lo, exec_lo, s5
	s_mov_b32 s5, -1
	s_cbranch_vccz .LBB423_3
; %bb.1:
	s_andn2_b32 vcc_lo, exec_lo, s5
	s_cbranch_vccz .LBB423_6
.LBB423_2:
	s_endpgm
.LBB423_3:
	v_cmp_gt_u32_e32 vcc_lo, s4, v0
	s_and_saveexec_b32 s4, vcc_lo
	s_cbranch_execz .LBB423_5
; %bb.4:
	v_lshlrev_b32_e32 v2, 3, v0
	s_lshl_b64 s[6:7], s[2:3], 3
	v_mov_b32_e32 v1, 0
	s_add_u32 s5, s0, s6
	s_addc_u32 s6, s1, s7
	v_add_co_u32 v3, s5, s5, v2
	v_add_co_ci_u32_e64 v4, null, s6, 0, s5
	v_mov_b32_e32 v2, v1
	flat_store_dwordx2 v[3:4], v[1:2]
.LBB423_5:
	s_or_b32 exec_lo, exec_lo, s4
	s_cbranch_execnz .LBB423_2
.LBB423_6:
	v_lshlrev_b32_e32 v1, 3, v0
	s_lshl_b64 s[2:3], s[2:3], 3
	v_mov_b32_e32 v0, 0
	s_add_u32 s0, s0, s2
	s_addc_u32 s1, s1, s3
	v_add_co_u32 v2, s0, s0, v1
	v_add_co_ci_u32_e64 v3, null, s1, 0, s0
	v_mov_b32_e32 v1, v0
	flat_store_dwordx2 v[2:3], v[0:1]
	s_endpgm
	.section	.rodata,"a",@progbits
	.p2align	6, 0x0
	.amdhsa_kernel _ZN6thrust23THRUST_200600_302600_NS11hip_rocprim14__parallel_for6kernelILj256ENS1_10for_each_fINS0_7pointerINS0_5tupleIiiNS0_9null_typeES7_S7_S7_S7_S7_S7_S7_EENS1_3tagENS0_11use_defaultESA_EENS0_6detail16wrapped_functionINSC_23allocator_traits_detail24construct1_via_allocatorINSC_18no_throw_allocatorINSC_19temporary_allocatorIS8_S9_EEEEEEvEEEEmLj1EEEvT0_T1_SO_
		.amdhsa_group_segment_fixed_size 0
		.amdhsa_private_segment_fixed_size 0
		.amdhsa_kernarg_size 32
		.amdhsa_user_sgpr_count 6
		.amdhsa_user_sgpr_private_segment_buffer 1
		.amdhsa_user_sgpr_dispatch_ptr 0
		.amdhsa_user_sgpr_queue_ptr 0
		.amdhsa_user_sgpr_kernarg_segment_ptr 1
		.amdhsa_user_sgpr_dispatch_id 0
		.amdhsa_user_sgpr_flat_scratch_init 0
		.amdhsa_user_sgpr_private_segment_size 0
		.amdhsa_wavefront_size32 1
		.amdhsa_uses_dynamic_stack 0
		.amdhsa_system_sgpr_private_segment_wavefront_offset 0
		.amdhsa_system_sgpr_workgroup_id_x 1
		.amdhsa_system_sgpr_workgroup_id_y 0
		.amdhsa_system_sgpr_workgroup_id_z 0
		.amdhsa_system_sgpr_workgroup_info 0
		.amdhsa_system_vgpr_workitem_id 0
		.amdhsa_next_free_vgpr 5
		.amdhsa_next_free_sgpr 12
		.amdhsa_reserve_vcc 1
		.amdhsa_reserve_flat_scratch 0
		.amdhsa_float_round_mode_32 0
		.amdhsa_float_round_mode_16_64 0
		.amdhsa_float_denorm_mode_32 3
		.amdhsa_float_denorm_mode_16_64 3
		.amdhsa_dx10_clamp 1
		.amdhsa_ieee_mode 1
		.amdhsa_fp16_overflow 0
		.amdhsa_workgroup_processor_mode 1
		.amdhsa_memory_ordered 1
		.amdhsa_forward_progress 1
		.amdhsa_shared_vgpr_count 0
		.amdhsa_exception_fp_ieee_invalid_op 0
		.amdhsa_exception_fp_denorm_src 0
		.amdhsa_exception_fp_ieee_div_zero 0
		.amdhsa_exception_fp_ieee_overflow 0
		.amdhsa_exception_fp_ieee_underflow 0
		.amdhsa_exception_fp_ieee_inexact 0
		.amdhsa_exception_int_div_zero 0
	.end_amdhsa_kernel
	.section	.text._ZN6thrust23THRUST_200600_302600_NS11hip_rocprim14__parallel_for6kernelILj256ENS1_10for_each_fINS0_7pointerINS0_5tupleIiiNS0_9null_typeES7_S7_S7_S7_S7_S7_S7_EENS1_3tagENS0_11use_defaultESA_EENS0_6detail16wrapped_functionINSC_23allocator_traits_detail24construct1_via_allocatorINSC_18no_throw_allocatorINSC_19temporary_allocatorIS8_S9_EEEEEEvEEEEmLj1EEEvT0_T1_SO_,"axG",@progbits,_ZN6thrust23THRUST_200600_302600_NS11hip_rocprim14__parallel_for6kernelILj256ENS1_10for_each_fINS0_7pointerINS0_5tupleIiiNS0_9null_typeES7_S7_S7_S7_S7_S7_S7_EENS1_3tagENS0_11use_defaultESA_EENS0_6detail16wrapped_functionINSC_23allocator_traits_detail24construct1_via_allocatorINSC_18no_throw_allocatorINSC_19temporary_allocatorIS8_S9_EEEEEEvEEEEmLj1EEEvT0_T1_SO_,comdat
.Lfunc_end423:
	.size	_ZN6thrust23THRUST_200600_302600_NS11hip_rocprim14__parallel_for6kernelILj256ENS1_10for_each_fINS0_7pointerINS0_5tupleIiiNS0_9null_typeES7_S7_S7_S7_S7_S7_S7_EENS1_3tagENS0_11use_defaultESA_EENS0_6detail16wrapped_functionINSC_23allocator_traits_detail24construct1_via_allocatorINSC_18no_throw_allocatorINSC_19temporary_allocatorIS8_S9_EEEEEEvEEEEmLj1EEEvT0_T1_SO_, .Lfunc_end423-_ZN6thrust23THRUST_200600_302600_NS11hip_rocprim14__parallel_for6kernelILj256ENS1_10for_each_fINS0_7pointerINS0_5tupleIiiNS0_9null_typeES7_S7_S7_S7_S7_S7_S7_EENS1_3tagENS0_11use_defaultESA_EENS0_6detail16wrapped_functionINSC_23allocator_traits_detail24construct1_via_allocatorINSC_18no_throw_allocatorINSC_19temporary_allocatorIS8_S9_EEEEEEvEEEEmLj1EEEvT0_T1_SO_
                                        ; -- End function
	.set _ZN6thrust23THRUST_200600_302600_NS11hip_rocprim14__parallel_for6kernelILj256ENS1_10for_each_fINS0_7pointerINS0_5tupleIiiNS0_9null_typeES7_S7_S7_S7_S7_S7_S7_EENS1_3tagENS0_11use_defaultESA_EENS0_6detail16wrapped_functionINSC_23allocator_traits_detail24construct1_via_allocatorINSC_18no_throw_allocatorINSC_19temporary_allocatorIS8_S9_EEEEEEvEEEEmLj1EEEvT0_T1_SO_.num_vgpr, 5
	.set _ZN6thrust23THRUST_200600_302600_NS11hip_rocprim14__parallel_for6kernelILj256ENS1_10for_each_fINS0_7pointerINS0_5tupleIiiNS0_9null_typeES7_S7_S7_S7_S7_S7_S7_EENS1_3tagENS0_11use_defaultESA_EENS0_6detail16wrapped_functionINSC_23allocator_traits_detail24construct1_via_allocatorINSC_18no_throw_allocatorINSC_19temporary_allocatorIS8_S9_EEEEEEvEEEEmLj1EEEvT0_T1_SO_.num_agpr, 0
	.set _ZN6thrust23THRUST_200600_302600_NS11hip_rocprim14__parallel_for6kernelILj256ENS1_10for_each_fINS0_7pointerINS0_5tupleIiiNS0_9null_typeES7_S7_S7_S7_S7_S7_S7_EENS1_3tagENS0_11use_defaultESA_EENS0_6detail16wrapped_functionINSC_23allocator_traits_detail24construct1_via_allocatorINSC_18no_throw_allocatorINSC_19temporary_allocatorIS8_S9_EEEEEEvEEEEmLj1EEEvT0_T1_SO_.numbered_sgpr, 12
	.set _ZN6thrust23THRUST_200600_302600_NS11hip_rocprim14__parallel_for6kernelILj256ENS1_10for_each_fINS0_7pointerINS0_5tupleIiiNS0_9null_typeES7_S7_S7_S7_S7_S7_S7_EENS1_3tagENS0_11use_defaultESA_EENS0_6detail16wrapped_functionINSC_23allocator_traits_detail24construct1_via_allocatorINSC_18no_throw_allocatorINSC_19temporary_allocatorIS8_S9_EEEEEEvEEEEmLj1EEEvT0_T1_SO_.num_named_barrier, 0
	.set _ZN6thrust23THRUST_200600_302600_NS11hip_rocprim14__parallel_for6kernelILj256ENS1_10for_each_fINS0_7pointerINS0_5tupleIiiNS0_9null_typeES7_S7_S7_S7_S7_S7_S7_EENS1_3tagENS0_11use_defaultESA_EENS0_6detail16wrapped_functionINSC_23allocator_traits_detail24construct1_via_allocatorINSC_18no_throw_allocatorINSC_19temporary_allocatorIS8_S9_EEEEEEvEEEEmLj1EEEvT0_T1_SO_.private_seg_size, 0
	.set _ZN6thrust23THRUST_200600_302600_NS11hip_rocprim14__parallel_for6kernelILj256ENS1_10for_each_fINS0_7pointerINS0_5tupleIiiNS0_9null_typeES7_S7_S7_S7_S7_S7_S7_EENS1_3tagENS0_11use_defaultESA_EENS0_6detail16wrapped_functionINSC_23allocator_traits_detail24construct1_via_allocatorINSC_18no_throw_allocatorINSC_19temporary_allocatorIS8_S9_EEEEEEvEEEEmLj1EEEvT0_T1_SO_.uses_vcc, 1
	.set _ZN6thrust23THRUST_200600_302600_NS11hip_rocprim14__parallel_for6kernelILj256ENS1_10for_each_fINS0_7pointerINS0_5tupleIiiNS0_9null_typeES7_S7_S7_S7_S7_S7_S7_EENS1_3tagENS0_11use_defaultESA_EENS0_6detail16wrapped_functionINSC_23allocator_traits_detail24construct1_via_allocatorINSC_18no_throw_allocatorINSC_19temporary_allocatorIS8_S9_EEEEEEvEEEEmLj1EEEvT0_T1_SO_.uses_flat_scratch, 0
	.set _ZN6thrust23THRUST_200600_302600_NS11hip_rocprim14__parallel_for6kernelILj256ENS1_10for_each_fINS0_7pointerINS0_5tupleIiiNS0_9null_typeES7_S7_S7_S7_S7_S7_S7_EENS1_3tagENS0_11use_defaultESA_EENS0_6detail16wrapped_functionINSC_23allocator_traits_detail24construct1_via_allocatorINSC_18no_throw_allocatorINSC_19temporary_allocatorIS8_S9_EEEEEEvEEEEmLj1EEEvT0_T1_SO_.has_dyn_sized_stack, 0
	.set _ZN6thrust23THRUST_200600_302600_NS11hip_rocprim14__parallel_for6kernelILj256ENS1_10for_each_fINS0_7pointerINS0_5tupleIiiNS0_9null_typeES7_S7_S7_S7_S7_S7_S7_EENS1_3tagENS0_11use_defaultESA_EENS0_6detail16wrapped_functionINSC_23allocator_traits_detail24construct1_via_allocatorINSC_18no_throw_allocatorINSC_19temporary_allocatorIS8_S9_EEEEEEvEEEEmLj1EEEvT0_T1_SO_.has_recursion, 0
	.set _ZN6thrust23THRUST_200600_302600_NS11hip_rocprim14__parallel_for6kernelILj256ENS1_10for_each_fINS0_7pointerINS0_5tupleIiiNS0_9null_typeES7_S7_S7_S7_S7_S7_S7_EENS1_3tagENS0_11use_defaultESA_EENS0_6detail16wrapped_functionINSC_23allocator_traits_detail24construct1_via_allocatorINSC_18no_throw_allocatorINSC_19temporary_allocatorIS8_S9_EEEEEEvEEEEmLj1EEEvT0_T1_SO_.has_indirect_call, 0
	.section	.AMDGPU.csdata,"",@progbits
; Kernel info:
; codeLenInByte = 200
; TotalNumSgprs: 14
; NumVgprs: 5
; ScratchSize: 0
; MemoryBound: 0
; FloatMode: 240
; IeeeMode: 1
; LDSByteSize: 0 bytes/workgroup (compile time only)
; SGPRBlocks: 0
; VGPRBlocks: 0
; NumSGPRsForWavesPerEU: 14
; NumVGPRsForWavesPerEU: 5
; Occupancy: 16
; WaveLimiterHint : 0
; COMPUTE_PGM_RSRC2:SCRATCH_EN: 0
; COMPUTE_PGM_RSRC2:USER_SGPR: 6
; COMPUTE_PGM_RSRC2:TRAP_HANDLER: 0
; COMPUTE_PGM_RSRC2:TGID_X_EN: 1
; COMPUTE_PGM_RSRC2:TGID_Y_EN: 0
; COMPUTE_PGM_RSRC2:TGID_Z_EN: 0
; COMPUTE_PGM_RSRC2:TIDIG_COMP_CNT: 0
	.section	.text._ZN6thrust23THRUST_200600_302600_NS11hip_rocprim14__parallel_for6kernelILj256ENS1_10for_each_fINS0_7pointerINS0_5tupleIiiNS0_9null_typeES7_S7_S7_S7_S7_S7_S7_EENS1_3tagENS0_11use_defaultESA_EENS0_6detail16wrapped_functionINSC_23allocator_traits_detail5gozerEvEEEElLj1EEEvT0_T1_SJ_,"axG",@progbits,_ZN6thrust23THRUST_200600_302600_NS11hip_rocprim14__parallel_for6kernelILj256ENS1_10for_each_fINS0_7pointerINS0_5tupleIiiNS0_9null_typeES7_S7_S7_S7_S7_S7_S7_EENS1_3tagENS0_11use_defaultESA_EENS0_6detail16wrapped_functionINSC_23allocator_traits_detail5gozerEvEEEElLj1EEEvT0_T1_SJ_,comdat
	.protected	_ZN6thrust23THRUST_200600_302600_NS11hip_rocprim14__parallel_for6kernelILj256ENS1_10for_each_fINS0_7pointerINS0_5tupleIiiNS0_9null_typeES7_S7_S7_S7_S7_S7_S7_EENS1_3tagENS0_11use_defaultESA_EENS0_6detail16wrapped_functionINSC_23allocator_traits_detail5gozerEvEEEElLj1EEEvT0_T1_SJ_ ; -- Begin function _ZN6thrust23THRUST_200600_302600_NS11hip_rocprim14__parallel_for6kernelILj256ENS1_10for_each_fINS0_7pointerINS0_5tupleIiiNS0_9null_typeES7_S7_S7_S7_S7_S7_S7_EENS1_3tagENS0_11use_defaultESA_EENS0_6detail16wrapped_functionINSC_23allocator_traits_detail5gozerEvEEEElLj1EEEvT0_T1_SJ_
	.globl	_ZN6thrust23THRUST_200600_302600_NS11hip_rocprim14__parallel_for6kernelILj256ENS1_10for_each_fINS0_7pointerINS0_5tupleIiiNS0_9null_typeES7_S7_S7_S7_S7_S7_S7_EENS1_3tagENS0_11use_defaultESA_EENS0_6detail16wrapped_functionINSC_23allocator_traits_detail5gozerEvEEEElLj1EEEvT0_T1_SJ_
	.p2align	8
	.type	_ZN6thrust23THRUST_200600_302600_NS11hip_rocprim14__parallel_for6kernelILj256ENS1_10for_each_fINS0_7pointerINS0_5tupleIiiNS0_9null_typeES7_S7_S7_S7_S7_S7_S7_EENS1_3tagENS0_11use_defaultESA_EENS0_6detail16wrapped_functionINSC_23allocator_traits_detail5gozerEvEEEElLj1EEEvT0_T1_SJ_,@function
_ZN6thrust23THRUST_200600_302600_NS11hip_rocprim14__parallel_for6kernelILj256ENS1_10for_each_fINS0_7pointerINS0_5tupleIiiNS0_9null_typeES7_S7_S7_S7_S7_S7_S7_EENS1_3tagENS0_11use_defaultESA_EENS0_6detail16wrapped_functionINSC_23allocator_traits_detail5gozerEvEEEElLj1EEEvT0_T1_SJ_: ; @_ZN6thrust23THRUST_200600_302600_NS11hip_rocprim14__parallel_for6kernelILj256ENS1_10for_each_fINS0_7pointerINS0_5tupleIiiNS0_9null_typeES7_S7_S7_S7_S7_S7_S7_EENS1_3tagENS0_11use_defaultESA_EENS0_6detail16wrapped_functionINSC_23allocator_traits_detail5gozerEvEEEElLj1EEEvT0_T1_SJ_
; %bb.0:
	s_endpgm
	.section	.rodata,"a",@progbits
	.p2align	6, 0x0
	.amdhsa_kernel _ZN6thrust23THRUST_200600_302600_NS11hip_rocprim14__parallel_for6kernelILj256ENS1_10for_each_fINS0_7pointerINS0_5tupleIiiNS0_9null_typeES7_S7_S7_S7_S7_S7_S7_EENS1_3tagENS0_11use_defaultESA_EENS0_6detail16wrapped_functionINSC_23allocator_traits_detail5gozerEvEEEElLj1EEEvT0_T1_SJ_
		.amdhsa_group_segment_fixed_size 0
		.amdhsa_private_segment_fixed_size 0
		.amdhsa_kernarg_size 32
		.amdhsa_user_sgpr_count 6
		.amdhsa_user_sgpr_private_segment_buffer 1
		.amdhsa_user_sgpr_dispatch_ptr 0
		.amdhsa_user_sgpr_queue_ptr 0
		.amdhsa_user_sgpr_kernarg_segment_ptr 1
		.amdhsa_user_sgpr_dispatch_id 0
		.amdhsa_user_sgpr_flat_scratch_init 0
		.amdhsa_user_sgpr_private_segment_size 0
		.amdhsa_wavefront_size32 1
		.amdhsa_uses_dynamic_stack 0
		.amdhsa_system_sgpr_private_segment_wavefront_offset 0
		.amdhsa_system_sgpr_workgroup_id_x 1
		.amdhsa_system_sgpr_workgroup_id_y 0
		.amdhsa_system_sgpr_workgroup_id_z 0
		.amdhsa_system_sgpr_workgroup_info 0
		.amdhsa_system_vgpr_workitem_id 0
		.amdhsa_next_free_vgpr 1
		.amdhsa_next_free_sgpr 1
		.amdhsa_reserve_vcc 0
		.amdhsa_reserve_flat_scratch 0
		.amdhsa_float_round_mode_32 0
		.amdhsa_float_round_mode_16_64 0
		.amdhsa_float_denorm_mode_32 3
		.amdhsa_float_denorm_mode_16_64 3
		.amdhsa_dx10_clamp 1
		.amdhsa_ieee_mode 1
		.amdhsa_fp16_overflow 0
		.amdhsa_workgroup_processor_mode 1
		.amdhsa_memory_ordered 1
		.amdhsa_forward_progress 1
		.amdhsa_shared_vgpr_count 0
		.amdhsa_exception_fp_ieee_invalid_op 0
		.amdhsa_exception_fp_denorm_src 0
		.amdhsa_exception_fp_ieee_div_zero 0
		.amdhsa_exception_fp_ieee_overflow 0
		.amdhsa_exception_fp_ieee_underflow 0
		.amdhsa_exception_fp_ieee_inexact 0
		.amdhsa_exception_int_div_zero 0
	.end_amdhsa_kernel
	.section	.text._ZN6thrust23THRUST_200600_302600_NS11hip_rocprim14__parallel_for6kernelILj256ENS1_10for_each_fINS0_7pointerINS0_5tupleIiiNS0_9null_typeES7_S7_S7_S7_S7_S7_S7_EENS1_3tagENS0_11use_defaultESA_EENS0_6detail16wrapped_functionINSC_23allocator_traits_detail5gozerEvEEEElLj1EEEvT0_T1_SJ_,"axG",@progbits,_ZN6thrust23THRUST_200600_302600_NS11hip_rocprim14__parallel_for6kernelILj256ENS1_10for_each_fINS0_7pointerINS0_5tupleIiiNS0_9null_typeES7_S7_S7_S7_S7_S7_S7_EENS1_3tagENS0_11use_defaultESA_EENS0_6detail16wrapped_functionINSC_23allocator_traits_detail5gozerEvEEEElLj1EEEvT0_T1_SJ_,comdat
.Lfunc_end424:
	.size	_ZN6thrust23THRUST_200600_302600_NS11hip_rocprim14__parallel_for6kernelILj256ENS1_10for_each_fINS0_7pointerINS0_5tupleIiiNS0_9null_typeES7_S7_S7_S7_S7_S7_S7_EENS1_3tagENS0_11use_defaultESA_EENS0_6detail16wrapped_functionINSC_23allocator_traits_detail5gozerEvEEEElLj1EEEvT0_T1_SJ_, .Lfunc_end424-_ZN6thrust23THRUST_200600_302600_NS11hip_rocprim14__parallel_for6kernelILj256ENS1_10for_each_fINS0_7pointerINS0_5tupleIiiNS0_9null_typeES7_S7_S7_S7_S7_S7_S7_EENS1_3tagENS0_11use_defaultESA_EENS0_6detail16wrapped_functionINSC_23allocator_traits_detail5gozerEvEEEElLj1EEEvT0_T1_SJ_
                                        ; -- End function
	.set _ZN6thrust23THRUST_200600_302600_NS11hip_rocprim14__parallel_for6kernelILj256ENS1_10for_each_fINS0_7pointerINS0_5tupleIiiNS0_9null_typeES7_S7_S7_S7_S7_S7_S7_EENS1_3tagENS0_11use_defaultESA_EENS0_6detail16wrapped_functionINSC_23allocator_traits_detail5gozerEvEEEElLj1EEEvT0_T1_SJ_.num_vgpr, 0
	.set _ZN6thrust23THRUST_200600_302600_NS11hip_rocprim14__parallel_for6kernelILj256ENS1_10for_each_fINS0_7pointerINS0_5tupleIiiNS0_9null_typeES7_S7_S7_S7_S7_S7_S7_EENS1_3tagENS0_11use_defaultESA_EENS0_6detail16wrapped_functionINSC_23allocator_traits_detail5gozerEvEEEElLj1EEEvT0_T1_SJ_.num_agpr, 0
	.set _ZN6thrust23THRUST_200600_302600_NS11hip_rocprim14__parallel_for6kernelILj256ENS1_10for_each_fINS0_7pointerINS0_5tupleIiiNS0_9null_typeES7_S7_S7_S7_S7_S7_S7_EENS1_3tagENS0_11use_defaultESA_EENS0_6detail16wrapped_functionINSC_23allocator_traits_detail5gozerEvEEEElLj1EEEvT0_T1_SJ_.numbered_sgpr, 0
	.set _ZN6thrust23THRUST_200600_302600_NS11hip_rocprim14__parallel_for6kernelILj256ENS1_10for_each_fINS0_7pointerINS0_5tupleIiiNS0_9null_typeES7_S7_S7_S7_S7_S7_S7_EENS1_3tagENS0_11use_defaultESA_EENS0_6detail16wrapped_functionINSC_23allocator_traits_detail5gozerEvEEEElLj1EEEvT0_T1_SJ_.num_named_barrier, 0
	.set _ZN6thrust23THRUST_200600_302600_NS11hip_rocprim14__parallel_for6kernelILj256ENS1_10for_each_fINS0_7pointerINS0_5tupleIiiNS0_9null_typeES7_S7_S7_S7_S7_S7_S7_EENS1_3tagENS0_11use_defaultESA_EENS0_6detail16wrapped_functionINSC_23allocator_traits_detail5gozerEvEEEElLj1EEEvT0_T1_SJ_.private_seg_size, 0
	.set _ZN6thrust23THRUST_200600_302600_NS11hip_rocprim14__parallel_for6kernelILj256ENS1_10for_each_fINS0_7pointerINS0_5tupleIiiNS0_9null_typeES7_S7_S7_S7_S7_S7_S7_EENS1_3tagENS0_11use_defaultESA_EENS0_6detail16wrapped_functionINSC_23allocator_traits_detail5gozerEvEEEElLj1EEEvT0_T1_SJ_.uses_vcc, 0
	.set _ZN6thrust23THRUST_200600_302600_NS11hip_rocprim14__parallel_for6kernelILj256ENS1_10for_each_fINS0_7pointerINS0_5tupleIiiNS0_9null_typeES7_S7_S7_S7_S7_S7_S7_EENS1_3tagENS0_11use_defaultESA_EENS0_6detail16wrapped_functionINSC_23allocator_traits_detail5gozerEvEEEElLj1EEEvT0_T1_SJ_.uses_flat_scratch, 0
	.set _ZN6thrust23THRUST_200600_302600_NS11hip_rocprim14__parallel_for6kernelILj256ENS1_10for_each_fINS0_7pointerINS0_5tupleIiiNS0_9null_typeES7_S7_S7_S7_S7_S7_S7_EENS1_3tagENS0_11use_defaultESA_EENS0_6detail16wrapped_functionINSC_23allocator_traits_detail5gozerEvEEEElLj1EEEvT0_T1_SJ_.has_dyn_sized_stack, 0
	.set _ZN6thrust23THRUST_200600_302600_NS11hip_rocprim14__parallel_for6kernelILj256ENS1_10for_each_fINS0_7pointerINS0_5tupleIiiNS0_9null_typeES7_S7_S7_S7_S7_S7_S7_EENS1_3tagENS0_11use_defaultESA_EENS0_6detail16wrapped_functionINSC_23allocator_traits_detail5gozerEvEEEElLj1EEEvT0_T1_SJ_.has_recursion, 0
	.set _ZN6thrust23THRUST_200600_302600_NS11hip_rocprim14__parallel_for6kernelILj256ENS1_10for_each_fINS0_7pointerINS0_5tupleIiiNS0_9null_typeES7_S7_S7_S7_S7_S7_S7_EENS1_3tagENS0_11use_defaultESA_EENS0_6detail16wrapped_functionINSC_23allocator_traits_detail5gozerEvEEEElLj1EEEvT0_T1_SJ_.has_indirect_call, 0
	.section	.AMDGPU.csdata,"",@progbits
; Kernel info:
; codeLenInByte = 4
; TotalNumSgprs: 0
; NumVgprs: 0
; ScratchSize: 0
; MemoryBound: 0
; FloatMode: 240
; IeeeMode: 1
; LDSByteSize: 0 bytes/workgroup (compile time only)
; SGPRBlocks: 0
; VGPRBlocks: 0
; NumSGPRsForWavesPerEU: 1
; NumVGPRsForWavesPerEU: 1
; Occupancy: 16
; WaveLimiterHint : 0
; COMPUTE_PGM_RSRC2:SCRATCH_EN: 0
; COMPUTE_PGM_RSRC2:USER_SGPR: 6
; COMPUTE_PGM_RSRC2:TRAP_HANDLER: 0
; COMPUTE_PGM_RSRC2:TGID_X_EN: 1
; COMPUTE_PGM_RSRC2:TGID_Y_EN: 0
; COMPUTE_PGM_RSRC2:TGID_Z_EN: 0
; COMPUTE_PGM_RSRC2:TIDIG_COMP_CNT: 0
	.section	.text._ZN6thrust23THRUST_200600_302600_NS11hip_rocprim14__parallel_for6kernelILj256ENS1_11__transform17unary_transform_fINS0_7pointerINS0_5tupleIiiNS0_9null_typeES8_S8_S8_S8_S8_S8_S8_EENS1_3tagENS0_11use_defaultESB_EENS0_10device_ptrIS9_EENS4_14no_stencil_tagENS0_8identityIS9_EENS4_21always_true_predicateEEElLj1EEEvT0_T1_SL_,"axG",@progbits,_ZN6thrust23THRUST_200600_302600_NS11hip_rocprim14__parallel_for6kernelILj256ENS1_11__transform17unary_transform_fINS0_7pointerINS0_5tupleIiiNS0_9null_typeES8_S8_S8_S8_S8_S8_S8_EENS1_3tagENS0_11use_defaultESB_EENS0_10device_ptrIS9_EENS4_14no_stencil_tagENS0_8identityIS9_EENS4_21always_true_predicateEEElLj1EEEvT0_T1_SL_,comdat
	.protected	_ZN6thrust23THRUST_200600_302600_NS11hip_rocprim14__parallel_for6kernelILj256ENS1_11__transform17unary_transform_fINS0_7pointerINS0_5tupleIiiNS0_9null_typeES8_S8_S8_S8_S8_S8_S8_EENS1_3tagENS0_11use_defaultESB_EENS0_10device_ptrIS9_EENS4_14no_stencil_tagENS0_8identityIS9_EENS4_21always_true_predicateEEElLj1EEEvT0_T1_SL_ ; -- Begin function _ZN6thrust23THRUST_200600_302600_NS11hip_rocprim14__parallel_for6kernelILj256ENS1_11__transform17unary_transform_fINS0_7pointerINS0_5tupleIiiNS0_9null_typeES8_S8_S8_S8_S8_S8_S8_EENS1_3tagENS0_11use_defaultESB_EENS0_10device_ptrIS9_EENS4_14no_stencil_tagENS0_8identityIS9_EENS4_21always_true_predicateEEElLj1EEEvT0_T1_SL_
	.globl	_ZN6thrust23THRUST_200600_302600_NS11hip_rocprim14__parallel_for6kernelILj256ENS1_11__transform17unary_transform_fINS0_7pointerINS0_5tupleIiiNS0_9null_typeES8_S8_S8_S8_S8_S8_S8_EENS1_3tagENS0_11use_defaultESB_EENS0_10device_ptrIS9_EENS4_14no_stencil_tagENS0_8identityIS9_EENS4_21always_true_predicateEEElLj1EEEvT0_T1_SL_
	.p2align	8
	.type	_ZN6thrust23THRUST_200600_302600_NS11hip_rocprim14__parallel_for6kernelILj256ENS1_11__transform17unary_transform_fINS0_7pointerINS0_5tupleIiiNS0_9null_typeES8_S8_S8_S8_S8_S8_S8_EENS1_3tagENS0_11use_defaultESB_EENS0_10device_ptrIS9_EENS4_14no_stencil_tagENS0_8identityIS9_EENS4_21always_true_predicateEEElLj1EEEvT0_T1_SL_,@function
_ZN6thrust23THRUST_200600_302600_NS11hip_rocprim14__parallel_for6kernelILj256ENS1_11__transform17unary_transform_fINS0_7pointerINS0_5tupleIiiNS0_9null_typeES8_S8_S8_S8_S8_S8_S8_EENS1_3tagENS0_11use_defaultESB_EENS0_10device_ptrIS9_EENS4_14no_stencil_tagENS0_8identityIS9_EENS4_21always_true_predicateEEElLj1EEEvT0_T1_SL_: ; @_ZN6thrust23THRUST_200600_302600_NS11hip_rocprim14__parallel_for6kernelILj256ENS1_11__transform17unary_transform_fINS0_7pointerINS0_5tupleIiiNS0_9null_typeES8_S8_S8_S8_S8_S8_S8_EENS1_3tagENS0_11use_defaultESB_EENS0_10device_ptrIS9_EENS4_14no_stencil_tagENS0_8identityIS9_EENS4_21always_true_predicateEEElLj1EEEvT0_T1_SL_
; %bb.0:
	s_clause 0x1
	s_load_dwordx4 s[8:11], s[4:5], 0x18
	s_load_dwordx4 s[0:3], s[4:5], 0x0
	s_lshl_b32 s4, s6, 8
	s_waitcnt lgkmcnt(0)
	s_add_u32 s4, s10, s4
	s_addc_u32 s5, s11, 0
	s_sub_u32 s6, s8, s4
	s_subb_u32 s7, s9, s5
	v_cmp_gt_i64_e64 s7, 0x100, s[6:7]
	s_and_b32 s7, s7, exec_lo
	s_cselect_b32 s7, s6, 0x100
	s_mov_b32 s6, -1
	s_cmpk_eq_i32 s7, 0x100
	s_cbranch_scc0 .LBB425_3
; %bb.1:
	s_andn2_b32 vcc_lo, exec_lo, s6
	s_cbranch_vccz .LBB425_6
.LBB425_2:
	s_endpgm
.LBB425_3:
	s_mov_b32 s6, exec_lo
	v_cmpx_gt_u32_e64 s7, v0
	s_cbranch_execz .LBB425_5
; %bb.4:
	v_add_co_u32 v1, s7, s4, v0
	v_add_co_ci_u32_e64 v2, null, s5, 0, s7
	v_lshlrev_b64 v[1:2], 3, v[1:2]
	v_add_co_u32 v3, vcc_lo, s0, v1
	v_add_co_ci_u32_e64 v4, null, s1, v2, vcc_lo
	v_add_co_u32 v1, vcc_lo, s2, v1
	v_add_co_ci_u32_e64 v2, null, s3, v2, vcc_lo
	flat_load_dwordx2 v[3:4], v[3:4]
	s_waitcnt vmcnt(0) lgkmcnt(0)
	flat_store_dwordx2 v[1:2], v[3:4]
.LBB425_5:
	s_or_b32 exec_lo, exec_lo, s6
	s_cbranch_execnz .LBB425_2
.LBB425_6:
	v_add_co_u32 v0, s4, s4, v0
	v_add_co_ci_u32_e64 v1, null, s5, 0, s4
	v_lshlrev_b64 v[0:1], 3, v[0:1]
	v_add_co_u32 v2, vcc_lo, s0, v0
	v_add_co_ci_u32_e64 v3, null, s1, v1, vcc_lo
	v_add_co_u32 v0, vcc_lo, s2, v0
	v_add_co_ci_u32_e64 v1, null, s3, v1, vcc_lo
	flat_load_dwordx2 v[2:3], v[2:3]
	s_waitcnt vmcnt(0) lgkmcnt(0)
	flat_store_dwordx2 v[0:1], v[2:3]
	s_endpgm
	.section	.rodata,"a",@progbits
	.p2align	6, 0x0
	.amdhsa_kernel _ZN6thrust23THRUST_200600_302600_NS11hip_rocprim14__parallel_for6kernelILj256ENS1_11__transform17unary_transform_fINS0_7pointerINS0_5tupleIiiNS0_9null_typeES8_S8_S8_S8_S8_S8_S8_EENS1_3tagENS0_11use_defaultESB_EENS0_10device_ptrIS9_EENS4_14no_stencil_tagENS0_8identityIS9_EENS4_21always_true_predicateEEElLj1EEEvT0_T1_SL_
		.amdhsa_group_segment_fixed_size 0
		.amdhsa_private_segment_fixed_size 0
		.amdhsa_kernarg_size 40
		.amdhsa_user_sgpr_count 6
		.amdhsa_user_sgpr_private_segment_buffer 1
		.amdhsa_user_sgpr_dispatch_ptr 0
		.amdhsa_user_sgpr_queue_ptr 0
		.amdhsa_user_sgpr_kernarg_segment_ptr 1
		.amdhsa_user_sgpr_dispatch_id 0
		.amdhsa_user_sgpr_flat_scratch_init 0
		.amdhsa_user_sgpr_private_segment_size 0
		.amdhsa_wavefront_size32 1
		.amdhsa_uses_dynamic_stack 0
		.amdhsa_system_sgpr_private_segment_wavefront_offset 0
		.amdhsa_system_sgpr_workgroup_id_x 1
		.amdhsa_system_sgpr_workgroup_id_y 0
		.amdhsa_system_sgpr_workgroup_id_z 0
		.amdhsa_system_sgpr_workgroup_info 0
		.amdhsa_system_vgpr_workitem_id 0
		.amdhsa_next_free_vgpr 5
		.amdhsa_next_free_sgpr 12
		.amdhsa_reserve_vcc 1
		.amdhsa_reserve_flat_scratch 0
		.amdhsa_float_round_mode_32 0
		.amdhsa_float_round_mode_16_64 0
		.amdhsa_float_denorm_mode_32 3
		.amdhsa_float_denorm_mode_16_64 3
		.amdhsa_dx10_clamp 1
		.amdhsa_ieee_mode 1
		.amdhsa_fp16_overflow 0
		.amdhsa_workgroup_processor_mode 1
		.amdhsa_memory_ordered 1
		.amdhsa_forward_progress 1
		.amdhsa_shared_vgpr_count 0
		.amdhsa_exception_fp_ieee_invalid_op 0
		.amdhsa_exception_fp_denorm_src 0
		.amdhsa_exception_fp_ieee_div_zero 0
		.amdhsa_exception_fp_ieee_overflow 0
		.amdhsa_exception_fp_ieee_underflow 0
		.amdhsa_exception_fp_ieee_inexact 0
		.amdhsa_exception_int_div_zero 0
	.end_amdhsa_kernel
	.section	.text._ZN6thrust23THRUST_200600_302600_NS11hip_rocprim14__parallel_for6kernelILj256ENS1_11__transform17unary_transform_fINS0_7pointerINS0_5tupleIiiNS0_9null_typeES8_S8_S8_S8_S8_S8_S8_EENS1_3tagENS0_11use_defaultESB_EENS0_10device_ptrIS9_EENS4_14no_stencil_tagENS0_8identityIS9_EENS4_21always_true_predicateEEElLj1EEEvT0_T1_SL_,"axG",@progbits,_ZN6thrust23THRUST_200600_302600_NS11hip_rocprim14__parallel_for6kernelILj256ENS1_11__transform17unary_transform_fINS0_7pointerINS0_5tupleIiiNS0_9null_typeES8_S8_S8_S8_S8_S8_S8_EENS1_3tagENS0_11use_defaultESB_EENS0_10device_ptrIS9_EENS4_14no_stencil_tagENS0_8identityIS9_EENS4_21always_true_predicateEEElLj1EEEvT0_T1_SL_,comdat
.Lfunc_end425:
	.size	_ZN6thrust23THRUST_200600_302600_NS11hip_rocprim14__parallel_for6kernelILj256ENS1_11__transform17unary_transform_fINS0_7pointerINS0_5tupleIiiNS0_9null_typeES8_S8_S8_S8_S8_S8_S8_EENS1_3tagENS0_11use_defaultESB_EENS0_10device_ptrIS9_EENS4_14no_stencil_tagENS0_8identityIS9_EENS4_21always_true_predicateEEElLj1EEEvT0_T1_SL_, .Lfunc_end425-_ZN6thrust23THRUST_200600_302600_NS11hip_rocprim14__parallel_for6kernelILj256ENS1_11__transform17unary_transform_fINS0_7pointerINS0_5tupleIiiNS0_9null_typeES8_S8_S8_S8_S8_S8_S8_EENS1_3tagENS0_11use_defaultESB_EENS0_10device_ptrIS9_EENS4_14no_stencil_tagENS0_8identityIS9_EENS4_21always_true_predicateEEElLj1EEEvT0_T1_SL_
                                        ; -- End function
	.set _ZN6thrust23THRUST_200600_302600_NS11hip_rocprim14__parallel_for6kernelILj256ENS1_11__transform17unary_transform_fINS0_7pointerINS0_5tupleIiiNS0_9null_typeES8_S8_S8_S8_S8_S8_S8_EENS1_3tagENS0_11use_defaultESB_EENS0_10device_ptrIS9_EENS4_14no_stencil_tagENS0_8identityIS9_EENS4_21always_true_predicateEEElLj1EEEvT0_T1_SL_.num_vgpr, 5
	.set _ZN6thrust23THRUST_200600_302600_NS11hip_rocprim14__parallel_for6kernelILj256ENS1_11__transform17unary_transform_fINS0_7pointerINS0_5tupleIiiNS0_9null_typeES8_S8_S8_S8_S8_S8_S8_EENS1_3tagENS0_11use_defaultESB_EENS0_10device_ptrIS9_EENS4_14no_stencil_tagENS0_8identityIS9_EENS4_21always_true_predicateEEElLj1EEEvT0_T1_SL_.num_agpr, 0
	.set _ZN6thrust23THRUST_200600_302600_NS11hip_rocprim14__parallel_for6kernelILj256ENS1_11__transform17unary_transform_fINS0_7pointerINS0_5tupleIiiNS0_9null_typeES8_S8_S8_S8_S8_S8_S8_EENS1_3tagENS0_11use_defaultESB_EENS0_10device_ptrIS9_EENS4_14no_stencil_tagENS0_8identityIS9_EENS4_21always_true_predicateEEElLj1EEEvT0_T1_SL_.numbered_sgpr, 12
	.set _ZN6thrust23THRUST_200600_302600_NS11hip_rocprim14__parallel_for6kernelILj256ENS1_11__transform17unary_transform_fINS0_7pointerINS0_5tupleIiiNS0_9null_typeES8_S8_S8_S8_S8_S8_S8_EENS1_3tagENS0_11use_defaultESB_EENS0_10device_ptrIS9_EENS4_14no_stencil_tagENS0_8identityIS9_EENS4_21always_true_predicateEEElLj1EEEvT0_T1_SL_.num_named_barrier, 0
	.set _ZN6thrust23THRUST_200600_302600_NS11hip_rocprim14__parallel_for6kernelILj256ENS1_11__transform17unary_transform_fINS0_7pointerINS0_5tupleIiiNS0_9null_typeES8_S8_S8_S8_S8_S8_S8_EENS1_3tagENS0_11use_defaultESB_EENS0_10device_ptrIS9_EENS4_14no_stencil_tagENS0_8identityIS9_EENS4_21always_true_predicateEEElLj1EEEvT0_T1_SL_.private_seg_size, 0
	.set _ZN6thrust23THRUST_200600_302600_NS11hip_rocprim14__parallel_for6kernelILj256ENS1_11__transform17unary_transform_fINS0_7pointerINS0_5tupleIiiNS0_9null_typeES8_S8_S8_S8_S8_S8_S8_EENS1_3tagENS0_11use_defaultESB_EENS0_10device_ptrIS9_EENS4_14no_stencil_tagENS0_8identityIS9_EENS4_21always_true_predicateEEElLj1EEEvT0_T1_SL_.uses_vcc, 1
	.set _ZN6thrust23THRUST_200600_302600_NS11hip_rocprim14__parallel_for6kernelILj256ENS1_11__transform17unary_transform_fINS0_7pointerINS0_5tupleIiiNS0_9null_typeES8_S8_S8_S8_S8_S8_S8_EENS1_3tagENS0_11use_defaultESB_EENS0_10device_ptrIS9_EENS4_14no_stencil_tagENS0_8identityIS9_EENS4_21always_true_predicateEEElLj1EEEvT0_T1_SL_.uses_flat_scratch, 0
	.set _ZN6thrust23THRUST_200600_302600_NS11hip_rocprim14__parallel_for6kernelILj256ENS1_11__transform17unary_transform_fINS0_7pointerINS0_5tupleIiiNS0_9null_typeES8_S8_S8_S8_S8_S8_S8_EENS1_3tagENS0_11use_defaultESB_EENS0_10device_ptrIS9_EENS4_14no_stencil_tagENS0_8identityIS9_EENS4_21always_true_predicateEEElLj1EEEvT0_T1_SL_.has_dyn_sized_stack, 0
	.set _ZN6thrust23THRUST_200600_302600_NS11hip_rocprim14__parallel_for6kernelILj256ENS1_11__transform17unary_transform_fINS0_7pointerINS0_5tupleIiiNS0_9null_typeES8_S8_S8_S8_S8_S8_S8_EENS1_3tagENS0_11use_defaultESB_EENS0_10device_ptrIS9_EENS4_14no_stencil_tagENS0_8identityIS9_EENS4_21always_true_predicateEEElLj1EEEvT0_T1_SL_.has_recursion, 0
	.set _ZN6thrust23THRUST_200600_302600_NS11hip_rocprim14__parallel_for6kernelILj256ENS1_11__transform17unary_transform_fINS0_7pointerINS0_5tupleIiiNS0_9null_typeES8_S8_S8_S8_S8_S8_S8_EENS1_3tagENS0_11use_defaultESB_EENS0_10device_ptrIS9_EENS4_14no_stencil_tagENS0_8identityIS9_EENS4_21always_true_predicateEEElLj1EEEvT0_T1_SL_.has_indirect_call, 0
	.section	.AMDGPU.csdata,"",@progbits
; Kernel info:
; codeLenInByte = 272
; TotalNumSgprs: 14
; NumVgprs: 5
; ScratchSize: 0
; MemoryBound: 0
; FloatMode: 240
; IeeeMode: 1
; LDSByteSize: 0 bytes/workgroup (compile time only)
; SGPRBlocks: 0
; VGPRBlocks: 0
; NumSGPRsForWavesPerEU: 14
; NumVGPRsForWavesPerEU: 5
; Occupancy: 16
; WaveLimiterHint : 0
; COMPUTE_PGM_RSRC2:SCRATCH_EN: 0
; COMPUTE_PGM_RSRC2:USER_SGPR: 6
; COMPUTE_PGM_RSRC2:TRAP_HANDLER: 0
; COMPUTE_PGM_RSRC2:TGID_X_EN: 1
; COMPUTE_PGM_RSRC2:TGID_Y_EN: 0
; COMPUTE_PGM_RSRC2:TGID_Z_EN: 0
; COMPUTE_PGM_RSRC2:TIDIG_COMP_CNT: 0
	.section	.text._ZN6thrust23THRUST_200600_302600_NS11hip_rocprim14__parallel_for6kernelILj256ENS1_20__uninitialized_copy7functorINS0_7pointerINS0_5tupleIiiNS0_9null_typeES8_S8_S8_S8_S8_S8_S8_EENS1_3tagENS0_11use_defaultESB_EESC_EEmLj1EEEvT0_T1_SF_,"axG",@progbits,_ZN6thrust23THRUST_200600_302600_NS11hip_rocprim14__parallel_for6kernelILj256ENS1_20__uninitialized_copy7functorINS0_7pointerINS0_5tupleIiiNS0_9null_typeES8_S8_S8_S8_S8_S8_S8_EENS1_3tagENS0_11use_defaultESB_EESC_EEmLj1EEEvT0_T1_SF_,comdat
	.protected	_ZN6thrust23THRUST_200600_302600_NS11hip_rocprim14__parallel_for6kernelILj256ENS1_20__uninitialized_copy7functorINS0_7pointerINS0_5tupleIiiNS0_9null_typeES8_S8_S8_S8_S8_S8_S8_EENS1_3tagENS0_11use_defaultESB_EESC_EEmLj1EEEvT0_T1_SF_ ; -- Begin function _ZN6thrust23THRUST_200600_302600_NS11hip_rocprim14__parallel_for6kernelILj256ENS1_20__uninitialized_copy7functorINS0_7pointerINS0_5tupleIiiNS0_9null_typeES8_S8_S8_S8_S8_S8_S8_EENS1_3tagENS0_11use_defaultESB_EESC_EEmLj1EEEvT0_T1_SF_
	.globl	_ZN6thrust23THRUST_200600_302600_NS11hip_rocprim14__parallel_for6kernelILj256ENS1_20__uninitialized_copy7functorINS0_7pointerINS0_5tupleIiiNS0_9null_typeES8_S8_S8_S8_S8_S8_S8_EENS1_3tagENS0_11use_defaultESB_EESC_EEmLj1EEEvT0_T1_SF_
	.p2align	8
	.type	_ZN6thrust23THRUST_200600_302600_NS11hip_rocprim14__parallel_for6kernelILj256ENS1_20__uninitialized_copy7functorINS0_7pointerINS0_5tupleIiiNS0_9null_typeES8_S8_S8_S8_S8_S8_S8_EENS1_3tagENS0_11use_defaultESB_EESC_EEmLj1EEEvT0_T1_SF_,@function
_ZN6thrust23THRUST_200600_302600_NS11hip_rocprim14__parallel_for6kernelILj256ENS1_20__uninitialized_copy7functorINS0_7pointerINS0_5tupleIiiNS0_9null_typeES8_S8_S8_S8_S8_S8_S8_EENS1_3tagENS0_11use_defaultESB_EESC_EEmLj1EEEvT0_T1_SF_: ; @_ZN6thrust23THRUST_200600_302600_NS11hip_rocprim14__parallel_for6kernelILj256ENS1_20__uninitialized_copy7functorINS0_7pointerINS0_5tupleIiiNS0_9null_typeES8_S8_S8_S8_S8_S8_S8_EENS1_3tagENS0_11use_defaultESB_EESC_EEmLj1EEEvT0_T1_SF_
; %bb.0:
	s_load_dwordx8 s[8:15], s[4:5], 0x0
	s_lshl_b32 s0, s6, 8
	s_waitcnt lgkmcnt(0)
	s_add_u32 s2, s14, s0
	s_addc_u32 s3, s15, 0
	s_sub_u32 s0, s12, s2
	s_subb_u32 s1, s13, s3
	v_cmp_lt_u64_e64 s1, 0xff, s[0:1]
	s_and_b32 vcc_lo, exec_lo, s1
	s_mov_b32 s1, -1
	s_cbranch_vccz .LBB426_3
; %bb.1:
	s_andn2_b32 vcc_lo, exec_lo, s1
	s_cbranch_vccz .LBB426_6
.LBB426_2:
	s_endpgm
.LBB426_3:
	v_cmp_gt_u32_e32 vcc_lo, s0, v0
	s_and_saveexec_b32 s0, vcc_lo
	s_cbranch_execz .LBB426_5
; %bb.4:
	v_add_co_u32 v1, s1, s2, v0
	v_add_co_ci_u32_e64 v2, null, s3, 0, s1
	v_lshlrev_b64 v[1:2], 3, v[1:2]
	v_add_co_u32 v3, vcc_lo, s8, v1
	v_add_co_ci_u32_e64 v4, null, s9, v2, vcc_lo
	v_add_co_u32 v1, vcc_lo, s10, v1
	v_add_co_ci_u32_e64 v2, null, s11, v2, vcc_lo
	flat_load_dwordx2 v[3:4], v[3:4]
	s_waitcnt vmcnt(0) lgkmcnt(0)
	flat_store_dwordx2 v[1:2], v[3:4]
.LBB426_5:
	s_or_b32 exec_lo, exec_lo, s0
	s_cbranch_execnz .LBB426_2
.LBB426_6:
	v_add_co_u32 v0, s0, s2, v0
	v_add_co_ci_u32_e64 v1, null, s3, 0, s0
	v_lshlrev_b64 v[0:1], 3, v[0:1]
	v_add_co_u32 v2, vcc_lo, s8, v0
	v_add_co_ci_u32_e64 v3, null, s9, v1, vcc_lo
	v_add_co_u32 v0, vcc_lo, s10, v0
	v_add_co_ci_u32_e64 v1, null, s11, v1, vcc_lo
	flat_load_dwordx2 v[2:3], v[2:3]
	s_waitcnt vmcnt(0) lgkmcnt(0)
	flat_store_dwordx2 v[0:1], v[2:3]
	s_endpgm
	.section	.rodata,"a",@progbits
	.p2align	6, 0x0
	.amdhsa_kernel _ZN6thrust23THRUST_200600_302600_NS11hip_rocprim14__parallel_for6kernelILj256ENS1_20__uninitialized_copy7functorINS0_7pointerINS0_5tupleIiiNS0_9null_typeES8_S8_S8_S8_S8_S8_S8_EENS1_3tagENS0_11use_defaultESB_EESC_EEmLj1EEEvT0_T1_SF_
		.amdhsa_group_segment_fixed_size 0
		.amdhsa_private_segment_fixed_size 0
		.amdhsa_kernarg_size 32
		.amdhsa_user_sgpr_count 6
		.amdhsa_user_sgpr_private_segment_buffer 1
		.amdhsa_user_sgpr_dispatch_ptr 0
		.amdhsa_user_sgpr_queue_ptr 0
		.amdhsa_user_sgpr_kernarg_segment_ptr 1
		.amdhsa_user_sgpr_dispatch_id 0
		.amdhsa_user_sgpr_flat_scratch_init 0
		.amdhsa_user_sgpr_private_segment_size 0
		.amdhsa_wavefront_size32 1
		.amdhsa_uses_dynamic_stack 0
		.amdhsa_system_sgpr_private_segment_wavefront_offset 0
		.amdhsa_system_sgpr_workgroup_id_x 1
		.amdhsa_system_sgpr_workgroup_id_y 0
		.amdhsa_system_sgpr_workgroup_id_z 0
		.amdhsa_system_sgpr_workgroup_info 0
		.amdhsa_system_vgpr_workitem_id 0
		.amdhsa_next_free_vgpr 5
		.amdhsa_next_free_sgpr 16
		.amdhsa_reserve_vcc 1
		.amdhsa_reserve_flat_scratch 0
		.amdhsa_float_round_mode_32 0
		.amdhsa_float_round_mode_16_64 0
		.amdhsa_float_denorm_mode_32 3
		.amdhsa_float_denorm_mode_16_64 3
		.amdhsa_dx10_clamp 1
		.amdhsa_ieee_mode 1
		.amdhsa_fp16_overflow 0
		.amdhsa_workgroup_processor_mode 1
		.amdhsa_memory_ordered 1
		.amdhsa_forward_progress 1
		.amdhsa_shared_vgpr_count 0
		.amdhsa_exception_fp_ieee_invalid_op 0
		.amdhsa_exception_fp_denorm_src 0
		.amdhsa_exception_fp_ieee_div_zero 0
		.amdhsa_exception_fp_ieee_overflow 0
		.amdhsa_exception_fp_ieee_underflow 0
		.amdhsa_exception_fp_ieee_inexact 0
		.amdhsa_exception_int_div_zero 0
	.end_amdhsa_kernel
	.section	.text._ZN6thrust23THRUST_200600_302600_NS11hip_rocprim14__parallel_for6kernelILj256ENS1_20__uninitialized_copy7functorINS0_7pointerINS0_5tupleIiiNS0_9null_typeES8_S8_S8_S8_S8_S8_S8_EENS1_3tagENS0_11use_defaultESB_EESC_EEmLj1EEEvT0_T1_SF_,"axG",@progbits,_ZN6thrust23THRUST_200600_302600_NS11hip_rocprim14__parallel_for6kernelILj256ENS1_20__uninitialized_copy7functorINS0_7pointerINS0_5tupleIiiNS0_9null_typeES8_S8_S8_S8_S8_S8_S8_EENS1_3tagENS0_11use_defaultESB_EESC_EEmLj1EEEvT0_T1_SF_,comdat
.Lfunc_end426:
	.size	_ZN6thrust23THRUST_200600_302600_NS11hip_rocprim14__parallel_for6kernelILj256ENS1_20__uninitialized_copy7functorINS0_7pointerINS0_5tupleIiiNS0_9null_typeES8_S8_S8_S8_S8_S8_S8_EENS1_3tagENS0_11use_defaultESB_EESC_EEmLj1EEEvT0_T1_SF_, .Lfunc_end426-_ZN6thrust23THRUST_200600_302600_NS11hip_rocprim14__parallel_for6kernelILj256ENS1_20__uninitialized_copy7functorINS0_7pointerINS0_5tupleIiiNS0_9null_typeES8_S8_S8_S8_S8_S8_S8_EENS1_3tagENS0_11use_defaultESB_EESC_EEmLj1EEEvT0_T1_SF_
                                        ; -- End function
	.set _ZN6thrust23THRUST_200600_302600_NS11hip_rocprim14__parallel_for6kernelILj256ENS1_20__uninitialized_copy7functorINS0_7pointerINS0_5tupleIiiNS0_9null_typeES8_S8_S8_S8_S8_S8_S8_EENS1_3tagENS0_11use_defaultESB_EESC_EEmLj1EEEvT0_T1_SF_.num_vgpr, 5
	.set _ZN6thrust23THRUST_200600_302600_NS11hip_rocprim14__parallel_for6kernelILj256ENS1_20__uninitialized_copy7functorINS0_7pointerINS0_5tupleIiiNS0_9null_typeES8_S8_S8_S8_S8_S8_S8_EENS1_3tagENS0_11use_defaultESB_EESC_EEmLj1EEEvT0_T1_SF_.num_agpr, 0
	.set _ZN6thrust23THRUST_200600_302600_NS11hip_rocprim14__parallel_for6kernelILj256ENS1_20__uninitialized_copy7functorINS0_7pointerINS0_5tupleIiiNS0_9null_typeES8_S8_S8_S8_S8_S8_S8_EENS1_3tagENS0_11use_defaultESB_EESC_EEmLj1EEEvT0_T1_SF_.numbered_sgpr, 16
	.set _ZN6thrust23THRUST_200600_302600_NS11hip_rocprim14__parallel_for6kernelILj256ENS1_20__uninitialized_copy7functorINS0_7pointerINS0_5tupleIiiNS0_9null_typeES8_S8_S8_S8_S8_S8_S8_EENS1_3tagENS0_11use_defaultESB_EESC_EEmLj1EEEvT0_T1_SF_.num_named_barrier, 0
	.set _ZN6thrust23THRUST_200600_302600_NS11hip_rocprim14__parallel_for6kernelILj256ENS1_20__uninitialized_copy7functorINS0_7pointerINS0_5tupleIiiNS0_9null_typeES8_S8_S8_S8_S8_S8_S8_EENS1_3tagENS0_11use_defaultESB_EESC_EEmLj1EEEvT0_T1_SF_.private_seg_size, 0
	.set _ZN6thrust23THRUST_200600_302600_NS11hip_rocprim14__parallel_for6kernelILj256ENS1_20__uninitialized_copy7functorINS0_7pointerINS0_5tupleIiiNS0_9null_typeES8_S8_S8_S8_S8_S8_S8_EENS1_3tagENS0_11use_defaultESB_EESC_EEmLj1EEEvT0_T1_SF_.uses_vcc, 1
	.set _ZN6thrust23THRUST_200600_302600_NS11hip_rocprim14__parallel_for6kernelILj256ENS1_20__uninitialized_copy7functorINS0_7pointerINS0_5tupleIiiNS0_9null_typeES8_S8_S8_S8_S8_S8_S8_EENS1_3tagENS0_11use_defaultESB_EESC_EEmLj1EEEvT0_T1_SF_.uses_flat_scratch, 0
	.set _ZN6thrust23THRUST_200600_302600_NS11hip_rocprim14__parallel_for6kernelILj256ENS1_20__uninitialized_copy7functorINS0_7pointerINS0_5tupleIiiNS0_9null_typeES8_S8_S8_S8_S8_S8_S8_EENS1_3tagENS0_11use_defaultESB_EESC_EEmLj1EEEvT0_T1_SF_.has_dyn_sized_stack, 0
	.set _ZN6thrust23THRUST_200600_302600_NS11hip_rocprim14__parallel_for6kernelILj256ENS1_20__uninitialized_copy7functorINS0_7pointerINS0_5tupleIiiNS0_9null_typeES8_S8_S8_S8_S8_S8_S8_EENS1_3tagENS0_11use_defaultESB_EESC_EEmLj1EEEvT0_T1_SF_.has_recursion, 0
	.set _ZN6thrust23THRUST_200600_302600_NS11hip_rocprim14__parallel_for6kernelILj256ENS1_20__uninitialized_copy7functorINS0_7pointerINS0_5tupleIiiNS0_9null_typeES8_S8_S8_S8_S8_S8_S8_EENS1_3tagENS0_11use_defaultESB_EESC_EEmLj1EEEvT0_T1_SF_.has_indirect_call, 0
	.section	.AMDGPU.csdata,"",@progbits
; Kernel info:
; codeLenInByte = 244
; TotalNumSgprs: 18
; NumVgprs: 5
; ScratchSize: 0
; MemoryBound: 0
; FloatMode: 240
; IeeeMode: 1
; LDSByteSize: 0 bytes/workgroup (compile time only)
; SGPRBlocks: 0
; VGPRBlocks: 0
; NumSGPRsForWavesPerEU: 18
; NumVGPRsForWavesPerEU: 5
; Occupancy: 16
; WaveLimiterHint : 0
; COMPUTE_PGM_RSRC2:SCRATCH_EN: 0
; COMPUTE_PGM_RSRC2:USER_SGPR: 6
; COMPUTE_PGM_RSRC2:TRAP_HANDLER: 0
; COMPUTE_PGM_RSRC2:TGID_X_EN: 1
; COMPUTE_PGM_RSRC2:TGID_Y_EN: 0
; COMPUTE_PGM_RSRC2:TGID_Z_EN: 0
; COMPUTE_PGM_RSRC2:TIDIG_COMP_CNT: 0
	.section	.text._ZN6thrust23THRUST_200600_302600_NS11hip_rocprim14__parallel_for6kernelILj256ENS1_10for_each_fINS0_7pointerINS0_5tupleIiiNS0_9null_typeES7_S7_S7_S7_S7_S7_S7_EENS1_5par_tENS0_11use_defaultESA_EENS0_6detail16wrapped_functionINSC_23allocator_traits_detail24construct1_via_allocatorINSC_18no_throw_allocatorINSC_19temporary_allocatorIS8_S9_EEEEEEvEEEEmLj1EEEvT0_T1_SO_,"axG",@progbits,_ZN6thrust23THRUST_200600_302600_NS11hip_rocprim14__parallel_for6kernelILj256ENS1_10for_each_fINS0_7pointerINS0_5tupleIiiNS0_9null_typeES7_S7_S7_S7_S7_S7_S7_EENS1_5par_tENS0_11use_defaultESA_EENS0_6detail16wrapped_functionINSC_23allocator_traits_detail24construct1_via_allocatorINSC_18no_throw_allocatorINSC_19temporary_allocatorIS8_S9_EEEEEEvEEEEmLj1EEEvT0_T1_SO_,comdat
	.protected	_ZN6thrust23THRUST_200600_302600_NS11hip_rocprim14__parallel_for6kernelILj256ENS1_10for_each_fINS0_7pointerINS0_5tupleIiiNS0_9null_typeES7_S7_S7_S7_S7_S7_S7_EENS1_5par_tENS0_11use_defaultESA_EENS0_6detail16wrapped_functionINSC_23allocator_traits_detail24construct1_via_allocatorINSC_18no_throw_allocatorINSC_19temporary_allocatorIS8_S9_EEEEEEvEEEEmLj1EEEvT0_T1_SO_ ; -- Begin function _ZN6thrust23THRUST_200600_302600_NS11hip_rocprim14__parallel_for6kernelILj256ENS1_10for_each_fINS0_7pointerINS0_5tupleIiiNS0_9null_typeES7_S7_S7_S7_S7_S7_S7_EENS1_5par_tENS0_11use_defaultESA_EENS0_6detail16wrapped_functionINSC_23allocator_traits_detail24construct1_via_allocatorINSC_18no_throw_allocatorINSC_19temporary_allocatorIS8_S9_EEEEEEvEEEEmLj1EEEvT0_T1_SO_
	.globl	_ZN6thrust23THRUST_200600_302600_NS11hip_rocprim14__parallel_for6kernelILj256ENS1_10for_each_fINS0_7pointerINS0_5tupleIiiNS0_9null_typeES7_S7_S7_S7_S7_S7_S7_EENS1_5par_tENS0_11use_defaultESA_EENS0_6detail16wrapped_functionINSC_23allocator_traits_detail24construct1_via_allocatorINSC_18no_throw_allocatorINSC_19temporary_allocatorIS8_S9_EEEEEEvEEEEmLj1EEEvT0_T1_SO_
	.p2align	8
	.type	_ZN6thrust23THRUST_200600_302600_NS11hip_rocprim14__parallel_for6kernelILj256ENS1_10for_each_fINS0_7pointerINS0_5tupleIiiNS0_9null_typeES7_S7_S7_S7_S7_S7_S7_EENS1_5par_tENS0_11use_defaultESA_EENS0_6detail16wrapped_functionINSC_23allocator_traits_detail24construct1_via_allocatorINSC_18no_throw_allocatorINSC_19temporary_allocatorIS8_S9_EEEEEEvEEEEmLj1EEEvT0_T1_SO_,@function
_ZN6thrust23THRUST_200600_302600_NS11hip_rocprim14__parallel_for6kernelILj256ENS1_10for_each_fINS0_7pointerINS0_5tupleIiiNS0_9null_typeES7_S7_S7_S7_S7_S7_S7_EENS1_5par_tENS0_11use_defaultESA_EENS0_6detail16wrapped_functionINSC_23allocator_traits_detail24construct1_via_allocatorINSC_18no_throw_allocatorINSC_19temporary_allocatorIS8_S9_EEEEEEvEEEEmLj1EEEvT0_T1_SO_: ; @_ZN6thrust23THRUST_200600_302600_NS11hip_rocprim14__parallel_for6kernelILj256ENS1_10for_each_fINS0_7pointerINS0_5tupleIiiNS0_9null_typeES7_S7_S7_S7_S7_S7_S7_EENS1_5par_tENS0_11use_defaultESA_EENS0_6detail16wrapped_functionINSC_23allocator_traits_detail24construct1_via_allocatorINSC_18no_throw_allocatorINSC_19temporary_allocatorIS8_S9_EEEEEEvEEEEmLj1EEEvT0_T1_SO_
; %bb.0:
	s_clause 0x1
	s_load_dwordx4 s[8:11], s[4:5], 0x10
	s_load_dwordx2 s[0:1], s[4:5], 0x0
	s_lshl_b32 s2, s6, 8
	s_waitcnt lgkmcnt(0)
	s_add_u32 s2, s10, s2
	s_addc_u32 s3, s11, 0
	s_sub_u32 s4, s8, s2
	s_subb_u32 s5, s9, s3
	v_cmp_lt_u64_e64 s5, 0xff, s[4:5]
	s_and_b32 vcc_lo, exec_lo, s5
	s_mov_b32 s5, -1
	s_cbranch_vccz .LBB427_3
; %bb.1:
	s_andn2_b32 vcc_lo, exec_lo, s5
	s_cbranch_vccz .LBB427_6
.LBB427_2:
	s_endpgm
.LBB427_3:
	v_cmp_gt_u32_e32 vcc_lo, s4, v0
	s_and_saveexec_b32 s4, vcc_lo
	s_cbranch_execz .LBB427_5
; %bb.4:
	v_lshlrev_b32_e32 v2, 3, v0
	s_lshl_b64 s[6:7], s[2:3], 3
	v_mov_b32_e32 v1, 0
	s_add_u32 s5, s0, s6
	s_addc_u32 s6, s1, s7
	v_add_co_u32 v3, s5, s5, v2
	v_add_co_ci_u32_e64 v4, null, s6, 0, s5
	v_mov_b32_e32 v2, v1
	flat_store_dwordx2 v[3:4], v[1:2]
.LBB427_5:
	s_or_b32 exec_lo, exec_lo, s4
	s_cbranch_execnz .LBB427_2
.LBB427_6:
	v_lshlrev_b32_e32 v1, 3, v0
	s_lshl_b64 s[2:3], s[2:3], 3
	v_mov_b32_e32 v0, 0
	s_add_u32 s0, s0, s2
	s_addc_u32 s1, s1, s3
	v_add_co_u32 v2, s0, s0, v1
	v_add_co_ci_u32_e64 v3, null, s1, 0, s0
	v_mov_b32_e32 v1, v0
	flat_store_dwordx2 v[2:3], v[0:1]
	s_endpgm
	.section	.rodata,"a",@progbits
	.p2align	6, 0x0
	.amdhsa_kernel _ZN6thrust23THRUST_200600_302600_NS11hip_rocprim14__parallel_for6kernelILj256ENS1_10for_each_fINS0_7pointerINS0_5tupleIiiNS0_9null_typeES7_S7_S7_S7_S7_S7_S7_EENS1_5par_tENS0_11use_defaultESA_EENS0_6detail16wrapped_functionINSC_23allocator_traits_detail24construct1_via_allocatorINSC_18no_throw_allocatorINSC_19temporary_allocatorIS8_S9_EEEEEEvEEEEmLj1EEEvT0_T1_SO_
		.amdhsa_group_segment_fixed_size 0
		.amdhsa_private_segment_fixed_size 0
		.amdhsa_kernarg_size 32
		.amdhsa_user_sgpr_count 6
		.amdhsa_user_sgpr_private_segment_buffer 1
		.amdhsa_user_sgpr_dispatch_ptr 0
		.amdhsa_user_sgpr_queue_ptr 0
		.amdhsa_user_sgpr_kernarg_segment_ptr 1
		.amdhsa_user_sgpr_dispatch_id 0
		.amdhsa_user_sgpr_flat_scratch_init 0
		.amdhsa_user_sgpr_private_segment_size 0
		.amdhsa_wavefront_size32 1
		.amdhsa_uses_dynamic_stack 0
		.amdhsa_system_sgpr_private_segment_wavefront_offset 0
		.amdhsa_system_sgpr_workgroup_id_x 1
		.amdhsa_system_sgpr_workgroup_id_y 0
		.amdhsa_system_sgpr_workgroup_id_z 0
		.amdhsa_system_sgpr_workgroup_info 0
		.amdhsa_system_vgpr_workitem_id 0
		.amdhsa_next_free_vgpr 5
		.amdhsa_next_free_sgpr 12
		.amdhsa_reserve_vcc 1
		.amdhsa_reserve_flat_scratch 0
		.amdhsa_float_round_mode_32 0
		.amdhsa_float_round_mode_16_64 0
		.amdhsa_float_denorm_mode_32 3
		.amdhsa_float_denorm_mode_16_64 3
		.amdhsa_dx10_clamp 1
		.amdhsa_ieee_mode 1
		.amdhsa_fp16_overflow 0
		.amdhsa_workgroup_processor_mode 1
		.amdhsa_memory_ordered 1
		.amdhsa_forward_progress 1
		.amdhsa_shared_vgpr_count 0
		.amdhsa_exception_fp_ieee_invalid_op 0
		.amdhsa_exception_fp_denorm_src 0
		.amdhsa_exception_fp_ieee_div_zero 0
		.amdhsa_exception_fp_ieee_overflow 0
		.amdhsa_exception_fp_ieee_underflow 0
		.amdhsa_exception_fp_ieee_inexact 0
		.amdhsa_exception_int_div_zero 0
	.end_amdhsa_kernel
	.section	.text._ZN6thrust23THRUST_200600_302600_NS11hip_rocprim14__parallel_for6kernelILj256ENS1_10for_each_fINS0_7pointerINS0_5tupleIiiNS0_9null_typeES7_S7_S7_S7_S7_S7_S7_EENS1_5par_tENS0_11use_defaultESA_EENS0_6detail16wrapped_functionINSC_23allocator_traits_detail24construct1_via_allocatorINSC_18no_throw_allocatorINSC_19temporary_allocatorIS8_S9_EEEEEEvEEEEmLj1EEEvT0_T1_SO_,"axG",@progbits,_ZN6thrust23THRUST_200600_302600_NS11hip_rocprim14__parallel_for6kernelILj256ENS1_10for_each_fINS0_7pointerINS0_5tupleIiiNS0_9null_typeES7_S7_S7_S7_S7_S7_S7_EENS1_5par_tENS0_11use_defaultESA_EENS0_6detail16wrapped_functionINSC_23allocator_traits_detail24construct1_via_allocatorINSC_18no_throw_allocatorINSC_19temporary_allocatorIS8_S9_EEEEEEvEEEEmLj1EEEvT0_T1_SO_,comdat
.Lfunc_end427:
	.size	_ZN6thrust23THRUST_200600_302600_NS11hip_rocprim14__parallel_for6kernelILj256ENS1_10for_each_fINS0_7pointerINS0_5tupleIiiNS0_9null_typeES7_S7_S7_S7_S7_S7_S7_EENS1_5par_tENS0_11use_defaultESA_EENS0_6detail16wrapped_functionINSC_23allocator_traits_detail24construct1_via_allocatorINSC_18no_throw_allocatorINSC_19temporary_allocatorIS8_S9_EEEEEEvEEEEmLj1EEEvT0_T1_SO_, .Lfunc_end427-_ZN6thrust23THRUST_200600_302600_NS11hip_rocprim14__parallel_for6kernelILj256ENS1_10for_each_fINS0_7pointerINS0_5tupleIiiNS0_9null_typeES7_S7_S7_S7_S7_S7_S7_EENS1_5par_tENS0_11use_defaultESA_EENS0_6detail16wrapped_functionINSC_23allocator_traits_detail24construct1_via_allocatorINSC_18no_throw_allocatorINSC_19temporary_allocatorIS8_S9_EEEEEEvEEEEmLj1EEEvT0_T1_SO_
                                        ; -- End function
	.set _ZN6thrust23THRUST_200600_302600_NS11hip_rocprim14__parallel_for6kernelILj256ENS1_10for_each_fINS0_7pointerINS0_5tupleIiiNS0_9null_typeES7_S7_S7_S7_S7_S7_S7_EENS1_5par_tENS0_11use_defaultESA_EENS0_6detail16wrapped_functionINSC_23allocator_traits_detail24construct1_via_allocatorINSC_18no_throw_allocatorINSC_19temporary_allocatorIS8_S9_EEEEEEvEEEEmLj1EEEvT0_T1_SO_.num_vgpr, 5
	.set _ZN6thrust23THRUST_200600_302600_NS11hip_rocprim14__parallel_for6kernelILj256ENS1_10for_each_fINS0_7pointerINS0_5tupleIiiNS0_9null_typeES7_S7_S7_S7_S7_S7_S7_EENS1_5par_tENS0_11use_defaultESA_EENS0_6detail16wrapped_functionINSC_23allocator_traits_detail24construct1_via_allocatorINSC_18no_throw_allocatorINSC_19temporary_allocatorIS8_S9_EEEEEEvEEEEmLj1EEEvT0_T1_SO_.num_agpr, 0
	.set _ZN6thrust23THRUST_200600_302600_NS11hip_rocprim14__parallel_for6kernelILj256ENS1_10for_each_fINS0_7pointerINS0_5tupleIiiNS0_9null_typeES7_S7_S7_S7_S7_S7_S7_EENS1_5par_tENS0_11use_defaultESA_EENS0_6detail16wrapped_functionINSC_23allocator_traits_detail24construct1_via_allocatorINSC_18no_throw_allocatorINSC_19temporary_allocatorIS8_S9_EEEEEEvEEEEmLj1EEEvT0_T1_SO_.numbered_sgpr, 12
	.set _ZN6thrust23THRUST_200600_302600_NS11hip_rocprim14__parallel_for6kernelILj256ENS1_10for_each_fINS0_7pointerINS0_5tupleIiiNS0_9null_typeES7_S7_S7_S7_S7_S7_S7_EENS1_5par_tENS0_11use_defaultESA_EENS0_6detail16wrapped_functionINSC_23allocator_traits_detail24construct1_via_allocatorINSC_18no_throw_allocatorINSC_19temporary_allocatorIS8_S9_EEEEEEvEEEEmLj1EEEvT0_T1_SO_.num_named_barrier, 0
	.set _ZN6thrust23THRUST_200600_302600_NS11hip_rocprim14__parallel_for6kernelILj256ENS1_10for_each_fINS0_7pointerINS0_5tupleIiiNS0_9null_typeES7_S7_S7_S7_S7_S7_S7_EENS1_5par_tENS0_11use_defaultESA_EENS0_6detail16wrapped_functionINSC_23allocator_traits_detail24construct1_via_allocatorINSC_18no_throw_allocatorINSC_19temporary_allocatorIS8_S9_EEEEEEvEEEEmLj1EEEvT0_T1_SO_.private_seg_size, 0
	.set _ZN6thrust23THRUST_200600_302600_NS11hip_rocprim14__parallel_for6kernelILj256ENS1_10for_each_fINS0_7pointerINS0_5tupleIiiNS0_9null_typeES7_S7_S7_S7_S7_S7_S7_EENS1_5par_tENS0_11use_defaultESA_EENS0_6detail16wrapped_functionINSC_23allocator_traits_detail24construct1_via_allocatorINSC_18no_throw_allocatorINSC_19temporary_allocatorIS8_S9_EEEEEEvEEEEmLj1EEEvT0_T1_SO_.uses_vcc, 1
	.set _ZN6thrust23THRUST_200600_302600_NS11hip_rocprim14__parallel_for6kernelILj256ENS1_10for_each_fINS0_7pointerINS0_5tupleIiiNS0_9null_typeES7_S7_S7_S7_S7_S7_S7_EENS1_5par_tENS0_11use_defaultESA_EENS0_6detail16wrapped_functionINSC_23allocator_traits_detail24construct1_via_allocatorINSC_18no_throw_allocatorINSC_19temporary_allocatorIS8_S9_EEEEEEvEEEEmLj1EEEvT0_T1_SO_.uses_flat_scratch, 0
	.set _ZN6thrust23THRUST_200600_302600_NS11hip_rocprim14__parallel_for6kernelILj256ENS1_10for_each_fINS0_7pointerINS0_5tupleIiiNS0_9null_typeES7_S7_S7_S7_S7_S7_S7_EENS1_5par_tENS0_11use_defaultESA_EENS0_6detail16wrapped_functionINSC_23allocator_traits_detail24construct1_via_allocatorINSC_18no_throw_allocatorINSC_19temporary_allocatorIS8_S9_EEEEEEvEEEEmLj1EEEvT0_T1_SO_.has_dyn_sized_stack, 0
	.set _ZN6thrust23THRUST_200600_302600_NS11hip_rocprim14__parallel_for6kernelILj256ENS1_10for_each_fINS0_7pointerINS0_5tupleIiiNS0_9null_typeES7_S7_S7_S7_S7_S7_S7_EENS1_5par_tENS0_11use_defaultESA_EENS0_6detail16wrapped_functionINSC_23allocator_traits_detail24construct1_via_allocatorINSC_18no_throw_allocatorINSC_19temporary_allocatorIS8_S9_EEEEEEvEEEEmLj1EEEvT0_T1_SO_.has_recursion, 0
	.set _ZN6thrust23THRUST_200600_302600_NS11hip_rocprim14__parallel_for6kernelILj256ENS1_10for_each_fINS0_7pointerINS0_5tupleIiiNS0_9null_typeES7_S7_S7_S7_S7_S7_S7_EENS1_5par_tENS0_11use_defaultESA_EENS0_6detail16wrapped_functionINSC_23allocator_traits_detail24construct1_via_allocatorINSC_18no_throw_allocatorINSC_19temporary_allocatorIS8_S9_EEEEEEvEEEEmLj1EEEvT0_T1_SO_.has_indirect_call, 0
	.section	.AMDGPU.csdata,"",@progbits
; Kernel info:
; codeLenInByte = 200
; TotalNumSgprs: 14
; NumVgprs: 5
; ScratchSize: 0
; MemoryBound: 0
; FloatMode: 240
; IeeeMode: 1
; LDSByteSize: 0 bytes/workgroup (compile time only)
; SGPRBlocks: 0
; VGPRBlocks: 0
; NumSGPRsForWavesPerEU: 14
; NumVGPRsForWavesPerEU: 5
; Occupancy: 16
; WaveLimiterHint : 0
; COMPUTE_PGM_RSRC2:SCRATCH_EN: 0
; COMPUTE_PGM_RSRC2:USER_SGPR: 6
; COMPUTE_PGM_RSRC2:TRAP_HANDLER: 0
; COMPUTE_PGM_RSRC2:TGID_X_EN: 1
; COMPUTE_PGM_RSRC2:TGID_Y_EN: 0
; COMPUTE_PGM_RSRC2:TGID_Z_EN: 0
; COMPUTE_PGM_RSRC2:TIDIG_COMP_CNT: 0
	.section	.text._ZN6thrust23THRUST_200600_302600_NS11hip_rocprim14__parallel_for6kernelILj256ENS1_10for_each_fINS0_7pointerINS0_5tupleIiiNS0_9null_typeES7_S7_S7_S7_S7_S7_S7_EENS1_5par_tENS0_11use_defaultESA_EENS0_6detail16wrapped_functionINSC_23allocator_traits_detail5gozerEvEEEElLj1EEEvT0_T1_SJ_,"axG",@progbits,_ZN6thrust23THRUST_200600_302600_NS11hip_rocprim14__parallel_for6kernelILj256ENS1_10for_each_fINS0_7pointerINS0_5tupleIiiNS0_9null_typeES7_S7_S7_S7_S7_S7_S7_EENS1_5par_tENS0_11use_defaultESA_EENS0_6detail16wrapped_functionINSC_23allocator_traits_detail5gozerEvEEEElLj1EEEvT0_T1_SJ_,comdat
	.protected	_ZN6thrust23THRUST_200600_302600_NS11hip_rocprim14__parallel_for6kernelILj256ENS1_10for_each_fINS0_7pointerINS0_5tupleIiiNS0_9null_typeES7_S7_S7_S7_S7_S7_S7_EENS1_5par_tENS0_11use_defaultESA_EENS0_6detail16wrapped_functionINSC_23allocator_traits_detail5gozerEvEEEElLj1EEEvT0_T1_SJ_ ; -- Begin function _ZN6thrust23THRUST_200600_302600_NS11hip_rocprim14__parallel_for6kernelILj256ENS1_10for_each_fINS0_7pointerINS0_5tupleIiiNS0_9null_typeES7_S7_S7_S7_S7_S7_S7_EENS1_5par_tENS0_11use_defaultESA_EENS0_6detail16wrapped_functionINSC_23allocator_traits_detail5gozerEvEEEElLj1EEEvT0_T1_SJ_
	.globl	_ZN6thrust23THRUST_200600_302600_NS11hip_rocprim14__parallel_for6kernelILj256ENS1_10for_each_fINS0_7pointerINS0_5tupleIiiNS0_9null_typeES7_S7_S7_S7_S7_S7_S7_EENS1_5par_tENS0_11use_defaultESA_EENS0_6detail16wrapped_functionINSC_23allocator_traits_detail5gozerEvEEEElLj1EEEvT0_T1_SJ_
	.p2align	8
	.type	_ZN6thrust23THRUST_200600_302600_NS11hip_rocprim14__parallel_for6kernelILj256ENS1_10for_each_fINS0_7pointerINS0_5tupleIiiNS0_9null_typeES7_S7_S7_S7_S7_S7_S7_EENS1_5par_tENS0_11use_defaultESA_EENS0_6detail16wrapped_functionINSC_23allocator_traits_detail5gozerEvEEEElLj1EEEvT0_T1_SJ_,@function
_ZN6thrust23THRUST_200600_302600_NS11hip_rocprim14__parallel_for6kernelILj256ENS1_10for_each_fINS0_7pointerINS0_5tupleIiiNS0_9null_typeES7_S7_S7_S7_S7_S7_S7_EENS1_5par_tENS0_11use_defaultESA_EENS0_6detail16wrapped_functionINSC_23allocator_traits_detail5gozerEvEEEElLj1EEEvT0_T1_SJ_: ; @_ZN6thrust23THRUST_200600_302600_NS11hip_rocprim14__parallel_for6kernelILj256ENS1_10for_each_fINS0_7pointerINS0_5tupleIiiNS0_9null_typeES7_S7_S7_S7_S7_S7_S7_EENS1_5par_tENS0_11use_defaultESA_EENS0_6detail16wrapped_functionINSC_23allocator_traits_detail5gozerEvEEEElLj1EEEvT0_T1_SJ_
; %bb.0:
	s_endpgm
	.section	.rodata,"a",@progbits
	.p2align	6, 0x0
	.amdhsa_kernel _ZN6thrust23THRUST_200600_302600_NS11hip_rocprim14__parallel_for6kernelILj256ENS1_10for_each_fINS0_7pointerINS0_5tupleIiiNS0_9null_typeES7_S7_S7_S7_S7_S7_S7_EENS1_5par_tENS0_11use_defaultESA_EENS0_6detail16wrapped_functionINSC_23allocator_traits_detail5gozerEvEEEElLj1EEEvT0_T1_SJ_
		.amdhsa_group_segment_fixed_size 0
		.amdhsa_private_segment_fixed_size 0
		.amdhsa_kernarg_size 32
		.amdhsa_user_sgpr_count 6
		.amdhsa_user_sgpr_private_segment_buffer 1
		.amdhsa_user_sgpr_dispatch_ptr 0
		.amdhsa_user_sgpr_queue_ptr 0
		.amdhsa_user_sgpr_kernarg_segment_ptr 1
		.amdhsa_user_sgpr_dispatch_id 0
		.amdhsa_user_sgpr_flat_scratch_init 0
		.amdhsa_user_sgpr_private_segment_size 0
		.amdhsa_wavefront_size32 1
		.amdhsa_uses_dynamic_stack 0
		.amdhsa_system_sgpr_private_segment_wavefront_offset 0
		.amdhsa_system_sgpr_workgroup_id_x 1
		.amdhsa_system_sgpr_workgroup_id_y 0
		.amdhsa_system_sgpr_workgroup_id_z 0
		.amdhsa_system_sgpr_workgroup_info 0
		.amdhsa_system_vgpr_workitem_id 0
		.amdhsa_next_free_vgpr 1
		.amdhsa_next_free_sgpr 1
		.amdhsa_reserve_vcc 0
		.amdhsa_reserve_flat_scratch 0
		.amdhsa_float_round_mode_32 0
		.amdhsa_float_round_mode_16_64 0
		.amdhsa_float_denorm_mode_32 3
		.amdhsa_float_denorm_mode_16_64 3
		.amdhsa_dx10_clamp 1
		.amdhsa_ieee_mode 1
		.amdhsa_fp16_overflow 0
		.amdhsa_workgroup_processor_mode 1
		.amdhsa_memory_ordered 1
		.amdhsa_forward_progress 1
		.amdhsa_shared_vgpr_count 0
		.amdhsa_exception_fp_ieee_invalid_op 0
		.amdhsa_exception_fp_denorm_src 0
		.amdhsa_exception_fp_ieee_div_zero 0
		.amdhsa_exception_fp_ieee_overflow 0
		.amdhsa_exception_fp_ieee_underflow 0
		.amdhsa_exception_fp_ieee_inexact 0
		.amdhsa_exception_int_div_zero 0
	.end_amdhsa_kernel
	.section	.text._ZN6thrust23THRUST_200600_302600_NS11hip_rocprim14__parallel_for6kernelILj256ENS1_10for_each_fINS0_7pointerINS0_5tupleIiiNS0_9null_typeES7_S7_S7_S7_S7_S7_S7_EENS1_5par_tENS0_11use_defaultESA_EENS0_6detail16wrapped_functionINSC_23allocator_traits_detail5gozerEvEEEElLj1EEEvT0_T1_SJ_,"axG",@progbits,_ZN6thrust23THRUST_200600_302600_NS11hip_rocprim14__parallel_for6kernelILj256ENS1_10for_each_fINS0_7pointerINS0_5tupleIiiNS0_9null_typeES7_S7_S7_S7_S7_S7_S7_EENS1_5par_tENS0_11use_defaultESA_EENS0_6detail16wrapped_functionINSC_23allocator_traits_detail5gozerEvEEEElLj1EEEvT0_T1_SJ_,comdat
.Lfunc_end428:
	.size	_ZN6thrust23THRUST_200600_302600_NS11hip_rocprim14__parallel_for6kernelILj256ENS1_10for_each_fINS0_7pointerINS0_5tupleIiiNS0_9null_typeES7_S7_S7_S7_S7_S7_S7_EENS1_5par_tENS0_11use_defaultESA_EENS0_6detail16wrapped_functionINSC_23allocator_traits_detail5gozerEvEEEElLj1EEEvT0_T1_SJ_, .Lfunc_end428-_ZN6thrust23THRUST_200600_302600_NS11hip_rocprim14__parallel_for6kernelILj256ENS1_10for_each_fINS0_7pointerINS0_5tupleIiiNS0_9null_typeES7_S7_S7_S7_S7_S7_S7_EENS1_5par_tENS0_11use_defaultESA_EENS0_6detail16wrapped_functionINSC_23allocator_traits_detail5gozerEvEEEElLj1EEEvT0_T1_SJ_
                                        ; -- End function
	.set _ZN6thrust23THRUST_200600_302600_NS11hip_rocprim14__parallel_for6kernelILj256ENS1_10for_each_fINS0_7pointerINS0_5tupleIiiNS0_9null_typeES7_S7_S7_S7_S7_S7_S7_EENS1_5par_tENS0_11use_defaultESA_EENS0_6detail16wrapped_functionINSC_23allocator_traits_detail5gozerEvEEEElLj1EEEvT0_T1_SJ_.num_vgpr, 0
	.set _ZN6thrust23THRUST_200600_302600_NS11hip_rocprim14__parallel_for6kernelILj256ENS1_10for_each_fINS0_7pointerINS0_5tupleIiiNS0_9null_typeES7_S7_S7_S7_S7_S7_S7_EENS1_5par_tENS0_11use_defaultESA_EENS0_6detail16wrapped_functionINSC_23allocator_traits_detail5gozerEvEEEElLj1EEEvT0_T1_SJ_.num_agpr, 0
	.set _ZN6thrust23THRUST_200600_302600_NS11hip_rocprim14__parallel_for6kernelILj256ENS1_10for_each_fINS0_7pointerINS0_5tupleIiiNS0_9null_typeES7_S7_S7_S7_S7_S7_S7_EENS1_5par_tENS0_11use_defaultESA_EENS0_6detail16wrapped_functionINSC_23allocator_traits_detail5gozerEvEEEElLj1EEEvT0_T1_SJ_.numbered_sgpr, 0
	.set _ZN6thrust23THRUST_200600_302600_NS11hip_rocprim14__parallel_for6kernelILj256ENS1_10for_each_fINS0_7pointerINS0_5tupleIiiNS0_9null_typeES7_S7_S7_S7_S7_S7_S7_EENS1_5par_tENS0_11use_defaultESA_EENS0_6detail16wrapped_functionINSC_23allocator_traits_detail5gozerEvEEEElLj1EEEvT0_T1_SJ_.num_named_barrier, 0
	.set _ZN6thrust23THRUST_200600_302600_NS11hip_rocprim14__parallel_for6kernelILj256ENS1_10for_each_fINS0_7pointerINS0_5tupleIiiNS0_9null_typeES7_S7_S7_S7_S7_S7_S7_EENS1_5par_tENS0_11use_defaultESA_EENS0_6detail16wrapped_functionINSC_23allocator_traits_detail5gozerEvEEEElLj1EEEvT0_T1_SJ_.private_seg_size, 0
	.set _ZN6thrust23THRUST_200600_302600_NS11hip_rocprim14__parallel_for6kernelILj256ENS1_10for_each_fINS0_7pointerINS0_5tupleIiiNS0_9null_typeES7_S7_S7_S7_S7_S7_S7_EENS1_5par_tENS0_11use_defaultESA_EENS0_6detail16wrapped_functionINSC_23allocator_traits_detail5gozerEvEEEElLj1EEEvT0_T1_SJ_.uses_vcc, 0
	.set _ZN6thrust23THRUST_200600_302600_NS11hip_rocprim14__parallel_for6kernelILj256ENS1_10for_each_fINS0_7pointerINS0_5tupleIiiNS0_9null_typeES7_S7_S7_S7_S7_S7_S7_EENS1_5par_tENS0_11use_defaultESA_EENS0_6detail16wrapped_functionINSC_23allocator_traits_detail5gozerEvEEEElLj1EEEvT0_T1_SJ_.uses_flat_scratch, 0
	.set _ZN6thrust23THRUST_200600_302600_NS11hip_rocprim14__parallel_for6kernelILj256ENS1_10for_each_fINS0_7pointerINS0_5tupleIiiNS0_9null_typeES7_S7_S7_S7_S7_S7_S7_EENS1_5par_tENS0_11use_defaultESA_EENS0_6detail16wrapped_functionINSC_23allocator_traits_detail5gozerEvEEEElLj1EEEvT0_T1_SJ_.has_dyn_sized_stack, 0
	.set _ZN6thrust23THRUST_200600_302600_NS11hip_rocprim14__parallel_for6kernelILj256ENS1_10for_each_fINS0_7pointerINS0_5tupleIiiNS0_9null_typeES7_S7_S7_S7_S7_S7_S7_EENS1_5par_tENS0_11use_defaultESA_EENS0_6detail16wrapped_functionINSC_23allocator_traits_detail5gozerEvEEEElLj1EEEvT0_T1_SJ_.has_recursion, 0
	.set _ZN6thrust23THRUST_200600_302600_NS11hip_rocprim14__parallel_for6kernelILj256ENS1_10for_each_fINS0_7pointerINS0_5tupleIiiNS0_9null_typeES7_S7_S7_S7_S7_S7_S7_EENS1_5par_tENS0_11use_defaultESA_EENS0_6detail16wrapped_functionINSC_23allocator_traits_detail5gozerEvEEEElLj1EEEvT0_T1_SJ_.has_indirect_call, 0
	.section	.AMDGPU.csdata,"",@progbits
; Kernel info:
; codeLenInByte = 4
; TotalNumSgprs: 0
; NumVgprs: 0
; ScratchSize: 0
; MemoryBound: 0
; FloatMode: 240
; IeeeMode: 1
; LDSByteSize: 0 bytes/workgroup (compile time only)
; SGPRBlocks: 0
; VGPRBlocks: 0
; NumSGPRsForWavesPerEU: 1
; NumVGPRsForWavesPerEU: 1
; Occupancy: 16
; WaveLimiterHint : 0
; COMPUTE_PGM_RSRC2:SCRATCH_EN: 0
; COMPUTE_PGM_RSRC2:USER_SGPR: 6
; COMPUTE_PGM_RSRC2:TRAP_HANDLER: 0
; COMPUTE_PGM_RSRC2:TGID_X_EN: 1
; COMPUTE_PGM_RSRC2:TGID_Y_EN: 0
; COMPUTE_PGM_RSRC2:TGID_Z_EN: 0
; COMPUTE_PGM_RSRC2:TIDIG_COMP_CNT: 0
	.section	.text._ZN6thrust23THRUST_200600_302600_NS11hip_rocprim14__parallel_for6kernelILj256ENS1_11__transform17unary_transform_fINS0_7pointerINS0_5tupleIiiNS0_9null_typeES8_S8_S8_S8_S8_S8_S8_EENS1_5par_tENS0_11use_defaultESB_EENS0_6detail15normal_iteratorISC_EENS4_14no_stencil_tagENS0_8identityIS9_EENS4_21always_true_predicateEEElLj1EEEvT0_T1_SM_,"axG",@progbits,_ZN6thrust23THRUST_200600_302600_NS11hip_rocprim14__parallel_for6kernelILj256ENS1_11__transform17unary_transform_fINS0_7pointerINS0_5tupleIiiNS0_9null_typeES8_S8_S8_S8_S8_S8_S8_EENS1_5par_tENS0_11use_defaultESB_EENS0_6detail15normal_iteratorISC_EENS4_14no_stencil_tagENS0_8identityIS9_EENS4_21always_true_predicateEEElLj1EEEvT0_T1_SM_,comdat
	.protected	_ZN6thrust23THRUST_200600_302600_NS11hip_rocprim14__parallel_for6kernelILj256ENS1_11__transform17unary_transform_fINS0_7pointerINS0_5tupleIiiNS0_9null_typeES8_S8_S8_S8_S8_S8_S8_EENS1_5par_tENS0_11use_defaultESB_EENS0_6detail15normal_iteratorISC_EENS4_14no_stencil_tagENS0_8identityIS9_EENS4_21always_true_predicateEEElLj1EEEvT0_T1_SM_ ; -- Begin function _ZN6thrust23THRUST_200600_302600_NS11hip_rocprim14__parallel_for6kernelILj256ENS1_11__transform17unary_transform_fINS0_7pointerINS0_5tupleIiiNS0_9null_typeES8_S8_S8_S8_S8_S8_S8_EENS1_5par_tENS0_11use_defaultESB_EENS0_6detail15normal_iteratorISC_EENS4_14no_stencil_tagENS0_8identityIS9_EENS4_21always_true_predicateEEElLj1EEEvT0_T1_SM_
	.globl	_ZN6thrust23THRUST_200600_302600_NS11hip_rocprim14__parallel_for6kernelILj256ENS1_11__transform17unary_transform_fINS0_7pointerINS0_5tupleIiiNS0_9null_typeES8_S8_S8_S8_S8_S8_S8_EENS1_5par_tENS0_11use_defaultESB_EENS0_6detail15normal_iteratorISC_EENS4_14no_stencil_tagENS0_8identityIS9_EENS4_21always_true_predicateEEElLj1EEEvT0_T1_SM_
	.p2align	8
	.type	_ZN6thrust23THRUST_200600_302600_NS11hip_rocprim14__parallel_for6kernelILj256ENS1_11__transform17unary_transform_fINS0_7pointerINS0_5tupleIiiNS0_9null_typeES8_S8_S8_S8_S8_S8_S8_EENS1_5par_tENS0_11use_defaultESB_EENS0_6detail15normal_iteratorISC_EENS4_14no_stencil_tagENS0_8identityIS9_EENS4_21always_true_predicateEEElLj1EEEvT0_T1_SM_,@function
_ZN6thrust23THRUST_200600_302600_NS11hip_rocprim14__parallel_for6kernelILj256ENS1_11__transform17unary_transform_fINS0_7pointerINS0_5tupleIiiNS0_9null_typeES8_S8_S8_S8_S8_S8_S8_EENS1_5par_tENS0_11use_defaultESB_EENS0_6detail15normal_iteratorISC_EENS4_14no_stencil_tagENS0_8identityIS9_EENS4_21always_true_predicateEEElLj1EEEvT0_T1_SM_: ; @_ZN6thrust23THRUST_200600_302600_NS11hip_rocprim14__parallel_for6kernelILj256ENS1_11__transform17unary_transform_fINS0_7pointerINS0_5tupleIiiNS0_9null_typeES8_S8_S8_S8_S8_S8_S8_EENS1_5par_tENS0_11use_defaultESB_EENS0_6detail15normal_iteratorISC_EENS4_14no_stencil_tagENS0_8identityIS9_EENS4_21always_true_predicateEEElLj1EEEvT0_T1_SM_
; %bb.0:
	s_clause 0x1
	s_load_dwordx4 s[8:11], s[4:5], 0x18
	s_load_dwordx4 s[0:3], s[4:5], 0x0
	s_lshl_b32 s4, s6, 8
	s_waitcnt lgkmcnt(0)
	s_add_u32 s4, s10, s4
	s_addc_u32 s5, s11, 0
	s_sub_u32 s6, s8, s4
	s_subb_u32 s7, s9, s5
	v_cmp_gt_i64_e64 s7, 0x100, s[6:7]
	s_and_b32 s7, s7, exec_lo
	s_cselect_b32 s7, s6, 0x100
	s_mov_b32 s6, -1
	s_cmpk_eq_i32 s7, 0x100
	s_cbranch_scc0 .LBB429_3
; %bb.1:
	s_andn2_b32 vcc_lo, exec_lo, s6
	s_cbranch_vccz .LBB429_6
.LBB429_2:
	s_endpgm
.LBB429_3:
	s_mov_b32 s6, exec_lo
	v_cmpx_gt_u32_e64 s7, v0
	s_cbranch_execz .LBB429_5
; %bb.4:
	v_add_co_u32 v1, s7, s4, v0
	v_add_co_ci_u32_e64 v2, null, s5, 0, s7
	v_lshlrev_b64 v[1:2], 3, v[1:2]
	v_add_co_u32 v3, vcc_lo, s0, v1
	v_add_co_ci_u32_e64 v4, null, s1, v2, vcc_lo
	v_add_co_u32 v1, vcc_lo, s2, v1
	v_add_co_ci_u32_e64 v2, null, s3, v2, vcc_lo
	flat_load_dwordx2 v[3:4], v[3:4]
	s_waitcnt vmcnt(0) lgkmcnt(0)
	flat_store_dwordx2 v[1:2], v[3:4]
.LBB429_5:
	s_or_b32 exec_lo, exec_lo, s6
	s_cbranch_execnz .LBB429_2
.LBB429_6:
	v_add_co_u32 v0, s4, s4, v0
	v_add_co_ci_u32_e64 v1, null, s5, 0, s4
	v_lshlrev_b64 v[0:1], 3, v[0:1]
	v_add_co_u32 v2, vcc_lo, s0, v0
	v_add_co_ci_u32_e64 v3, null, s1, v1, vcc_lo
	v_add_co_u32 v0, vcc_lo, s2, v0
	v_add_co_ci_u32_e64 v1, null, s3, v1, vcc_lo
	flat_load_dwordx2 v[2:3], v[2:3]
	s_waitcnt vmcnt(0) lgkmcnt(0)
	flat_store_dwordx2 v[0:1], v[2:3]
	s_endpgm
	.section	.rodata,"a",@progbits
	.p2align	6, 0x0
	.amdhsa_kernel _ZN6thrust23THRUST_200600_302600_NS11hip_rocprim14__parallel_for6kernelILj256ENS1_11__transform17unary_transform_fINS0_7pointerINS0_5tupleIiiNS0_9null_typeES8_S8_S8_S8_S8_S8_S8_EENS1_5par_tENS0_11use_defaultESB_EENS0_6detail15normal_iteratorISC_EENS4_14no_stencil_tagENS0_8identityIS9_EENS4_21always_true_predicateEEElLj1EEEvT0_T1_SM_
		.amdhsa_group_segment_fixed_size 0
		.amdhsa_private_segment_fixed_size 0
		.amdhsa_kernarg_size 40
		.amdhsa_user_sgpr_count 6
		.amdhsa_user_sgpr_private_segment_buffer 1
		.amdhsa_user_sgpr_dispatch_ptr 0
		.amdhsa_user_sgpr_queue_ptr 0
		.amdhsa_user_sgpr_kernarg_segment_ptr 1
		.amdhsa_user_sgpr_dispatch_id 0
		.amdhsa_user_sgpr_flat_scratch_init 0
		.amdhsa_user_sgpr_private_segment_size 0
		.amdhsa_wavefront_size32 1
		.amdhsa_uses_dynamic_stack 0
		.amdhsa_system_sgpr_private_segment_wavefront_offset 0
		.amdhsa_system_sgpr_workgroup_id_x 1
		.amdhsa_system_sgpr_workgroup_id_y 0
		.amdhsa_system_sgpr_workgroup_id_z 0
		.amdhsa_system_sgpr_workgroup_info 0
		.amdhsa_system_vgpr_workitem_id 0
		.amdhsa_next_free_vgpr 5
		.amdhsa_next_free_sgpr 12
		.amdhsa_reserve_vcc 1
		.amdhsa_reserve_flat_scratch 0
		.amdhsa_float_round_mode_32 0
		.amdhsa_float_round_mode_16_64 0
		.amdhsa_float_denorm_mode_32 3
		.amdhsa_float_denorm_mode_16_64 3
		.amdhsa_dx10_clamp 1
		.amdhsa_ieee_mode 1
		.amdhsa_fp16_overflow 0
		.amdhsa_workgroup_processor_mode 1
		.amdhsa_memory_ordered 1
		.amdhsa_forward_progress 1
		.amdhsa_shared_vgpr_count 0
		.amdhsa_exception_fp_ieee_invalid_op 0
		.amdhsa_exception_fp_denorm_src 0
		.amdhsa_exception_fp_ieee_div_zero 0
		.amdhsa_exception_fp_ieee_overflow 0
		.amdhsa_exception_fp_ieee_underflow 0
		.amdhsa_exception_fp_ieee_inexact 0
		.amdhsa_exception_int_div_zero 0
	.end_amdhsa_kernel
	.section	.text._ZN6thrust23THRUST_200600_302600_NS11hip_rocprim14__parallel_for6kernelILj256ENS1_11__transform17unary_transform_fINS0_7pointerINS0_5tupleIiiNS0_9null_typeES8_S8_S8_S8_S8_S8_S8_EENS1_5par_tENS0_11use_defaultESB_EENS0_6detail15normal_iteratorISC_EENS4_14no_stencil_tagENS0_8identityIS9_EENS4_21always_true_predicateEEElLj1EEEvT0_T1_SM_,"axG",@progbits,_ZN6thrust23THRUST_200600_302600_NS11hip_rocprim14__parallel_for6kernelILj256ENS1_11__transform17unary_transform_fINS0_7pointerINS0_5tupleIiiNS0_9null_typeES8_S8_S8_S8_S8_S8_S8_EENS1_5par_tENS0_11use_defaultESB_EENS0_6detail15normal_iteratorISC_EENS4_14no_stencil_tagENS0_8identityIS9_EENS4_21always_true_predicateEEElLj1EEEvT0_T1_SM_,comdat
.Lfunc_end429:
	.size	_ZN6thrust23THRUST_200600_302600_NS11hip_rocprim14__parallel_for6kernelILj256ENS1_11__transform17unary_transform_fINS0_7pointerINS0_5tupleIiiNS0_9null_typeES8_S8_S8_S8_S8_S8_S8_EENS1_5par_tENS0_11use_defaultESB_EENS0_6detail15normal_iteratorISC_EENS4_14no_stencil_tagENS0_8identityIS9_EENS4_21always_true_predicateEEElLj1EEEvT0_T1_SM_, .Lfunc_end429-_ZN6thrust23THRUST_200600_302600_NS11hip_rocprim14__parallel_for6kernelILj256ENS1_11__transform17unary_transform_fINS0_7pointerINS0_5tupleIiiNS0_9null_typeES8_S8_S8_S8_S8_S8_S8_EENS1_5par_tENS0_11use_defaultESB_EENS0_6detail15normal_iteratorISC_EENS4_14no_stencil_tagENS0_8identityIS9_EENS4_21always_true_predicateEEElLj1EEEvT0_T1_SM_
                                        ; -- End function
	.set _ZN6thrust23THRUST_200600_302600_NS11hip_rocprim14__parallel_for6kernelILj256ENS1_11__transform17unary_transform_fINS0_7pointerINS0_5tupleIiiNS0_9null_typeES8_S8_S8_S8_S8_S8_S8_EENS1_5par_tENS0_11use_defaultESB_EENS0_6detail15normal_iteratorISC_EENS4_14no_stencil_tagENS0_8identityIS9_EENS4_21always_true_predicateEEElLj1EEEvT0_T1_SM_.num_vgpr, 5
	.set _ZN6thrust23THRUST_200600_302600_NS11hip_rocprim14__parallel_for6kernelILj256ENS1_11__transform17unary_transform_fINS0_7pointerINS0_5tupleIiiNS0_9null_typeES8_S8_S8_S8_S8_S8_S8_EENS1_5par_tENS0_11use_defaultESB_EENS0_6detail15normal_iteratorISC_EENS4_14no_stencil_tagENS0_8identityIS9_EENS4_21always_true_predicateEEElLj1EEEvT0_T1_SM_.num_agpr, 0
	.set _ZN6thrust23THRUST_200600_302600_NS11hip_rocprim14__parallel_for6kernelILj256ENS1_11__transform17unary_transform_fINS0_7pointerINS0_5tupleIiiNS0_9null_typeES8_S8_S8_S8_S8_S8_S8_EENS1_5par_tENS0_11use_defaultESB_EENS0_6detail15normal_iteratorISC_EENS4_14no_stencil_tagENS0_8identityIS9_EENS4_21always_true_predicateEEElLj1EEEvT0_T1_SM_.numbered_sgpr, 12
	.set _ZN6thrust23THRUST_200600_302600_NS11hip_rocprim14__parallel_for6kernelILj256ENS1_11__transform17unary_transform_fINS0_7pointerINS0_5tupleIiiNS0_9null_typeES8_S8_S8_S8_S8_S8_S8_EENS1_5par_tENS0_11use_defaultESB_EENS0_6detail15normal_iteratorISC_EENS4_14no_stencil_tagENS0_8identityIS9_EENS4_21always_true_predicateEEElLj1EEEvT0_T1_SM_.num_named_barrier, 0
	.set _ZN6thrust23THRUST_200600_302600_NS11hip_rocprim14__parallel_for6kernelILj256ENS1_11__transform17unary_transform_fINS0_7pointerINS0_5tupleIiiNS0_9null_typeES8_S8_S8_S8_S8_S8_S8_EENS1_5par_tENS0_11use_defaultESB_EENS0_6detail15normal_iteratorISC_EENS4_14no_stencil_tagENS0_8identityIS9_EENS4_21always_true_predicateEEElLj1EEEvT0_T1_SM_.private_seg_size, 0
	.set _ZN6thrust23THRUST_200600_302600_NS11hip_rocprim14__parallel_for6kernelILj256ENS1_11__transform17unary_transform_fINS0_7pointerINS0_5tupleIiiNS0_9null_typeES8_S8_S8_S8_S8_S8_S8_EENS1_5par_tENS0_11use_defaultESB_EENS0_6detail15normal_iteratorISC_EENS4_14no_stencil_tagENS0_8identityIS9_EENS4_21always_true_predicateEEElLj1EEEvT0_T1_SM_.uses_vcc, 1
	.set _ZN6thrust23THRUST_200600_302600_NS11hip_rocprim14__parallel_for6kernelILj256ENS1_11__transform17unary_transform_fINS0_7pointerINS0_5tupleIiiNS0_9null_typeES8_S8_S8_S8_S8_S8_S8_EENS1_5par_tENS0_11use_defaultESB_EENS0_6detail15normal_iteratorISC_EENS4_14no_stencil_tagENS0_8identityIS9_EENS4_21always_true_predicateEEElLj1EEEvT0_T1_SM_.uses_flat_scratch, 0
	.set _ZN6thrust23THRUST_200600_302600_NS11hip_rocprim14__parallel_for6kernelILj256ENS1_11__transform17unary_transform_fINS0_7pointerINS0_5tupleIiiNS0_9null_typeES8_S8_S8_S8_S8_S8_S8_EENS1_5par_tENS0_11use_defaultESB_EENS0_6detail15normal_iteratorISC_EENS4_14no_stencil_tagENS0_8identityIS9_EENS4_21always_true_predicateEEElLj1EEEvT0_T1_SM_.has_dyn_sized_stack, 0
	.set _ZN6thrust23THRUST_200600_302600_NS11hip_rocprim14__parallel_for6kernelILj256ENS1_11__transform17unary_transform_fINS0_7pointerINS0_5tupleIiiNS0_9null_typeES8_S8_S8_S8_S8_S8_S8_EENS1_5par_tENS0_11use_defaultESB_EENS0_6detail15normal_iteratorISC_EENS4_14no_stencil_tagENS0_8identityIS9_EENS4_21always_true_predicateEEElLj1EEEvT0_T1_SM_.has_recursion, 0
	.set _ZN6thrust23THRUST_200600_302600_NS11hip_rocprim14__parallel_for6kernelILj256ENS1_11__transform17unary_transform_fINS0_7pointerINS0_5tupleIiiNS0_9null_typeES8_S8_S8_S8_S8_S8_S8_EENS1_5par_tENS0_11use_defaultESB_EENS0_6detail15normal_iteratorISC_EENS4_14no_stencil_tagENS0_8identityIS9_EENS4_21always_true_predicateEEElLj1EEEvT0_T1_SM_.has_indirect_call, 0
	.section	.AMDGPU.csdata,"",@progbits
; Kernel info:
; codeLenInByte = 272
; TotalNumSgprs: 14
; NumVgprs: 5
; ScratchSize: 0
; MemoryBound: 0
; FloatMode: 240
; IeeeMode: 1
; LDSByteSize: 0 bytes/workgroup (compile time only)
; SGPRBlocks: 0
; VGPRBlocks: 0
; NumSGPRsForWavesPerEU: 14
; NumVGPRsForWavesPerEU: 5
; Occupancy: 16
; WaveLimiterHint : 0
; COMPUTE_PGM_RSRC2:SCRATCH_EN: 0
; COMPUTE_PGM_RSRC2:USER_SGPR: 6
; COMPUTE_PGM_RSRC2:TRAP_HANDLER: 0
; COMPUTE_PGM_RSRC2:TGID_X_EN: 1
; COMPUTE_PGM_RSRC2:TGID_Y_EN: 0
; COMPUTE_PGM_RSRC2:TGID_Z_EN: 0
; COMPUTE_PGM_RSRC2:TIDIG_COMP_CNT: 0
	.section	.text._ZN6thrust23THRUST_200600_302600_NS11hip_rocprim14__parallel_for6kernelILj256ENS1_11__transform17unary_transform_fINS0_7pointerINS0_5tupleIiiNS0_9null_typeES8_S8_S8_S8_S8_S8_S8_EENS1_5par_tENS0_11use_defaultESB_EESC_NS4_14no_stencil_tagENS0_8identityIS9_EENS4_21always_true_predicateEEElLj1EEEvT0_T1_SJ_,"axG",@progbits,_ZN6thrust23THRUST_200600_302600_NS11hip_rocprim14__parallel_for6kernelILj256ENS1_11__transform17unary_transform_fINS0_7pointerINS0_5tupleIiiNS0_9null_typeES8_S8_S8_S8_S8_S8_S8_EENS1_5par_tENS0_11use_defaultESB_EESC_NS4_14no_stencil_tagENS0_8identityIS9_EENS4_21always_true_predicateEEElLj1EEEvT0_T1_SJ_,comdat
	.protected	_ZN6thrust23THRUST_200600_302600_NS11hip_rocprim14__parallel_for6kernelILj256ENS1_11__transform17unary_transform_fINS0_7pointerINS0_5tupleIiiNS0_9null_typeES8_S8_S8_S8_S8_S8_S8_EENS1_5par_tENS0_11use_defaultESB_EESC_NS4_14no_stencil_tagENS0_8identityIS9_EENS4_21always_true_predicateEEElLj1EEEvT0_T1_SJ_ ; -- Begin function _ZN6thrust23THRUST_200600_302600_NS11hip_rocprim14__parallel_for6kernelILj256ENS1_11__transform17unary_transform_fINS0_7pointerINS0_5tupleIiiNS0_9null_typeES8_S8_S8_S8_S8_S8_S8_EENS1_5par_tENS0_11use_defaultESB_EESC_NS4_14no_stencil_tagENS0_8identityIS9_EENS4_21always_true_predicateEEElLj1EEEvT0_T1_SJ_
	.globl	_ZN6thrust23THRUST_200600_302600_NS11hip_rocprim14__parallel_for6kernelILj256ENS1_11__transform17unary_transform_fINS0_7pointerINS0_5tupleIiiNS0_9null_typeES8_S8_S8_S8_S8_S8_S8_EENS1_5par_tENS0_11use_defaultESB_EESC_NS4_14no_stencil_tagENS0_8identityIS9_EENS4_21always_true_predicateEEElLj1EEEvT0_T1_SJ_
	.p2align	8
	.type	_ZN6thrust23THRUST_200600_302600_NS11hip_rocprim14__parallel_for6kernelILj256ENS1_11__transform17unary_transform_fINS0_7pointerINS0_5tupleIiiNS0_9null_typeES8_S8_S8_S8_S8_S8_S8_EENS1_5par_tENS0_11use_defaultESB_EESC_NS4_14no_stencil_tagENS0_8identityIS9_EENS4_21always_true_predicateEEElLj1EEEvT0_T1_SJ_,@function
_ZN6thrust23THRUST_200600_302600_NS11hip_rocprim14__parallel_for6kernelILj256ENS1_11__transform17unary_transform_fINS0_7pointerINS0_5tupleIiiNS0_9null_typeES8_S8_S8_S8_S8_S8_S8_EENS1_5par_tENS0_11use_defaultESB_EESC_NS4_14no_stencil_tagENS0_8identityIS9_EENS4_21always_true_predicateEEElLj1EEEvT0_T1_SJ_: ; @_ZN6thrust23THRUST_200600_302600_NS11hip_rocprim14__parallel_for6kernelILj256ENS1_11__transform17unary_transform_fINS0_7pointerINS0_5tupleIiiNS0_9null_typeES8_S8_S8_S8_S8_S8_S8_EENS1_5par_tENS0_11use_defaultESB_EESC_NS4_14no_stencil_tagENS0_8identityIS9_EENS4_21always_true_predicateEEElLj1EEEvT0_T1_SJ_
; %bb.0:
	s_clause 0x1
	s_load_dwordx4 s[8:11], s[4:5], 0x18
	s_load_dwordx4 s[0:3], s[4:5], 0x0
	s_lshl_b32 s4, s6, 8
	s_waitcnt lgkmcnt(0)
	s_add_u32 s4, s10, s4
	s_addc_u32 s5, s11, 0
	s_sub_u32 s6, s8, s4
	s_subb_u32 s7, s9, s5
	v_cmp_gt_i64_e64 s7, 0x100, s[6:7]
	s_and_b32 s7, s7, exec_lo
	s_cselect_b32 s7, s6, 0x100
	s_mov_b32 s6, -1
	s_cmpk_eq_i32 s7, 0x100
	s_cbranch_scc0 .LBB430_3
; %bb.1:
	s_andn2_b32 vcc_lo, exec_lo, s6
	s_cbranch_vccz .LBB430_6
.LBB430_2:
	s_endpgm
.LBB430_3:
	s_mov_b32 s6, exec_lo
	v_cmpx_gt_u32_e64 s7, v0
	s_cbranch_execz .LBB430_5
; %bb.4:
	v_add_co_u32 v1, s7, s4, v0
	v_add_co_ci_u32_e64 v2, null, s5, 0, s7
	v_lshlrev_b64 v[1:2], 3, v[1:2]
	v_add_co_u32 v3, vcc_lo, s0, v1
	v_add_co_ci_u32_e64 v4, null, s1, v2, vcc_lo
	v_add_co_u32 v1, vcc_lo, s2, v1
	v_add_co_ci_u32_e64 v2, null, s3, v2, vcc_lo
	flat_load_dwordx2 v[3:4], v[3:4]
	s_waitcnt vmcnt(0) lgkmcnt(0)
	flat_store_dwordx2 v[1:2], v[3:4]
.LBB430_5:
	s_or_b32 exec_lo, exec_lo, s6
	s_cbranch_execnz .LBB430_2
.LBB430_6:
	v_add_co_u32 v0, s4, s4, v0
	v_add_co_ci_u32_e64 v1, null, s5, 0, s4
	v_lshlrev_b64 v[0:1], 3, v[0:1]
	v_add_co_u32 v2, vcc_lo, s0, v0
	v_add_co_ci_u32_e64 v3, null, s1, v1, vcc_lo
	v_add_co_u32 v0, vcc_lo, s2, v0
	v_add_co_ci_u32_e64 v1, null, s3, v1, vcc_lo
	flat_load_dwordx2 v[2:3], v[2:3]
	s_waitcnt vmcnt(0) lgkmcnt(0)
	flat_store_dwordx2 v[0:1], v[2:3]
	s_endpgm
	.section	.rodata,"a",@progbits
	.p2align	6, 0x0
	.amdhsa_kernel _ZN6thrust23THRUST_200600_302600_NS11hip_rocprim14__parallel_for6kernelILj256ENS1_11__transform17unary_transform_fINS0_7pointerINS0_5tupleIiiNS0_9null_typeES8_S8_S8_S8_S8_S8_S8_EENS1_5par_tENS0_11use_defaultESB_EESC_NS4_14no_stencil_tagENS0_8identityIS9_EENS4_21always_true_predicateEEElLj1EEEvT0_T1_SJ_
		.amdhsa_group_segment_fixed_size 0
		.amdhsa_private_segment_fixed_size 0
		.amdhsa_kernarg_size 40
		.amdhsa_user_sgpr_count 6
		.amdhsa_user_sgpr_private_segment_buffer 1
		.amdhsa_user_sgpr_dispatch_ptr 0
		.amdhsa_user_sgpr_queue_ptr 0
		.amdhsa_user_sgpr_kernarg_segment_ptr 1
		.amdhsa_user_sgpr_dispatch_id 0
		.amdhsa_user_sgpr_flat_scratch_init 0
		.amdhsa_user_sgpr_private_segment_size 0
		.amdhsa_wavefront_size32 1
		.amdhsa_uses_dynamic_stack 0
		.amdhsa_system_sgpr_private_segment_wavefront_offset 0
		.amdhsa_system_sgpr_workgroup_id_x 1
		.amdhsa_system_sgpr_workgroup_id_y 0
		.amdhsa_system_sgpr_workgroup_id_z 0
		.amdhsa_system_sgpr_workgroup_info 0
		.amdhsa_system_vgpr_workitem_id 0
		.amdhsa_next_free_vgpr 5
		.amdhsa_next_free_sgpr 12
		.amdhsa_reserve_vcc 1
		.amdhsa_reserve_flat_scratch 0
		.amdhsa_float_round_mode_32 0
		.amdhsa_float_round_mode_16_64 0
		.amdhsa_float_denorm_mode_32 3
		.amdhsa_float_denorm_mode_16_64 3
		.amdhsa_dx10_clamp 1
		.amdhsa_ieee_mode 1
		.amdhsa_fp16_overflow 0
		.amdhsa_workgroup_processor_mode 1
		.amdhsa_memory_ordered 1
		.amdhsa_forward_progress 1
		.amdhsa_shared_vgpr_count 0
		.amdhsa_exception_fp_ieee_invalid_op 0
		.amdhsa_exception_fp_denorm_src 0
		.amdhsa_exception_fp_ieee_div_zero 0
		.amdhsa_exception_fp_ieee_overflow 0
		.amdhsa_exception_fp_ieee_underflow 0
		.amdhsa_exception_fp_ieee_inexact 0
		.amdhsa_exception_int_div_zero 0
	.end_amdhsa_kernel
	.section	.text._ZN6thrust23THRUST_200600_302600_NS11hip_rocprim14__parallel_for6kernelILj256ENS1_11__transform17unary_transform_fINS0_7pointerINS0_5tupleIiiNS0_9null_typeES8_S8_S8_S8_S8_S8_S8_EENS1_5par_tENS0_11use_defaultESB_EESC_NS4_14no_stencil_tagENS0_8identityIS9_EENS4_21always_true_predicateEEElLj1EEEvT0_T1_SJ_,"axG",@progbits,_ZN6thrust23THRUST_200600_302600_NS11hip_rocprim14__parallel_for6kernelILj256ENS1_11__transform17unary_transform_fINS0_7pointerINS0_5tupleIiiNS0_9null_typeES8_S8_S8_S8_S8_S8_S8_EENS1_5par_tENS0_11use_defaultESB_EESC_NS4_14no_stencil_tagENS0_8identityIS9_EENS4_21always_true_predicateEEElLj1EEEvT0_T1_SJ_,comdat
.Lfunc_end430:
	.size	_ZN6thrust23THRUST_200600_302600_NS11hip_rocprim14__parallel_for6kernelILj256ENS1_11__transform17unary_transform_fINS0_7pointerINS0_5tupleIiiNS0_9null_typeES8_S8_S8_S8_S8_S8_S8_EENS1_5par_tENS0_11use_defaultESB_EESC_NS4_14no_stencil_tagENS0_8identityIS9_EENS4_21always_true_predicateEEElLj1EEEvT0_T1_SJ_, .Lfunc_end430-_ZN6thrust23THRUST_200600_302600_NS11hip_rocprim14__parallel_for6kernelILj256ENS1_11__transform17unary_transform_fINS0_7pointerINS0_5tupleIiiNS0_9null_typeES8_S8_S8_S8_S8_S8_S8_EENS1_5par_tENS0_11use_defaultESB_EESC_NS4_14no_stencil_tagENS0_8identityIS9_EENS4_21always_true_predicateEEElLj1EEEvT0_T1_SJ_
                                        ; -- End function
	.set _ZN6thrust23THRUST_200600_302600_NS11hip_rocprim14__parallel_for6kernelILj256ENS1_11__transform17unary_transform_fINS0_7pointerINS0_5tupleIiiNS0_9null_typeES8_S8_S8_S8_S8_S8_S8_EENS1_5par_tENS0_11use_defaultESB_EESC_NS4_14no_stencil_tagENS0_8identityIS9_EENS4_21always_true_predicateEEElLj1EEEvT0_T1_SJ_.num_vgpr, 5
	.set _ZN6thrust23THRUST_200600_302600_NS11hip_rocprim14__parallel_for6kernelILj256ENS1_11__transform17unary_transform_fINS0_7pointerINS0_5tupleIiiNS0_9null_typeES8_S8_S8_S8_S8_S8_S8_EENS1_5par_tENS0_11use_defaultESB_EESC_NS4_14no_stencil_tagENS0_8identityIS9_EENS4_21always_true_predicateEEElLj1EEEvT0_T1_SJ_.num_agpr, 0
	.set _ZN6thrust23THRUST_200600_302600_NS11hip_rocprim14__parallel_for6kernelILj256ENS1_11__transform17unary_transform_fINS0_7pointerINS0_5tupleIiiNS0_9null_typeES8_S8_S8_S8_S8_S8_S8_EENS1_5par_tENS0_11use_defaultESB_EESC_NS4_14no_stencil_tagENS0_8identityIS9_EENS4_21always_true_predicateEEElLj1EEEvT0_T1_SJ_.numbered_sgpr, 12
	.set _ZN6thrust23THRUST_200600_302600_NS11hip_rocprim14__parallel_for6kernelILj256ENS1_11__transform17unary_transform_fINS0_7pointerINS0_5tupleIiiNS0_9null_typeES8_S8_S8_S8_S8_S8_S8_EENS1_5par_tENS0_11use_defaultESB_EESC_NS4_14no_stencil_tagENS0_8identityIS9_EENS4_21always_true_predicateEEElLj1EEEvT0_T1_SJ_.num_named_barrier, 0
	.set _ZN6thrust23THRUST_200600_302600_NS11hip_rocprim14__parallel_for6kernelILj256ENS1_11__transform17unary_transform_fINS0_7pointerINS0_5tupleIiiNS0_9null_typeES8_S8_S8_S8_S8_S8_S8_EENS1_5par_tENS0_11use_defaultESB_EESC_NS4_14no_stencil_tagENS0_8identityIS9_EENS4_21always_true_predicateEEElLj1EEEvT0_T1_SJ_.private_seg_size, 0
	.set _ZN6thrust23THRUST_200600_302600_NS11hip_rocprim14__parallel_for6kernelILj256ENS1_11__transform17unary_transform_fINS0_7pointerINS0_5tupleIiiNS0_9null_typeES8_S8_S8_S8_S8_S8_S8_EENS1_5par_tENS0_11use_defaultESB_EESC_NS4_14no_stencil_tagENS0_8identityIS9_EENS4_21always_true_predicateEEElLj1EEEvT0_T1_SJ_.uses_vcc, 1
	.set _ZN6thrust23THRUST_200600_302600_NS11hip_rocprim14__parallel_for6kernelILj256ENS1_11__transform17unary_transform_fINS0_7pointerINS0_5tupleIiiNS0_9null_typeES8_S8_S8_S8_S8_S8_S8_EENS1_5par_tENS0_11use_defaultESB_EESC_NS4_14no_stencil_tagENS0_8identityIS9_EENS4_21always_true_predicateEEElLj1EEEvT0_T1_SJ_.uses_flat_scratch, 0
	.set _ZN6thrust23THRUST_200600_302600_NS11hip_rocprim14__parallel_for6kernelILj256ENS1_11__transform17unary_transform_fINS0_7pointerINS0_5tupleIiiNS0_9null_typeES8_S8_S8_S8_S8_S8_S8_EENS1_5par_tENS0_11use_defaultESB_EESC_NS4_14no_stencil_tagENS0_8identityIS9_EENS4_21always_true_predicateEEElLj1EEEvT0_T1_SJ_.has_dyn_sized_stack, 0
	.set _ZN6thrust23THRUST_200600_302600_NS11hip_rocprim14__parallel_for6kernelILj256ENS1_11__transform17unary_transform_fINS0_7pointerINS0_5tupleIiiNS0_9null_typeES8_S8_S8_S8_S8_S8_S8_EENS1_5par_tENS0_11use_defaultESB_EESC_NS4_14no_stencil_tagENS0_8identityIS9_EENS4_21always_true_predicateEEElLj1EEEvT0_T1_SJ_.has_recursion, 0
	.set _ZN6thrust23THRUST_200600_302600_NS11hip_rocprim14__parallel_for6kernelILj256ENS1_11__transform17unary_transform_fINS0_7pointerINS0_5tupleIiiNS0_9null_typeES8_S8_S8_S8_S8_S8_S8_EENS1_5par_tENS0_11use_defaultESB_EESC_NS4_14no_stencil_tagENS0_8identityIS9_EENS4_21always_true_predicateEEElLj1EEEvT0_T1_SJ_.has_indirect_call, 0
	.section	.AMDGPU.csdata,"",@progbits
; Kernel info:
; codeLenInByte = 272
; TotalNumSgprs: 14
; NumVgprs: 5
; ScratchSize: 0
; MemoryBound: 0
; FloatMode: 240
; IeeeMode: 1
; LDSByteSize: 0 bytes/workgroup (compile time only)
; SGPRBlocks: 0
; VGPRBlocks: 0
; NumSGPRsForWavesPerEU: 14
; NumVGPRsForWavesPerEU: 5
; Occupancy: 16
; WaveLimiterHint : 0
; COMPUTE_PGM_RSRC2:SCRATCH_EN: 0
; COMPUTE_PGM_RSRC2:USER_SGPR: 6
; COMPUTE_PGM_RSRC2:TRAP_HANDLER: 0
; COMPUTE_PGM_RSRC2:TGID_X_EN: 1
; COMPUTE_PGM_RSRC2:TGID_Y_EN: 0
; COMPUTE_PGM_RSRC2:TGID_Z_EN: 0
; COMPUTE_PGM_RSRC2:TIDIG_COMP_CNT: 0
	.section	.text._ZN7rocprim17ROCPRIM_400000_NS6detail17trampoline_kernelINS0_14default_configENS1_27lower_bound_config_selectorIN6thrust23THRUST_200600_302600_NS5tupleIiiNS6_9null_typeES8_S8_S8_S8_S8_S8_S8_EElEEZNS1_14transform_implILb0ES3_SA_NS6_6detail15normal_iteratorINS6_7pointerIS9_NS6_11hip_rocprim5par_tENS6_11use_defaultESH_EEEENSD_INSE_IlSG_SH_SH_EEEEZNS1_13binary_searchIS3_SA_NSD_INS6_10device_ptrIS9_EEEESJ_SL_NS1_21lower_bound_search_opENSC_16wrapped_functionINS6_6system6detail7generic6detail18binary_search_lessEbEEEE10hipError_tPvRmT1_T2_T3_mmT4_T5_P12ihipStream_tbEUlRKS9_E_EESY_S12_S13_mS14_S17_bEUlT_E_NS1_11comp_targetILNS1_3genE0ELNS1_11target_archE4294967295ELNS1_3gpuE0ELNS1_3repE0EEENS1_30default_config_static_selectorELNS0_4arch9wavefront6targetE0EEEvS11_,"axG",@progbits,_ZN7rocprim17ROCPRIM_400000_NS6detail17trampoline_kernelINS0_14default_configENS1_27lower_bound_config_selectorIN6thrust23THRUST_200600_302600_NS5tupleIiiNS6_9null_typeES8_S8_S8_S8_S8_S8_S8_EElEEZNS1_14transform_implILb0ES3_SA_NS6_6detail15normal_iteratorINS6_7pointerIS9_NS6_11hip_rocprim5par_tENS6_11use_defaultESH_EEEENSD_INSE_IlSG_SH_SH_EEEEZNS1_13binary_searchIS3_SA_NSD_INS6_10device_ptrIS9_EEEESJ_SL_NS1_21lower_bound_search_opENSC_16wrapped_functionINS6_6system6detail7generic6detail18binary_search_lessEbEEEE10hipError_tPvRmT1_T2_T3_mmT4_T5_P12ihipStream_tbEUlRKS9_E_EESY_S12_S13_mS14_S17_bEUlT_E_NS1_11comp_targetILNS1_3genE0ELNS1_11target_archE4294967295ELNS1_3gpuE0ELNS1_3repE0EEENS1_30default_config_static_selectorELNS0_4arch9wavefront6targetE0EEEvS11_,comdat
	.protected	_ZN7rocprim17ROCPRIM_400000_NS6detail17trampoline_kernelINS0_14default_configENS1_27lower_bound_config_selectorIN6thrust23THRUST_200600_302600_NS5tupleIiiNS6_9null_typeES8_S8_S8_S8_S8_S8_S8_EElEEZNS1_14transform_implILb0ES3_SA_NS6_6detail15normal_iteratorINS6_7pointerIS9_NS6_11hip_rocprim5par_tENS6_11use_defaultESH_EEEENSD_INSE_IlSG_SH_SH_EEEEZNS1_13binary_searchIS3_SA_NSD_INS6_10device_ptrIS9_EEEESJ_SL_NS1_21lower_bound_search_opENSC_16wrapped_functionINS6_6system6detail7generic6detail18binary_search_lessEbEEEE10hipError_tPvRmT1_T2_T3_mmT4_T5_P12ihipStream_tbEUlRKS9_E_EESY_S12_S13_mS14_S17_bEUlT_E_NS1_11comp_targetILNS1_3genE0ELNS1_11target_archE4294967295ELNS1_3gpuE0ELNS1_3repE0EEENS1_30default_config_static_selectorELNS0_4arch9wavefront6targetE0EEEvS11_ ; -- Begin function _ZN7rocprim17ROCPRIM_400000_NS6detail17trampoline_kernelINS0_14default_configENS1_27lower_bound_config_selectorIN6thrust23THRUST_200600_302600_NS5tupleIiiNS6_9null_typeES8_S8_S8_S8_S8_S8_S8_EElEEZNS1_14transform_implILb0ES3_SA_NS6_6detail15normal_iteratorINS6_7pointerIS9_NS6_11hip_rocprim5par_tENS6_11use_defaultESH_EEEENSD_INSE_IlSG_SH_SH_EEEEZNS1_13binary_searchIS3_SA_NSD_INS6_10device_ptrIS9_EEEESJ_SL_NS1_21lower_bound_search_opENSC_16wrapped_functionINS6_6system6detail7generic6detail18binary_search_lessEbEEEE10hipError_tPvRmT1_T2_T3_mmT4_T5_P12ihipStream_tbEUlRKS9_E_EESY_S12_S13_mS14_S17_bEUlT_E_NS1_11comp_targetILNS1_3genE0ELNS1_11target_archE4294967295ELNS1_3gpuE0ELNS1_3repE0EEENS1_30default_config_static_selectorELNS0_4arch9wavefront6targetE0EEEvS11_
	.globl	_ZN7rocprim17ROCPRIM_400000_NS6detail17trampoline_kernelINS0_14default_configENS1_27lower_bound_config_selectorIN6thrust23THRUST_200600_302600_NS5tupleIiiNS6_9null_typeES8_S8_S8_S8_S8_S8_S8_EElEEZNS1_14transform_implILb0ES3_SA_NS6_6detail15normal_iteratorINS6_7pointerIS9_NS6_11hip_rocprim5par_tENS6_11use_defaultESH_EEEENSD_INSE_IlSG_SH_SH_EEEEZNS1_13binary_searchIS3_SA_NSD_INS6_10device_ptrIS9_EEEESJ_SL_NS1_21lower_bound_search_opENSC_16wrapped_functionINS6_6system6detail7generic6detail18binary_search_lessEbEEEE10hipError_tPvRmT1_T2_T3_mmT4_T5_P12ihipStream_tbEUlRKS9_E_EESY_S12_S13_mS14_S17_bEUlT_E_NS1_11comp_targetILNS1_3genE0ELNS1_11target_archE4294967295ELNS1_3gpuE0ELNS1_3repE0EEENS1_30default_config_static_selectorELNS0_4arch9wavefront6targetE0EEEvS11_
	.p2align	8
	.type	_ZN7rocprim17ROCPRIM_400000_NS6detail17trampoline_kernelINS0_14default_configENS1_27lower_bound_config_selectorIN6thrust23THRUST_200600_302600_NS5tupleIiiNS6_9null_typeES8_S8_S8_S8_S8_S8_S8_EElEEZNS1_14transform_implILb0ES3_SA_NS6_6detail15normal_iteratorINS6_7pointerIS9_NS6_11hip_rocprim5par_tENS6_11use_defaultESH_EEEENSD_INSE_IlSG_SH_SH_EEEEZNS1_13binary_searchIS3_SA_NSD_INS6_10device_ptrIS9_EEEESJ_SL_NS1_21lower_bound_search_opENSC_16wrapped_functionINS6_6system6detail7generic6detail18binary_search_lessEbEEEE10hipError_tPvRmT1_T2_T3_mmT4_T5_P12ihipStream_tbEUlRKS9_E_EESY_S12_S13_mS14_S17_bEUlT_E_NS1_11comp_targetILNS1_3genE0ELNS1_11target_archE4294967295ELNS1_3gpuE0ELNS1_3repE0EEENS1_30default_config_static_selectorELNS0_4arch9wavefront6targetE0EEEvS11_,@function
_ZN7rocprim17ROCPRIM_400000_NS6detail17trampoline_kernelINS0_14default_configENS1_27lower_bound_config_selectorIN6thrust23THRUST_200600_302600_NS5tupleIiiNS6_9null_typeES8_S8_S8_S8_S8_S8_S8_EElEEZNS1_14transform_implILb0ES3_SA_NS6_6detail15normal_iteratorINS6_7pointerIS9_NS6_11hip_rocprim5par_tENS6_11use_defaultESH_EEEENSD_INSE_IlSG_SH_SH_EEEEZNS1_13binary_searchIS3_SA_NSD_INS6_10device_ptrIS9_EEEESJ_SL_NS1_21lower_bound_search_opENSC_16wrapped_functionINS6_6system6detail7generic6detail18binary_search_lessEbEEEE10hipError_tPvRmT1_T2_T3_mmT4_T5_P12ihipStream_tbEUlRKS9_E_EESY_S12_S13_mS14_S17_bEUlT_E_NS1_11comp_targetILNS1_3genE0ELNS1_11target_archE4294967295ELNS1_3gpuE0ELNS1_3repE0EEENS1_30default_config_static_selectorELNS0_4arch9wavefront6targetE0EEEvS11_: ; @_ZN7rocprim17ROCPRIM_400000_NS6detail17trampoline_kernelINS0_14default_configENS1_27lower_bound_config_selectorIN6thrust23THRUST_200600_302600_NS5tupleIiiNS6_9null_typeES8_S8_S8_S8_S8_S8_S8_EElEEZNS1_14transform_implILb0ES3_SA_NS6_6detail15normal_iteratorINS6_7pointerIS9_NS6_11hip_rocprim5par_tENS6_11use_defaultESH_EEEENSD_INSE_IlSG_SH_SH_EEEEZNS1_13binary_searchIS3_SA_NSD_INS6_10device_ptrIS9_EEEESJ_SL_NS1_21lower_bound_search_opENSC_16wrapped_functionINS6_6system6detail7generic6detail18binary_search_lessEbEEEE10hipError_tPvRmT1_T2_T3_mmT4_T5_P12ihipStream_tbEUlRKS9_E_EESY_S12_S13_mS14_S17_bEUlT_E_NS1_11comp_targetILNS1_3genE0ELNS1_11target_archE4294967295ELNS1_3gpuE0ELNS1_3repE0EEENS1_30default_config_static_selectorELNS0_4arch9wavefront6targetE0EEEvS11_
; %bb.0:
	.section	.rodata,"a",@progbits
	.p2align	6, 0x0
	.amdhsa_kernel _ZN7rocprim17ROCPRIM_400000_NS6detail17trampoline_kernelINS0_14default_configENS1_27lower_bound_config_selectorIN6thrust23THRUST_200600_302600_NS5tupleIiiNS6_9null_typeES8_S8_S8_S8_S8_S8_S8_EElEEZNS1_14transform_implILb0ES3_SA_NS6_6detail15normal_iteratorINS6_7pointerIS9_NS6_11hip_rocprim5par_tENS6_11use_defaultESH_EEEENSD_INSE_IlSG_SH_SH_EEEEZNS1_13binary_searchIS3_SA_NSD_INS6_10device_ptrIS9_EEEESJ_SL_NS1_21lower_bound_search_opENSC_16wrapped_functionINS6_6system6detail7generic6detail18binary_search_lessEbEEEE10hipError_tPvRmT1_T2_T3_mmT4_T5_P12ihipStream_tbEUlRKS9_E_EESY_S12_S13_mS14_S17_bEUlT_E_NS1_11comp_targetILNS1_3genE0ELNS1_11target_archE4294967295ELNS1_3gpuE0ELNS1_3repE0EEENS1_30default_config_static_selectorELNS0_4arch9wavefront6targetE0EEEvS11_
		.amdhsa_group_segment_fixed_size 0
		.amdhsa_private_segment_fixed_size 0
		.amdhsa_kernarg_size 56
		.amdhsa_user_sgpr_count 6
		.amdhsa_user_sgpr_private_segment_buffer 1
		.amdhsa_user_sgpr_dispatch_ptr 0
		.amdhsa_user_sgpr_queue_ptr 0
		.amdhsa_user_sgpr_kernarg_segment_ptr 1
		.amdhsa_user_sgpr_dispatch_id 0
		.amdhsa_user_sgpr_flat_scratch_init 0
		.amdhsa_user_sgpr_private_segment_size 0
		.amdhsa_wavefront_size32 1
		.amdhsa_uses_dynamic_stack 0
		.amdhsa_system_sgpr_private_segment_wavefront_offset 0
		.amdhsa_system_sgpr_workgroup_id_x 1
		.amdhsa_system_sgpr_workgroup_id_y 0
		.amdhsa_system_sgpr_workgroup_id_z 0
		.amdhsa_system_sgpr_workgroup_info 0
		.amdhsa_system_vgpr_workitem_id 0
		.amdhsa_next_free_vgpr 1
		.amdhsa_next_free_sgpr 1
		.amdhsa_reserve_vcc 0
		.amdhsa_reserve_flat_scratch 0
		.amdhsa_float_round_mode_32 0
		.amdhsa_float_round_mode_16_64 0
		.amdhsa_float_denorm_mode_32 3
		.amdhsa_float_denorm_mode_16_64 3
		.amdhsa_dx10_clamp 1
		.amdhsa_ieee_mode 1
		.amdhsa_fp16_overflow 0
		.amdhsa_workgroup_processor_mode 1
		.amdhsa_memory_ordered 1
		.amdhsa_forward_progress 1
		.amdhsa_shared_vgpr_count 0
		.amdhsa_exception_fp_ieee_invalid_op 0
		.amdhsa_exception_fp_denorm_src 0
		.amdhsa_exception_fp_ieee_div_zero 0
		.amdhsa_exception_fp_ieee_overflow 0
		.amdhsa_exception_fp_ieee_underflow 0
		.amdhsa_exception_fp_ieee_inexact 0
		.amdhsa_exception_int_div_zero 0
	.end_amdhsa_kernel
	.section	.text._ZN7rocprim17ROCPRIM_400000_NS6detail17trampoline_kernelINS0_14default_configENS1_27lower_bound_config_selectorIN6thrust23THRUST_200600_302600_NS5tupleIiiNS6_9null_typeES8_S8_S8_S8_S8_S8_S8_EElEEZNS1_14transform_implILb0ES3_SA_NS6_6detail15normal_iteratorINS6_7pointerIS9_NS6_11hip_rocprim5par_tENS6_11use_defaultESH_EEEENSD_INSE_IlSG_SH_SH_EEEEZNS1_13binary_searchIS3_SA_NSD_INS6_10device_ptrIS9_EEEESJ_SL_NS1_21lower_bound_search_opENSC_16wrapped_functionINS6_6system6detail7generic6detail18binary_search_lessEbEEEE10hipError_tPvRmT1_T2_T3_mmT4_T5_P12ihipStream_tbEUlRKS9_E_EESY_S12_S13_mS14_S17_bEUlT_E_NS1_11comp_targetILNS1_3genE0ELNS1_11target_archE4294967295ELNS1_3gpuE0ELNS1_3repE0EEENS1_30default_config_static_selectorELNS0_4arch9wavefront6targetE0EEEvS11_,"axG",@progbits,_ZN7rocprim17ROCPRIM_400000_NS6detail17trampoline_kernelINS0_14default_configENS1_27lower_bound_config_selectorIN6thrust23THRUST_200600_302600_NS5tupleIiiNS6_9null_typeES8_S8_S8_S8_S8_S8_S8_EElEEZNS1_14transform_implILb0ES3_SA_NS6_6detail15normal_iteratorINS6_7pointerIS9_NS6_11hip_rocprim5par_tENS6_11use_defaultESH_EEEENSD_INSE_IlSG_SH_SH_EEEEZNS1_13binary_searchIS3_SA_NSD_INS6_10device_ptrIS9_EEEESJ_SL_NS1_21lower_bound_search_opENSC_16wrapped_functionINS6_6system6detail7generic6detail18binary_search_lessEbEEEE10hipError_tPvRmT1_T2_T3_mmT4_T5_P12ihipStream_tbEUlRKS9_E_EESY_S12_S13_mS14_S17_bEUlT_E_NS1_11comp_targetILNS1_3genE0ELNS1_11target_archE4294967295ELNS1_3gpuE0ELNS1_3repE0EEENS1_30default_config_static_selectorELNS0_4arch9wavefront6targetE0EEEvS11_,comdat
.Lfunc_end431:
	.size	_ZN7rocprim17ROCPRIM_400000_NS6detail17trampoline_kernelINS0_14default_configENS1_27lower_bound_config_selectorIN6thrust23THRUST_200600_302600_NS5tupleIiiNS6_9null_typeES8_S8_S8_S8_S8_S8_S8_EElEEZNS1_14transform_implILb0ES3_SA_NS6_6detail15normal_iteratorINS6_7pointerIS9_NS6_11hip_rocprim5par_tENS6_11use_defaultESH_EEEENSD_INSE_IlSG_SH_SH_EEEEZNS1_13binary_searchIS3_SA_NSD_INS6_10device_ptrIS9_EEEESJ_SL_NS1_21lower_bound_search_opENSC_16wrapped_functionINS6_6system6detail7generic6detail18binary_search_lessEbEEEE10hipError_tPvRmT1_T2_T3_mmT4_T5_P12ihipStream_tbEUlRKS9_E_EESY_S12_S13_mS14_S17_bEUlT_E_NS1_11comp_targetILNS1_3genE0ELNS1_11target_archE4294967295ELNS1_3gpuE0ELNS1_3repE0EEENS1_30default_config_static_selectorELNS0_4arch9wavefront6targetE0EEEvS11_, .Lfunc_end431-_ZN7rocprim17ROCPRIM_400000_NS6detail17trampoline_kernelINS0_14default_configENS1_27lower_bound_config_selectorIN6thrust23THRUST_200600_302600_NS5tupleIiiNS6_9null_typeES8_S8_S8_S8_S8_S8_S8_EElEEZNS1_14transform_implILb0ES3_SA_NS6_6detail15normal_iteratorINS6_7pointerIS9_NS6_11hip_rocprim5par_tENS6_11use_defaultESH_EEEENSD_INSE_IlSG_SH_SH_EEEEZNS1_13binary_searchIS3_SA_NSD_INS6_10device_ptrIS9_EEEESJ_SL_NS1_21lower_bound_search_opENSC_16wrapped_functionINS6_6system6detail7generic6detail18binary_search_lessEbEEEE10hipError_tPvRmT1_T2_T3_mmT4_T5_P12ihipStream_tbEUlRKS9_E_EESY_S12_S13_mS14_S17_bEUlT_E_NS1_11comp_targetILNS1_3genE0ELNS1_11target_archE4294967295ELNS1_3gpuE0ELNS1_3repE0EEENS1_30default_config_static_selectorELNS0_4arch9wavefront6targetE0EEEvS11_
                                        ; -- End function
	.set _ZN7rocprim17ROCPRIM_400000_NS6detail17trampoline_kernelINS0_14default_configENS1_27lower_bound_config_selectorIN6thrust23THRUST_200600_302600_NS5tupleIiiNS6_9null_typeES8_S8_S8_S8_S8_S8_S8_EElEEZNS1_14transform_implILb0ES3_SA_NS6_6detail15normal_iteratorINS6_7pointerIS9_NS6_11hip_rocprim5par_tENS6_11use_defaultESH_EEEENSD_INSE_IlSG_SH_SH_EEEEZNS1_13binary_searchIS3_SA_NSD_INS6_10device_ptrIS9_EEEESJ_SL_NS1_21lower_bound_search_opENSC_16wrapped_functionINS6_6system6detail7generic6detail18binary_search_lessEbEEEE10hipError_tPvRmT1_T2_T3_mmT4_T5_P12ihipStream_tbEUlRKS9_E_EESY_S12_S13_mS14_S17_bEUlT_E_NS1_11comp_targetILNS1_3genE0ELNS1_11target_archE4294967295ELNS1_3gpuE0ELNS1_3repE0EEENS1_30default_config_static_selectorELNS0_4arch9wavefront6targetE0EEEvS11_.num_vgpr, 0
	.set _ZN7rocprim17ROCPRIM_400000_NS6detail17trampoline_kernelINS0_14default_configENS1_27lower_bound_config_selectorIN6thrust23THRUST_200600_302600_NS5tupleIiiNS6_9null_typeES8_S8_S8_S8_S8_S8_S8_EElEEZNS1_14transform_implILb0ES3_SA_NS6_6detail15normal_iteratorINS6_7pointerIS9_NS6_11hip_rocprim5par_tENS6_11use_defaultESH_EEEENSD_INSE_IlSG_SH_SH_EEEEZNS1_13binary_searchIS3_SA_NSD_INS6_10device_ptrIS9_EEEESJ_SL_NS1_21lower_bound_search_opENSC_16wrapped_functionINS6_6system6detail7generic6detail18binary_search_lessEbEEEE10hipError_tPvRmT1_T2_T3_mmT4_T5_P12ihipStream_tbEUlRKS9_E_EESY_S12_S13_mS14_S17_bEUlT_E_NS1_11comp_targetILNS1_3genE0ELNS1_11target_archE4294967295ELNS1_3gpuE0ELNS1_3repE0EEENS1_30default_config_static_selectorELNS0_4arch9wavefront6targetE0EEEvS11_.num_agpr, 0
	.set _ZN7rocprim17ROCPRIM_400000_NS6detail17trampoline_kernelINS0_14default_configENS1_27lower_bound_config_selectorIN6thrust23THRUST_200600_302600_NS5tupleIiiNS6_9null_typeES8_S8_S8_S8_S8_S8_S8_EElEEZNS1_14transform_implILb0ES3_SA_NS6_6detail15normal_iteratorINS6_7pointerIS9_NS6_11hip_rocprim5par_tENS6_11use_defaultESH_EEEENSD_INSE_IlSG_SH_SH_EEEEZNS1_13binary_searchIS3_SA_NSD_INS6_10device_ptrIS9_EEEESJ_SL_NS1_21lower_bound_search_opENSC_16wrapped_functionINS6_6system6detail7generic6detail18binary_search_lessEbEEEE10hipError_tPvRmT1_T2_T3_mmT4_T5_P12ihipStream_tbEUlRKS9_E_EESY_S12_S13_mS14_S17_bEUlT_E_NS1_11comp_targetILNS1_3genE0ELNS1_11target_archE4294967295ELNS1_3gpuE0ELNS1_3repE0EEENS1_30default_config_static_selectorELNS0_4arch9wavefront6targetE0EEEvS11_.numbered_sgpr, 0
	.set _ZN7rocprim17ROCPRIM_400000_NS6detail17trampoline_kernelINS0_14default_configENS1_27lower_bound_config_selectorIN6thrust23THRUST_200600_302600_NS5tupleIiiNS6_9null_typeES8_S8_S8_S8_S8_S8_S8_EElEEZNS1_14transform_implILb0ES3_SA_NS6_6detail15normal_iteratorINS6_7pointerIS9_NS6_11hip_rocprim5par_tENS6_11use_defaultESH_EEEENSD_INSE_IlSG_SH_SH_EEEEZNS1_13binary_searchIS3_SA_NSD_INS6_10device_ptrIS9_EEEESJ_SL_NS1_21lower_bound_search_opENSC_16wrapped_functionINS6_6system6detail7generic6detail18binary_search_lessEbEEEE10hipError_tPvRmT1_T2_T3_mmT4_T5_P12ihipStream_tbEUlRKS9_E_EESY_S12_S13_mS14_S17_bEUlT_E_NS1_11comp_targetILNS1_3genE0ELNS1_11target_archE4294967295ELNS1_3gpuE0ELNS1_3repE0EEENS1_30default_config_static_selectorELNS0_4arch9wavefront6targetE0EEEvS11_.num_named_barrier, 0
	.set _ZN7rocprim17ROCPRIM_400000_NS6detail17trampoline_kernelINS0_14default_configENS1_27lower_bound_config_selectorIN6thrust23THRUST_200600_302600_NS5tupleIiiNS6_9null_typeES8_S8_S8_S8_S8_S8_S8_EElEEZNS1_14transform_implILb0ES3_SA_NS6_6detail15normal_iteratorINS6_7pointerIS9_NS6_11hip_rocprim5par_tENS6_11use_defaultESH_EEEENSD_INSE_IlSG_SH_SH_EEEEZNS1_13binary_searchIS3_SA_NSD_INS6_10device_ptrIS9_EEEESJ_SL_NS1_21lower_bound_search_opENSC_16wrapped_functionINS6_6system6detail7generic6detail18binary_search_lessEbEEEE10hipError_tPvRmT1_T2_T3_mmT4_T5_P12ihipStream_tbEUlRKS9_E_EESY_S12_S13_mS14_S17_bEUlT_E_NS1_11comp_targetILNS1_3genE0ELNS1_11target_archE4294967295ELNS1_3gpuE0ELNS1_3repE0EEENS1_30default_config_static_selectorELNS0_4arch9wavefront6targetE0EEEvS11_.private_seg_size, 0
	.set _ZN7rocprim17ROCPRIM_400000_NS6detail17trampoline_kernelINS0_14default_configENS1_27lower_bound_config_selectorIN6thrust23THRUST_200600_302600_NS5tupleIiiNS6_9null_typeES8_S8_S8_S8_S8_S8_S8_EElEEZNS1_14transform_implILb0ES3_SA_NS6_6detail15normal_iteratorINS6_7pointerIS9_NS6_11hip_rocprim5par_tENS6_11use_defaultESH_EEEENSD_INSE_IlSG_SH_SH_EEEEZNS1_13binary_searchIS3_SA_NSD_INS6_10device_ptrIS9_EEEESJ_SL_NS1_21lower_bound_search_opENSC_16wrapped_functionINS6_6system6detail7generic6detail18binary_search_lessEbEEEE10hipError_tPvRmT1_T2_T3_mmT4_T5_P12ihipStream_tbEUlRKS9_E_EESY_S12_S13_mS14_S17_bEUlT_E_NS1_11comp_targetILNS1_3genE0ELNS1_11target_archE4294967295ELNS1_3gpuE0ELNS1_3repE0EEENS1_30default_config_static_selectorELNS0_4arch9wavefront6targetE0EEEvS11_.uses_vcc, 0
	.set _ZN7rocprim17ROCPRIM_400000_NS6detail17trampoline_kernelINS0_14default_configENS1_27lower_bound_config_selectorIN6thrust23THRUST_200600_302600_NS5tupleIiiNS6_9null_typeES8_S8_S8_S8_S8_S8_S8_EElEEZNS1_14transform_implILb0ES3_SA_NS6_6detail15normal_iteratorINS6_7pointerIS9_NS6_11hip_rocprim5par_tENS6_11use_defaultESH_EEEENSD_INSE_IlSG_SH_SH_EEEEZNS1_13binary_searchIS3_SA_NSD_INS6_10device_ptrIS9_EEEESJ_SL_NS1_21lower_bound_search_opENSC_16wrapped_functionINS6_6system6detail7generic6detail18binary_search_lessEbEEEE10hipError_tPvRmT1_T2_T3_mmT4_T5_P12ihipStream_tbEUlRKS9_E_EESY_S12_S13_mS14_S17_bEUlT_E_NS1_11comp_targetILNS1_3genE0ELNS1_11target_archE4294967295ELNS1_3gpuE0ELNS1_3repE0EEENS1_30default_config_static_selectorELNS0_4arch9wavefront6targetE0EEEvS11_.uses_flat_scratch, 0
	.set _ZN7rocprim17ROCPRIM_400000_NS6detail17trampoline_kernelINS0_14default_configENS1_27lower_bound_config_selectorIN6thrust23THRUST_200600_302600_NS5tupleIiiNS6_9null_typeES8_S8_S8_S8_S8_S8_S8_EElEEZNS1_14transform_implILb0ES3_SA_NS6_6detail15normal_iteratorINS6_7pointerIS9_NS6_11hip_rocprim5par_tENS6_11use_defaultESH_EEEENSD_INSE_IlSG_SH_SH_EEEEZNS1_13binary_searchIS3_SA_NSD_INS6_10device_ptrIS9_EEEESJ_SL_NS1_21lower_bound_search_opENSC_16wrapped_functionINS6_6system6detail7generic6detail18binary_search_lessEbEEEE10hipError_tPvRmT1_T2_T3_mmT4_T5_P12ihipStream_tbEUlRKS9_E_EESY_S12_S13_mS14_S17_bEUlT_E_NS1_11comp_targetILNS1_3genE0ELNS1_11target_archE4294967295ELNS1_3gpuE0ELNS1_3repE0EEENS1_30default_config_static_selectorELNS0_4arch9wavefront6targetE0EEEvS11_.has_dyn_sized_stack, 0
	.set _ZN7rocprim17ROCPRIM_400000_NS6detail17trampoline_kernelINS0_14default_configENS1_27lower_bound_config_selectorIN6thrust23THRUST_200600_302600_NS5tupleIiiNS6_9null_typeES8_S8_S8_S8_S8_S8_S8_EElEEZNS1_14transform_implILb0ES3_SA_NS6_6detail15normal_iteratorINS6_7pointerIS9_NS6_11hip_rocprim5par_tENS6_11use_defaultESH_EEEENSD_INSE_IlSG_SH_SH_EEEEZNS1_13binary_searchIS3_SA_NSD_INS6_10device_ptrIS9_EEEESJ_SL_NS1_21lower_bound_search_opENSC_16wrapped_functionINS6_6system6detail7generic6detail18binary_search_lessEbEEEE10hipError_tPvRmT1_T2_T3_mmT4_T5_P12ihipStream_tbEUlRKS9_E_EESY_S12_S13_mS14_S17_bEUlT_E_NS1_11comp_targetILNS1_3genE0ELNS1_11target_archE4294967295ELNS1_3gpuE0ELNS1_3repE0EEENS1_30default_config_static_selectorELNS0_4arch9wavefront6targetE0EEEvS11_.has_recursion, 0
	.set _ZN7rocprim17ROCPRIM_400000_NS6detail17trampoline_kernelINS0_14default_configENS1_27lower_bound_config_selectorIN6thrust23THRUST_200600_302600_NS5tupleIiiNS6_9null_typeES8_S8_S8_S8_S8_S8_S8_EElEEZNS1_14transform_implILb0ES3_SA_NS6_6detail15normal_iteratorINS6_7pointerIS9_NS6_11hip_rocprim5par_tENS6_11use_defaultESH_EEEENSD_INSE_IlSG_SH_SH_EEEEZNS1_13binary_searchIS3_SA_NSD_INS6_10device_ptrIS9_EEEESJ_SL_NS1_21lower_bound_search_opENSC_16wrapped_functionINS6_6system6detail7generic6detail18binary_search_lessEbEEEE10hipError_tPvRmT1_T2_T3_mmT4_T5_P12ihipStream_tbEUlRKS9_E_EESY_S12_S13_mS14_S17_bEUlT_E_NS1_11comp_targetILNS1_3genE0ELNS1_11target_archE4294967295ELNS1_3gpuE0ELNS1_3repE0EEENS1_30default_config_static_selectorELNS0_4arch9wavefront6targetE0EEEvS11_.has_indirect_call, 0
	.section	.AMDGPU.csdata,"",@progbits
; Kernel info:
; codeLenInByte = 0
; TotalNumSgprs: 0
; NumVgprs: 0
; ScratchSize: 0
; MemoryBound: 0
; FloatMode: 240
; IeeeMode: 1
; LDSByteSize: 0 bytes/workgroup (compile time only)
; SGPRBlocks: 0
; VGPRBlocks: 0
; NumSGPRsForWavesPerEU: 1
; NumVGPRsForWavesPerEU: 1
; Occupancy: 16
; WaveLimiterHint : 0
; COMPUTE_PGM_RSRC2:SCRATCH_EN: 0
; COMPUTE_PGM_RSRC2:USER_SGPR: 6
; COMPUTE_PGM_RSRC2:TRAP_HANDLER: 0
; COMPUTE_PGM_RSRC2:TGID_X_EN: 1
; COMPUTE_PGM_RSRC2:TGID_Y_EN: 0
; COMPUTE_PGM_RSRC2:TGID_Z_EN: 0
; COMPUTE_PGM_RSRC2:TIDIG_COMP_CNT: 0
	.section	.text._ZN7rocprim17ROCPRIM_400000_NS6detail17trampoline_kernelINS0_14default_configENS1_27lower_bound_config_selectorIN6thrust23THRUST_200600_302600_NS5tupleIiiNS6_9null_typeES8_S8_S8_S8_S8_S8_S8_EElEEZNS1_14transform_implILb0ES3_SA_NS6_6detail15normal_iteratorINS6_7pointerIS9_NS6_11hip_rocprim5par_tENS6_11use_defaultESH_EEEENSD_INSE_IlSG_SH_SH_EEEEZNS1_13binary_searchIS3_SA_NSD_INS6_10device_ptrIS9_EEEESJ_SL_NS1_21lower_bound_search_opENSC_16wrapped_functionINS6_6system6detail7generic6detail18binary_search_lessEbEEEE10hipError_tPvRmT1_T2_T3_mmT4_T5_P12ihipStream_tbEUlRKS9_E_EESY_S12_S13_mS14_S17_bEUlT_E_NS1_11comp_targetILNS1_3genE5ELNS1_11target_archE942ELNS1_3gpuE9ELNS1_3repE0EEENS1_30default_config_static_selectorELNS0_4arch9wavefront6targetE0EEEvS11_,"axG",@progbits,_ZN7rocprim17ROCPRIM_400000_NS6detail17trampoline_kernelINS0_14default_configENS1_27lower_bound_config_selectorIN6thrust23THRUST_200600_302600_NS5tupleIiiNS6_9null_typeES8_S8_S8_S8_S8_S8_S8_EElEEZNS1_14transform_implILb0ES3_SA_NS6_6detail15normal_iteratorINS6_7pointerIS9_NS6_11hip_rocprim5par_tENS6_11use_defaultESH_EEEENSD_INSE_IlSG_SH_SH_EEEEZNS1_13binary_searchIS3_SA_NSD_INS6_10device_ptrIS9_EEEESJ_SL_NS1_21lower_bound_search_opENSC_16wrapped_functionINS6_6system6detail7generic6detail18binary_search_lessEbEEEE10hipError_tPvRmT1_T2_T3_mmT4_T5_P12ihipStream_tbEUlRKS9_E_EESY_S12_S13_mS14_S17_bEUlT_E_NS1_11comp_targetILNS1_3genE5ELNS1_11target_archE942ELNS1_3gpuE9ELNS1_3repE0EEENS1_30default_config_static_selectorELNS0_4arch9wavefront6targetE0EEEvS11_,comdat
	.protected	_ZN7rocprim17ROCPRIM_400000_NS6detail17trampoline_kernelINS0_14default_configENS1_27lower_bound_config_selectorIN6thrust23THRUST_200600_302600_NS5tupleIiiNS6_9null_typeES8_S8_S8_S8_S8_S8_S8_EElEEZNS1_14transform_implILb0ES3_SA_NS6_6detail15normal_iteratorINS6_7pointerIS9_NS6_11hip_rocprim5par_tENS6_11use_defaultESH_EEEENSD_INSE_IlSG_SH_SH_EEEEZNS1_13binary_searchIS3_SA_NSD_INS6_10device_ptrIS9_EEEESJ_SL_NS1_21lower_bound_search_opENSC_16wrapped_functionINS6_6system6detail7generic6detail18binary_search_lessEbEEEE10hipError_tPvRmT1_T2_T3_mmT4_T5_P12ihipStream_tbEUlRKS9_E_EESY_S12_S13_mS14_S17_bEUlT_E_NS1_11comp_targetILNS1_3genE5ELNS1_11target_archE942ELNS1_3gpuE9ELNS1_3repE0EEENS1_30default_config_static_selectorELNS0_4arch9wavefront6targetE0EEEvS11_ ; -- Begin function _ZN7rocprim17ROCPRIM_400000_NS6detail17trampoline_kernelINS0_14default_configENS1_27lower_bound_config_selectorIN6thrust23THRUST_200600_302600_NS5tupleIiiNS6_9null_typeES8_S8_S8_S8_S8_S8_S8_EElEEZNS1_14transform_implILb0ES3_SA_NS6_6detail15normal_iteratorINS6_7pointerIS9_NS6_11hip_rocprim5par_tENS6_11use_defaultESH_EEEENSD_INSE_IlSG_SH_SH_EEEEZNS1_13binary_searchIS3_SA_NSD_INS6_10device_ptrIS9_EEEESJ_SL_NS1_21lower_bound_search_opENSC_16wrapped_functionINS6_6system6detail7generic6detail18binary_search_lessEbEEEE10hipError_tPvRmT1_T2_T3_mmT4_T5_P12ihipStream_tbEUlRKS9_E_EESY_S12_S13_mS14_S17_bEUlT_E_NS1_11comp_targetILNS1_3genE5ELNS1_11target_archE942ELNS1_3gpuE9ELNS1_3repE0EEENS1_30default_config_static_selectorELNS0_4arch9wavefront6targetE0EEEvS11_
	.globl	_ZN7rocprim17ROCPRIM_400000_NS6detail17trampoline_kernelINS0_14default_configENS1_27lower_bound_config_selectorIN6thrust23THRUST_200600_302600_NS5tupleIiiNS6_9null_typeES8_S8_S8_S8_S8_S8_S8_EElEEZNS1_14transform_implILb0ES3_SA_NS6_6detail15normal_iteratorINS6_7pointerIS9_NS6_11hip_rocprim5par_tENS6_11use_defaultESH_EEEENSD_INSE_IlSG_SH_SH_EEEEZNS1_13binary_searchIS3_SA_NSD_INS6_10device_ptrIS9_EEEESJ_SL_NS1_21lower_bound_search_opENSC_16wrapped_functionINS6_6system6detail7generic6detail18binary_search_lessEbEEEE10hipError_tPvRmT1_T2_T3_mmT4_T5_P12ihipStream_tbEUlRKS9_E_EESY_S12_S13_mS14_S17_bEUlT_E_NS1_11comp_targetILNS1_3genE5ELNS1_11target_archE942ELNS1_3gpuE9ELNS1_3repE0EEENS1_30default_config_static_selectorELNS0_4arch9wavefront6targetE0EEEvS11_
	.p2align	8
	.type	_ZN7rocprim17ROCPRIM_400000_NS6detail17trampoline_kernelINS0_14default_configENS1_27lower_bound_config_selectorIN6thrust23THRUST_200600_302600_NS5tupleIiiNS6_9null_typeES8_S8_S8_S8_S8_S8_S8_EElEEZNS1_14transform_implILb0ES3_SA_NS6_6detail15normal_iteratorINS6_7pointerIS9_NS6_11hip_rocprim5par_tENS6_11use_defaultESH_EEEENSD_INSE_IlSG_SH_SH_EEEEZNS1_13binary_searchIS3_SA_NSD_INS6_10device_ptrIS9_EEEESJ_SL_NS1_21lower_bound_search_opENSC_16wrapped_functionINS6_6system6detail7generic6detail18binary_search_lessEbEEEE10hipError_tPvRmT1_T2_T3_mmT4_T5_P12ihipStream_tbEUlRKS9_E_EESY_S12_S13_mS14_S17_bEUlT_E_NS1_11comp_targetILNS1_3genE5ELNS1_11target_archE942ELNS1_3gpuE9ELNS1_3repE0EEENS1_30default_config_static_selectorELNS0_4arch9wavefront6targetE0EEEvS11_,@function
_ZN7rocprim17ROCPRIM_400000_NS6detail17trampoline_kernelINS0_14default_configENS1_27lower_bound_config_selectorIN6thrust23THRUST_200600_302600_NS5tupleIiiNS6_9null_typeES8_S8_S8_S8_S8_S8_S8_EElEEZNS1_14transform_implILb0ES3_SA_NS6_6detail15normal_iteratorINS6_7pointerIS9_NS6_11hip_rocprim5par_tENS6_11use_defaultESH_EEEENSD_INSE_IlSG_SH_SH_EEEEZNS1_13binary_searchIS3_SA_NSD_INS6_10device_ptrIS9_EEEESJ_SL_NS1_21lower_bound_search_opENSC_16wrapped_functionINS6_6system6detail7generic6detail18binary_search_lessEbEEEE10hipError_tPvRmT1_T2_T3_mmT4_T5_P12ihipStream_tbEUlRKS9_E_EESY_S12_S13_mS14_S17_bEUlT_E_NS1_11comp_targetILNS1_3genE5ELNS1_11target_archE942ELNS1_3gpuE9ELNS1_3repE0EEENS1_30default_config_static_selectorELNS0_4arch9wavefront6targetE0EEEvS11_: ; @_ZN7rocprim17ROCPRIM_400000_NS6detail17trampoline_kernelINS0_14default_configENS1_27lower_bound_config_selectorIN6thrust23THRUST_200600_302600_NS5tupleIiiNS6_9null_typeES8_S8_S8_S8_S8_S8_S8_EElEEZNS1_14transform_implILb0ES3_SA_NS6_6detail15normal_iteratorINS6_7pointerIS9_NS6_11hip_rocprim5par_tENS6_11use_defaultESH_EEEENSD_INSE_IlSG_SH_SH_EEEEZNS1_13binary_searchIS3_SA_NSD_INS6_10device_ptrIS9_EEEESJ_SL_NS1_21lower_bound_search_opENSC_16wrapped_functionINS6_6system6detail7generic6detail18binary_search_lessEbEEEE10hipError_tPvRmT1_T2_T3_mmT4_T5_P12ihipStream_tbEUlRKS9_E_EESY_S12_S13_mS14_S17_bEUlT_E_NS1_11comp_targetILNS1_3genE5ELNS1_11target_archE942ELNS1_3gpuE9ELNS1_3repE0EEENS1_30default_config_static_selectorELNS0_4arch9wavefront6targetE0EEEvS11_
; %bb.0:
	.section	.rodata,"a",@progbits
	.p2align	6, 0x0
	.amdhsa_kernel _ZN7rocprim17ROCPRIM_400000_NS6detail17trampoline_kernelINS0_14default_configENS1_27lower_bound_config_selectorIN6thrust23THRUST_200600_302600_NS5tupleIiiNS6_9null_typeES8_S8_S8_S8_S8_S8_S8_EElEEZNS1_14transform_implILb0ES3_SA_NS6_6detail15normal_iteratorINS6_7pointerIS9_NS6_11hip_rocprim5par_tENS6_11use_defaultESH_EEEENSD_INSE_IlSG_SH_SH_EEEEZNS1_13binary_searchIS3_SA_NSD_INS6_10device_ptrIS9_EEEESJ_SL_NS1_21lower_bound_search_opENSC_16wrapped_functionINS6_6system6detail7generic6detail18binary_search_lessEbEEEE10hipError_tPvRmT1_T2_T3_mmT4_T5_P12ihipStream_tbEUlRKS9_E_EESY_S12_S13_mS14_S17_bEUlT_E_NS1_11comp_targetILNS1_3genE5ELNS1_11target_archE942ELNS1_3gpuE9ELNS1_3repE0EEENS1_30default_config_static_selectorELNS0_4arch9wavefront6targetE0EEEvS11_
		.amdhsa_group_segment_fixed_size 0
		.amdhsa_private_segment_fixed_size 0
		.amdhsa_kernarg_size 56
		.amdhsa_user_sgpr_count 6
		.amdhsa_user_sgpr_private_segment_buffer 1
		.amdhsa_user_sgpr_dispatch_ptr 0
		.amdhsa_user_sgpr_queue_ptr 0
		.amdhsa_user_sgpr_kernarg_segment_ptr 1
		.amdhsa_user_sgpr_dispatch_id 0
		.amdhsa_user_sgpr_flat_scratch_init 0
		.amdhsa_user_sgpr_private_segment_size 0
		.amdhsa_wavefront_size32 1
		.amdhsa_uses_dynamic_stack 0
		.amdhsa_system_sgpr_private_segment_wavefront_offset 0
		.amdhsa_system_sgpr_workgroup_id_x 1
		.amdhsa_system_sgpr_workgroup_id_y 0
		.amdhsa_system_sgpr_workgroup_id_z 0
		.amdhsa_system_sgpr_workgroup_info 0
		.amdhsa_system_vgpr_workitem_id 0
		.amdhsa_next_free_vgpr 1
		.amdhsa_next_free_sgpr 1
		.amdhsa_reserve_vcc 0
		.amdhsa_reserve_flat_scratch 0
		.amdhsa_float_round_mode_32 0
		.amdhsa_float_round_mode_16_64 0
		.amdhsa_float_denorm_mode_32 3
		.amdhsa_float_denorm_mode_16_64 3
		.amdhsa_dx10_clamp 1
		.amdhsa_ieee_mode 1
		.amdhsa_fp16_overflow 0
		.amdhsa_workgroup_processor_mode 1
		.amdhsa_memory_ordered 1
		.amdhsa_forward_progress 1
		.amdhsa_shared_vgpr_count 0
		.amdhsa_exception_fp_ieee_invalid_op 0
		.amdhsa_exception_fp_denorm_src 0
		.amdhsa_exception_fp_ieee_div_zero 0
		.amdhsa_exception_fp_ieee_overflow 0
		.amdhsa_exception_fp_ieee_underflow 0
		.amdhsa_exception_fp_ieee_inexact 0
		.amdhsa_exception_int_div_zero 0
	.end_amdhsa_kernel
	.section	.text._ZN7rocprim17ROCPRIM_400000_NS6detail17trampoline_kernelINS0_14default_configENS1_27lower_bound_config_selectorIN6thrust23THRUST_200600_302600_NS5tupleIiiNS6_9null_typeES8_S8_S8_S8_S8_S8_S8_EElEEZNS1_14transform_implILb0ES3_SA_NS6_6detail15normal_iteratorINS6_7pointerIS9_NS6_11hip_rocprim5par_tENS6_11use_defaultESH_EEEENSD_INSE_IlSG_SH_SH_EEEEZNS1_13binary_searchIS3_SA_NSD_INS6_10device_ptrIS9_EEEESJ_SL_NS1_21lower_bound_search_opENSC_16wrapped_functionINS6_6system6detail7generic6detail18binary_search_lessEbEEEE10hipError_tPvRmT1_T2_T3_mmT4_T5_P12ihipStream_tbEUlRKS9_E_EESY_S12_S13_mS14_S17_bEUlT_E_NS1_11comp_targetILNS1_3genE5ELNS1_11target_archE942ELNS1_3gpuE9ELNS1_3repE0EEENS1_30default_config_static_selectorELNS0_4arch9wavefront6targetE0EEEvS11_,"axG",@progbits,_ZN7rocprim17ROCPRIM_400000_NS6detail17trampoline_kernelINS0_14default_configENS1_27lower_bound_config_selectorIN6thrust23THRUST_200600_302600_NS5tupleIiiNS6_9null_typeES8_S8_S8_S8_S8_S8_S8_EElEEZNS1_14transform_implILb0ES3_SA_NS6_6detail15normal_iteratorINS6_7pointerIS9_NS6_11hip_rocprim5par_tENS6_11use_defaultESH_EEEENSD_INSE_IlSG_SH_SH_EEEEZNS1_13binary_searchIS3_SA_NSD_INS6_10device_ptrIS9_EEEESJ_SL_NS1_21lower_bound_search_opENSC_16wrapped_functionINS6_6system6detail7generic6detail18binary_search_lessEbEEEE10hipError_tPvRmT1_T2_T3_mmT4_T5_P12ihipStream_tbEUlRKS9_E_EESY_S12_S13_mS14_S17_bEUlT_E_NS1_11comp_targetILNS1_3genE5ELNS1_11target_archE942ELNS1_3gpuE9ELNS1_3repE0EEENS1_30default_config_static_selectorELNS0_4arch9wavefront6targetE0EEEvS11_,comdat
.Lfunc_end432:
	.size	_ZN7rocprim17ROCPRIM_400000_NS6detail17trampoline_kernelINS0_14default_configENS1_27lower_bound_config_selectorIN6thrust23THRUST_200600_302600_NS5tupleIiiNS6_9null_typeES8_S8_S8_S8_S8_S8_S8_EElEEZNS1_14transform_implILb0ES3_SA_NS6_6detail15normal_iteratorINS6_7pointerIS9_NS6_11hip_rocprim5par_tENS6_11use_defaultESH_EEEENSD_INSE_IlSG_SH_SH_EEEEZNS1_13binary_searchIS3_SA_NSD_INS6_10device_ptrIS9_EEEESJ_SL_NS1_21lower_bound_search_opENSC_16wrapped_functionINS6_6system6detail7generic6detail18binary_search_lessEbEEEE10hipError_tPvRmT1_T2_T3_mmT4_T5_P12ihipStream_tbEUlRKS9_E_EESY_S12_S13_mS14_S17_bEUlT_E_NS1_11comp_targetILNS1_3genE5ELNS1_11target_archE942ELNS1_3gpuE9ELNS1_3repE0EEENS1_30default_config_static_selectorELNS0_4arch9wavefront6targetE0EEEvS11_, .Lfunc_end432-_ZN7rocprim17ROCPRIM_400000_NS6detail17trampoline_kernelINS0_14default_configENS1_27lower_bound_config_selectorIN6thrust23THRUST_200600_302600_NS5tupleIiiNS6_9null_typeES8_S8_S8_S8_S8_S8_S8_EElEEZNS1_14transform_implILb0ES3_SA_NS6_6detail15normal_iteratorINS6_7pointerIS9_NS6_11hip_rocprim5par_tENS6_11use_defaultESH_EEEENSD_INSE_IlSG_SH_SH_EEEEZNS1_13binary_searchIS3_SA_NSD_INS6_10device_ptrIS9_EEEESJ_SL_NS1_21lower_bound_search_opENSC_16wrapped_functionINS6_6system6detail7generic6detail18binary_search_lessEbEEEE10hipError_tPvRmT1_T2_T3_mmT4_T5_P12ihipStream_tbEUlRKS9_E_EESY_S12_S13_mS14_S17_bEUlT_E_NS1_11comp_targetILNS1_3genE5ELNS1_11target_archE942ELNS1_3gpuE9ELNS1_3repE0EEENS1_30default_config_static_selectorELNS0_4arch9wavefront6targetE0EEEvS11_
                                        ; -- End function
	.set _ZN7rocprim17ROCPRIM_400000_NS6detail17trampoline_kernelINS0_14default_configENS1_27lower_bound_config_selectorIN6thrust23THRUST_200600_302600_NS5tupleIiiNS6_9null_typeES8_S8_S8_S8_S8_S8_S8_EElEEZNS1_14transform_implILb0ES3_SA_NS6_6detail15normal_iteratorINS6_7pointerIS9_NS6_11hip_rocprim5par_tENS6_11use_defaultESH_EEEENSD_INSE_IlSG_SH_SH_EEEEZNS1_13binary_searchIS3_SA_NSD_INS6_10device_ptrIS9_EEEESJ_SL_NS1_21lower_bound_search_opENSC_16wrapped_functionINS6_6system6detail7generic6detail18binary_search_lessEbEEEE10hipError_tPvRmT1_T2_T3_mmT4_T5_P12ihipStream_tbEUlRKS9_E_EESY_S12_S13_mS14_S17_bEUlT_E_NS1_11comp_targetILNS1_3genE5ELNS1_11target_archE942ELNS1_3gpuE9ELNS1_3repE0EEENS1_30default_config_static_selectorELNS0_4arch9wavefront6targetE0EEEvS11_.num_vgpr, 0
	.set _ZN7rocprim17ROCPRIM_400000_NS6detail17trampoline_kernelINS0_14default_configENS1_27lower_bound_config_selectorIN6thrust23THRUST_200600_302600_NS5tupleIiiNS6_9null_typeES8_S8_S8_S8_S8_S8_S8_EElEEZNS1_14transform_implILb0ES3_SA_NS6_6detail15normal_iteratorINS6_7pointerIS9_NS6_11hip_rocprim5par_tENS6_11use_defaultESH_EEEENSD_INSE_IlSG_SH_SH_EEEEZNS1_13binary_searchIS3_SA_NSD_INS6_10device_ptrIS9_EEEESJ_SL_NS1_21lower_bound_search_opENSC_16wrapped_functionINS6_6system6detail7generic6detail18binary_search_lessEbEEEE10hipError_tPvRmT1_T2_T3_mmT4_T5_P12ihipStream_tbEUlRKS9_E_EESY_S12_S13_mS14_S17_bEUlT_E_NS1_11comp_targetILNS1_3genE5ELNS1_11target_archE942ELNS1_3gpuE9ELNS1_3repE0EEENS1_30default_config_static_selectorELNS0_4arch9wavefront6targetE0EEEvS11_.num_agpr, 0
	.set _ZN7rocprim17ROCPRIM_400000_NS6detail17trampoline_kernelINS0_14default_configENS1_27lower_bound_config_selectorIN6thrust23THRUST_200600_302600_NS5tupleIiiNS6_9null_typeES8_S8_S8_S8_S8_S8_S8_EElEEZNS1_14transform_implILb0ES3_SA_NS6_6detail15normal_iteratorINS6_7pointerIS9_NS6_11hip_rocprim5par_tENS6_11use_defaultESH_EEEENSD_INSE_IlSG_SH_SH_EEEEZNS1_13binary_searchIS3_SA_NSD_INS6_10device_ptrIS9_EEEESJ_SL_NS1_21lower_bound_search_opENSC_16wrapped_functionINS6_6system6detail7generic6detail18binary_search_lessEbEEEE10hipError_tPvRmT1_T2_T3_mmT4_T5_P12ihipStream_tbEUlRKS9_E_EESY_S12_S13_mS14_S17_bEUlT_E_NS1_11comp_targetILNS1_3genE5ELNS1_11target_archE942ELNS1_3gpuE9ELNS1_3repE0EEENS1_30default_config_static_selectorELNS0_4arch9wavefront6targetE0EEEvS11_.numbered_sgpr, 0
	.set _ZN7rocprim17ROCPRIM_400000_NS6detail17trampoline_kernelINS0_14default_configENS1_27lower_bound_config_selectorIN6thrust23THRUST_200600_302600_NS5tupleIiiNS6_9null_typeES8_S8_S8_S8_S8_S8_S8_EElEEZNS1_14transform_implILb0ES3_SA_NS6_6detail15normal_iteratorINS6_7pointerIS9_NS6_11hip_rocprim5par_tENS6_11use_defaultESH_EEEENSD_INSE_IlSG_SH_SH_EEEEZNS1_13binary_searchIS3_SA_NSD_INS6_10device_ptrIS9_EEEESJ_SL_NS1_21lower_bound_search_opENSC_16wrapped_functionINS6_6system6detail7generic6detail18binary_search_lessEbEEEE10hipError_tPvRmT1_T2_T3_mmT4_T5_P12ihipStream_tbEUlRKS9_E_EESY_S12_S13_mS14_S17_bEUlT_E_NS1_11comp_targetILNS1_3genE5ELNS1_11target_archE942ELNS1_3gpuE9ELNS1_3repE0EEENS1_30default_config_static_selectorELNS0_4arch9wavefront6targetE0EEEvS11_.num_named_barrier, 0
	.set _ZN7rocprim17ROCPRIM_400000_NS6detail17trampoline_kernelINS0_14default_configENS1_27lower_bound_config_selectorIN6thrust23THRUST_200600_302600_NS5tupleIiiNS6_9null_typeES8_S8_S8_S8_S8_S8_S8_EElEEZNS1_14transform_implILb0ES3_SA_NS6_6detail15normal_iteratorINS6_7pointerIS9_NS6_11hip_rocprim5par_tENS6_11use_defaultESH_EEEENSD_INSE_IlSG_SH_SH_EEEEZNS1_13binary_searchIS3_SA_NSD_INS6_10device_ptrIS9_EEEESJ_SL_NS1_21lower_bound_search_opENSC_16wrapped_functionINS6_6system6detail7generic6detail18binary_search_lessEbEEEE10hipError_tPvRmT1_T2_T3_mmT4_T5_P12ihipStream_tbEUlRKS9_E_EESY_S12_S13_mS14_S17_bEUlT_E_NS1_11comp_targetILNS1_3genE5ELNS1_11target_archE942ELNS1_3gpuE9ELNS1_3repE0EEENS1_30default_config_static_selectorELNS0_4arch9wavefront6targetE0EEEvS11_.private_seg_size, 0
	.set _ZN7rocprim17ROCPRIM_400000_NS6detail17trampoline_kernelINS0_14default_configENS1_27lower_bound_config_selectorIN6thrust23THRUST_200600_302600_NS5tupleIiiNS6_9null_typeES8_S8_S8_S8_S8_S8_S8_EElEEZNS1_14transform_implILb0ES3_SA_NS6_6detail15normal_iteratorINS6_7pointerIS9_NS6_11hip_rocprim5par_tENS6_11use_defaultESH_EEEENSD_INSE_IlSG_SH_SH_EEEEZNS1_13binary_searchIS3_SA_NSD_INS6_10device_ptrIS9_EEEESJ_SL_NS1_21lower_bound_search_opENSC_16wrapped_functionINS6_6system6detail7generic6detail18binary_search_lessEbEEEE10hipError_tPvRmT1_T2_T3_mmT4_T5_P12ihipStream_tbEUlRKS9_E_EESY_S12_S13_mS14_S17_bEUlT_E_NS1_11comp_targetILNS1_3genE5ELNS1_11target_archE942ELNS1_3gpuE9ELNS1_3repE0EEENS1_30default_config_static_selectorELNS0_4arch9wavefront6targetE0EEEvS11_.uses_vcc, 0
	.set _ZN7rocprim17ROCPRIM_400000_NS6detail17trampoline_kernelINS0_14default_configENS1_27lower_bound_config_selectorIN6thrust23THRUST_200600_302600_NS5tupleIiiNS6_9null_typeES8_S8_S8_S8_S8_S8_S8_EElEEZNS1_14transform_implILb0ES3_SA_NS6_6detail15normal_iteratorINS6_7pointerIS9_NS6_11hip_rocprim5par_tENS6_11use_defaultESH_EEEENSD_INSE_IlSG_SH_SH_EEEEZNS1_13binary_searchIS3_SA_NSD_INS6_10device_ptrIS9_EEEESJ_SL_NS1_21lower_bound_search_opENSC_16wrapped_functionINS6_6system6detail7generic6detail18binary_search_lessEbEEEE10hipError_tPvRmT1_T2_T3_mmT4_T5_P12ihipStream_tbEUlRKS9_E_EESY_S12_S13_mS14_S17_bEUlT_E_NS1_11comp_targetILNS1_3genE5ELNS1_11target_archE942ELNS1_3gpuE9ELNS1_3repE0EEENS1_30default_config_static_selectorELNS0_4arch9wavefront6targetE0EEEvS11_.uses_flat_scratch, 0
	.set _ZN7rocprim17ROCPRIM_400000_NS6detail17trampoline_kernelINS0_14default_configENS1_27lower_bound_config_selectorIN6thrust23THRUST_200600_302600_NS5tupleIiiNS6_9null_typeES8_S8_S8_S8_S8_S8_S8_EElEEZNS1_14transform_implILb0ES3_SA_NS6_6detail15normal_iteratorINS6_7pointerIS9_NS6_11hip_rocprim5par_tENS6_11use_defaultESH_EEEENSD_INSE_IlSG_SH_SH_EEEEZNS1_13binary_searchIS3_SA_NSD_INS6_10device_ptrIS9_EEEESJ_SL_NS1_21lower_bound_search_opENSC_16wrapped_functionINS6_6system6detail7generic6detail18binary_search_lessEbEEEE10hipError_tPvRmT1_T2_T3_mmT4_T5_P12ihipStream_tbEUlRKS9_E_EESY_S12_S13_mS14_S17_bEUlT_E_NS1_11comp_targetILNS1_3genE5ELNS1_11target_archE942ELNS1_3gpuE9ELNS1_3repE0EEENS1_30default_config_static_selectorELNS0_4arch9wavefront6targetE0EEEvS11_.has_dyn_sized_stack, 0
	.set _ZN7rocprim17ROCPRIM_400000_NS6detail17trampoline_kernelINS0_14default_configENS1_27lower_bound_config_selectorIN6thrust23THRUST_200600_302600_NS5tupleIiiNS6_9null_typeES8_S8_S8_S8_S8_S8_S8_EElEEZNS1_14transform_implILb0ES3_SA_NS6_6detail15normal_iteratorINS6_7pointerIS9_NS6_11hip_rocprim5par_tENS6_11use_defaultESH_EEEENSD_INSE_IlSG_SH_SH_EEEEZNS1_13binary_searchIS3_SA_NSD_INS6_10device_ptrIS9_EEEESJ_SL_NS1_21lower_bound_search_opENSC_16wrapped_functionINS6_6system6detail7generic6detail18binary_search_lessEbEEEE10hipError_tPvRmT1_T2_T3_mmT4_T5_P12ihipStream_tbEUlRKS9_E_EESY_S12_S13_mS14_S17_bEUlT_E_NS1_11comp_targetILNS1_3genE5ELNS1_11target_archE942ELNS1_3gpuE9ELNS1_3repE0EEENS1_30default_config_static_selectorELNS0_4arch9wavefront6targetE0EEEvS11_.has_recursion, 0
	.set _ZN7rocprim17ROCPRIM_400000_NS6detail17trampoline_kernelINS0_14default_configENS1_27lower_bound_config_selectorIN6thrust23THRUST_200600_302600_NS5tupleIiiNS6_9null_typeES8_S8_S8_S8_S8_S8_S8_EElEEZNS1_14transform_implILb0ES3_SA_NS6_6detail15normal_iteratorINS6_7pointerIS9_NS6_11hip_rocprim5par_tENS6_11use_defaultESH_EEEENSD_INSE_IlSG_SH_SH_EEEEZNS1_13binary_searchIS3_SA_NSD_INS6_10device_ptrIS9_EEEESJ_SL_NS1_21lower_bound_search_opENSC_16wrapped_functionINS6_6system6detail7generic6detail18binary_search_lessEbEEEE10hipError_tPvRmT1_T2_T3_mmT4_T5_P12ihipStream_tbEUlRKS9_E_EESY_S12_S13_mS14_S17_bEUlT_E_NS1_11comp_targetILNS1_3genE5ELNS1_11target_archE942ELNS1_3gpuE9ELNS1_3repE0EEENS1_30default_config_static_selectorELNS0_4arch9wavefront6targetE0EEEvS11_.has_indirect_call, 0
	.section	.AMDGPU.csdata,"",@progbits
; Kernel info:
; codeLenInByte = 0
; TotalNumSgprs: 0
; NumVgprs: 0
; ScratchSize: 0
; MemoryBound: 0
; FloatMode: 240
; IeeeMode: 1
; LDSByteSize: 0 bytes/workgroup (compile time only)
; SGPRBlocks: 0
; VGPRBlocks: 0
; NumSGPRsForWavesPerEU: 1
; NumVGPRsForWavesPerEU: 1
; Occupancy: 16
; WaveLimiterHint : 0
; COMPUTE_PGM_RSRC2:SCRATCH_EN: 0
; COMPUTE_PGM_RSRC2:USER_SGPR: 6
; COMPUTE_PGM_RSRC2:TRAP_HANDLER: 0
; COMPUTE_PGM_RSRC2:TGID_X_EN: 1
; COMPUTE_PGM_RSRC2:TGID_Y_EN: 0
; COMPUTE_PGM_RSRC2:TGID_Z_EN: 0
; COMPUTE_PGM_RSRC2:TIDIG_COMP_CNT: 0
	.section	.text._ZN7rocprim17ROCPRIM_400000_NS6detail17trampoline_kernelINS0_14default_configENS1_27lower_bound_config_selectorIN6thrust23THRUST_200600_302600_NS5tupleIiiNS6_9null_typeES8_S8_S8_S8_S8_S8_S8_EElEEZNS1_14transform_implILb0ES3_SA_NS6_6detail15normal_iteratorINS6_7pointerIS9_NS6_11hip_rocprim5par_tENS6_11use_defaultESH_EEEENSD_INSE_IlSG_SH_SH_EEEEZNS1_13binary_searchIS3_SA_NSD_INS6_10device_ptrIS9_EEEESJ_SL_NS1_21lower_bound_search_opENSC_16wrapped_functionINS6_6system6detail7generic6detail18binary_search_lessEbEEEE10hipError_tPvRmT1_T2_T3_mmT4_T5_P12ihipStream_tbEUlRKS9_E_EESY_S12_S13_mS14_S17_bEUlT_E_NS1_11comp_targetILNS1_3genE4ELNS1_11target_archE910ELNS1_3gpuE8ELNS1_3repE0EEENS1_30default_config_static_selectorELNS0_4arch9wavefront6targetE0EEEvS11_,"axG",@progbits,_ZN7rocprim17ROCPRIM_400000_NS6detail17trampoline_kernelINS0_14default_configENS1_27lower_bound_config_selectorIN6thrust23THRUST_200600_302600_NS5tupleIiiNS6_9null_typeES8_S8_S8_S8_S8_S8_S8_EElEEZNS1_14transform_implILb0ES3_SA_NS6_6detail15normal_iteratorINS6_7pointerIS9_NS6_11hip_rocprim5par_tENS6_11use_defaultESH_EEEENSD_INSE_IlSG_SH_SH_EEEEZNS1_13binary_searchIS3_SA_NSD_INS6_10device_ptrIS9_EEEESJ_SL_NS1_21lower_bound_search_opENSC_16wrapped_functionINS6_6system6detail7generic6detail18binary_search_lessEbEEEE10hipError_tPvRmT1_T2_T3_mmT4_T5_P12ihipStream_tbEUlRKS9_E_EESY_S12_S13_mS14_S17_bEUlT_E_NS1_11comp_targetILNS1_3genE4ELNS1_11target_archE910ELNS1_3gpuE8ELNS1_3repE0EEENS1_30default_config_static_selectorELNS0_4arch9wavefront6targetE0EEEvS11_,comdat
	.protected	_ZN7rocprim17ROCPRIM_400000_NS6detail17trampoline_kernelINS0_14default_configENS1_27lower_bound_config_selectorIN6thrust23THRUST_200600_302600_NS5tupleIiiNS6_9null_typeES8_S8_S8_S8_S8_S8_S8_EElEEZNS1_14transform_implILb0ES3_SA_NS6_6detail15normal_iteratorINS6_7pointerIS9_NS6_11hip_rocprim5par_tENS6_11use_defaultESH_EEEENSD_INSE_IlSG_SH_SH_EEEEZNS1_13binary_searchIS3_SA_NSD_INS6_10device_ptrIS9_EEEESJ_SL_NS1_21lower_bound_search_opENSC_16wrapped_functionINS6_6system6detail7generic6detail18binary_search_lessEbEEEE10hipError_tPvRmT1_T2_T3_mmT4_T5_P12ihipStream_tbEUlRKS9_E_EESY_S12_S13_mS14_S17_bEUlT_E_NS1_11comp_targetILNS1_3genE4ELNS1_11target_archE910ELNS1_3gpuE8ELNS1_3repE0EEENS1_30default_config_static_selectorELNS0_4arch9wavefront6targetE0EEEvS11_ ; -- Begin function _ZN7rocprim17ROCPRIM_400000_NS6detail17trampoline_kernelINS0_14default_configENS1_27lower_bound_config_selectorIN6thrust23THRUST_200600_302600_NS5tupleIiiNS6_9null_typeES8_S8_S8_S8_S8_S8_S8_EElEEZNS1_14transform_implILb0ES3_SA_NS6_6detail15normal_iteratorINS6_7pointerIS9_NS6_11hip_rocprim5par_tENS6_11use_defaultESH_EEEENSD_INSE_IlSG_SH_SH_EEEEZNS1_13binary_searchIS3_SA_NSD_INS6_10device_ptrIS9_EEEESJ_SL_NS1_21lower_bound_search_opENSC_16wrapped_functionINS6_6system6detail7generic6detail18binary_search_lessEbEEEE10hipError_tPvRmT1_T2_T3_mmT4_T5_P12ihipStream_tbEUlRKS9_E_EESY_S12_S13_mS14_S17_bEUlT_E_NS1_11comp_targetILNS1_3genE4ELNS1_11target_archE910ELNS1_3gpuE8ELNS1_3repE0EEENS1_30default_config_static_selectorELNS0_4arch9wavefront6targetE0EEEvS11_
	.globl	_ZN7rocprim17ROCPRIM_400000_NS6detail17trampoline_kernelINS0_14default_configENS1_27lower_bound_config_selectorIN6thrust23THRUST_200600_302600_NS5tupleIiiNS6_9null_typeES8_S8_S8_S8_S8_S8_S8_EElEEZNS1_14transform_implILb0ES3_SA_NS6_6detail15normal_iteratorINS6_7pointerIS9_NS6_11hip_rocprim5par_tENS6_11use_defaultESH_EEEENSD_INSE_IlSG_SH_SH_EEEEZNS1_13binary_searchIS3_SA_NSD_INS6_10device_ptrIS9_EEEESJ_SL_NS1_21lower_bound_search_opENSC_16wrapped_functionINS6_6system6detail7generic6detail18binary_search_lessEbEEEE10hipError_tPvRmT1_T2_T3_mmT4_T5_P12ihipStream_tbEUlRKS9_E_EESY_S12_S13_mS14_S17_bEUlT_E_NS1_11comp_targetILNS1_3genE4ELNS1_11target_archE910ELNS1_3gpuE8ELNS1_3repE0EEENS1_30default_config_static_selectorELNS0_4arch9wavefront6targetE0EEEvS11_
	.p2align	8
	.type	_ZN7rocprim17ROCPRIM_400000_NS6detail17trampoline_kernelINS0_14default_configENS1_27lower_bound_config_selectorIN6thrust23THRUST_200600_302600_NS5tupleIiiNS6_9null_typeES8_S8_S8_S8_S8_S8_S8_EElEEZNS1_14transform_implILb0ES3_SA_NS6_6detail15normal_iteratorINS6_7pointerIS9_NS6_11hip_rocprim5par_tENS6_11use_defaultESH_EEEENSD_INSE_IlSG_SH_SH_EEEEZNS1_13binary_searchIS3_SA_NSD_INS6_10device_ptrIS9_EEEESJ_SL_NS1_21lower_bound_search_opENSC_16wrapped_functionINS6_6system6detail7generic6detail18binary_search_lessEbEEEE10hipError_tPvRmT1_T2_T3_mmT4_T5_P12ihipStream_tbEUlRKS9_E_EESY_S12_S13_mS14_S17_bEUlT_E_NS1_11comp_targetILNS1_3genE4ELNS1_11target_archE910ELNS1_3gpuE8ELNS1_3repE0EEENS1_30default_config_static_selectorELNS0_4arch9wavefront6targetE0EEEvS11_,@function
_ZN7rocprim17ROCPRIM_400000_NS6detail17trampoline_kernelINS0_14default_configENS1_27lower_bound_config_selectorIN6thrust23THRUST_200600_302600_NS5tupleIiiNS6_9null_typeES8_S8_S8_S8_S8_S8_S8_EElEEZNS1_14transform_implILb0ES3_SA_NS6_6detail15normal_iteratorINS6_7pointerIS9_NS6_11hip_rocprim5par_tENS6_11use_defaultESH_EEEENSD_INSE_IlSG_SH_SH_EEEEZNS1_13binary_searchIS3_SA_NSD_INS6_10device_ptrIS9_EEEESJ_SL_NS1_21lower_bound_search_opENSC_16wrapped_functionINS6_6system6detail7generic6detail18binary_search_lessEbEEEE10hipError_tPvRmT1_T2_T3_mmT4_T5_P12ihipStream_tbEUlRKS9_E_EESY_S12_S13_mS14_S17_bEUlT_E_NS1_11comp_targetILNS1_3genE4ELNS1_11target_archE910ELNS1_3gpuE8ELNS1_3repE0EEENS1_30default_config_static_selectorELNS0_4arch9wavefront6targetE0EEEvS11_: ; @_ZN7rocprim17ROCPRIM_400000_NS6detail17trampoline_kernelINS0_14default_configENS1_27lower_bound_config_selectorIN6thrust23THRUST_200600_302600_NS5tupleIiiNS6_9null_typeES8_S8_S8_S8_S8_S8_S8_EElEEZNS1_14transform_implILb0ES3_SA_NS6_6detail15normal_iteratorINS6_7pointerIS9_NS6_11hip_rocprim5par_tENS6_11use_defaultESH_EEEENSD_INSE_IlSG_SH_SH_EEEEZNS1_13binary_searchIS3_SA_NSD_INS6_10device_ptrIS9_EEEESJ_SL_NS1_21lower_bound_search_opENSC_16wrapped_functionINS6_6system6detail7generic6detail18binary_search_lessEbEEEE10hipError_tPvRmT1_T2_T3_mmT4_T5_P12ihipStream_tbEUlRKS9_E_EESY_S12_S13_mS14_S17_bEUlT_E_NS1_11comp_targetILNS1_3genE4ELNS1_11target_archE910ELNS1_3gpuE8ELNS1_3repE0EEENS1_30default_config_static_selectorELNS0_4arch9wavefront6targetE0EEEvS11_
; %bb.0:
	.section	.rodata,"a",@progbits
	.p2align	6, 0x0
	.amdhsa_kernel _ZN7rocprim17ROCPRIM_400000_NS6detail17trampoline_kernelINS0_14default_configENS1_27lower_bound_config_selectorIN6thrust23THRUST_200600_302600_NS5tupleIiiNS6_9null_typeES8_S8_S8_S8_S8_S8_S8_EElEEZNS1_14transform_implILb0ES3_SA_NS6_6detail15normal_iteratorINS6_7pointerIS9_NS6_11hip_rocprim5par_tENS6_11use_defaultESH_EEEENSD_INSE_IlSG_SH_SH_EEEEZNS1_13binary_searchIS3_SA_NSD_INS6_10device_ptrIS9_EEEESJ_SL_NS1_21lower_bound_search_opENSC_16wrapped_functionINS6_6system6detail7generic6detail18binary_search_lessEbEEEE10hipError_tPvRmT1_T2_T3_mmT4_T5_P12ihipStream_tbEUlRKS9_E_EESY_S12_S13_mS14_S17_bEUlT_E_NS1_11comp_targetILNS1_3genE4ELNS1_11target_archE910ELNS1_3gpuE8ELNS1_3repE0EEENS1_30default_config_static_selectorELNS0_4arch9wavefront6targetE0EEEvS11_
		.amdhsa_group_segment_fixed_size 0
		.amdhsa_private_segment_fixed_size 0
		.amdhsa_kernarg_size 56
		.amdhsa_user_sgpr_count 6
		.amdhsa_user_sgpr_private_segment_buffer 1
		.amdhsa_user_sgpr_dispatch_ptr 0
		.amdhsa_user_sgpr_queue_ptr 0
		.amdhsa_user_sgpr_kernarg_segment_ptr 1
		.amdhsa_user_sgpr_dispatch_id 0
		.amdhsa_user_sgpr_flat_scratch_init 0
		.amdhsa_user_sgpr_private_segment_size 0
		.amdhsa_wavefront_size32 1
		.amdhsa_uses_dynamic_stack 0
		.amdhsa_system_sgpr_private_segment_wavefront_offset 0
		.amdhsa_system_sgpr_workgroup_id_x 1
		.amdhsa_system_sgpr_workgroup_id_y 0
		.amdhsa_system_sgpr_workgroup_id_z 0
		.amdhsa_system_sgpr_workgroup_info 0
		.amdhsa_system_vgpr_workitem_id 0
		.amdhsa_next_free_vgpr 1
		.amdhsa_next_free_sgpr 1
		.amdhsa_reserve_vcc 0
		.amdhsa_reserve_flat_scratch 0
		.amdhsa_float_round_mode_32 0
		.amdhsa_float_round_mode_16_64 0
		.amdhsa_float_denorm_mode_32 3
		.amdhsa_float_denorm_mode_16_64 3
		.amdhsa_dx10_clamp 1
		.amdhsa_ieee_mode 1
		.amdhsa_fp16_overflow 0
		.amdhsa_workgroup_processor_mode 1
		.amdhsa_memory_ordered 1
		.amdhsa_forward_progress 1
		.amdhsa_shared_vgpr_count 0
		.amdhsa_exception_fp_ieee_invalid_op 0
		.amdhsa_exception_fp_denorm_src 0
		.amdhsa_exception_fp_ieee_div_zero 0
		.amdhsa_exception_fp_ieee_overflow 0
		.amdhsa_exception_fp_ieee_underflow 0
		.amdhsa_exception_fp_ieee_inexact 0
		.amdhsa_exception_int_div_zero 0
	.end_amdhsa_kernel
	.section	.text._ZN7rocprim17ROCPRIM_400000_NS6detail17trampoline_kernelINS0_14default_configENS1_27lower_bound_config_selectorIN6thrust23THRUST_200600_302600_NS5tupleIiiNS6_9null_typeES8_S8_S8_S8_S8_S8_S8_EElEEZNS1_14transform_implILb0ES3_SA_NS6_6detail15normal_iteratorINS6_7pointerIS9_NS6_11hip_rocprim5par_tENS6_11use_defaultESH_EEEENSD_INSE_IlSG_SH_SH_EEEEZNS1_13binary_searchIS3_SA_NSD_INS6_10device_ptrIS9_EEEESJ_SL_NS1_21lower_bound_search_opENSC_16wrapped_functionINS6_6system6detail7generic6detail18binary_search_lessEbEEEE10hipError_tPvRmT1_T2_T3_mmT4_T5_P12ihipStream_tbEUlRKS9_E_EESY_S12_S13_mS14_S17_bEUlT_E_NS1_11comp_targetILNS1_3genE4ELNS1_11target_archE910ELNS1_3gpuE8ELNS1_3repE0EEENS1_30default_config_static_selectorELNS0_4arch9wavefront6targetE0EEEvS11_,"axG",@progbits,_ZN7rocprim17ROCPRIM_400000_NS6detail17trampoline_kernelINS0_14default_configENS1_27lower_bound_config_selectorIN6thrust23THRUST_200600_302600_NS5tupleIiiNS6_9null_typeES8_S8_S8_S8_S8_S8_S8_EElEEZNS1_14transform_implILb0ES3_SA_NS6_6detail15normal_iteratorINS6_7pointerIS9_NS6_11hip_rocprim5par_tENS6_11use_defaultESH_EEEENSD_INSE_IlSG_SH_SH_EEEEZNS1_13binary_searchIS3_SA_NSD_INS6_10device_ptrIS9_EEEESJ_SL_NS1_21lower_bound_search_opENSC_16wrapped_functionINS6_6system6detail7generic6detail18binary_search_lessEbEEEE10hipError_tPvRmT1_T2_T3_mmT4_T5_P12ihipStream_tbEUlRKS9_E_EESY_S12_S13_mS14_S17_bEUlT_E_NS1_11comp_targetILNS1_3genE4ELNS1_11target_archE910ELNS1_3gpuE8ELNS1_3repE0EEENS1_30default_config_static_selectorELNS0_4arch9wavefront6targetE0EEEvS11_,comdat
.Lfunc_end433:
	.size	_ZN7rocprim17ROCPRIM_400000_NS6detail17trampoline_kernelINS0_14default_configENS1_27lower_bound_config_selectorIN6thrust23THRUST_200600_302600_NS5tupleIiiNS6_9null_typeES8_S8_S8_S8_S8_S8_S8_EElEEZNS1_14transform_implILb0ES3_SA_NS6_6detail15normal_iteratorINS6_7pointerIS9_NS6_11hip_rocprim5par_tENS6_11use_defaultESH_EEEENSD_INSE_IlSG_SH_SH_EEEEZNS1_13binary_searchIS3_SA_NSD_INS6_10device_ptrIS9_EEEESJ_SL_NS1_21lower_bound_search_opENSC_16wrapped_functionINS6_6system6detail7generic6detail18binary_search_lessEbEEEE10hipError_tPvRmT1_T2_T3_mmT4_T5_P12ihipStream_tbEUlRKS9_E_EESY_S12_S13_mS14_S17_bEUlT_E_NS1_11comp_targetILNS1_3genE4ELNS1_11target_archE910ELNS1_3gpuE8ELNS1_3repE0EEENS1_30default_config_static_selectorELNS0_4arch9wavefront6targetE0EEEvS11_, .Lfunc_end433-_ZN7rocprim17ROCPRIM_400000_NS6detail17trampoline_kernelINS0_14default_configENS1_27lower_bound_config_selectorIN6thrust23THRUST_200600_302600_NS5tupleIiiNS6_9null_typeES8_S8_S8_S8_S8_S8_S8_EElEEZNS1_14transform_implILb0ES3_SA_NS6_6detail15normal_iteratorINS6_7pointerIS9_NS6_11hip_rocprim5par_tENS6_11use_defaultESH_EEEENSD_INSE_IlSG_SH_SH_EEEEZNS1_13binary_searchIS3_SA_NSD_INS6_10device_ptrIS9_EEEESJ_SL_NS1_21lower_bound_search_opENSC_16wrapped_functionINS6_6system6detail7generic6detail18binary_search_lessEbEEEE10hipError_tPvRmT1_T2_T3_mmT4_T5_P12ihipStream_tbEUlRKS9_E_EESY_S12_S13_mS14_S17_bEUlT_E_NS1_11comp_targetILNS1_3genE4ELNS1_11target_archE910ELNS1_3gpuE8ELNS1_3repE0EEENS1_30default_config_static_selectorELNS0_4arch9wavefront6targetE0EEEvS11_
                                        ; -- End function
	.set _ZN7rocprim17ROCPRIM_400000_NS6detail17trampoline_kernelINS0_14default_configENS1_27lower_bound_config_selectorIN6thrust23THRUST_200600_302600_NS5tupleIiiNS6_9null_typeES8_S8_S8_S8_S8_S8_S8_EElEEZNS1_14transform_implILb0ES3_SA_NS6_6detail15normal_iteratorINS6_7pointerIS9_NS6_11hip_rocprim5par_tENS6_11use_defaultESH_EEEENSD_INSE_IlSG_SH_SH_EEEEZNS1_13binary_searchIS3_SA_NSD_INS6_10device_ptrIS9_EEEESJ_SL_NS1_21lower_bound_search_opENSC_16wrapped_functionINS6_6system6detail7generic6detail18binary_search_lessEbEEEE10hipError_tPvRmT1_T2_T3_mmT4_T5_P12ihipStream_tbEUlRKS9_E_EESY_S12_S13_mS14_S17_bEUlT_E_NS1_11comp_targetILNS1_3genE4ELNS1_11target_archE910ELNS1_3gpuE8ELNS1_3repE0EEENS1_30default_config_static_selectorELNS0_4arch9wavefront6targetE0EEEvS11_.num_vgpr, 0
	.set _ZN7rocprim17ROCPRIM_400000_NS6detail17trampoline_kernelINS0_14default_configENS1_27lower_bound_config_selectorIN6thrust23THRUST_200600_302600_NS5tupleIiiNS6_9null_typeES8_S8_S8_S8_S8_S8_S8_EElEEZNS1_14transform_implILb0ES3_SA_NS6_6detail15normal_iteratorINS6_7pointerIS9_NS6_11hip_rocprim5par_tENS6_11use_defaultESH_EEEENSD_INSE_IlSG_SH_SH_EEEEZNS1_13binary_searchIS3_SA_NSD_INS6_10device_ptrIS9_EEEESJ_SL_NS1_21lower_bound_search_opENSC_16wrapped_functionINS6_6system6detail7generic6detail18binary_search_lessEbEEEE10hipError_tPvRmT1_T2_T3_mmT4_T5_P12ihipStream_tbEUlRKS9_E_EESY_S12_S13_mS14_S17_bEUlT_E_NS1_11comp_targetILNS1_3genE4ELNS1_11target_archE910ELNS1_3gpuE8ELNS1_3repE0EEENS1_30default_config_static_selectorELNS0_4arch9wavefront6targetE0EEEvS11_.num_agpr, 0
	.set _ZN7rocprim17ROCPRIM_400000_NS6detail17trampoline_kernelINS0_14default_configENS1_27lower_bound_config_selectorIN6thrust23THRUST_200600_302600_NS5tupleIiiNS6_9null_typeES8_S8_S8_S8_S8_S8_S8_EElEEZNS1_14transform_implILb0ES3_SA_NS6_6detail15normal_iteratorINS6_7pointerIS9_NS6_11hip_rocprim5par_tENS6_11use_defaultESH_EEEENSD_INSE_IlSG_SH_SH_EEEEZNS1_13binary_searchIS3_SA_NSD_INS6_10device_ptrIS9_EEEESJ_SL_NS1_21lower_bound_search_opENSC_16wrapped_functionINS6_6system6detail7generic6detail18binary_search_lessEbEEEE10hipError_tPvRmT1_T2_T3_mmT4_T5_P12ihipStream_tbEUlRKS9_E_EESY_S12_S13_mS14_S17_bEUlT_E_NS1_11comp_targetILNS1_3genE4ELNS1_11target_archE910ELNS1_3gpuE8ELNS1_3repE0EEENS1_30default_config_static_selectorELNS0_4arch9wavefront6targetE0EEEvS11_.numbered_sgpr, 0
	.set _ZN7rocprim17ROCPRIM_400000_NS6detail17trampoline_kernelINS0_14default_configENS1_27lower_bound_config_selectorIN6thrust23THRUST_200600_302600_NS5tupleIiiNS6_9null_typeES8_S8_S8_S8_S8_S8_S8_EElEEZNS1_14transform_implILb0ES3_SA_NS6_6detail15normal_iteratorINS6_7pointerIS9_NS6_11hip_rocprim5par_tENS6_11use_defaultESH_EEEENSD_INSE_IlSG_SH_SH_EEEEZNS1_13binary_searchIS3_SA_NSD_INS6_10device_ptrIS9_EEEESJ_SL_NS1_21lower_bound_search_opENSC_16wrapped_functionINS6_6system6detail7generic6detail18binary_search_lessEbEEEE10hipError_tPvRmT1_T2_T3_mmT4_T5_P12ihipStream_tbEUlRKS9_E_EESY_S12_S13_mS14_S17_bEUlT_E_NS1_11comp_targetILNS1_3genE4ELNS1_11target_archE910ELNS1_3gpuE8ELNS1_3repE0EEENS1_30default_config_static_selectorELNS0_4arch9wavefront6targetE0EEEvS11_.num_named_barrier, 0
	.set _ZN7rocprim17ROCPRIM_400000_NS6detail17trampoline_kernelINS0_14default_configENS1_27lower_bound_config_selectorIN6thrust23THRUST_200600_302600_NS5tupleIiiNS6_9null_typeES8_S8_S8_S8_S8_S8_S8_EElEEZNS1_14transform_implILb0ES3_SA_NS6_6detail15normal_iteratorINS6_7pointerIS9_NS6_11hip_rocprim5par_tENS6_11use_defaultESH_EEEENSD_INSE_IlSG_SH_SH_EEEEZNS1_13binary_searchIS3_SA_NSD_INS6_10device_ptrIS9_EEEESJ_SL_NS1_21lower_bound_search_opENSC_16wrapped_functionINS6_6system6detail7generic6detail18binary_search_lessEbEEEE10hipError_tPvRmT1_T2_T3_mmT4_T5_P12ihipStream_tbEUlRKS9_E_EESY_S12_S13_mS14_S17_bEUlT_E_NS1_11comp_targetILNS1_3genE4ELNS1_11target_archE910ELNS1_3gpuE8ELNS1_3repE0EEENS1_30default_config_static_selectorELNS0_4arch9wavefront6targetE0EEEvS11_.private_seg_size, 0
	.set _ZN7rocprim17ROCPRIM_400000_NS6detail17trampoline_kernelINS0_14default_configENS1_27lower_bound_config_selectorIN6thrust23THRUST_200600_302600_NS5tupleIiiNS6_9null_typeES8_S8_S8_S8_S8_S8_S8_EElEEZNS1_14transform_implILb0ES3_SA_NS6_6detail15normal_iteratorINS6_7pointerIS9_NS6_11hip_rocprim5par_tENS6_11use_defaultESH_EEEENSD_INSE_IlSG_SH_SH_EEEEZNS1_13binary_searchIS3_SA_NSD_INS6_10device_ptrIS9_EEEESJ_SL_NS1_21lower_bound_search_opENSC_16wrapped_functionINS6_6system6detail7generic6detail18binary_search_lessEbEEEE10hipError_tPvRmT1_T2_T3_mmT4_T5_P12ihipStream_tbEUlRKS9_E_EESY_S12_S13_mS14_S17_bEUlT_E_NS1_11comp_targetILNS1_3genE4ELNS1_11target_archE910ELNS1_3gpuE8ELNS1_3repE0EEENS1_30default_config_static_selectorELNS0_4arch9wavefront6targetE0EEEvS11_.uses_vcc, 0
	.set _ZN7rocprim17ROCPRIM_400000_NS6detail17trampoline_kernelINS0_14default_configENS1_27lower_bound_config_selectorIN6thrust23THRUST_200600_302600_NS5tupleIiiNS6_9null_typeES8_S8_S8_S8_S8_S8_S8_EElEEZNS1_14transform_implILb0ES3_SA_NS6_6detail15normal_iteratorINS6_7pointerIS9_NS6_11hip_rocprim5par_tENS6_11use_defaultESH_EEEENSD_INSE_IlSG_SH_SH_EEEEZNS1_13binary_searchIS3_SA_NSD_INS6_10device_ptrIS9_EEEESJ_SL_NS1_21lower_bound_search_opENSC_16wrapped_functionINS6_6system6detail7generic6detail18binary_search_lessEbEEEE10hipError_tPvRmT1_T2_T3_mmT4_T5_P12ihipStream_tbEUlRKS9_E_EESY_S12_S13_mS14_S17_bEUlT_E_NS1_11comp_targetILNS1_3genE4ELNS1_11target_archE910ELNS1_3gpuE8ELNS1_3repE0EEENS1_30default_config_static_selectorELNS0_4arch9wavefront6targetE0EEEvS11_.uses_flat_scratch, 0
	.set _ZN7rocprim17ROCPRIM_400000_NS6detail17trampoline_kernelINS0_14default_configENS1_27lower_bound_config_selectorIN6thrust23THRUST_200600_302600_NS5tupleIiiNS6_9null_typeES8_S8_S8_S8_S8_S8_S8_EElEEZNS1_14transform_implILb0ES3_SA_NS6_6detail15normal_iteratorINS6_7pointerIS9_NS6_11hip_rocprim5par_tENS6_11use_defaultESH_EEEENSD_INSE_IlSG_SH_SH_EEEEZNS1_13binary_searchIS3_SA_NSD_INS6_10device_ptrIS9_EEEESJ_SL_NS1_21lower_bound_search_opENSC_16wrapped_functionINS6_6system6detail7generic6detail18binary_search_lessEbEEEE10hipError_tPvRmT1_T2_T3_mmT4_T5_P12ihipStream_tbEUlRKS9_E_EESY_S12_S13_mS14_S17_bEUlT_E_NS1_11comp_targetILNS1_3genE4ELNS1_11target_archE910ELNS1_3gpuE8ELNS1_3repE0EEENS1_30default_config_static_selectorELNS0_4arch9wavefront6targetE0EEEvS11_.has_dyn_sized_stack, 0
	.set _ZN7rocprim17ROCPRIM_400000_NS6detail17trampoline_kernelINS0_14default_configENS1_27lower_bound_config_selectorIN6thrust23THRUST_200600_302600_NS5tupleIiiNS6_9null_typeES8_S8_S8_S8_S8_S8_S8_EElEEZNS1_14transform_implILb0ES3_SA_NS6_6detail15normal_iteratorINS6_7pointerIS9_NS6_11hip_rocprim5par_tENS6_11use_defaultESH_EEEENSD_INSE_IlSG_SH_SH_EEEEZNS1_13binary_searchIS3_SA_NSD_INS6_10device_ptrIS9_EEEESJ_SL_NS1_21lower_bound_search_opENSC_16wrapped_functionINS6_6system6detail7generic6detail18binary_search_lessEbEEEE10hipError_tPvRmT1_T2_T3_mmT4_T5_P12ihipStream_tbEUlRKS9_E_EESY_S12_S13_mS14_S17_bEUlT_E_NS1_11comp_targetILNS1_3genE4ELNS1_11target_archE910ELNS1_3gpuE8ELNS1_3repE0EEENS1_30default_config_static_selectorELNS0_4arch9wavefront6targetE0EEEvS11_.has_recursion, 0
	.set _ZN7rocprim17ROCPRIM_400000_NS6detail17trampoline_kernelINS0_14default_configENS1_27lower_bound_config_selectorIN6thrust23THRUST_200600_302600_NS5tupleIiiNS6_9null_typeES8_S8_S8_S8_S8_S8_S8_EElEEZNS1_14transform_implILb0ES3_SA_NS6_6detail15normal_iteratorINS6_7pointerIS9_NS6_11hip_rocprim5par_tENS6_11use_defaultESH_EEEENSD_INSE_IlSG_SH_SH_EEEEZNS1_13binary_searchIS3_SA_NSD_INS6_10device_ptrIS9_EEEESJ_SL_NS1_21lower_bound_search_opENSC_16wrapped_functionINS6_6system6detail7generic6detail18binary_search_lessEbEEEE10hipError_tPvRmT1_T2_T3_mmT4_T5_P12ihipStream_tbEUlRKS9_E_EESY_S12_S13_mS14_S17_bEUlT_E_NS1_11comp_targetILNS1_3genE4ELNS1_11target_archE910ELNS1_3gpuE8ELNS1_3repE0EEENS1_30default_config_static_selectorELNS0_4arch9wavefront6targetE0EEEvS11_.has_indirect_call, 0
	.section	.AMDGPU.csdata,"",@progbits
; Kernel info:
; codeLenInByte = 0
; TotalNumSgprs: 0
; NumVgprs: 0
; ScratchSize: 0
; MemoryBound: 0
; FloatMode: 240
; IeeeMode: 1
; LDSByteSize: 0 bytes/workgroup (compile time only)
; SGPRBlocks: 0
; VGPRBlocks: 0
; NumSGPRsForWavesPerEU: 1
; NumVGPRsForWavesPerEU: 1
; Occupancy: 16
; WaveLimiterHint : 0
; COMPUTE_PGM_RSRC2:SCRATCH_EN: 0
; COMPUTE_PGM_RSRC2:USER_SGPR: 6
; COMPUTE_PGM_RSRC2:TRAP_HANDLER: 0
; COMPUTE_PGM_RSRC2:TGID_X_EN: 1
; COMPUTE_PGM_RSRC2:TGID_Y_EN: 0
; COMPUTE_PGM_RSRC2:TGID_Z_EN: 0
; COMPUTE_PGM_RSRC2:TIDIG_COMP_CNT: 0
	.section	.text._ZN7rocprim17ROCPRIM_400000_NS6detail17trampoline_kernelINS0_14default_configENS1_27lower_bound_config_selectorIN6thrust23THRUST_200600_302600_NS5tupleIiiNS6_9null_typeES8_S8_S8_S8_S8_S8_S8_EElEEZNS1_14transform_implILb0ES3_SA_NS6_6detail15normal_iteratorINS6_7pointerIS9_NS6_11hip_rocprim5par_tENS6_11use_defaultESH_EEEENSD_INSE_IlSG_SH_SH_EEEEZNS1_13binary_searchIS3_SA_NSD_INS6_10device_ptrIS9_EEEESJ_SL_NS1_21lower_bound_search_opENSC_16wrapped_functionINS6_6system6detail7generic6detail18binary_search_lessEbEEEE10hipError_tPvRmT1_T2_T3_mmT4_T5_P12ihipStream_tbEUlRKS9_E_EESY_S12_S13_mS14_S17_bEUlT_E_NS1_11comp_targetILNS1_3genE3ELNS1_11target_archE908ELNS1_3gpuE7ELNS1_3repE0EEENS1_30default_config_static_selectorELNS0_4arch9wavefront6targetE0EEEvS11_,"axG",@progbits,_ZN7rocprim17ROCPRIM_400000_NS6detail17trampoline_kernelINS0_14default_configENS1_27lower_bound_config_selectorIN6thrust23THRUST_200600_302600_NS5tupleIiiNS6_9null_typeES8_S8_S8_S8_S8_S8_S8_EElEEZNS1_14transform_implILb0ES3_SA_NS6_6detail15normal_iteratorINS6_7pointerIS9_NS6_11hip_rocprim5par_tENS6_11use_defaultESH_EEEENSD_INSE_IlSG_SH_SH_EEEEZNS1_13binary_searchIS3_SA_NSD_INS6_10device_ptrIS9_EEEESJ_SL_NS1_21lower_bound_search_opENSC_16wrapped_functionINS6_6system6detail7generic6detail18binary_search_lessEbEEEE10hipError_tPvRmT1_T2_T3_mmT4_T5_P12ihipStream_tbEUlRKS9_E_EESY_S12_S13_mS14_S17_bEUlT_E_NS1_11comp_targetILNS1_3genE3ELNS1_11target_archE908ELNS1_3gpuE7ELNS1_3repE0EEENS1_30default_config_static_selectorELNS0_4arch9wavefront6targetE0EEEvS11_,comdat
	.protected	_ZN7rocprim17ROCPRIM_400000_NS6detail17trampoline_kernelINS0_14default_configENS1_27lower_bound_config_selectorIN6thrust23THRUST_200600_302600_NS5tupleIiiNS6_9null_typeES8_S8_S8_S8_S8_S8_S8_EElEEZNS1_14transform_implILb0ES3_SA_NS6_6detail15normal_iteratorINS6_7pointerIS9_NS6_11hip_rocprim5par_tENS6_11use_defaultESH_EEEENSD_INSE_IlSG_SH_SH_EEEEZNS1_13binary_searchIS3_SA_NSD_INS6_10device_ptrIS9_EEEESJ_SL_NS1_21lower_bound_search_opENSC_16wrapped_functionINS6_6system6detail7generic6detail18binary_search_lessEbEEEE10hipError_tPvRmT1_T2_T3_mmT4_T5_P12ihipStream_tbEUlRKS9_E_EESY_S12_S13_mS14_S17_bEUlT_E_NS1_11comp_targetILNS1_3genE3ELNS1_11target_archE908ELNS1_3gpuE7ELNS1_3repE0EEENS1_30default_config_static_selectorELNS0_4arch9wavefront6targetE0EEEvS11_ ; -- Begin function _ZN7rocprim17ROCPRIM_400000_NS6detail17trampoline_kernelINS0_14default_configENS1_27lower_bound_config_selectorIN6thrust23THRUST_200600_302600_NS5tupleIiiNS6_9null_typeES8_S8_S8_S8_S8_S8_S8_EElEEZNS1_14transform_implILb0ES3_SA_NS6_6detail15normal_iteratorINS6_7pointerIS9_NS6_11hip_rocprim5par_tENS6_11use_defaultESH_EEEENSD_INSE_IlSG_SH_SH_EEEEZNS1_13binary_searchIS3_SA_NSD_INS6_10device_ptrIS9_EEEESJ_SL_NS1_21lower_bound_search_opENSC_16wrapped_functionINS6_6system6detail7generic6detail18binary_search_lessEbEEEE10hipError_tPvRmT1_T2_T3_mmT4_T5_P12ihipStream_tbEUlRKS9_E_EESY_S12_S13_mS14_S17_bEUlT_E_NS1_11comp_targetILNS1_3genE3ELNS1_11target_archE908ELNS1_3gpuE7ELNS1_3repE0EEENS1_30default_config_static_selectorELNS0_4arch9wavefront6targetE0EEEvS11_
	.globl	_ZN7rocprim17ROCPRIM_400000_NS6detail17trampoline_kernelINS0_14default_configENS1_27lower_bound_config_selectorIN6thrust23THRUST_200600_302600_NS5tupleIiiNS6_9null_typeES8_S8_S8_S8_S8_S8_S8_EElEEZNS1_14transform_implILb0ES3_SA_NS6_6detail15normal_iteratorINS6_7pointerIS9_NS6_11hip_rocprim5par_tENS6_11use_defaultESH_EEEENSD_INSE_IlSG_SH_SH_EEEEZNS1_13binary_searchIS3_SA_NSD_INS6_10device_ptrIS9_EEEESJ_SL_NS1_21lower_bound_search_opENSC_16wrapped_functionINS6_6system6detail7generic6detail18binary_search_lessEbEEEE10hipError_tPvRmT1_T2_T3_mmT4_T5_P12ihipStream_tbEUlRKS9_E_EESY_S12_S13_mS14_S17_bEUlT_E_NS1_11comp_targetILNS1_3genE3ELNS1_11target_archE908ELNS1_3gpuE7ELNS1_3repE0EEENS1_30default_config_static_selectorELNS0_4arch9wavefront6targetE0EEEvS11_
	.p2align	8
	.type	_ZN7rocprim17ROCPRIM_400000_NS6detail17trampoline_kernelINS0_14default_configENS1_27lower_bound_config_selectorIN6thrust23THRUST_200600_302600_NS5tupleIiiNS6_9null_typeES8_S8_S8_S8_S8_S8_S8_EElEEZNS1_14transform_implILb0ES3_SA_NS6_6detail15normal_iteratorINS6_7pointerIS9_NS6_11hip_rocprim5par_tENS6_11use_defaultESH_EEEENSD_INSE_IlSG_SH_SH_EEEEZNS1_13binary_searchIS3_SA_NSD_INS6_10device_ptrIS9_EEEESJ_SL_NS1_21lower_bound_search_opENSC_16wrapped_functionINS6_6system6detail7generic6detail18binary_search_lessEbEEEE10hipError_tPvRmT1_T2_T3_mmT4_T5_P12ihipStream_tbEUlRKS9_E_EESY_S12_S13_mS14_S17_bEUlT_E_NS1_11comp_targetILNS1_3genE3ELNS1_11target_archE908ELNS1_3gpuE7ELNS1_3repE0EEENS1_30default_config_static_selectorELNS0_4arch9wavefront6targetE0EEEvS11_,@function
_ZN7rocprim17ROCPRIM_400000_NS6detail17trampoline_kernelINS0_14default_configENS1_27lower_bound_config_selectorIN6thrust23THRUST_200600_302600_NS5tupleIiiNS6_9null_typeES8_S8_S8_S8_S8_S8_S8_EElEEZNS1_14transform_implILb0ES3_SA_NS6_6detail15normal_iteratorINS6_7pointerIS9_NS6_11hip_rocprim5par_tENS6_11use_defaultESH_EEEENSD_INSE_IlSG_SH_SH_EEEEZNS1_13binary_searchIS3_SA_NSD_INS6_10device_ptrIS9_EEEESJ_SL_NS1_21lower_bound_search_opENSC_16wrapped_functionINS6_6system6detail7generic6detail18binary_search_lessEbEEEE10hipError_tPvRmT1_T2_T3_mmT4_T5_P12ihipStream_tbEUlRKS9_E_EESY_S12_S13_mS14_S17_bEUlT_E_NS1_11comp_targetILNS1_3genE3ELNS1_11target_archE908ELNS1_3gpuE7ELNS1_3repE0EEENS1_30default_config_static_selectorELNS0_4arch9wavefront6targetE0EEEvS11_: ; @_ZN7rocprim17ROCPRIM_400000_NS6detail17trampoline_kernelINS0_14default_configENS1_27lower_bound_config_selectorIN6thrust23THRUST_200600_302600_NS5tupleIiiNS6_9null_typeES8_S8_S8_S8_S8_S8_S8_EElEEZNS1_14transform_implILb0ES3_SA_NS6_6detail15normal_iteratorINS6_7pointerIS9_NS6_11hip_rocprim5par_tENS6_11use_defaultESH_EEEENSD_INSE_IlSG_SH_SH_EEEEZNS1_13binary_searchIS3_SA_NSD_INS6_10device_ptrIS9_EEEESJ_SL_NS1_21lower_bound_search_opENSC_16wrapped_functionINS6_6system6detail7generic6detail18binary_search_lessEbEEEE10hipError_tPvRmT1_T2_T3_mmT4_T5_P12ihipStream_tbEUlRKS9_E_EESY_S12_S13_mS14_S17_bEUlT_E_NS1_11comp_targetILNS1_3genE3ELNS1_11target_archE908ELNS1_3gpuE7ELNS1_3repE0EEENS1_30default_config_static_selectorELNS0_4arch9wavefront6targetE0EEEvS11_
; %bb.0:
	.section	.rodata,"a",@progbits
	.p2align	6, 0x0
	.amdhsa_kernel _ZN7rocprim17ROCPRIM_400000_NS6detail17trampoline_kernelINS0_14default_configENS1_27lower_bound_config_selectorIN6thrust23THRUST_200600_302600_NS5tupleIiiNS6_9null_typeES8_S8_S8_S8_S8_S8_S8_EElEEZNS1_14transform_implILb0ES3_SA_NS6_6detail15normal_iteratorINS6_7pointerIS9_NS6_11hip_rocprim5par_tENS6_11use_defaultESH_EEEENSD_INSE_IlSG_SH_SH_EEEEZNS1_13binary_searchIS3_SA_NSD_INS6_10device_ptrIS9_EEEESJ_SL_NS1_21lower_bound_search_opENSC_16wrapped_functionINS6_6system6detail7generic6detail18binary_search_lessEbEEEE10hipError_tPvRmT1_T2_T3_mmT4_T5_P12ihipStream_tbEUlRKS9_E_EESY_S12_S13_mS14_S17_bEUlT_E_NS1_11comp_targetILNS1_3genE3ELNS1_11target_archE908ELNS1_3gpuE7ELNS1_3repE0EEENS1_30default_config_static_selectorELNS0_4arch9wavefront6targetE0EEEvS11_
		.amdhsa_group_segment_fixed_size 0
		.amdhsa_private_segment_fixed_size 0
		.amdhsa_kernarg_size 56
		.amdhsa_user_sgpr_count 6
		.amdhsa_user_sgpr_private_segment_buffer 1
		.amdhsa_user_sgpr_dispatch_ptr 0
		.amdhsa_user_sgpr_queue_ptr 0
		.amdhsa_user_sgpr_kernarg_segment_ptr 1
		.amdhsa_user_sgpr_dispatch_id 0
		.amdhsa_user_sgpr_flat_scratch_init 0
		.amdhsa_user_sgpr_private_segment_size 0
		.amdhsa_wavefront_size32 1
		.amdhsa_uses_dynamic_stack 0
		.amdhsa_system_sgpr_private_segment_wavefront_offset 0
		.amdhsa_system_sgpr_workgroup_id_x 1
		.amdhsa_system_sgpr_workgroup_id_y 0
		.amdhsa_system_sgpr_workgroup_id_z 0
		.amdhsa_system_sgpr_workgroup_info 0
		.amdhsa_system_vgpr_workitem_id 0
		.amdhsa_next_free_vgpr 1
		.amdhsa_next_free_sgpr 1
		.amdhsa_reserve_vcc 0
		.amdhsa_reserve_flat_scratch 0
		.amdhsa_float_round_mode_32 0
		.amdhsa_float_round_mode_16_64 0
		.amdhsa_float_denorm_mode_32 3
		.amdhsa_float_denorm_mode_16_64 3
		.amdhsa_dx10_clamp 1
		.amdhsa_ieee_mode 1
		.amdhsa_fp16_overflow 0
		.amdhsa_workgroup_processor_mode 1
		.amdhsa_memory_ordered 1
		.amdhsa_forward_progress 1
		.amdhsa_shared_vgpr_count 0
		.amdhsa_exception_fp_ieee_invalid_op 0
		.amdhsa_exception_fp_denorm_src 0
		.amdhsa_exception_fp_ieee_div_zero 0
		.amdhsa_exception_fp_ieee_overflow 0
		.amdhsa_exception_fp_ieee_underflow 0
		.amdhsa_exception_fp_ieee_inexact 0
		.amdhsa_exception_int_div_zero 0
	.end_amdhsa_kernel
	.section	.text._ZN7rocprim17ROCPRIM_400000_NS6detail17trampoline_kernelINS0_14default_configENS1_27lower_bound_config_selectorIN6thrust23THRUST_200600_302600_NS5tupleIiiNS6_9null_typeES8_S8_S8_S8_S8_S8_S8_EElEEZNS1_14transform_implILb0ES3_SA_NS6_6detail15normal_iteratorINS6_7pointerIS9_NS6_11hip_rocprim5par_tENS6_11use_defaultESH_EEEENSD_INSE_IlSG_SH_SH_EEEEZNS1_13binary_searchIS3_SA_NSD_INS6_10device_ptrIS9_EEEESJ_SL_NS1_21lower_bound_search_opENSC_16wrapped_functionINS6_6system6detail7generic6detail18binary_search_lessEbEEEE10hipError_tPvRmT1_T2_T3_mmT4_T5_P12ihipStream_tbEUlRKS9_E_EESY_S12_S13_mS14_S17_bEUlT_E_NS1_11comp_targetILNS1_3genE3ELNS1_11target_archE908ELNS1_3gpuE7ELNS1_3repE0EEENS1_30default_config_static_selectorELNS0_4arch9wavefront6targetE0EEEvS11_,"axG",@progbits,_ZN7rocprim17ROCPRIM_400000_NS6detail17trampoline_kernelINS0_14default_configENS1_27lower_bound_config_selectorIN6thrust23THRUST_200600_302600_NS5tupleIiiNS6_9null_typeES8_S8_S8_S8_S8_S8_S8_EElEEZNS1_14transform_implILb0ES3_SA_NS6_6detail15normal_iteratorINS6_7pointerIS9_NS6_11hip_rocprim5par_tENS6_11use_defaultESH_EEEENSD_INSE_IlSG_SH_SH_EEEEZNS1_13binary_searchIS3_SA_NSD_INS6_10device_ptrIS9_EEEESJ_SL_NS1_21lower_bound_search_opENSC_16wrapped_functionINS6_6system6detail7generic6detail18binary_search_lessEbEEEE10hipError_tPvRmT1_T2_T3_mmT4_T5_P12ihipStream_tbEUlRKS9_E_EESY_S12_S13_mS14_S17_bEUlT_E_NS1_11comp_targetILNS1_3genE3ELNS1_11target_archE908ELNS1_3gpuE7ELNS1_3repE0EEENS1_30default_config_static_selectorELNS0_4arch9wavefront6targetE0EEEvS11_,comdat
.Lfunc_end434:
	.size	_ZN7rocprim17ROCPRIM_400000_NS6detail17trampoline_kernelINS0_14default_configENS1_27lower_bound_config_selectorIN6thrust23THRUST_200600_302600_NS5tupleIiiNS6_9null_typeES8_S8_S8_S8_S8_S8_S8_EElEEZNS1_14transform_implILb0ES3_SA_NS6_6detail15normal_iteratorINS6_7pointerIS9_NS6_11hip_rocprim5par_tENS6_11use_defaultESH_EEEENSD_INSE_IlSG_SH_SH_EEEEZNS1_13binary_searchIS3_SA_NSD_INS6_10device_ptrIS9_EEEESJ_SL_NS1_21lower_bound_search_opENSC_16wrapped_functionINS6_6system6detail7generic6detail18binary_search_lessEbEEEE10hipError_tPvRmT1_T2_T3_mmT4_T5_P12ihipStream_tbEUlRKS9_E_EESY_S12_S13_mS14_S17_bEUlT_E_NS1_11comp_targetILNS1_3genE3ELNS1_11target_archE908ELNS1_3gpuE7ELNS1_3repE0EEENS1_30default_config_static_selectorELNS0_4arch9wavefront6targetE0EEEvS11_, .Lfunc_end434-_ZN7rocprim17ROCPRIM_400000_NS6detail17trampoline_kernelINS0_14default_configENS1_27lower_bound_config_selectorIN6thrust23THRUST_200600_302600_NS5tupleIiiNS6_9null_typeES8_S8_S8_S8_S8_S8_S8_EElEEZNS1_14transform_implILb0ES3_SA_NS6_6detail15normal_iteratorINS6_7pointerIS9_NS6_11hip_rocprim5par_tENS6_11use_defaultESH_EEEENSD_INSE_IlSG_SH_SH_EEEEZNS1_13binary_searchIS3_SA_NSD_INS6_10device_ptrIS9_EEEESJ_SL_NS1_21lower_bound_search_opENSC_16wrapped_functionINS6_6system6detail7generic6detail18binary_search_lessEbEEEE10hipError_tPvRmT1_T2_T3_mmT4_T5_P12ihipStream_tbEUlRKS9_E_EESY_S12_S13_mS14_S17_bEUlT_E_NS1_11comp_targetILNS1_3genE3ELNS1_11target_archE908ELNS1_3gpuE7ELNS1_3repE0EEENS1_30default_config_static_selectorELNS0_4arch9wavefront6targetE0EEEvS11_
                                        ; -- End function
	.set _ZN7rocprim17ROCPRIM_400000_NS6detail17trampoline_kernelINS0_14default_configENS1_27lower_bound_config_selectorIN6thrust23THRUST_200600_302600_NS5tupleIiiNS6_9null_typeES8_S8_S8_S8_S8_S8_S8_EElEEZNS1_14transform_implILb0ES3_SA_NS6_6detail15normal_iteratorINS6_7pointerIS9_NS6_11hip_rocprim5par_tENS6_11use_defaultESH_EEEENSD_INSE_IlSG_SH_SH_EEEEZNS1_13binary_searchIS3_SA_NSD_INS6_10device_ptrIS9_EEEESJ_SL_NS1_21lower_bound_search_opENSC_16wrapped_functionINS6_6system6detail7generic6detail18binary_search_lessEbEEEE10hipError_tPvRmT1_T2_T3_mmT4_T5_P12ihipStream_tbEUlRKS9_E_EESY_S12_S13_mS14_S17_bEUlT_E_NS1_11comp_targetILNS1_3genE3ELNS1_11target_archE908ELNS1_3gpuE7ELNS1_3repE0EEENS1_30default_config_static_selectorELNS0_4arch9wavefront6targetE0EEEvS11_.num_vgpr, 0
	.set _ZN7rocprim17ROCPRIM_400000_NS6detail17trampoline_kernelINS0_14default_configENS1_27lower_bound_config_selectorIN6thrust23THRUST_200600_302600_NS5tupleIiiNS6_9null_typeES8_S8_S8_S8_S8_S8_S8_EElEEZNS1_14transform_implILb0ES3_SA_NS6_6detail15normal_iteratorINS6_7pointerIS9_NS6_11hip_rocprim5par_tENS6_11use_defaultESH_EEEENSD_INSE_IlSG_SH_SH_EEEEZNS1_13binary_searchIS3_SA_NSD_INS6_10device_ptrIS9_EEEESJ_SL_NS1_21lower_bound_search_opENSC_16wrapped_functionINS6_6system6detail7generic6detail18binary_search_lessEbEEEE10hipError_tPvRmT1_T2_T3_mmT4_T5_P12ihipStream_tbEUlRKS9_E_EESY_S12_S13_mS14_S17_bEUlT_E_NS1_11comp_targetILNS1_3genE3ELNS1_11target_archE908ELNS1_3gpuE7ELNS1_3repE0EEENS1_30default_config_static_selectorELNS0_4arch9wavefront6targetE0EEEvS11_.num_agpr, 0
	.set _ZN7rocprim17ROCPRIM_400000_NS6detail17trampoline_kernelINS0_14default_configENS1_27lower_bound_config_selectorIN6thrust23THRUST_200600_302600_NS5tupleIiiNS6_9null_typeES8_S8_S8_S8_S8_S8_S8_EElEEZNS1_14transform_implILb0ES3_SA_NS6_6detail15normal_iteratorINS6_7pointerIS9_NS6_11hip_rocprim5par_tENS6_11use_defaultESH_EEEENSD_INSE_IlSG_SH_SH_EEEEZNS1_13binary_searchIS3_SA_NSD_INS6_10device_ptrIS9_EEEESJ_SL_NS1_21lower_bound_search_opENSC_16wrapped_functionINS6_6system6detail7generic6detail18binary_search_lessEbEEEE10hipError_tPvRmT1_T2_T3_mmT4_T5_P12ihipStream_tbEUlRKS9_E_EESY_S12_S13_mS14_S17_bEUlT_E_NS1_11comp_targetILNS1_3genE3ELNS1_11target_archE908ELNS1_3gpuE7ELNS1_3repE0EEENS1_30default_config_static_selectorELNS0_4arch9wavefront6targetE0EEEvS11_.numbered_sgpr, 0
	.set _ZN7rocprim17ROCPRIM_400000_NS6detail17trampoline_kernelINS0_14default_configENS1_27lower_bound_config_selectorIN6thrust23THRUST_200600_302600_NS5tupleIiiNS6_9null_typeES8_S8_S8_S8_S8_S8_S8_EElEEZNS1_14transform_implILb0ES3_SA_NS6_6detail15normal_iteratorINS6_7pointerIS9_NS6_11hip_rocprim5par_tENS6_11use_defaultESH_EEEENSD_INSE_IlSG_SH_SH_EEEEZNS1_13binary_searchIS3_SA_NSD_INS6_10device_ptrIS9_EEEESJ_SL_NS1_21lower_bound_search_opENSC_16wrapped_functionINS6_6system6detail7generic6detail18binary_search_lessEbEEEE10hipError_tPvRmT1_T2_T3_mmT4_T5_P12ihipStream_tbEUlRKS9_E_EESY_S12_S13_mS14_S17_bEUlT_E_NS1_11comp_targetILNS1_3genE3ELNS1_11target_archE908ELNS1_3gpuE7ELNS1_3repE0EEENS1_30default_config_static_selectorELNS0_4arch9wavefront6targetE0EEEvS11_.num_named_barrier, 0
	.set _ZN7rocprim17ROCPRIM_400000_NS6detail17trampoline_kernelINS0_14default_configENS1_27lower_bound_config_selectorIN6thrust23THRUST_200600_302600_NS5tupleIiiNS6_9null_typeES8_S8_S8_S8_S8_S8_S8_EElEEZNS1_14transform_implILb0ES3_SA_NS6_6detail15normal_iteratorINS6_7pointerIS9_NS6_11hip_rocprim5par_tENS6_11use_defaultESH_EEEENSD_INSE_IlSG_SH_SH_EEEEZNS1_13binary_searchIS3_SA_NSD_INS6_10device_ptrIS9_EEEESJ_SL_NS1_21lower_bound_search_opENSC_16wrapped_functionINS6_6system6detail7generic6detail18binary_search_lessEbEEEE10hipError_tPvRmT1_T2_T3_mmT4_T5_P12ihipStream_tbEUlRKS9_E_EESY_S12_S13_mS14_S17_bEUlT_E_NS1_11comp_targetILNS1_3genE3ELNS1_11target_archE908ELNS1_3gpuE7ELNS1_3repE0EEENS1_30default_config_static_selectorELNS0_4arch9wavefront6targetE0EEEvS11_.private_seg_size, 0
	.set _ZN7rocprim17ROCPRIM_400000_NS6detail17trampoline_kernelINS0_14default_configENS1_27lower_bound_config_selectorIN6thrust23THRUST_200600_302600_NS5tupleIiiNS6_9null_typeES8_S8_S8_S8_S8_S8_S8_EElEEZNS1_14transform_implILb0ES3_SA_NS6_6detail15normal_iteratorINS6_7pointerIS9_NS6_11hip_rocprim5par_tENS6_11use_defaultESH_EEEENSD_INSE_IlSG_SH_SH_EEEEZNS1_13binary_searchIS3_SA_NSD_INS6_10device_ptrIS9_EEEESJ_SL_NS1_21lower_bound_search_opENSC_16wrapped_functionINS6_6system6detail7generic6detail18binary_search_lessEbEEEE10hipError_tPvRmT1_T2_T3_mmT4_T5_P12ihipStream_tbEUlRKS9_E_EESY_S12_S13_mS14_S17_bEUlT_E_NS1_11comp_targetILNS1_3genE3ELNS1_11target_archE908ELNS1_3gpuE7ELNS1_3repE0EEENS1_30default_config_static_selectorELNS0_4arch9wavefront6targetE0EEEvS11_.uses_vcc, 0
	.set _ZN7rocprim17ROCPRIM_400000_NS6detail17trampoline_kernelINS0_14default_configENS1_27lower_bound_config_selectorIN6thrust23THRUST_200600_302600_NS5tupleIiiNS6_9null_typeES8_S8_S8_S8_S8_S8_S8_EElEEZNS1_14transform_implILb0ES3_SA_NS6_6detail15normal_iteratorINS6_7pointerIS9_NS6_11hip_rocprim5par_tENS6_11use_defaultESH_EEEENSD_INSE_IlSG_SH_SH_EEEEZNS1_13binary_searchIS3_SA_NSD_INS6_10device_ptrIS9_EEEESJ_SL_NS1_21lower_bound_search_opENSC_16wrapped_functionINS6_6system6detail7generic6detail18binary_search_lessEbEEEE10hipError_tPvRmT1_T2_T3_mmT4_T5_P12ihipStream_tbEUlRKS9_E_EESY_S12_S13_mS14_S17_bEUlT_E_NS1_11comp_targetILNS1_3genE3ELNS1_11target_archE908ELNS1_3gpuE7ELNS1_3repE0EEENS1_30default_config_static_selectorELNS0_4arch9wavefront6targetE0EEEvS11_.uses_flat_scratch, 0
	.set _ZN7rocprim17ROCPRIM_400000_NS6detail17trampoline_kernelINS0_14default_configENS1_27lower_bound_config_selectorIN6thrust23THRUST_200600_302600_NS5tupleIiiNS6_9null_typeES8_S8_S8_S8_S8_S8_S8_EElEEZNS1_14transform_implILb0ES3_SA_NS6_6detail15normal_iteratorINS6_7pointerIS9_NS6_11hip_rocprim5par_tENS6_11use_defaultESH_EEEENSD_INSE_IlSG_SH_SH_EEEEZNS1_13binary_searchIS3_SA_NSD_INS6_10device_ptrIS9_EEEESJ_SL_NS1_21lower_bound_search_opENSC_16wrapped_functionINS6_6system6detail7generic6detail18binary_search_lessEbEEEE10hipError_tPvRmT1_T2_T3_mmT4_T5_P12ihipStream_tbEUlRKS9_E_EESY_S12_S13_mS14_S17_bEUlT_E_NS1_11comp_targetILNS1_3genE3ELNS1_11target_archE908ELNS1_3gpuE7ELNS1_3repE0EEENS1_30default_config_static_selectorELNS0_4arch9wavefront6targetE0EEEvS11_.has_dyn_sized_stack, 0
	.set _ZN7rocprim17ROCPRIM_400000_NS6detail17trampoline_kernelINS0_14default_configENS1_27lower_bound_config_selectorIN6thrust23THRUST_200600_302600_NS5tupleIiiNS6_9null_typeES8_S8_S8_S8_S8_S8_S8_EElEEZNS1_14transform_implILb0ES3_SA_NS6_6detail15normal_iteratorINS6_7pointerIS9_NS6_11hip_rocprim5par_tENS6_11use_defaultESH_EEEENSD_INSE_IlSG_SH_SH_EEEEZNS1_13binary_searchIS3_SA_NSD_INS6_10device_ptrIS9_EEEESJ_SL_NS1_21lower_bound_search_opENSC_16wrapped_functionINS6_6system6detail7generic6detail18binary_search_lessEbEEEE10hipError_tPvRmT1_T2_T3_mmT4_T5_P12ihipStream_tbEUlRKS9_E_EESY_S12_S13_mS14_S17_bEUlT_E_NS1_11comp_targetILNS1_3genE3ELNS1_11target_archE908ELNS1_3gpuE7ELNS1_3repE0EEENS1_30default_config_static_selectorELNS0_4arch9wavefront6targetE0EEEvS11_.has_recursion, 0
	.set _ZN7rocprim17ROCPRIM_400000_NS6detail17trampoline_kernelINS0_14default_configENS1_27lower_bound_config_selectorIN6thrust23THRUST_200600_302600_NS5tupleIiiNS6_9null_typeES8_S8_S8_S8_S8_S8_S8_EElEEZNS1_14transform_implILb0ES3_SA_NS6_6detail15normal_iteratorINS6_7pointerIS9_NS6_11hip_rocprim5par_tENS6_11use_defaultESH_EEEENSD_INSE_IlSG_SH_SH_EEEEZNS1_13binary_searchIS3_SA_NSD_INS6_10device_ptrIS9_EEEESJ_SL_NS1_21lower_bound_search_opENSC_16wrapped_functionINS6_6system6detail7generic6detail18binary_search_lessEbEEEE10hipError_tPvRmT1_T2_T3_mmT4_T5_P12ihipStream_tbEUlRKS9_E_EESY_S12_S13_mS14_S17_bEUlT_E_NS1_11comp_targetILNS1_3genE3ELNS1_11target_archE908ELNS1_3gpuE7ELNS1_3repE0EEENS1_30default_config_static_selectorELNS0_4arch9wavefront6targetE0EEEvS11_.has_indirect_call, 0
	.section	.AMDGPU.csdata,"",@progbits
; Kernel info:
; codeLenInByte = 0
; TotalNumSgprs: 0
; NumVgprs: 0
; ScratchSize: 0
; MemoryBound: 0
; FloatMode: 240
; IeeeMode: 1
; LDSByteSize: 0 bytes/workgroup (compile time only)
; SGPRBlocks: 0
; VGPRBlocks: 0
; NumSGPRsForWavesPerEU: 1
; NumVGPRsForWavesPerEU: 1
; Occupancy: 16
; WaveLimiterHint : 0
; COMPUTE_PGM_RSRC2:SCRATCH_EN: 0
; COMPUTE_PGM_RSRC2:USER_SGPR: 6
; COMPUTE_PGM_RSRC2:TRAP_HANDLER: 0
; COMPUTE_PGM_RSRC2:TGID_X_EN: 1
; COMPUTE_PGM_RSRC2:TGID_Y_EN: 0
; COMPUTE_PGM_RSRC2:TGID_Z_EN: 0
; COMPUTE_PGM_RSRC2:TIDIG_COMP_CNT: 0
	.section	.text._ZN7rocprim17ROCPRIM_400000_NS6detail17trampoline_kernelINS0_14default_configENS1_27lower_bound_config_selectorIN6thrust23THRUST_200600_302600_NS5tupleIiiNS6_9null_typeES8_S8_S8_S8_S8_S8_S8_EElEEZNS1_14transform_implILb0ES3_SA_NS6_6detail15normal_iteratorINS6_7pointerIS9_NS6_11hip_rocprim5par_tENS6_11use_defaultESH_EEEENSD_INSE_IlSG_SH_SH_EEEEZNS1_13binary_searchIS3_SA_NSD_INS6_10device_ptrIS9_EEEESJ_SL_NS1_21lower_bound_search_opENSC_16wrapped_functionINS6_6system6detail7generic6detail18binary_search_lessEbEEEE10hipError_tPvRmT1_T2_T3_mmT4_T5_P12ihipStream_tbEUlRKS9_E_EESY_S12_S13_mS14_S17_bEUlT_E_NS1_11comp_targetILNS1_3genE2ELNS1_11target_archE906ELNS1_3gpuE6ELNS1_3repE0EEENS1_30default_config_static_selectorELNS0_4arch9wavefront6targetE0EEEvS11_,"axG",@progbits,_ZN7rocprim17ROCPRIM_400000_NS6detail17trampoline_kernelINS0_14default_configENS1_27lower_bound_config_selectorIN6thrust23THRUST_200600_302600_NS5tupleIiiNS6_9null_typeES8_S8_S8_S8_S8_S8_S8_EElEEZNS1_14transform_implILb0ES3_SA_NS6_6detail15normal_iteratorINS6_7pointerIS9_NS6_11hip_rocprim5par_tENS6_11use_defaultESH_EEEENSD_INSE_IlSG_SH_SH_EEEEZNS1_13binary_searchIS3_SA_NSD_INS6_10device_ptrIS9_EEEESJ_SL_NS1_21lower_bound_search_opENSC_16wrapped_functionINS6_6system6detail7generic6detail18binary_search_lessEbEEEE10hipError_tPvRmT1_T2_T3_mmT4_T5_P12ihipStream_tbEUlRKS9_E_EESY_S12_S13_mS14_S17_bEUlT_E_NS1_11comp_targetILNS1_3genE2ELNS1_11target_archE906ELNS1_3gpuE6ELNS1_3repE0EEENS1_30default_config_static_selectorELNS0_4arch9wavefront6targetE0EEEvS11_,comdat
	.protected	_ZN7rocprim17ROCPRIM_400000_NS6detail17trampoline_kernelINS0_14default_configENS1_27lower_bound_config_selectorIN6thrust23THRUST_200600_302600_NS5tupleIiiNS6_9null_typeES8_S8_S8_S8_S8_S8_S8_EElEEZNS1_14transform_implILb0ES3_SA_NS6_6detail15normal_iteratorINS6_7pointerIS9_NS6_11hip_rocprim5par_tENS6_11use_defaultESH_EEEENSD_INSE_IlSG_SH_SH_EEEEZNS1_13binary_searchIS3_SA_NSD_INS6_10device_ptrIS9_EEEESJ_SL_NS1_21lower_bound_search_opENSC_16wrapped_functionINS6_6system6detail7generic6detail18binary_search_lessEbEEEE10hipError_tPvRmT1_T2_T3_mmT4_T5_P12ihipStream_tbEUlRKS9_E_EESY_S12_S13_mS14_S17_bEUlT_E_NS1_11comp_targetILNS1_3genE2ELNS1_11target_archE906ELNS1_3gpuE6ELNS1_3repE0EEENS1_30default_config_static_selectorELNS0_4arch9wavefront6targetE0EEEvS11_ ; -- Begin function _ZN7rocprim17ROCPRIM_400000_NS6detail17trampoline_kernelINS0_14default_configENS1_27lower_bound_config_selectorIN6thrust23THRUST_200600_302600_NS5tupleIiiNS6_9null_typeES8_S8_S8_S8_S8_S8_S8_EElEEZNS1_14transform_implILb0ES3_SA_NS6_6detail15normal_iteratorINS6_7pointerIS9_NS6_11hip_rocprim5par_tENS6_11use_defaultESH_EEEENSD_INSE_IlSG_SH_SH_EEEEZNS1_13binary_searchIS3_SA_NSD_INS6_10device_ptrIS9_EEEESJ_SL_NS1_21lower_bound_search_opENSC_16wrapped_functionINS6_6system6detail7generic6detail18binary_search_lessEbEEEE10hipError_tPvRmT1_T2_T3_mmT4_T5_P12ihipStream_tbEUlRKS9_E_EESY_S12_S13_mS14_S17_bEUlT_E_NS1_11comp_targetILNS1_3genE2ELNS1_11target_archE906ELNS1_3gpuE6ELNS1_3repE0EEENS1_30default_config_static_selectorELNS0_4arch9wavefront6targetE0EEEvS11_
	.globl	_ZN7rocprim17ROCPRIM_400000_NS6detail17trampoline_kernelINS0_14default_configENS1_27lower_bound_config_selectorIN6thrust23THRUST_200600_302600_NS5tupleIiiNS6_9null_typeES8_S8_S8_S8_S8_S8_S8_EElEEZNS1_14transform_implILb0ES3_SA_NS6_6detail15normal_iteratorINS6_7pointerIS9_NS6_11hip_rocprim5par_tENS6_11use_defaultESH_EEEENSD_INSE_IlSG_SH_SH_EEEEZNS1_13binary_searchIS3_SA_NSD_INS6_10device_ptrIS9_EEEESJ_SL_NS1_21lower_bound_search_opENSC_16wrapped_functionINS6_6system6detail7generic6detail18binary_search_lessEbEEEE10hipError_tPvRmT1_T2_T3_mmT4_T5_P12ihipStream_tbEUlRKS9_E_EESY_S12_S13_mS14_S17_bEUlT_E_NS1_11comp_targetILNS1_3genE2ELNS1_11target_archE906ELNS1_3gpuE6ELNS1_3repE0EEENS1_30default_config_static_selectorELNS0_4arch9wavefront6targetE0EEEvS11_
	.p2align	8
	.type	_ZN7rocprim17ROCPRIM_400000_NS6detail17trampoline_kernelINS0_14default_configENS1_27lower_bound_config_selectorIN6thrust23THRUST_200600_302600_NS5tupleIiiNS6_9null_typeES8_S8_S8_S8_S8_S8_S8_EElEEZNS1_14transform_implILb0ES3_SA_NS6_6detail15normal_iteratorINS6_7pointerIS9_NS6_11hip_rocprim5par_tENS6_11use_defaultESH_EEEENSD_INSE_IlSG_SH_SH_EEEEZNS1_13binary_searchIS3_SA_NSD_INS6_10device_ptrIS9_EEEESJ_SL_NS1_21lower_bound_search_opENSC_16wrapped_functionINS6_6system6detail7generic6detail18binary_search_lessEbEEEE10hipError_tPvRmT1_T2_T3_mmT4_T5_P12ihipStream_tbEUlRKS9_E_EESY_S12_S13_mS14_S17_bEUlT_E_NS1_11comp_targetILNS1_3genE2ELNS1_11target_archE906ELNS1_3gpuE6ELNS1_3repE0EEENS1_30default_config_static_selectorELNS0_4arch9wavefront6targetE0EEEvS11_,@function
_ZN7rocprim17ROCPRIM_400000_NS6detail17trampoline_kernelINS0_14default_configENS1_27lower_bound_config_selectorIN6thrust23THRUST_200600_302600_NS5tupleIiiNS6_9null_typeES8_S8_S8_S8_S8_S8_S8_EElEEZNS1_14transform_implILb0ES3_SA_NS6_6detail15normal_iteratorINS6_7pointerIS9_NS6_11hip_rocprim5par_tENS6_11use_defaultESH_EEEENSD_INSE_IlSG_SH_SH_EEEEZNS1_13binary_searchIS3_SA_NSD_INS6_10device_ptrIS9_EEEESJ_SL_NS1_21lower_bound_search_opENSC_16wrapped_functionINS6_6system6detail7generic6detail18binary_search_lessEbEEEE10hipError_tPvRmT1_T2_T3_mmT4_T5_P12ihipStream_tbEUlRKS9_E_EESY_S12_S13_mS14_S17_bEUlT_E_NS1_11comp_targetILNS1_3genE2ELNS1_11target_archE906ELNS1_3gpuE6ELNS1_3repE0EEENS1_30default_config_static_selectorELNS0_4arch9wavefront6targetE0EEEvS11_: ; @_ZN7rocprim17ROCPRIM_400000_NS6detail17trampoline_kernelINS0_14default_configENS1_27lower_bound_config_selectorIN6thrust23THRUST_200600_302600_NS5tupleIiiNS6_9null_typeES8_S8_S8_S8_S8_S8_S8_EElEEZNS1_14transform_implILb0ES3_SA_NS6_6detail15normal_iteratorINS6_7pointerIS9_NS6_11hip_rocprim5par_tENS6_11use_defaultESH_EEEENSD_INSE_IlSG_SH_SH_EEEEZNS1_13binary_searchIS3_SA_NSD_INS6_10device_ptrIS9_EEEESJ_SL_NS1_21lower_bound_search_opENSC_16wrapped_functionINS6_6system6detail7generic6detail18binary_search_lessEbEEEE10hipError_tPvRmT1_T2_T3_mmT4_T5_P12ihipStream_tbEUlRKS9_E_EESY_S12_S13_mS14_S17_bEUlT_E_NS1_11comp_targetILNS1_3genE2ELNS1_11target_archE906ELNS1_3gpuE6ELNS1_3repE0EEENS1_30default_config_static_selectorELNS0_4arch9wavefront6targetE0EEEvS11_
; %bb.0:
	.section	.rodata,"a",@progbits
	.p2align	6, 0x0
	.amdhsa_kernel _ZN7rocprim17ROCPRIM_400000_NS6detail17trampoline_kernelINS0_14default_configENS1_27lower_bound_config_selectorIN6thrust23THRUST_200600_302600_NS5tupleIiiNS6_9null_typeES8_S8_S8_S8_S8_S8_S8_EElEEZNS1_14transform_implILb0ES3_SA_NS6_6detail15normal_iteratorINS6_7pointerIS9_NS6_11hip_rocprim5par_tENS6_11use_defaultESH_EEEENSD_INSE_IlSG_SH_SH_EEEEZNS1_13binary_searchIS3_SA_NSD_INS6_10device_ptrIS9_EEEESJ_SL_NS1_21lower_bound_search_opENSC_16wrapped_functionINS6_6system6detail7generic6detail18binary_search_lessEbEEEE10hipError_tPvRmT1_T2_T3_mmT4_T5_P12ihipStream_tbEUlRKS9_E_EESY_S12_S13_mS14_S17_bEUlT_E_NS1_11comp_targetILNS1_3genE2ELNS1_11target_archE906ELNS1_3gpuE6ELNS1_3repE0EEENS1_30default_config_static_selectorELNS0_4arch9wavefront6targetE0EEEvS11_
		.amdhsa_group_segment_fixed_size 0
		.amdhsa_private_segment_fixed_size 0
		.amdhsa_kernarg_size 56
		.amdhsa_user_sgpr_count 6
		.amdhsa_user_sgpr_private_segment_buffer 1
		.amdhsa_user_sgpr_dispatch_ptr 0
		.amdhsa_user_sgpr_queue_ptr 0
		.amdhsa_user_sgpr_kernarg_segment_ptr 1
		.amdhsa_user_sgpr_dispatch_id 0
		.amdhsa_user_sgpr_flat_scratch_init 0
		.amdhsa_user_sgpr_private_segment_size 0
		.amdhsa_wavefront_size32 1
		.amdhsa_uses_dynamic_stack 0
		.amdhsa_system_sgpr_private_segment_wavefront_offset 0
		.amdhsa_system_sgpr_workgroup_id_x 1
		.amdhsa_system_sgpr_workgroup_id_y 0
		.amdhsa_system_sgpr_workgroup_id_z 0
		.amdhsa_system_sgpr_workgroup_info 0
		.amdhsa_system_vgpr_workitem_id 0
		.amdhsa_next_free_vgpr 1
		.amdhsa_next_free_sgpr 1
		.amdhsa_reserve_vcc 0
		.amdhsa_reserve_flat_scratch 0
		.amdhsa_float_round_mode_32 0
		.amdhsa_float_round_mode_16_64 0
		.amdhsa_float_denorm_mode_32 3
		.amdhsa_float_denorm_mode_16_64 3
		.amdhsa_dx10_clamp 1
		.amdhsa_ieee_mode 1
		.amdhsa_fp16_overflow 0
		.amdhsa_workgroup_processor_mode 1
		.amdhsa_memory_ordered 1
		.amdhsa_forward_progress 1
		.amdhsa_shared_vgpr_count 0
		.amdhsa_exception_fp_ieee_invalid_op 0
		.amdhsa_exception_fp_denorm_src 0
		.amdhsa_exception_fp_ieee_div_zero 0
		.amdhsa_exception_fp_ieee_overflow 0
		.amdhsa_exception_fp_ieee_underflow 0
		.amdhsa_exception_fp_ieee_inexact 0
		.amdhsa_exception_int_div_zero 0
	.end_amdhsa_kernel
	.section	.text._ZN7rocprim17ROCPRIM_400000_NS6detail17trampoline_kernelINS0_14default_configENS1_27lower_bound_config_selectorIN6thrust23THRUST_200600_302600_NS5tupleIiiNS6_9null_typeES8_S8_S8_S8_S8_S8_S8_EElEEZNS1_14transform_implILb0ES3_SA_NS6_6detail15normal_iteratorINS6_7pointerIS9_NS6_11hip_rocprim5par_tENS6_11use_defaultESH_EEEENSD_INSE_IlSG_SH_SH_EEEEZNS1_13binary_searchIS3_SA_NSD_INS6_10device_ptrIS9_EEEESJ_SL_NS1_21lower_bound_search_opENSC_16wrapped_functionINS6_6system6detail7generic6detail18binary_search_lessEbEEEE10hipError_tPvRmT1_T2_T3_mmT4_T5_P12ihipStream_tbEUlRKS9_E_EESY_S12_S13_mS14_S17_bEUlT_E_NS1_11comp_targetILNS1_3genE2ELNS1_11target_archE906ELNS1_3gpuE6ELNS1_3repE0EEENS1_30default_config_static_selectorELNS0_4arch9wavefront6targetE0EEEvS11_,"axG",@progbits,_ZN7rocprim17ROCPRIM_400000_NS6detail17trampoline_kernelINS0_14default_configENS1_27lower_bound_config_selectorIN6thrust23THRUST_200600_302600_NS5tupleIiiNS6_9null_typeES8_S8_S8_S8_S8_S8_S8_EElEEZNS1_14transform_implILb0ES3_SA_NS6_6detail15normal_iteratorINS6_7pointerIS9_NS6_11hip_rocprim5par_tENS6_11use_defaultESH_EEEENSD_INSE_IlSG_SH_SH_EEEEZNS1_13binary_searchIS3_SA_NSD_INS6_10device_ptrIS9_EEEESJ_SL_NS1_21lower_bound_search_opENSC_16wrapped_functionINS6_6system6detail7generic6detail18binary_search_lessEbEEEE10hipError_tPvRmT1_T2_T3_mmT4_T5_P12ihipStream_tbEUlRKS9_E_EESY_S12_S13_mS14_S17_bEUlT_E_NS1_11comp_targetILNS1_3genE2ELNS1_11target_archE906ELNS1_3gpuE6ELNS1_3repE0EEENS1_30default_config_static_selectorELNS0_4arch9wavefront6targetE0EEEvS11_,comdat
.Lfunc_end435:
	.size	_ZN7rocprim17ROCPRIM_400000_NS6detail17trampoline_kernelINS0_14default_configENS1_27lower_bound_config_selectorIN6thrust23THRUST_200600_302600_NS5tupleIiiNS6_9null_typeES8_S8_S8_S8_S8_S8_S8_EElEEZNS1_14transform_implILb0ES3_SA_NS6_6detail15normal_iteratorINS6_7pointerIS9_NS6_11hip_rocprim5par_tENS6_11use_defaultESH_EEEENSD_INSE_IlSG_SH_SH_EEEEZNS1_13binary_searchIS3_SA_NSD_INS6_10device_ptrIS9_EEEESJ_SL_NS1_21lower_bound_search_opENSC_16wrapped_functionINS6_6system6detail7generic6detail18binary_search_lessEbEEEE10hipError_tPvRmT1_T2_T3_mmT4_T5_P12ihipStream_tbEUlRKS9_E_EESY_S12_S13_mS14_S17_bEUlT_E_NS1_11comp_targetILNS1_3genE2ELNS1_11target_archE906ELNS1_3gpuE6ELNS1_3repE0EEENS1_30default_config_static_selectorELNS0_4arch9wavefront6targetE0EEEvS11_, .Lfunc_end435-_ZN7rocprim17ROCPRIM_400000_NS6detail17trampoline_kernelINS0_14default_configENS1_27lower_bound_config_selectorIN6thrust23THRUST_200600_302600_NS5tupleIiiNS6_9null_typeES8_S8_S8_S8_S8_S8_S8_EElEEZNS1_14transform_implILb0ES3_SA_NS6_6detail15normal_iteratorINS6_7pointerIS9_NS6_11hip_rocprim5par_tENS6_11use_defaultESH_EEEENSD_INSE_IlSG_SH_SH_EEEEZNS1_13binary_searchIS3_SA_NSD_INS6_10device_ptrIS9_EEEESJ_SL_NS1_21lower_bound_search_opENSC_16wrapped_functionINS6_6system6detail7generic6detail18binary_search_lessEbEEEE10hipError_tPvRmT1_T2_T3_mmT4_T5_P12ihipStream_tbEUlRKS9_E_EESY_S12_S13_mS14_S17_bEUlT_E_NS1_11comp_targetILNS1_3genE2ELNS1_11target_archE906ELNS1_3gpuE6ELNS1_3repE0EEENS1_30default_config_static_selectorELNS0_4arch9wavefront6targetE0EEEvS11_
                                        ; -- End function
	.set _ZN7rocprim17ROCPRIM_400000_NS6detail17trampoline_kernelINS0_14default_configENS1_27lower_bound_config_selectorIN6thrust23THRUST_200600_302600_NS5tupleIiiNS6_9null_typeES8_S8_S8_S8_S8_S8_S8_EElEEZNS1_14transform_implILb0ES3_SA_NS6_6detail15normal_iteratorINS6_7pointerIS9_NS6_11hip_rocprim5par_tENS6_11use_defaultESH_EEEENSD_INSE_IlSG_SH_SH_EEEEZNS1_13binary_searchIS3_SA_NSD_INS6_10device_ptrIS9_EEEESJ_SL_NS1_21lower_bound_search_opENSC_16wrapped_functionINS6_6system6detail7generic6detail18binary_search_lessEbEEEE10hipError_tPvRmT1_T2_T3_mmT4_T5_P12ihipStream_tbEUlRKS9_E_EESY_S12_S13_mS14_S17_bEUlT_E_NS1_11comp_targetILNS1_3genE2ELNS1_11target_archE906ELNS1_3gpuE6ELNS1_3repE0EEENS1_30default_config_static_selectorELNS0_4arch9wavefront6targetE0EEEvS11_.num_vgpr, 0
	.set _ZN7rocprim17ROCPRIM_400000_NS6detail17trampoline_kernelINS0_14default_configENS1_27lower_bound_config_selectorIN6thrust23THRUST_200600_302600_NS5tupleIiiNS6_9null_typeES8_S8_S8_S8_S8_S8_S8_EElEEZNS1_14transform_implILb0ES3_SA_NS6_6detail15normal_iteratorINS6_7pointerIS9_NS6_11hip_rocprim5par_tENS6_11use_defaultESH_EEEENSD_INSE_IlSG_SH_SH_EEEEZNS1_13binary_searchIS3_SA_NSD_INS6_10device_ptrIS9_EEEESJ_SL_NS1_21lower_bound_search_opENSC_16wrapped_functionINS6_6system6detail7generic6detail18binary_search_lessEbEEEE10hipError_tPvRmT1_T2_T3_mmT4_T5_P12ihipStream_tbEUlRKS9_E_EESY_S12_S13_mS14_S17_bEUlT_E_NS1_11comp_targetILNS1_3genE2ELNS1_11target_archE906ELNS1_3gpuE6ELNS1_3repE0EEENS1_30default_config_static_selectorELNS0_4arch9wavefront6targetE0EEEvS11_.num_agpr, 0
	.set _ZN7rocprim17ROCPRIM_400000_NS6detail17trampoline_kernelINS0_14default_configENS1_27lower_bound_config_selectorIN6thrust23THRUST_200600_302600_NS5tupleIiiNS6_9null_typeES8_S8_S8_S8_S8_S8_S8_EElEEZNS1_14transform_implILb0ES3_SA_NS6_6detail15normal_iteratorINS6_7pointerIS9_NS6_11hip_rocprim5par_tENS6_11use_defaultESH_EEEENSD_INSE_IlSG_SH_SH_EEEEZNS1_13binary_searchIS3_SA_NSD_INS6_10device_ptrIS9_EEEESJ_SL_NS1_21lower_bound_search_opENSC_16wrapped_functionINS6_6system6detail7generic6detail18binary_search_lessEbEEEE10hipError_tPvRmT1_T2_T3_mmT4_T5_P12ihipStream_tbEUlRKS9_E_EESY_S12_S13_mS14_S17_bEUlT_E_NS1_11comp_targetILNS1_3genE2ELNS1_11target_archE906ELNS1_3gpuE6ELNS1_3repE0EEENS1_30default_config_static_selectorELNS0_4arch9wavefront6targetE0EEEvS11_.numbered_sgpr, 0
	.set _ZN7rocprim17ROCPRIM_400000_NS6detail17trampoline_kernelINS0_14default_configENS1_27lower_bound_config_selectorIN6thrust23THRUST_200600_302600_NS5tupleIiiNS6_9null_typeES8_S8_S8_S8_S8_S8_S8_EElEEZNS1_14transform_implILb0ES3_SA_NS6_6detail15normal_iteratorINS6_7pointerIS9_NS6_11hip_rocprim5par_tENS6_11use_defaultESH_EEEENSD_INSE_IlSG_SH_SH_EEEEZNS1_13binary_searchIS3_SA_NSD_INS6_10device_ptrIS9_EEEESJ_SL_NS1_21lower_bound_search_opENSC_16wrapped_functionINS6_6system6detail7generic6detail18binary_search_lessEbEEEE10hipError_tPvRmT1_T2_T3_mmT4_T5_P12ihipStream_tbEUlRKS9_E_EESY_S12_S13_mS14_S17_bEUlT_E_NS1_11comp_targetILNS1_3genE2ELNS1_11target_archE906ELNS1_3gpuE6ELNS1_3repE0EEENS1_30default_config_static_selectorELNS0_4arch9wavefront6targetE0EEEvS11_.num_named_barrier, 0
	.set _ZN7rocprim17ROCPRIM_400000_NS6detail17trampoline_kernelINS0_14default_configENS1_27lower_bound_config_selectorIN6thrust23THRUST_200600_302600_NS5tupleIiiNS6_9null_typeES8_S8_S8_S8_S8_S8_S8_EElEEZNS1_14transform_implILb0ES3_SA_NS6_6detail15normal_iteratorINS6_7pointerIS9_NS6_11hip_rocprim5par_tENS6_11use_defaultESH_EEEENSD_INSE_IlSG_SH_SH_EEEEZNS1_13binary_searchIS3_SA_NSD_INS6_10device_ptrIS9_EEEESJ_SL_NS1_21lower_bound_search_opENSC_16wrapped_functionINS6_6system6detail7generic6detail18binary_search_lessEbEEEE10hipError_tPvRmT1_T2_T3_mmT4_T5_P12ihipStream_tbEUlRKS9_E_EESY_S12_S13_mS14_S17_bEUlT_E_NS1_11comp_targetILNS1_3genE2ELNS1_11target_archE906ELNS1_3gpuE6ELNS1_3repE0EEENS1_30default_config_static_selectorELNS0_4arch9wavefront6targetE0EEEvS11_.private_seg_size, 0
	.set _ZN7rocprim17ROCPRIM_400000_NS6detail17trampoline_kernelINS0_14default_configENS1_27lower_bound_config_selectorIN6thrust23THRUST_200600_302600_NS5tupleIiiNS6_9null_typeES8_S8_S8_S8_S8_S8_S8_EElEEZNS1_14transform_implILb0ES3_SA_NS6_6detail15normal_iteratorINS6_7pointerIS9_NS6_11hip_rocprim5par_tENS6_11use_defaultESH_EEEENSD_INSE_IlSG_SH_SH_EEEEZNS1_13binary_searchIS3_SA_NSD_INS6_10device_ptrIS9_EEEESJ_SL_NS1_21lower_bound_search_opENSC_16wrapped_functionINS6_6system6detail7generic6detail18binary_search_lessEbEEEE10hipError_tPvRmT1_T2_T3_mmT4_T5_P12ihipStream_tbEUlRKS9_E_EESY_S12_S13_mS14_S17_bEUlT_E_NS1_11comp_targetILNS1_3genE2ELNS1_11target_archE906ELNS1_3gpuE6ELNS1_3repE0EEENS1_30default_config_static_selectorELNS0_4arch9wavefront6targetE0EEEvS11_.uses_vcc, 0
	.set _ZN7rocprim17ROCPRIM_400000_NS6detail17trampoline_kernelINS0_14default_configENS1_27lower_bound_config_selectorIN6thrust23THRUST_200600_302600_NS5tupleIiiNS6_9null_typeES8_S8_S8_S8_S8_S8_S8_EElEEZNS1_14transform_implILb0ES3_SA_NS6_6detail15normal_iteratorINS6_7pointerIS9_NS6_11hip_rocprim5par_tENS6_11use_defaultESH_EEEENSD_INSE_IlSG_SH_SH_EEEEZNS1_13binary_searchIS3_SA_NSD_INS6_10device_ptrIS9_EEEESJ_SL_NS1_21lower_bound_search_opENSC_16wrapped_functionINS6_6system6detail7generic6detail18binary_search_lessEbEEEE10hipError_tPvRmT1_T2_T3_mmT4_T5_P12ihipStream_tbEUlRKS9_E_EESY_S12_S13_mS14_S17_bEUlT_E_NS1_11comp_targetILNS1_3genE2ELNS1_11target_archE906ELNS1_3gpuE6ELNS1_3repE0EEENS1_30default_config_static_selectorELNS0_4arch9wavefront6targetE0EEEvS11_.uses_flat_scratch, 0
	.set _ZN7rocprim17ROCPRIM_400000_NS6detail17trampoline_kernelINS0_14default_configENS1_27lower_bound_config_selectorIN6thrust23THRUST_200600_302600_NS5tupleIiiNS6_9null_typeES8_S8_S8_S8_S8_S8_S8_EElEEZNS1_14transform_implILb0ES3_SA_NS6_6detail15normal_iteratorINS6_7pointerIS9_NS6_11hip_rocprim5par_tENS6_11use_defaultESH_EEEENSD_INSE_IlSG_SH_SH_EEEEZNS1_13binary_searchIS3_SA_NSD_INS6_10device_ptrIS9_EEEESJ_SL_NS1_21lower_bound_search_opENSC_16wrapped_functionINS6_6system6detail7generic6detail18binary_search_lessEbEEEE10hipError_tPvRmT1_T2_T3_mmT4_T5_P12ihipStream_tbEUlRKS9_E_EESY_S12_S13_mS14_S17_bEUlT_E_NS1_11comp_targetILNS1_3genE2ELNS1_11target_archE906ELNS1_3gpuE6ELNS1_3repE0EEENS1_30default_config_static_selectorELNS0_4arch9wavefront6targetE0EEEvS11_.has_dyn_sized_stack, 0
	.set _ZN7rocprim17ROCPRIM_400000_NS6detail17trampoline_kernelINS0_14default_configENS1_27lower_bound_config_selectorIN6thrust23THRUST_200600_302600_NS5tupleIiiNS6_9null_typeES8_S8_S8_S8_S8_S8_S8_EElEEZNS1_14transform_implILb0ES3_SA_NS6_6detail15normal_iteratorINS6_7pointerIS9_NS6_11hip_rocprim5par_tENS6_11use_defaultESH_EEEENSD_INSE_IlSG_SH_SH_EEEEZNS1_13binary_searchIS3_SA_NSD_INS6_10device_ptrIS9_EEEESJ_SL_NS1_21lower_bound_search_opENSC_16wrapped_functionINS6_6system6detail7generic6detail18binary_search_lessEbEEEE10hipError_tPvRmT1_T2_T3_mmT4_T5_P12ihipStream_tbEUlRKS9_E_EESY_S12_S13_mS14_S17_bEUlT_E_NS1_11comp_targetILNS1_3genE2ELNS1_11target_archE906ELNS1_3gpuE6ELNS1_3repE0EEENS1_30default_config_static_selectorELNS0_4arch9wavefront6targetE0EEEvS11_.has_recursion, 0
	.set _ZN7rocprim17ROCPRIM_400000_NS6detail17trampoline_kernelINS0_14default_configENS1_27lower_bound_config_selectorIN6thrust23THRUST_200600_302600_NS5tupleIiiNS6_9null_typeES8_S8_S8_S8_S8_S8_S8_EElEEZNS1_14transform_implILb0ES3_SA_NS6_6detail15normal_iteratorINS6_7pointerIS9_NS6_11hip_rocprim5par_tENS6_11use_defaultESH_EEEENSD_INSE_IlSG_SH_SH_EEEEZNS1_13binary_searchIS3_SA_NSD_INS6_10device_ptrIS9_EEEESJ_SL_NS1_21lower_bound_search_opENSC_16wrapped_functionINS6_6system6detail7generic6detail18binary_search_lessEbEEEE10hipError_tPvRmT1_T2_T3_mmT4_T5_P12ihipStream_tbEUlRKS9_E_EESY_S12_S13_mS14_S17_bEUlT_E_NS1_11comp_targetILNS1_3genE2ELNS1_11target_archE906ELNS1_3gpuE6ELNS1_3repE0EEENS1_30default_config_static_selectorELNS0_4arch9wavefront6targetE0EEEvS11_.has_indirect_call, 0
	.section	.AMDGPU.csdata,"",@progbits
; Kernel info:
; codeLenInByte = 0
; TotalNumSgprs: 0
; NumVgprs: 0
; ScratchSize: 0
; MemoryBound: 0
; FloatMode: 240
; IeeeMode: 1
; LDSByteSize: 0 bytes/workgroup (compile time only)
; SGPRBlocks: 0
; VGPRBlocks: 0
; NumSGPRsForWavesPerEU: 1
; NumVGPRsForWavesPerEU: 1
; Occupancy: 16
; WaveLimiterHint : 0
; COMPUTE_PGM_RSRC2:SCRATCH_EN: 0
; COMPUTE_PGM_RSRC2:USER_SGPR: 6
; COMPUTE_PGM_RSRC2:TRAP_HANDLER: 0
; COMPUTE_PGM_RSRC2:TGID_X_EN: 1
; COMPUTE_PGM_RSRC2:TGID_Y_EN: 0
; COMPUTE_PGM_RSRC2:TGID_Z_EN: 0
; COMPUTE_PGM_RSRC2:TIDIG_COMP_CNT: 0
	.section	.text._ZN7rocprim17ROCPRIM_400000_NS6detail17trampoline_kernelINS0_14default_configENS1_27lower_bound_config_selectorIN6thrust23THRUST_200600_302600_NS5tupleIiiNS6_9null_typeES8_S8_S8_S8_S8_S8_S8_EElEEZNS1_14transform_implILb0ES3_SA_NS6_6detail15normal_iteratorINS6_7pointerIS9_NS6_11hip_rocprim5par_tENS6_11use_defaultESH_EEEENSD_INSE_IlSG_SH_SH_EEEEZNS1_13binary_searchIS3_SA_NSD_INS6_10device_ptrIS9_EEEESJ_SL_NS1_21lower_bound_search_opENSC_16wrapped_functionINS6_6system6detail7generic6detail18binary_search_lessEbEEEE10hipError_tPvRmT1_T2_T3_mmT4_T5_P12ihipStream_tbEUlRKS9_E_EESY_S12_S13_mS14_S17_bEUlT_E_NS1_11comp_targetILNS1_3genE10ELNS1_11target_archE1201ELNS1_3gpuE5ELNS1_3repE0EEENS1_30default_config_static_selectorELNS0_4arch9wavefront6targetE0EEEvS11_,"axG",@progbits,_ZN7rocprim17ROCPRIM_400000_NS6detail17trampoline_kernelINS0_14default_configENS1_27lower_bound_config_selectorIN6thrust23THRUST_200600_302600_NS5tupleIiiNS6_9null_typeES8_S8_S8_S8_S8_S8_S8_EElEEZNS1_14transform_implILb0ES3_SA_NS6_6detail15normal_iteratorINS6_7pointerIS9_NS6_11hip_rocprim5par_tENS6_11use_defaultESH_EEEENSD_INSE_IlSG_SH_SH_EEEEZNS1_13binary_searchIS3_SA_NSD_INS6_10device_ptrIS9_EEEESJ_SL_NS1_21lower_bound_search_opENSC_16wrapped_functionINS6_6system6detail7generic6detail18binary_search_lessEbEEEE10hipError_tPvRmT1_T2_T3_mmT4_T5_P12ihipStream_tbEUlRKS9_E_EESY_S12_S13_mS14_S17_bEUlT_E_NS1_11comp_targetILNS1_3genE10ELNS1_11target_archE1201ELNS1_3gpuE5ELNS1_3repE0EEENS1_30default_config_static_selectorELNS0_4arch9wavefront6targetE0EEEvS11_,comdat
	.protected	_ZN7rocprim17ROCPRIM_400000_NS6detail17trampoline_kernelINS0_14default_configENS1_27lower_bound_config_selectorIN6thrust23THRUST_200600_302600_NS5tupleIiiNS6_9null_typeES8_S8_S8_S8_S8_S8_S8_EElEEZNS1_14transform_implILb0ES3_SA_NS6_6detail15normal_iteratorINS6_7pointerIS9_NS6_11hip_rocprim5par_tENS6_11use_defaultESH_EEEENSD_INSE_IlSG_SH_SH_EEEEZNS1_13binary_searchIS3_SA_NSD_INS6_10device_ptrIS9_EEEESJ_SL_NS1_21lower_bound_search_opENSC_16wrapped_functionINS6_6system6detail7generic6detail18binary_search_lessEbEEEE10hipError_tPvRmT1_T2_T3_mmT4_T5_P12ihipStream_tbEUlRKS9_E_EESY_S12_S13_mS14_S17_bEUlT_E_NS1_11comp_targetILNS1_3genE10ELNS1_11target_archE1201ELNS1_3gpuE5ELNS1_3repE0EEENS1_30default_config_static_selectorELNS0_4arch9wavefront6targetE0EEEvS11_ ; -- Begin function _ZN7rocprim17ROCPRIM_400000_NS6detail17trampoline_kernelINS0_14default_configENS1_27lower_bound_config_selectorIN6thrust23THRUST_200600_302600_NS5tupleIiiNS6_9null_typeES8_S8_S8_S8_S8_S8_S8_EElEEZNS1_14transform_implILb0ES3_SA_NS6_6detail15normal_iteratorINS6_7pointerIS9_NS6_11hip_rocprim5par_tENS6_11use_defaultESH_EEEENSD_INSE_IlSG_SH_SH_EEEEZNS1_13binary_searchIS3_SA_NSD_INS6_10device_ptrIS9_EEEESJ_SL_NS1_21lower_bound_search_opENSC_16wrapped_functionINS6_6system6detail7generic6detail18binary_search_lessEbEEEE10hipError_tPvRmT1_T2_T3_mmT4_T5_P12ihipStream_tbEUlRKS9_E_EESY_S12_S13_mS14_S17_bEUlT_E_NS1_11comp_targetILNS1_3genE10ELNS1_11target_archE1201ELNS1_3gpuE5ELNS1_3repE0EEENS1_30default_config_static_selectorELNS0_4arch9wavefront6targetE0EEEvS11_
	.globl	_ZN7rocprim17ROCPRIM_400000_NS6detail17trampoline_kernelINS0_14default_configENS1_27lower_bound_config_selectorIN6thrust23THRUST_200600_302600_NS5tupleIiiNS6_9null_typeES8_S8_S8_S8_S8_S8_S8_EElEEZNS1_14transform_implILb0ES3_SA_NS6_6detail15normal_iteratorINS6_7pointerIS9_NS6_11hip_rocprim5par_tENS6_11use_defaultESH_EEEENSD_INSE_IlSG_SH_SH_EEEEZNS1_13binary_searchIS3_SA_NSD_INS6_10device_ptrIS9_EEEESJ_SL_NS1_21lower_bound_search_opENSC_16wrapped_functionINS6_6system6detail7generic6detail18binary_search_lessEbEEEE10hipError_tPvRmT1_T2_T3_mmT4_T5_P12ihipStream_tbEUlRKS9_E_EESY_S12_S13_mS14_S17_bEUlT_E_NS1_11comp_targetILNS1_3genE10ELNS1_11target_archE1201ELNS1_3gpuE5ELNS1_3repE0EEENS1_30default_config_static_selectorELNS0_4arch9wavefront6targetE0EEEvS11_
	.p2align	8
	.type	_ZN7rocprim17ROCPRIM_400000_NS6detail17trampoline_kernelINS0_14default_configENS1_27lower_bound_config_selectorIN6thrust23THRUST_200600_302600_NS5tupleIiiNS6_9null_typeES8_S8_S8_S8_S8_S8_S8_EElEEZNS1_14transform_implILb0ES3_SA_NS6_6detail15normal_iteratorINS6_7pointerIS9_NS6_11hip_rocprim5par_tENS6_11use_defaultESH_EEEENSD_INSE_IlSG_SH_SH_EEEEZNS1_13binary_searchIS3_SA_NSD_INS6_10device_ptrIS9_EEEESJ_SL_NS1_21lower_bound_search_opENSC_16wrapped_functionINS6_6system6detail7generic6detail18binary_search_lessEbEEEE10hipError_tPvRmT1_T2_T3_mmT4_T5_P12ihipStream_tbEUlRKS9_E_EESY_S12_S13_mS14_S17_bEUlT_E_NS1_11comp_targetILNS1_3genE10ELNS1_11target_archE1201ELNS1_3gpuE5ELNS1_3repE0EEENS1_30default_config_static_selectorELNS0_4arch9wavefront6targetE0EEEvS11_,@function
_ZN7rocprim17ROCPRIM_400000_NS6detail17trampoline_kernelINS0_14default_configENS1_27lower_bound_config_selectorIN6thrust23THRUST_200600_302600_NS5tupleIiiNS6_9null_typeES8_S8_S8_S8_S8_S8_S8_EElEEZNS1_14transform_implILb0ES3_SA_NS6_6detail15normal_iteratorINS6_7pointerIS9_NS6_11hip_rocprim5par_tENS6_11use_defaultESH_EEEENSD_INSE_IlSG_SH_SH_EEEEZNS1_13binary_searchIS3_SA_NSD_INS6_10device_ptrIS9_EEEESJ_SL_NS1_21lower_bound_search_opENSC_16wrapped_functionINS6_6system6detail7generic6detail18binary_search_lessEbEEEE10hipError_tPvRmT1_T2_T3_mmT4_T5_P12ihipStream_tbEUlRKS9_E_EESY_S12_S13_mS14_S17_bEUlT_E_NS1_11comp_targetILNS1_3genE10ELNS1_11target_archE1201ELNS1_3gpuE5ELNS1_3repE0EEENS1_30default_config_static_selectorELNS0_4arch9wavefront6targetE0EEEvS11_: ; @_ZN7rocprim17ROCPRIM_400000_NS6detail17trampoline_kernelINS0_14default_configENS1_27lower_bound_config_selectorIN6thrust23THRUST_200600_302600_NS5tupleIiiNS6_9null_typeES8_S8_S8_S8_S8_S8_S8_EElEEZNS1_14transform_implILb0ES3_SA_NS6_6detail15normal_iteratorINS6_7pointerIS9_NS6_11hip_rocprim5par_tENS6_11use_defaultESH_EEEENSD_INSE_IlSG_SH_SH_EEEEZNS1_13binary_searchIS3_SA_NSD_INS6_10device_ptrIS9_EEEESJ_SL_NS1_21lower_bound_search_opENSC_16wrapped_functionINS6_6system6detail7generic6detail18binary_search_lessEbEEEE10hipError_tPvRmT1_T2_T3_mmT4_T5_P12ihipStream_tbEUlRKS9_E_EESY_S12_S13_mS14_S17_bEUlT_E_NS1_11comp_targetILNS1_3genE10ELNS1_11target_archE1201ELNS1_3gpuE5ELNS1_3repE0EEENS1_30default_config_static_selectorELNS0_4arch9wavefront6targetE0EEEvS11_
; %bb.0:
	.section	.rodata,"a",@progbits
	.p2align	6, 0x0
	.amdhsa_kernel _ZN7rocprim17ROCPRIM_400000_NS6detail17trampoline_kernelINS0_14default_configENS1_27lower_bound_config_selectorIN6thrust23THRUST_200600_302600_NS5tupleIiiNS6_9null_typeES8_S8_S8_S8_S8_S8_S8_EElEEZNS1_14transform_implILb0ES3_SA_NS6_6detail15normal_iteratorINS6_7pointerIS9_NS6_11hip_rocprim5par_tENS6_11use_defaultESH_EEEENSD_INSE_IlSG_SH_SH_EEEEZNS1_13binary_searchIS3_SA_NSD_INS6_10device_ptrIS9_EEEESJ_SL_NS1_21lower_bound_search_opENSC_16wrapped_functionINS6_6system6detail7generic6detail18binary_search_lessEbEEEE10hipError_tPvRmT1_T2_T3_mmT4_T5_P12ihipStream_tbEUlRKS9_E_EESY_S12_S13_mS14_S17_bEUlT_E_NS1_11comp_targetILNS1_3genE10ELNS1_11target_archE1201ELNS1_3gpuE5ELNS1_3repE0EEENS1_30default_config_static_selectorELNS0_4arch9wavefront6targetE0EEEvS11_
		.amdhsa_group_segment_fixed_size 0
		.amdhsa_private_segment_fixed_size 0
		.amdhsa_kernarg_size 56
		.amdhsa_user_sgpr_count 6
		.amdhsa_user_sgpr_private_segment_buffer 1
		.amdhsa_user_sgpr_dispatch_ptr 0
		.amdhsa_user_sgpr_queue_ptr 0
		.amdhsa_user_sgpr_kernarg_segment_ptr 1
		.amdhsa_user_sgpr_dispatch_id 0
		.amdhsa_user_sgpr_flat_scratch_init 0
		.amdhsa_user_sgpr_private_segment_size 0
		.amdhsa_wavefront_size32 1
		.amdhsa_uses_dynamic_stack 0
		.amdhsa_system_sgpr_private_segment_wavefront_offset 0
		.amdhsa_system_sgpr_workgroup_id_x 1
		.amdhsa_system_sgpr_workgroup_id_y 0
		.amdhsa_system_sgpr_workgroup_id_z 0
		.amdhsa_system_sgpr_workgroup_info 0
		.amdhsa_system_vgpr_workitem_id 0
		.amdhsa_next_free_vgpr 1
		.amdhsa_next_free_sgpr 1
		.amdhsa_reserve_vcc 0
		.amdhsa_reserve_flat_scratch 0
		.amdhsa_float_round_mode_32 0
		.amdhsa_float_round_mode_16_64 0
		.amdhsa_float_denorm_mode_32 3
		.amdhsa_float_denorm_mode_16_64 3
		.amdhsa_dx10_clamp 1
		.amdhsa_ieee_mode 1
		.amdhsa_fp16_overflow 0
		.amdhsa_workgroup_processor_mode 1
		.amdhsa_memory_ordered 1
		.amdhsa_forward_progress 1
		.amdhsa_shared_vgpr_count 0
		.amdhsa_exception_fp_ieee_invalid_op 0
		.amdhsa_exception_fp_denorm_src 0
		.amdhsa_exception_fp_ieee_div_zero 0
		.amdhsa_exception_fp_ieee_overflow 0
		.amdhsa_exception_fp_ieee_underflow 0
		.amdhsa_exception_fp_ieee_inexact 0
		.amdhsa_exception_int_div_zero 0
	.end_amdhsa_kernel
	.section	.text._ZN7rocprim17ROCPRIM_400000_NS6detail17trampoline_kernelINS0_14default_configENS1_27lower_bound_config_selectorIN6thrust23THRUST_200600_302600_NS5tupleIiiNS6_9null_typeES8_S8_S8_S8_S8_S8_S8_EElEEZNS1_14transform_implILb0ES3_SA_NS6_6detail15normal_iteratorINS6_7pointerIS9_NS6_11hip_rocprim5par_tENS6_11use_defaultESH_EEEENSD_INSE_IlSG_SH_SH_EEEEZNS1_13binary_searchIS3_SA_NSD_INS6_10device_ptrIS9_EEEESJ_SL_NS1_21lower_bound_search_opENSC_16wrapped_functionINS6_6system6detail7generic6detail18binary_search_lessEbEEEE10hipError_tPvRmT1_T2_T3_mmT4_T5_P12ihipStream_tbEUlRKS9_E_EESY_S12_S13_mS14_S17_bEUlT_E_NS1_11comp_targetILNS1_3genE10ELNS1_11target_archE1201ELNS1_3gpuE5ELNS1_3repE0EEENS1_30default_config_static_selectorELNS0_4arch9wavefront6targetE0EEEvS11_,"axG",@progbits,_ZN7rocprim17ROCPRIM_400000_NS6detail17trampoline_kernelINS0_14default_configENS1_27lower_bound_config_selectorIN6thrust23THRUST_200600_302600_NS5tupleIiiNS6_9null_typeES8_S8_S8_S8_S8_S8_S8_EElEEZNS1_14transform_implILb0ES3_SA_NS6_6detail15normal_iteratorINS6_7pointerIS9_NS6_11hip_rocprim5par_tENS6_11use_defaultESH_EEEENSD_INSE_IlSG_SH_SH_EEEEZNS1_13binary_searchIS3_SA_NSD_INS6_10device_ptrIS9_EEEESJ_SL_NS1_21lower_bound_search_opENSC_16wrapped_functionINS6_6system6detail7generic6detail18binary_search_lessEbEEEE10hipError_tPvRmT1_T2_T3_mmT4_T5_P12ihipStream_tbEUlRKS9_E_EESY_S12_S13_mS14_S17_bEUlT_E_NS1_11comp_targetILNS1_3genE10ELNS1_11target_archE1201ELNS1_3gpuE5ELNS1_3repE0EEENS1_30default_config_static_selectorELNS0_4arch9wavefront6targetE0EEEvS11_,comdat
.Lfunc_end436:
	.size	_ZN7rocprim17ROCPRIM_400000_NS6detail17trampoline_kernelINS0_14default_configENS1_27lower_bound_config_selectorIN6thrust23THRUST_200600_302600_NS5tupleIiiNS6_9null_typeES8_S8_S8_S8_S8_S8_S8_EElEEZNS1_14transform_implILb0ES3_SA_NS6_6detail15normal_iteratorINS6_7pointerIS9_NS6_11hip_rocprim5par_tENS6_11use_defaultESH_EEEENSD_INSE_IlSG_SH_SH_EEEEZNS1_13binary_searchIS3_SA_NSD_INS6_10device_ptrIS9_EEEESJ_SL_NS1_21lower_bound_search_opENSC_16wrapped_functionINS6_6system6detail7generic6detail18binary_search_lessEbEEEE10hipError_tPvRmT1_T2_T3_mmT4_T5_P12ihipStream_tbEUlRKS9_E_EESY_S12_S13_mS14_S17_bEUlT_E_NS1_11comp_targetILNS1_3genE10ELNS1_11target_archE1201ELNS1_3gpuE5ELNS1_3repE0EEENS1_30default_config_static_selectorELNS0_4arch9wavefront6targetE0EEEvS11_, .Lfunc_end436-_ZN7rocprim17ROCPRIM_400000_NS6detail17trampoline_kernelINS0_14default_configENS1_27lower_bound_config_selectorIN6thrust23THRUST_200600_302600_NS5tupleIiiNS6_9null_typeES8_S8_S8_S8_S8_S8_S8_EElEEZNS1_14transform_implILb0ES3_SA_NS6_6detail15normal_iteratorINS6_7pointerIS9_NS6_11hip_rocprim5par_tENS6_11use_defaultESH_EEEENSD_INSE_IlSG_SH_SH_EEEEZNS1_13binary_searchIS3_SA_NSD_INS6_10device_ptrIS9_EEEESJ_SL_NS1_21lower_bound_search_opENSC_16wrapped_functionINS6_6system6detail7generic6detail18binary_search_lessEbEEEE10hipError_tPvRmT1_T2_T3_mmT4_T5_P12ihipStream_tbEUlRKS9_E_EESY_S12_S13_mS14_S17_bEUlT_E_NS1_11comp_targetILNS1_3genE10ELNS1_11target_archE1201ELNS1_3gpuE5ELNS1_3repE0EEENS1_30default_config_static_selectorELNS0_4arch9wavefront6targetE0EEEvS11_
                                        ; -- End function
	.set _ZN7rocprim17ROCPRIM_400000_NS6detail17trampoline_kernelINS0_14default_configENS1_27lower_bound_config_selectorIN6thrust23THRUST_200600_302600_NS5tupleIiiNS6_9null_typeES8_S8_S8_S8_S8_S8_S8_EElEEZNS1_14transform_implILb0ES3_SA_NS6_6detail15normal_iteratorINS6_7pointerIS9_NS6_11hip_rocprim5par_tENS6_11use_defaultESH_EEEENSD_INSE_IlSG_SH_SH_EEEEZNS1_13binary_searchIS3_SA_NSD_INS6_10device_ptrIS9_EEEESJ_SL_NS1_21lower_bound_search_opENSC_16wrapped_functionINS6_6system6detail7generic6detail18binary_search_lessEbEEEE10hipError_tPvRmT1_T2_T3_mmT4_T5_P12ihipStream_tbEUlRKS9_E_EESY_S12_S13_mS14_S17_bEUlT_E_NS1_11comp_targetILNS1_3genE10ELNS1_11target_archE1201ELNS1_3gpuE5ELNS1_3repE0EEENS1_30default_config_static_selectorELNS0_4arch9wavefront6targetE0EEEvS11_.num_vgpr, 0
	.set _ZN7rocprim17ROCPRIM_400000_NS6detail17trampoline_kernelINS0_14default_configENS1_27lower_bound_config_selectorIN6thrust23THRUST_200600_302600_NS5tupleIiiNS6_9null_typeES8_S8_S8_S8_S8_S8_S8_EElEEZNS1_14transform_implILb0ES3_SA_NS6_6detail15normal_iteratorINS6_7pointerIS9_NS6_11hip_rocprim5par_tENS6_11use_defaultESH_EEEENSD_INSE_IlSG_SH_SH_EEEEZNS1_13binary_searchIS3_SA_NSD_INS6_10device_ptrIS9_EEEESJ_SL_NS1_21lower_bound_search_opENSC_16wrapped_functionINS6_6system6detail7generic6detail18binary_search_lessEbEEEE10hipError_tPvRmT1_T2_T3_mmT4_T5_P12ihipStream_tbEUlRKS9_E_EESY_S12_S13_mS14_S17_bEUlT_E_NS1_11comp_targetILNS1_3genE10ELNS1_11target_archE1201ELNS1_3gpuE5ELNS1_3repE0EEENS1_30default_config_static_selectorELNS0_4arch9wavefront6targetE0EEEvS11_.num_agpr, 0
	.set _ZN7rocprim17ROCPRIM_400000_NS6detail17trampoline_kernelINS0_14default_configENS1_27lower_bound_config_selectorIN6thrust23THRUST_200600_302600_NS5tupleIiiNS6_9null_typeES8_S8_S8_S8_S8_S8_S8_EElEEZNS1_14transform_implILb0ES3_SA_NS6_6detail15normal_iteratorINS6_7pointerIS9_NS6_11hip_rocprim5par_tENS6_11use_defaultESH_EEEENSD_INSE_IlSG_SH_SH_EEEEZNS1_13binary_searchIS3_SA_NSD_INS6_10device_ptrIS9_EEEESJ_SL_NS1_21lower_bound_search_opENSC_16wrapped_functionINS6_6system6detail7generic6detail18binary_search_lessEbEEEE10hipError_tPvRmT1_T2_T3_mmT4_T5_P12ihipStream_tbEUlRKS9_E_EESY_S12_S13_mS14_S17_bEUlT_E_NS1_11comp_targetILNS1_3genE10ELNS1_11target_archE1201ELNS1_3gpuE5ELNS1_3repE0EEENS1_30default_config_static_selectorELNS0_4arch9wavefront6targetE0EEEvS11_.numbered_sgpr, 0
	.set _ZN7rocprim17ROCPRIM_400000_NS6detail17trampoline_kernelINS0_14default_configENS1_27lower_bound_config_selectorIN6thrust23THRUST_200600_302600_NS5tupleIiiNS6_9null_typeES8_S8_S8_S8_S8_S8_S8_EElEEZNS1_14transform_implILb0ES3_SA_NS6_6detail15normal_iteratorINS6_7pointerIS9_NS6_11hip_rocprim5par_tENS6_11use_defaultESH_EEEENSD_INSE_IlSG_SH_SH_EEEEZNS1_13binary_searchIS3_SA_NSD_INS6_10device_ptrIS9_EEEESJ_SL_NS1_21lower_bound_search_opENSC_16wrapped_functionINS6_6system6detail7generic6detail18binary_search_lessEbEEEE10hipError_tPvRmT1_T2_T3_mmT4_T5_P12ihipStream_tbEUlRKS9_E_EESY_S12_S13_mS14_S17_bEUlT_E_NS1_11comp_targetILNS1_3genE10ELNS1_11target_archE1201ELNS1_3gpuE5ELNS1_3repE0EEENS1_30default_config_static_selectorELNS0_4arch9wavefront6targetE0EEEvS11_.num_named_barrier, 0
	.set _ZN7rocprim17ROCPRIM_400000_NS6detail17trampoline_kernelINS0_14default_configENS1_27lower_bound_config_selectorIN6thrust23THRUST_200600_302600_NS5tupleIiiNS6_9null_typeES8_S8_S8_S8_S8_S8_S8_EElEEZNS1_14transform_implILb0ES3_SA_NS6_6detail15normal_iteratorINS6_7pointerIS9_NS6_11hip_rocprim5par_tENS6_11use_defaultESH_EEEENSD_INSE_IlSG_SH_SH_EEEEZNS1_13binary_searchIS3_SA_NSD_INS6_10device_ptrIS9_EEEESJ_SL_NS1_21lower_bound_search_opENSC_16wrapped_functionINS6_6system6detail7generic6detail18binary_search_lessEbEEEE10hipError_tPvRmT1_T2_T3_mmT4_T5_P12ihipStream_tbEUlRKS9_E_EESY_S12_S13_mS14_S17_bEUlT_E_NS1_11comp_targetILNS1_3genE10ELNS1_11target_archE1201ELNS1_3gpuE5ELNS1_3repE0EEENS1_30default_config_static_selectorELNS0_4arch9wavefront6targetE0EEEvS11_.private_seg_size, 0
	.set _ZN7rocprim17ROCPRIM_400000_NS6detail17trampoline_kernelINS0_14default_configENS1_27lower_bound_config_selectorIN6thrust23THRUST_200600_302600_NS5tupleIiiNS6_9null_typeES8_S8_S8_S8_S8_S8_S8_EElEEZNS1_14transform_implILb0ES3_SA_NS6_6detail15normal_iteratorINS6_7pointerIS9_NS6_11hip_rocprim5par_tENS6_11use_defaultESH_EEEENSD_INSE_IlSG_SH_SH_EEEEZNS1_13binary_searchIS3_SA_NSD_INS6_10device_ptrIS9_EEEESJ_SL_NS1_21lower_bound_search_opENSC_16wrapped_functionINS6_6system6detail7generic6detail18binary_search_lessEbEEEE10hipError_tPvRmT1_T2_T3_mmT4_T5_P12ihipStream_tbEUlRKS9_E_EESY_S12_S13_mS14_S17_bEUlT_E_NS1_11comp_targetILNS1_3genE10ELNS1_11target_archE1201ELNS1_3gpuE5ELNS1_3repE0EEENS1_30default_config_static_selectorELNS0_4arch9wavefront6targetE0EEEvS11_.uses_vcc, 0
	.set _ZN7rocprim17ROCPRIM_400000_NS6detail17trampoline_kernelINS0_14default_configENS1_27lower_bound_config_selectorIN6thrust23THRUST_200600_302600_NS5tupleIiiNS6_9null_typeES8_S8_S8_S8_S8_S8_S8_EElEEZNS1_14transform_implILb0ES3_SA_NS6_6detail15normal_iteratorINS6_7pointerIS9_NS6_11hip_rocprim5par_tENS6_11use_defaultESH_EEEENSD_INSE_IlSG_SH_SH_EEEEZNS1_13binary_searchIS3_SA_NSD_INS6_10device_ptrIS9_EEEESJ_SL_NS1_21lower_bound_search_opENSC_16wrapped_functionINS6_6system6detail7generic6detail18binary_search_lessEbEEEE10hipError_tPvRmT1_T2_T3_mmT4_T5_P12ihipStream_tbEUlRKS9_E_EESY_S12_S13_mS14_S17_bEUlT_E_NS1_11comp_targetILNS1_3genE10ELNS1_11target_archE1201ELNS1_3gpuE5ELNS1_3repE0EEENS1_30default_config_static_selectorELNS0_4arch9wavefront6targetE0EEEvS11_.uses_flat_scratch, 0
	.set _ZN7rocprim17ROCPRIM_400000_NS6detail17trampoline_kernelINS0_14default_configENS1_27lower_bound_config_selectorIN6thrust23THRUST_200600_302600_NS5tupleIiiNS6_9null_typeES8_S8_S8_S8_S8_S8_S8_EElEEZNS1_14transform_implILb0ES3_SA_NS6_6detail15normal_iteratorINS6_7pointerIS9_NS6_11hip_rocprim5par_tENS6_11use_defaultESH_EEEENSD_INSE_IlSG_SH_SH_EEEEZNS1_13binary_searchIS3_SA_NSD_INS6_10device_ptrIS9_EEEESJ_SL_NS1_21lower_bound_search_opENSC_16wrapped_functionINS6_6system6detail7generic6detail18binary_search_lessEbEEEE10hipError_tPvRmT1_T2_T3_mmT4_T5_P12ihipStream_tbEUlRKS9_E_EESY_S12_S13_mS14_S17_bEUlT_E_NS1_11comp_targetILNS1_3genE10ELNS1_11target_archE1201ELNS1_3gpuE5ELNS1_3repE0EEENS1_30default_config_static_selectorELNS0_4arch9wavefront6targetE0EEEvS11_.has_dyn_sized_stack, 0
	.set _ZN7rocprim17ROCPRIM_400000_NS6detail17trampoline_kernelINS0_14default_configENS1_27lower_bound_config_selectorIN6thrust23THRUST_200600_302600_NS5tupleIiiNS6_9null_typeES8_S8_S8_S8_S8_S8_S8_EElEEZNS1_14transform_implILb0ES3_SA_NS6_6detail15normal_iteratorINS6_7pointerIS9_NS6_11hip_rocprim5par_tENS6_11use_defaultESH_EEEENSD_INSE_IlSG_SH_SH_EEEEZNS1_13binary_searchIS3_SA_NSD_INS6_10device_ptrIS9_EEEESJ_SL_NS1_21lower_bound_search_opENSC_16wrapped_functionINS6_6system6detail7generic6detail18binary_search_lessEbEEEE10hipError_tPvRmT1_T2_T3_mmT4_T5_P12ihipStream_tbEUlRKS9_E_EESY_S12_S13_mS14_S17_bEUlT_E_NS1_11comp_targetILNS1_3genE10ELNS1_11target_archE1201ELNS1_3gpuE5ELNS1_3repE0EEENS1_30default_config_static_selectorELNS0_4arch9wavefront6targetE0EEEvS11_.has_recursion, 0
	.set _ZN7rocprim17ROCPRIM_400000_NS6detail17trampoline_kernelINS0_14default_configENS1_27lower_bound_config_selectorIN6thrust23THRUST_200600_302600_NS5tupleIiiNS6_9null_typeES8_S8_S8_S8_S8_S8_S8_EElEEZNS1_14transform_implILb0ES3_SA_NS6_6detail15normal_iteratorINS6_7pointerIS9_NS6_11hip_rocprim5par_tENS6_11use_defaultESH_EEEENSD_INSE_IlSG_SH_SH_EEEEZNS1_13binary_searchIS3_SA_NSD_INS6_10device_ptrIS9_EEEESJ_SL_NS1_21lower_bound_search_opENSC_16wrapped_functionINS6_6system6detail7generic6detail18binary_search_lessEbEEEE10hipError_tPvRmT1_T2_T3_mmT4_T5_P12ihipStream_tbEUlRKS9_E_EESY_S12_S13_mS14_S17_bEUlT_E_NS1_11comp_targetILNS1_3genE10ELNS1_11target_archE1201ELNS1_3gpuE5ELNS1_3repE0EEENS1_30default_config_static_selectorELNS0_4arch9wavefront6targetE0EEEvS11_.has_indirect_call, 0
	.section	.AMDGPU.csdata,"",@progbits
; Kernel info:
; codeLenInByte = 0
; TotalNumSgprs: 0
; NumVgprs: 0
; ScratchSize: 0
; MemoryBound: 0
; FloatMode: 240
; IeeeMode: 1
; LDSByteSize: 0 bytes/workgroup (compile time only)
; SGPRBlocks: 0
; VGPRBlocks: 0
; NumSGPRsForWavesPerEU: 1
; NumVGPRsForWavesPerEU: 1
; Occupancy: 16
; WaveLimiterHint : 0
; COMPUTE_PGM_RSRC2:SCRATCH_EN: 0
; COMPUTE_PGM_RSRC2:USER_SGPR: 6
; COMPUTE_PGM_RSRC2:TRAP_HANDLER: 0
; COMPUTE_PGM_RSRC2:TGID_X_EN: 1
; COMPUTE_PGM_RSRC2:TGID_Y_EN: 0
; COMPUTE_PGM_RSRC2:TGID_Z_EN: 0
; COMPUTE_PGM_RSRC2:TIDIG_COMP_CNT: 0
	.section	.text._ZN7rocprim17ROCPRIM_400000_NS6detail17trampoline_kernelINS0_14default_configENS1_27lower_bound_config_selectorIN6thrust23THRUST_200600_302600_NS5tupleIiiNS6_9null_typeES8_S8_S8_S8_S8_S8_S8_EElEEZNS1_14transform_implILb0ES3_SA_NS6_6detail15normal_iteratorINS6_7pointerIS9_NS6_11hip_rocprim5par_tENS6_11use_defaultESH_EEEENSD_INSE_IlSG_SH_SH_EEEEZNS1_13binary_searchIS3_SA_NSD_INS6_10device_ptrIS9_EEEESJ_SL_NS1_21lower_bound_search_opENSC_16wrapped_functionINS6_6system6detail7generic6detail18binary_search_lessEbEEEE10hipError_tPvRmT1_T2_T3_mmT4_T5_P12ihipStream_tbEUlRKS9_E_EESY_S12_S13_mS14_S17_bEUlT_E_NS1_11comp_targetILNS1_3genE10ELNS1_11target_archE1200ELNS1_3gpuE4ELNS1_3repE0EEENS1_30default_config_static_selectorELNS0_4arch9wavefront6targetE0EEEvS11_,"axG",@progbits,_ZN7rocprim17ROCPRIM_400000_NS6detail17trampoline_kernelINS0_14default_configENS1_27lower_bound_config_selectorIN6thrust23THRUST_200600_302600_NS5tupleIiiNS6_9null_typeES8_S8_S8_S8_S8_S8_S8_EElEEZNS1_14transform_implILb0ES3_SA_NS6_6detail15normal_iteratorINS6_7pointerIS9_NS6_11hip_rocprim5par_tENS6_11use_defaultESH_EEEENSD_INSE_IlSG_SH_SH_EEEEZNS1_13binary_searchIS3_SA_NSD_INS6_10device_ptrIS9_EEEESJ_SL_NS1_21lower_bound_search_opENSC_16wrapped_functionINS6_6system6detail7generic6detail18binary_search_lessEbEEEE10hipError_tPvRmT1_T2_T3_mmT4_T5_P12ihipStream_tbEUlRKS9_E_EESY_S12_S13_mS14_S17_bEUlT_E_NS1_11comp_targetILNS1_3genE10ELNS1_11target_archE1200ELNS1_3gpuE4ELNS1_3repE0EEENS1_30default_config_static_selectorELNS0_4arch9wavefront6targetE0EEEvS11_,comdat
	.protected	_ZN7rocprim17ROCPRIM_400000_NS6detail17trampoline_kernelINS0_14default_configENS1_27lower_bound_config_selectorIN6thrust23THRUST_200600_302600_NS5tupleIiiNS6_9null_typeES8_S8_S8_S8_S8_S8_S8_EElEEZNS1_14transform_implILb0ES3_SA_NS6_6detail15normal_iteratorINS6_7pointerIS9_NS6_11hip_rocprim5par_tENS6_11use_defaultESH_EEEENSD_INSE_IlSG_SH_SH_EEEEZNS1_13binary_searchIS3_SA_NSD_INS6_10device_ptrIS9_EEEESJ_SL_NS1_21lower_bound_search_opENSC_16wrapped_functionINS6_6system6detail7generic6detail18binary_search_lessEbEEEE10hipError_tPvRmT1_T2_T3_mmT4_T5_P12ihipStream_tbEUlRKS9_E_EESY_S12_S13_mS14_S17_bEUlT_E_NS1_11comp_targetILNS1_3genE10ELNS1_11target_archE1200ELNS1_3gpuE4ELNS1_3repE0EEENS1_30default_config_static_selectorELNS0_4arch9wavefront6targetE0EEEvS11_ ; -- Begin function _ZN7rocprim17ROCPRIM_400000_NS6detail17trampoline_kernelINS0_14default_configENS1_27lower_bound_config_selectorIN6thrust23THRUST_200600_302600_NS5tupleIiiNS6_9null_typeES8_S8_S8_S8_S8_S8_S8_EElEEZNS1_14transform_implILb0ES3_SA_NS6_6detail15normal_iteratorINS6_7pointerIS9_NS6_11hip_rocprim5par_tENS6_11use_defaultESH_EEEENSD_INSE_IlSG_SH_SH_EEEEZNS1_13binary_searchIS3_SA_NSD_INS6_10device_ptrIS9_EEEESJ_SL_NS1_21lower_bound_search_opENSC_16wrapped_functionINS6_6system6detail7generic6detail18binary_search_lessEbEEEE10hipError_tPvRmT1_T2_T3_mmT4_T5_P12ihipStream_tbEUlRKS9_E_EESY_S12_S13_mS14_S17_bEUlT_E_NS1_11comp_targetILNS1_3genE10ELNS1_11target_archE1200ELNS1_3gpuE4ELNS1_3repE0EEENS1_30default_config_static_selectorELNS0_4arch9wavefront6targetE0EEEvS11_
	.globl	_ZN7rocprim17ROCPRIM_400000_NS6detail17trampoline_kernelINS0_14default_configENS1_27lower_bound_config_selectorIN6thrust23THRUST_200600_302600_NS5tupleIiiNS6_9null_typeES8_S8_S8_S8_S8_S8_S8_EElEEZNS1_14transform_implILb0ES3_SA_NS6_6detail15normal_iteratorINS6_7pointerIS9_NS6_11hip_rocprim5par_tENS6_11use_defaultESH_EEEENSD_INSE_IlSG_SH_SH_EEEEZNS1_13binary_searchIS3_SA_NSD_INS6_10device_ptrIS9_EEEESJ_SL_NS1_21lower_bound_search_opENSC_16wrapped_functionINS6_6system6detail7generic6detail18binary_search_lessEbEEEE10hipError_tPvRmT1_T2_T3_mmT4_T5_P12ihipStream_tbEUlRKS9_E_EESY_S12_S13_mS14_S17_bEUlT_E_NS1_11comp_targetILNS1_3genE10ELNS1_11target_archE1200ELNS1_3gpuE4ELNS1_3repE0EEENS1_30default_config_static_selectorELNS0_4arch9wavefront6targetE0EEEvS11_
	.p2align	8
	.type	_ZN7rocprim17ROCPRIM_400000_NS6detail17trampoline_kernelINS0_14default_configENS1_27lower_bound_config_selectorIN6thrust23THRUST_200600_302600_NS5tupleIiiNS6_9null_typeES8_S8_S8_S8_S8_S8_S8_EElEEZNS1_14transform_implILb0ES3_SA_NS6_6detail15normal_iteratorINS6_7pointerIS9_NS6_11hip_rocprim5par_tENS6_11use_defaultESH_EEEENSD_INSE_IlSG_SH_SH_EEEEZNS1_13binary_searchIS3_SA_NSD_INS6_10device_ptrIS9_EEEESJ_SL_NS1_21lower_bound_search_opENSC_16wrapped_functionINS6_6system6detail7generic6detail18binary_search_lessEbEEEE10hipError_tPvRmT1_T2_T3_mmT4_T5_P12ihipStream_tbEUlRKS9_E_EESY_S12_S13_mS14_S17_bEUlT_E_NS1_11comp_targetILNS1_3genE10ELNS1_11target_archE1200ELNS1_3gpuE4ELNS1_3repE0EEENS1_30default_config_static_selectorELNS0_4arch9wavefront6targetE0EEEvS11_,@function
_ZN7rocprim17ROCPRIM_400000_NS6detail17trampoline_kernelINS0_14default_configENS1_27lower_bound_config_selectorIN6thrust23THRUST_200600_302600_NS5tupleIiiNS6_9null_typeES8_S8_S8_S8_S8_S8_S8_EElEEZNS1_14transform_implILb0ES3_SA_NS6_6detail15normal_iteratorINS6_7pointerIS9_NS6_11hip_rocprim5par_tENS6_11use_defaultESH_EEEENSD_INSE_IlSG_SH_SH_EEEEZNS1_13binary_searchIS3_SA_NSD_INS6_10device_ptrIS9_EEEESJ_SL_NS1_21lower_bound_search_opENSC_16wrapped_functionINS6_6system6detail7generic6detail18binary_search_lessEbEEEE10hipError_tPvRmT1_T2_T3_mmT4_T5_P12ihipStream_tbEUlRKS9_E_EESY_S12_S13_mS14_S17_bEUlT_E_NS1_11comp_targetILNS1_3genE10ELNS1_11target_archE1200ELNS1_3gpuE4ELNS1_3repE0EEENS1_30default_config_static_selectorELNS0_4arch9wavefront6targetE0EEEvS11_: ; @_ZN7rocprim17ROCPRIM_400000_NS6detail17trampoline_kernelINS0_14default_configENS1_27lower_bound_config_selectorIN6thrust23THRUST_200600_302600_NS5tupleIiiNS6_9null_typeES8_S8_S8_S8_S8_S8_S8_EElEEZNS1_14transform_implILb0ES3_SA_NS6_6detail15normal_iteratorINS6_7pointerIS9_NS6_11hip_rocprim5par_tENS6_11use_defaultESH_EEEENSD_INSE_IlSG_SH_SH_EEEEZNS1_13binary_searchIS3_SA_NSD_INS6_10device_ptrIS9_EEEESJ_SL_NS1_21lower_bound_search_opENSC_16wrapped_functionINS6_6system6detail7generic6detail18binary_search_lessEbEEEE10hipError_tPvRmT1_T2_T3_mmT4_T5_P12ihipStream_tbEUlRKS9_E_EESY_S12_S13_mS14_S17_bEUlT_E_NS1_11comp_targetILNS1_3genE10ELNS1_11target_archE1200ELNS1_3gpuE4ELNS1_3repE0EEENS1_30default_config_static_selectorELNS0_4arch9wavefront6targetE0EEEvS11_
; %bb.0:
	.section	.rodata,"a",@progbits
	.p2align	6, 0x0
	.amdhsa_kernel _ZN7rocprim17ROCPRIM_400000_NS6detail17trampoline_kernelINS0_14default_configENS1_27lower_bound_config_selectorIN6thrust23THRUST_200600_302600_NS5tupleIiiNS6_9null_typeES8_S8_S8_S8_S8_S8_S8_EElEEZNS1_14transform_implILb0ES3_SA_NS6_6detail15normal_iteratorINS6_7pointerIS9_NS6_11hip_rocprim5par_tENS6_11use_defaultESH_EEEENSD_INSE_IlSG_SH_SH_EEEEZNS1_13binary_searchIS3_SA_NSD_INS6_10device_ptrIS9_EEEESJ_SL_NS1_21lower_bound_search_opENSC_16wrapped_functionINS6_6system6detail7generic6detail18binary_search_lessEbEEEE10hipError_tPvRmT1_T2_T3_mmT4_T5_P12ihipStream_tbEUlRKS9_E_EESY_S12_S13_mS14_S17_bEUlT_E_NS1_11comp_targetILNS1_3genE10ELNS1_11target_archE1200ELNS1_3gpuE4ELNS1_3repE0EEENS1_30default_config_static_selectorELNS0_4arch9wavefront6targetE0EEEvS11_
		.amdhsa_group_segment_fixed_size 0
		.amdhsa_private_segment_fixed_size 0
		.amdhsa_kernarg_size 56
		.amdhsa_user_sgpr_count 6
		.amdhsa_user_sgpr_private_segment_buffer 1
		.amdhsa_user_sgpr_dispatch_ptr 0
		.amdhsa_user_sgpr_queue_ptr 0
		.amdhsa_user_sgpr_kernarg_segment_ptr 1
		.amdhsa_user_sgpr_dispatch_id 0
		.amdhsa_user_sgpr_flat_scratch_init 0
		.amdhsa_user_sgpr_private_segment_size 0
		.amdhsa_wavefront_size32 1
		.amdhsa_uses_dynamic_stack 0
		.amdhsa_system_sgpr_private_segment_wavefront_offset 0
		.amdhsa_system_sgpr_workgroup_id_x 1
		.amdhsa_system_sgpr_workgroup_id_y 0
		.amdhsa_system_sgpr_workgroup_id_z 0
		.amdhsa_system_sgpr_workgroup_info 0
		.amdhsa_system_vgpr_workitem_id 0
		.amdhsa_next_free_vgpr 1
		.amdhsa_next_free_sgpr 1
		.amdhsa_reserve_vcc 0
		.amdhsa_reserve_flat_scratch 0
		.amdhsa_float_round_mode_32 0
		.amdhsa_float_round_mode_16_64 0
		.amdhsa_float_denorm_mode_32 3
		.amdhsa_float_denorm_mode_16_64 3
		.amdhsa_dx10_clamp 1
		.amdhsa_ieee_mode 1
		.amdhsa_fp16_overflow 0
		.amdhsa_workgroup_processor_mode 1
		.amdhsa_memory_ordered 1
		.amdhsa_forward_progress 1
		.amdhsa_shared_vgpr_count 0
		.amdhsa_exception_fp_ieee_invalid_op 0
		.amdhsa_exception_fp_denorm_src 0
		.amdhsa_exception_fp_ieee_div_zero 0
		.amdhsa_exception_fp_ieee_overflow 0
		.amdhsa_exception_fp_ieee_underflow 0
		.amdhsa_exception_fp_ieee_inexact 0
		.amdhsa_exception_int_div_zero 0
	.end_amdhsa_kernel
	.section	.text._ZN7rocprim17ROCPRIM_400000_NS6detail17trampoline_kernelINS0_14default_configENS1_27lower_bound_config_selectorIN6thrust23THRUST_200600_302600_NS5tupleIiiNS6_9null_typeES8_S8_S8_S8_S8_S8_S8_EElEEZNS1_14transform_implILb0ES3_SA_NS6_6detail15normal_iteratorINS6_7pointerIS9_NS6_11hip_rocprim5par_tENS6_11use_defaultESH_EEEENSD_INSE_IlSG_SH_SH_EEEEZNS1_13binary_searchIS3_SA_NSD_INS6_10device_ptrIS9_EEEESJ_SL_NS1_21lower_bound_search_opENSC_16wrapped_functionINS6_6system6detail7generic6detail18binary_search_lessEbEEEE10hipError_tPvRmT1_T2_T3_mmT4_T5_P12ihipStream_tbEUlRKS9_E_EESY_S12_S13_mS14_S17_bEUlT_E_NS1_11comp_targetILNS1_3genE10ELNS1_11target_archE1200ELNS1_3gpuE4ELNS1_3repE0EEENS1_30default_config_static_selectorELNS0_4arch9wavefront6targetE0EEEvS11_,"axG",@progbits,_ZN7rocprim17ROCPRIM_400000_NS6detail17trampoline_kernelINS0_14default_configENS1_27lower_bound_config_selectorIN6thrust23THRUST_200600_302600_NS5tupleIiiNS6_9null_typeES8_S8_S8_S8_S8_S8_S8_EElEEZNS1_14transform_implILb0ES3_SA_NS6_6detail15normal_iteratorINS6_7pointerIS9_NS6_11hip_rocprim5par_tENS6_11use_defaultESH_EEEENSD_INSE_IlSG_SH_SH_EEEEZNS1_13binary_searchIS3_SA_NSD_INS6_10device_ptrIS9_EEEESJ_SL_NS1_21lower_bound_search_opENSC_16wrapped_functionINS6_6system6detail7generic6detail18binary_search_lessEbEEEE10hipError_tPvRmT1_T2_T3_mmT4_T5_P12ihipStream_tbEUlRKS9_E_EESY_S12_S13_mS14_S17_bEUlT_E_NS1_11comp_targetILNS1_3genE10ELNS1_11target_archE1200ELNS1_3gpuE4ELNS1_3repE0EEENS1_30default_config_static_selectorELNS0_4arch9wavefront6targetE0EEEvS11_,comdat
.Lfunc_end437:
	.size	_ZN7rocprim17ROCPRIM_400000_NS6detail17trampoline_kernelINS0_14default_configENS1_27lower_bound_config_selectorIN6thrust23THRUST_200600_302600_NS5tupleIiiNS6_9null_typeES8_S8_S8_S8_S8_S8_S8_EElEEZNS1_14transform_implILb0ES3_SA_NS6_6detail15normal_iteratorINS6_7pointerIS9_NS6_11hip_rocprim5par_tENS6_11use_defaultESH_EEEENSD_INSE_IlSG_SH_SH_EEEEZNS1_13binary_searchIS3_SA_NSD_INS6_10device_ptrIS9_EEEESJ_SL_NS1_21lower_bound_search_opENSC_16wrapped_functionINS6_6system6detail7generic6detail18binary_search_lessEbEEEE10hipError_tPvRmT1_T2_T3_mmT4_T5_P12ihipStream_tbEUlRKS9_E_EESY_S12_S13_mS14_S17_bEUlT_E_NS1_11comp_targetILNS1_3genE10ELNS1_11target_archE1200ELNS1_3gpuE4ELNS1_3repE0EEENS1_30default_config_static_selectorELNS0_4arch9wavefront6targetE0EEEvS11_, .Lfunc_end437-_ZN7rocprim17ROCPRIM_400000_NS6detail17trampoline_kernelINS0_14default_configENS1_27lower_bound_config_selectorIN6thrust23THRUST_200600_302600_NS5tupleIiiNS6_9null_typeES8_S8_S8_S8_S8_S8_S8_EElEEZNS1_14transform_implILb0ES3_SA_NS6_6detail15normal_iteratorINS6_7pointerIS9_NS6_11hip_rocprim5par_tENS6_11use_defaultESH_EEEENSD_INSE_IlSG_SH_SH_EEEEZNS1_13binary_searchIS3_SA_NSD_INS6_10device_ptrIS9_EEEESJ_SL_NS1_21lower_bound_search_opENSC_16wrapped_functionINS6_6system6detail7generic6detail18binary_search_lessEbEEEE10hipError_tPvRmT1_T2_T3_mmT4_T5_P12ihipStream_tbEUlRKS9_E_EESY_S12_S13_mS14_S17_bEUlT_E_NS1_11comp_targetILNS1_3genE10ELNS1_11target_archE1200ELNS1_3gpuE4ELNS1_3repE0EEENS1_30default_config_static_selectorELNS0_4arch9wavefront6targetE0EEEvS11_
                                        ; -- End function
	.set _ZN7rocprim17ROCPRIM_400000_NS6detail17trampoline_kernelINS0_14default_configENS1_27lower_bound_config_selectorIN6thrust23THRUST_200600_302600_NS5tupleIiiNS6_9null_typeES8_S8_S8_S8_S8_S8_S8_EElEEZNS1_14transform_implILb0ES3_SA_NS6_6detail15normal_iteratorINS6_7pointerIS9_NS6_11hip_rocprim5par_tENS6_11use_defaultESH_EEEENSD_INSE_IlSG_SH_SH_EEEEZNS1_13binary_searchIS3_SA_NSD_INS6_10device_ptrIS9_EEEESJ_SL_NS1_21lower_bound_search_opENSC_16wrapped_functionINS6_6system6detail7generic6detail18binary_search_lessEbEEEE10hipError_tPvRmT1_T2_T3_mmT4_T5_P12ihipStream_tbEUlRKS9_E_EESY_S12_S13_mS14_S17_bEUlT_E_NS1_11comp_targetILNS1_3genE10ELNS1_11target_archE1200ELNS1_3gpuE4ELNS1_3repE0EEENS1_30default_config_static_selectorELNS0_4arch9wavefront6targetE0EEEvS11_.num_vgpr, 0
	.set _ZN7rocprim17ROCPRIM_400000_NS6detail17trampoline_kernelINS0_14default_configENS1_27lower_bound_config_selectorIN6thrust23THRUST_200600_302600_NS5tupleIiiNS6_9null_typeES8_S8_S8_S8_S8_S8_S8_EElEEZNS1_14transform_implILb0ES3_SA_NS6_6detail15normal_iteratorINS6_7pointerIS9_NS6_11hip_rocprim5par_tENS6_11use_defaultESH_EEEENSD_INSE_IlSG_SH_SH_EEEEZNS1_13binary_searchIS3_SA_NSD_INS6_10device_ptrIS9_EEEESJ_SL_NS1_21lower_bound_search_opENSC_16wrapped_functionINS6_6system6detail7generic6detail18binary_search_lessEbEEEE10hipError_tPvRmT1_T2_T3_mmT4_T5_P12ihipStream_tbEUlRKS9_E_EESY_S12_S13_mS14_S17_bEUlT_E_NS1_11comp_targetILNS1_3genE10ELNS1_11target_archE1200ELNS1_3gpuE4ELNS1_3repE0EEENS1_30default_config_static_selectorELNS0_4arch9wavefront6targetE0EEEvS11_.num_agpr, 0
	.set _ZN7rocprim17ROCPRIM_400000_NS6detail17trampoline_kernelINS0_14default_configENS1_27lower_bound_config_selectorIN6thrust23THRUST_200600_302600_NS5tupleIiiNS6_9null_typeES8_S8_S8_S8_S8_S8_S8_EElEEZNS1_14transform_implILb0ES3_SA_NS6_6detail15normal_iteratorINS6_7pointerIS9_NS6_11hip_rocprim5par_tENS6_11use_defaultESH_EEEENSD_INSE_IlSG_SH_SH_EEEEZNS1_13binary_searchIS3_SA_NSD_INS6_10device_ptrIS9_EEEESJ_SL_NS1_21lower_bound_search_opENSC_16wrapped_functionINS6_6system6detail7generic6detail18binary_search_lessEbEEEE10hipError_tPvRmT1_T2_T3_mmT4_T5_P12ihipStream_tbEUlRKS9_E_EESY_S12_S13_mS14_S17_bEUlT_E_NS1_11comp_targetILNS1_3genE10ELNS1_11target_archE1200ELNS1_3gpuE4ELNS1_3repE0EEENS1_30default_config_static_selectorELNS0_4arch9wavefront6targetE0EEEvS11_.numbered_sgpr, 0
	.set _ZN7rocprim17ROCPRIM_400000_NS6detail17trampoline_kernelINS0_14default_configENS1_27lower_bound_config_selectorIN6thrust23THRUST_200600_302600_NS5tupleIiiNS6_9null_typeES8_S8_S8_S8_S8_S8_S8_EElEEZNS1_14transform_implILb0ES3_SA_NS6_6detail15normal_iteratorINS6_7pointerIS9_NS6_11hip_rocprim5par_tENS6_11use_defaultESH_EEEENSD_INSE_IlSG_SH_SH_EEEEZNS1_13binary_searchIS3_SA_NSD_INS6_10device_ptrIS9_EEEESJ_SL_NS1_21lower_bound_search_opENSC_16wrapped_functionINS6_6system6detail7generic6detail18binary_search_lessEbEEEE10hipError_tPvRmT1_T2_T3_mmT4_T5_P12ihipStream_tbEUlRKS9_E_EESY_S12_S13_mS14_S17_bEUlT_E_NS1_11comp_targetILNS1_3genE10ELNS1_11target_archE1200ELNS1_3gpuE4ELNS1_3repE0EEENS1_30default_config_static_selectorELNS0_4arch9wavefront6targetE0EEEvS11_.num_named_barrier, 0
	.set _ZN7rocprim17ROCPRIM_400000_NS6detail17trampoline_kernelINS0_14default_configENS1_27lower_bound_config_selectorIN6thrust23THRUST_200600_302600_NS5tupleIiiNS6_9null_typeES8_S8_S8_S8_S8_S8_S8_EElEEZNS1_14transform_implILb0ES3_SA_NS6_6detail15normal_iteratorINS6_7pointerIS9_NS6_11hip_rocprim5par_tENS6_11use_defaultESH_EEEENSD_INSE_IlSG_SH_SH_EEEEZNS1_13binary_searchIS3_SA_NSD_INS6_10device_ptrIS9_EEEESJ_SL_NS1_21lower_bound_search_opENSC_16wrapped_functionINS6_6system6detail7generic6detail18binary_search_lessEbEEEE10hipError_tPvRmT1_T2_T3_mmT4_T5_P12ihipStream_tbEUlRKS9_E_EESY_S12_S13_mS14_S17_bEUlT_E_NS1_11comp_targetILNS1_3genE10ELNS1_11target_archE1200ELNS1_3gpuE4ELNS1_3repE0EEENS1_30default_config_static_selectorELNS0_4arch9wavefront6targetE0EEEvS11_.private_seg_size, 0
	.set _ZN7rocprim17ROCPRIM_400000_NS6detail17trampoline_kernelINS0_14default_configENS1_27lower_bound_config_selectorIN6thrust23THRUST_200600_302600_NS5tupleIiiNS6_9null_typeES8_S8_S8_S8_S8_S8_S8_EElEEZNS1_14transform_implILb0ES3_SA_NS6_6detail15normal_iteratorINS6_7pointerIS9_NS6_11hip_rocprim5par_tENS6_11use_defaultESH_EEEENSD_INSE_IlSG_SH_SH_EEEEZNS1_13binary_searchIS3_SA_NSD_INS6_10device_ptrIS9_EEEESJ_SL_NS1_21lower_bound_search_opENSC_16wrapped_functionINS6_6system6detail7generic6detail18binary_search_lessEbEEEE10hipError_tPvRmT1_T2_T3_mmT4_T5_P12ihipStream_tbEUlRKS9_E_EESY_S12_S13_mS14_S17_bEUlT_E_NS1_11comp_targetILNS1_3genE10ELNS1_11target_archE1200ELNS1_3gpuE4ELNS1_3repE0EEENS1_30default_config_static_selectorELNS0_4arch9wavefront6targetE0EEEvS11_.uses_vcc, 0
	.set _ZN7rocprim17ROCPRIM_400000_NS6detail17trampoline_kernelINS0_14default_configENS1_27lower_bound_config_selectorIN6thrust23THRUST_200600_302600_NS5tupleIiiNS6_9null_typeES8_S8_S8_S8_S8_S8_S8_EElEEZNS1_14transform_implILb0ES3_SA_NS6_6detail15normal_iteratorINS6_7pointerIS9_NS6_11hip_rocprim5par_tENS6_11use_defaultESH_EEEENSD_INSE_IlSG_SH_SH_EEEEZNS1_13binary_searchIS3_SA_NSD_INS6_10device_ptrIS9_EEEESJ_SL_NS1_21lower_bound_search_opENSC_16wrapped_functionINS6_6system6detail7generic6detail18binary_search_lessEbEEEE10hipError_tPvRmT1_T2_T3_mmT4_T5_P12ihipStream_tbEUlRKS9_E_EESY_S12_S13_mS14_S17_bEUlT_E_NS1_11comp_targetILNS1_3genE10ELNS1_11target_archE1200ELNS1_3gpuE4ELNS1_3repE0EEENS1_30default_config_static_selectorELNS0_4arch9wavefront6targetE0EEEvS11_.uses_flat_scratch, 0
	.set _ZN7rocprim17ROCPRIM_400000_NS6detail17trampoline_kernelINS0_14default_configENS1_27lower_bound_config_selectorIN6thrust23THRUST_200600_302600_NS5tupleIiiNS6_9null_typeES8_S8_S8_S8_S8_S8_S8_EElEEZNS1_14transform_implILb0ES3_SA_NS6_6detail15normal_iteratorINS6_7pointerIS9_NS6_11hip_rocprim5par_tENS6_11use_defaultESH_EEEENSD_INSE_IlSG_SH_SH_EEEEZNS1_13binary_searchIS3_SA_NSD_INS6_10device_ptrIS9_EEEESJ_SL_NS1_21lower_bound_search_opENSC_16wrapped_functionINS6_6system6detail7generic6detail18binary_search_lessEbEEEE10hipError_tPvRmT1_T2_T3_mmT4_T5_P12ihipStream_tbEUlRKS9_E_EESY_S12_S13_mS14_S17_bEUlT_E_NS1_11comp_targetILNS1_3genE10ELNS1_11target_archE1200ELNS1_3gpuE4ELNS1_3repE0EEENS1_30default_config_static_selectorELNS0_4arch9wavefront6targetE0EEEvS11_.has_dyn_sized_stack, 0
	.set _ZN7rocprim17ROCPRIM_400000_NS6detail17trampoline_kernelINS0_14default_configENS1_27lower_bound_config_selectorIN6thrust23THRUST_200600_302600_NS5tupleIiiNS6_9null_typeES8_S8_S8_S8_S8_S8_S8_EElEEZNS1_14transform_implILb0ES3_SA_NS6_6detail15normal_iteratorINS6_7pointerIS9_NS6_11hip_rocprim5par_tENS6_11use_defaultESH_EEEENSD_INSE_IlSG_SH_SH_EEEEZNS1_13binary_searchIS3_SA_NSD_INS6_10device_ptrIS9_EEEESJ_SL_NS1_21lower_bound_search_opENSC_16wrapped_functionINS6_6system6detail7generic6detail18binary_search_lessEbEEEE10hipError_tPvRmT1_T2_T3_mmT4_T5_P12ihipStream_tbEUlRKS9_E_EESY_S12_S13_mS14_S17_bEUlT_E_NS1_11comp_targetILNS1_3genE10ELNS1_11target_archE1200ELNS1_3gpuE4ELNS1_3repE0EEENS1_30default_config_static_selectorELNS0_4arch9wavefront6targetE0EEEvS11_.has_recursion, 0
	.set _ZN7rocprim17ROCPRIM_400000_NS6detail17trampoline_kernelINS0_14default_configENS1_27lower_bound_config_selectorIN6thrust23THRUST_200600_302600_NS5tupleIiiNS6_9null_typeES8_S8_S8_S8_S8_S8_S8_EElEEZNS1_14transform_implILb0ES3_SA_NS6_6detail15normal_iteratorINS6_7pointerIS9_NS6_11hip_rocprim5par_tENS6_11use_defaultESH_EEEENSD_INSE_IlSG_SH_SH_EEEEZNS1_13binary_searchIS3_SA_NSD_INS6_10device_ptrIS9_EEEESJ_SL_NS1_21lower_bound_search_opENSC_16wrapped_functionINS6_6system6detail7generic6detail18binary_search_lessEbEEEE10hipError_tPvRmT1_T2_T3_mmT4_T5_P12ihipStream_tbEUlRKS9_E_EESY_S12_S13_mS14_S17_bEUlT_E_NS1_11comp_targetILNS1_3genE10ELNS1_11target_archE1200ELNS1_3gpuE4ELNS1_3repE0EEENS1_30default_config_static_selectorELNS0_4arch9wavefront6targetE0EEEvS11_.has_indirect_call, 0
	.section	.AMDGPU.csdata,"",@progbits
; Kernel info:
; codeLenInByte = 0
; TotalNumSgprs: 0
; NumVgprs: 0
; ScratchSize: 0
; MemoryBound: 0
; FloatMode: 240
; IeeeMode: 1
; LDSByteSize: 0 bytes/workgroup (compile time only)
; SGPRBlocks: 0
; VGPRBlocks: 0
; NumSGPRsForWavesPerEU: 1
; NumVGPRsForWavesPerEU: 1
; Occupancy: 16
; WaveLimiterHint : 0
; COMPUTE_PGM_RSRC2:SCRATCH_EN: 0
; COMPUTE_PGM_RSRC2:USER_SGPR: 6
; COMPUTE_PGM_RSRC2:TRAP_HANDLER: 0
; COMPUTE_PGM_RSRC2:TGID_X_EN: 1
; COMPUTE_PGM_RSRC2:TGID_Y_EN: 0
; COMPUTE_PGM_RSRC2:TGID_Z_EN: 0
; COMPUTE_PGM_RSRC2:TIDIG_COMP_CNT: 0
	.section	.text._ZN7rocprim17ROCPRIM_400000_NS6detail17trampoline_kernelINS0_14default_configENS1_27lower_bound_config_selectorIN6thrust23THRUST_200600_302600_NS5tupleIiiNS6_9null_typeES8_S8_S8_S8_S8_S8_S8_EElEEZNS1_14transform_implILb0ES3_SA_NS6_6detail15normal_iteratorINS6_7pointerIS9_NS6_11hip_rocprim5par_tENS6_11use_defaultESH_EEEENSD_INSE_IlSG_SH_SH_EEEEZNS1_13binary_searchIS3_SA_NSD_INS6_10device_ptrIS9_EEEESJ_SL_NS1_21lower_bound_search_opENSC_16wrapped_functionINS6_6system6detail7generic6detail18binary_search_lessEbEEEE10hipError_tPvRmT1_T2_T3_mmT4_T5_P12ihipStream_tbEUlRKS9_E_EESY_S12_S13_mS14_S17_bEUlT_E_NS1_11comp_targetILNS1_3genE9ELNS1_11target_archE1100ELNS1_3gpuE3ELNS1_3repE0EEENS1_30default_config_static_selectorELNS0_4arch9wavefront6targetE0EEEvS11_,"axG",@progbits,_ZN7rocprim17ROCPRIM_400000_NS6detail17trampoline_kernelINS0_14default_configENS1_27lower_bound_config_selectorIN6thrust23THRUST_200600_302600_NS5tupleIiiNS6_9null_typeES8_S8_S8_S8_S8_S8_S8_EElEEZNS1_14transform_implILb0ES3_SA_NS6_6detail15normal_iteratorINS6_7pointerIS9_NS6_11hip_rocprim5par_tENS6_11use_defaultESH_EEEENSD_INSE_IlSG_SH_SH_EEEEZNS1_13binary_searchIS3_SA_NSD_INS6_10device_ptrIS9_EEEESJ_SL_NS1_21lower_bound_search_opENSC_16wrapped_functionINS6_6system6detail7generic6detail18binary_search_lessEbEEEE10hipError_tPvRmT1_T2_T3_mmT4_T5_P12ihipStream_tbEUlRKS9_E_EESY_S12_S13_mS14_S17_bEUlT_E_NS1_11comp_targetILNS1_3genE9ELNS1_11target_archE1100ELNS1_3gpuE3ELNS1_3repE0EEENS1_30default_config_static_selectorELNS0_4arch9wavefront6targetE0EEEvS11_,comdat
	.protected	_ZN7rocprim17ROCPRIM_400000_NS6detail17trampoline_kernelINS0_14default_configENS1_27lower_bound_config_selectorIN6thrust23THRUST_200600_302600_NS5tupleIiiNS6_9null_typeES8_S8_S8_S8_S8_S8_S8_EElEEZNS1_14transform_implILb0ES3_SA_NS6_6detail15normal_iteratorINS6_7pointerIS9_NS6_11hip_rocprim5par_tENS6_11use_defaultESH_EEEENSD_INSE_IlSG_SH_SH_EEEEZNS1_13binary_searchIS3_SA_NSD_INS6_10device_ptrIS9_EEEESJ_SL_NS1_21lower_bound_search_opENSC_16wrapped_functionINS6_6system6detail7generic6detail18binary_search_lessEbEEEE10hipError_tPvRmT1_T2_T3_mmT4_T5_P12ihipStream_tbEUlRKS9_E_EESY_S12_S13_mS14_S17_bEUlT_E_NS1_11comp_targetILNS1_3genE9ELNS1_11target_archE1100ELNS1_3gpuE3ELNS1_3repE0EEENS1_30default_config_static_selectorELNS0_4arch9wavefront6targetE0EEEvS11_ ; -- Begin function _ZN7rocprim17ROCPRIM_400000_NS6detail17trampoline_kernelINS0_14default_configENS1_27lower_bound_config_selectorIN6thrust23THRUST_200600_302600_NS5tupleIiiNS6_9null_typeES8_S8_S8_S8_S8_S8_S8_EElEEZNS1_14transform_implILb0ES3_SA_NS6_6detail15normal_iteratorINS6_7pointerIS9_NS6_11hip_rocprim5par_tENS6_11use_defaultESH_EEEENSD_INSE_IlSG_SH_SH_EEEEZNS1_13binary_searchIS3_SA_NSD_INS6_10device_ptrIS9_EEEESJ_SL_NS1_21lower_bound_search_opENSC_16wrapped_functionINS6_6system6detail7generic6detail18binary_search_lessEbEEEE10hipError_tPvRmT1_T2_T3_mmT4_T5_P12ihipStream_tbEUlRKS9_E_EESY_S12_S13_mS14_S17_bEUlT_E_NS1_11comp_targetILNS1_3genE9ELNS1_11target_archE1100ELNS1_3gpuE3ELNS1_3repE0EEENS1_30default_config_static_selectorELNS0_4arch9wavefront6targetE0EEEvS11_
	.globl	_ZN7rocprim17ROCPRIM_400000_NS6detail17trampoline_kernelINS0_14default_configENS1_27lower_bound_config_selectorIN6thrust23THRUST_200600_302600_NS5tupleIiiNS6_9null_typeES8_S8_S8_S8_S8_S8_S8_EElEEZNS1_14transform_implILb0ES3_SA_NS6_6detail15normal_iteratorINS6_7pointerIS9_NS6_11hip_rocprim5par_tENS6_11use_defaultESH_EEEENSD_INSE_IlSG_SH_SH_EEEEZNS1_13binary_searchIS3_SA_NSD_INS6_10device_ptrIS9_EEEESJ_SL_NS1_21lower_bound_search_opENSC_16wrapped_functionINS6_6system6detail7generic6detail18binary_search_lessEbEEEE10hipError_tPvRmT1_T2_T3_mmT4_T5_P12ihipStream_tbEUlRKS9_E_EESY_S12_S13_mS14_S17_bEUlT_E_NS1_11comp_targetILNS1_3genE9ELNS1_11target_archE1100ELNS1_3gpuE3ELNS1_3repE0EEENS1_30default_config_static_selectorELNS0_4arch9wavefront6targetE0EEEvS11_
	.p2align	8
	.type	_ZN7rocprim17ROCPRIM_400000_NS6detail17trampoline_kernelINS0_14default_configENS1_27lower_bound_config_selectorIN6thrust23THRUST_200600_302600_NS5tupleIiiNS6_9null_typeES8_S8_S8_S8_S8_S8_S8_EElEEZNS1_14transform_implILb0ES3_SA_NS6_6detail15normal_iteratorINS6_7pointerIS9_NS6_11hip_rocprim5par_tENS6_11use_defaultESH_EEEENSD_INSE_IlSG_SH_SH_EEEEZNS1_13binary_searchIS3_SA_NSD_INS6_10device_ptrIS9_EEEESJ_SL_NS1_21lower_bound_search_opENSC_16wrapped_functionINS6_6system6detail7generic6detail18binary_search_lessEbEEEE10hipError_tPvRmT1_T2_T3_mmT4_T5_P12ihipStream_tbEUlRKS9_E_EESY_S12_S13_mS14_S17_bEUlT_E_NS1_11comp_targetILNS1_3genE9ELNS1_11target_archE1100ELNS1_3gpuE3ELNS1_3repE0EEENS1_30default_config_static_selectorELNS0_4arch9wavefront6targetE0EEEvS11_,@function
_ZN7rocprim17ROCPRIM_400000_NS6detail17trampoline_kernelINS0_14default_configENS1_27lower_bound_config_selectorIN6thrust23THRUST_200600_302600_NS5tupleIiiNS6_9null_typeES8_S8_S8_S8_S8_S8_S8_EElEEZNS1_14transform_implILb0ES3_SA_NS6_6detail15normal_iteratorINS6_7pointerIS9_NS6_11hip_rocprim5par_tENS6_11use_defaultESH_EEEENSD_INSE_IlSG_SH_SH_EEEEZNS1_13binary_searchIS3_SA_NSD_INS6_10device_ptrIS9_EEEESJ_SL_NS1_21lower_bound_search_opENSC_16wrapped_functionINS6_6system6detail7generic6detail18binary_search_lessEbEEEE10hipError_tPvRmT1_T2_T3_mmT4_T5_P12ihipStream_tbEUlRKS9_E_EESY_S12_S13_mS14_S17_bEUlT_E_NS1_11comp_targetILNS1_3genE9ELNS1_11target_archE1100ELNS1_3gpuE3ELNS1_3repE0EEENS1_30default_config_static_selectorELNS0_4arch9wavefront6targetE0EEEvS11_: ; @_ZN7rocprim17ROCPRIM_400000_NS6detail17trampoline_kernelINS0_14default_configENS1_27lower_bound_config_selectorIN6thrust23THRUST_200600_302600_NS5tupleIiiNS6_9null_typeES8_S8_S8_S8_S8_S8_S8_EElEEZNS1_14transform_implILb0ES3_SA_NS6_6detail15normal_iteratorINS6_7pointerIS9_NS6_11hip_rocprim5par_tENS6_11use_defaultESH_EEEENSD_INSE_IlSG_SH_SH_EEEEZNS1_13binary_searchIS3_SA_NSD_INS6_10device_ptrIS9_EEEESJ_SL_NS1_21lower_bound_search_opENSC_16wrapped_functionINS6_6system6detail7generic6detail18binary_search_lessEbEEEE10hipError_tPvRmT1_T2_T3_mmT4_T5_P12ihipStream_tbEUlRKS9_E_EESY_S12_S13_mS14_S17_bEUlT_E_NS1_11comp_targetILNS1_3genE9ELNS1_11target_archE1100ELNS1_3gpuE3ELNS1_3repE0EEENS1_30default_config_static_selectorELNS0_4arch9wavefront6targetE0EEEvS11_
; %bb.0:
	.section	.rodata,"a",@progbits
	.p2align	6, 0x0
	.amdhsa_kernel _ZN7rocprim17ROCPRIM_400000_NS6detail17trampoline_kernelINS0_14default_configENS1_27lower_bound_config_selectorIN6thrust23THRUST_200600_302600_NS5tupleIiiNS6_9null_typeES8_S8_S8_S8_S8_S8_S8_EElEEZNS1_14transform_implILb0ES3_SA_NS6_6detail15normal_iteratorINS6_7pointerIS9_NS6_11hip_rocprim5par_tENS6_11use_defaultESH_EEEENSD_INSE_IlSG_SH_SH_EEEEZNS1_13binary_searchIS3_SA_NSD_INS6_10device_ptrIS9_EEEESJ_SL_NS1_21lower_bound_search_opENSC_16wrapped_functionINS6_6system6detail7generic6detail18binary_search_lessEbEEEE10hipError_tPvRmT1_T2_T3_mmT4_T5_P12ihipStream_tbEUlRKS9_E_EESY_S12_S13_mS14_S17_bEUlT_E_NS1_11comp_targetILNS1_3genE9ELNS1_11target_archE1100ELNS1_3gpuE3ELNS1_3repE0EEENS1_30default_config_static_selectorELNS0_4arch9wavefront6targetE0EEEvS11_
		.amdhsa_group_segment_fixed_size 0
		.amdhsa_private_segment_fixed_size 0
		.amdhsa_kernarg_size 56
		.amdhsa_user_sgpr_count 6
		.amdhsa_user_sgpr_private_segment_buffer 1
		.amdhsa_user_sgpr_dispatch_ptr 0
		.amdhsa_user_sgpr_queue_ptr 0
		.amdhsa_user_sgpr_kernarg_segment_ptr 1
		.amdhsa_user_sgpr_dispatch_id 0
		.amdhsa_user_sgpr_flat_scratch_init 0
		.amdhsa_user_sgpr_private_segment_size 0
		.amdhsa_wavefront_size32 1
		.amdhsa_uses_dynamic_stack 0
		.amdhsa_system_sgpr_private_segment_wavefront_offset 0
		.amdhsa_system_sgpr_workgroup_id_x 1
		.amdhsa_system_sgpr_workgroup_id_y 0
		.amdhsa_system_sgpr_workgroup_id_z 0
		.amdhsa_system_sgpr_workgroup_info 0
		.amdhsa_system_vgpr_workitem_id 0
		.amdhsa_next_free_vgpr 1
		.amdhsa_next_free_sgpr 1
		.amdhsa_reserve_vcc 0
		.amdhsa_reserve_flat_scratch 0
		.amdhsa_float_round_mode_32 0
		.amdhsa_float_round_mode_16_64 0
		.amdhsa_float_denorm_mode_32 3
		.amdhsa_float_denorm_mode_16_64 3
		.amdhsa_dx10_clamp 1
		.amdhsa_ieee_mode 1
		.amdhsa_fp16_overflow 0
		.amdhsa_workgroup_processor_mode 1
		.amdhsa_memory_ordered 1
		.amdhsa_forward_progress 1
		.amdhsa_shared_vgpr_count 0
		.amdhsa_exception_fp_ieee_invalid_op 0
		.amdhsa_exception_fp_denorm_src 0
		.amdhsa_exception_fp_ieee_div_zero 0
		.amdhsa_exception_fp_ieee_overflow 0
		.amdhsa_exception_fp_ieee_underflow 0
		.amdhsa_exception_fp_ieee_inexact 0
		.amdhsa_exception_int_div_zero 0
	.end_amdhsa_kernel
	.section	.text._ZN7rocprim17ROCPRIM_400000_NS6detail17trampoline_kernelINS0_14default_configENS1_27lower_bound_config_selectorIN6thrust23THRUST_200600_302600_NS5tupleIiiNS6_9null_typeES8_S8_S8_S8_S8_S8_S8_EElEEZNS1_14transform_implILb0ES3_SA_NS6_6detail15normal_iteratorINS6_7pointerIS9_NS6_11hip_rocprim5par_tENS6_11use_defaultESH_EEEENSD_INSE_IlSG_SH_SH_EEEEZNS1_13binary_searchIS3_SA_NSD_INS6_10device_ptrIS9_EEEESJ_SL_NS1_21lower_bound_search_opENSC_16wrapped_functionINS6_6system6detail7generic6detail18binary_search_lessEbEEEE10hipError_tPvRmT1_T2_T3_mmT4_T5_P12ihipStream_tbEUlRKS9_E_EESY_S12_S13_mS14_S17_bEUlT_E_NS1_11comp_targetILNS1_3genE9ELNS1_11target_archE1100ELNS1_3gpuE3ELNS1_3repE0EEENS1_30default_config_static_selectorELNS0_4arch9wavefront6targetE0EEEvS11_,"axG",@progbits,_ZN7rocprim17ROCPRIM_400000_NS6detail17trampoline_kernelINS0_14default_configENS1_27lower_bound_config_selectorIN6thrust23THRUST_200600_302600_NS5tupleIiiNS6_9null_typeES8_S8_S8_S8_S8_S8_S8_EElEEZNS1_14transform_implILb0ES3_SA_NS6_6detail15normal_iteratorINS6_7pointerIS9_NS6_11hip_rocprim5par_tENS6_11use_defaultESH_EEEENSD_INSE_IlSG_SH_SH_EEEEZNS1_13binary_searchIS3_SA_NSD_INS6_10device_ptrIS9_EEEESJ_SL_NS1_21lower_bound_search_opENSC_16wrapped_functionINS6_6system6detail7generic6detail18binary_search_lessEbEEEE10hipError_tPvRmT1_T2_T3_mmT4_T5_P12ihipStream_tbEUlRKS9_E_EESY_S12_S13_mS14_S17_bEUlT_E_NS1_11comp_targetILNS1_3genE9ELNS1_11target_archE1100ELNS1_3gpuE3ELNS1_3repE0EEENS1_30default_config_static_selectorELNS0_4arch9wavefront6targetE0EEEvS11_,comdat
.Lfunc_end438:
	.size	_ZN7rocprim17ROCPRIM_400000_NS6detail17trampoline_kernelINS0_14default_configENS1_27lower_bound_config_selectorIN6thrust23THRUST_200600_302600_NS5tupleIiiNS6_9null_typeES8_S8_S8_S8_S8_S8_S8_EElEEZNS1_14transform_implILb0ES3_SA_NS6_6detail15normal_iteratorINS6_7pointerIS9_NS6_11hip_rocprim5par_tENS6_11use_defaultESH_EEEENSD_INSE_IlSG_SH_SH_EEEEZNS1_13binary_searchIS3_SA_NSD_INS6_10device_ptrIS9_EEEESJ_SL_NS1_21lower_bound_search_opENSC_16wrapped_functionINS6_6system6detail7generic6detail18binary_search_lessEbEEEE10hipError_tPvRmT1_T2_T3_mmT4_T5_P12ihipStream_tbEUlRKS9_E_EESY_S12_S13_mS14_S17_bEUlT_E_NS1_11comp_targetILNS1_3genE9ELNS1_11target_archE1100ELNS1_3gpuE3ELNS1_3repE0EEENS1_30default_config_static_selectorELNS0_4arch9wavefront6targetE0EEEvS11_, .Lfunc_end438-_ZN7rocprim17ROCPRIM_400000_NS6detail17trampoline_kernelINS0_14default_configENS1_27lower_bound_config_selectorIN6thrust23THRUST_200600_302600_NS5tupleIiiNS6_9null_typeES8_S8_S8_S8_S8_S8_S8_EElEEZNS1_14transform_implILb0ES3_SA_NS6_6detail15normal_iteratorINS6_7pointerIS9_NS6_11hip_rocprim5par_tENS6_11use_defaultESH_EEEENSD_INSE_IlSG_SH_SH_EEEEZNS1_13binary_searchIS3_SA_NSD_INS6_10device_ptrIS9_EEEESJ_SL_NS1_21lower_bound_search_opENSC_16wrapped_functionINS6_6system6detail7generic6detail18binary_search_lessEbEEEE10hipError_tPvRmT1_T2_T3_mmT4_T5_P12ihipStream_tbEUlRKS9_E_EESY_S12_S13_mS14_S17_bEUlT_E_NS1_11comp_targetILNS1_3genE9ELNS1_11target_archE1100ELNS1_3gpuE3ELNS1_3repE0EEENS1_30default_config_static_selectorELNS0_4arch9wavefront6targetE0EEEvS11_
                                        ; -- End function
	.set _ZN7rocprim17ROCPRIM_400000_NS6detail17trampoline_kernelINS0_14default_configENS1_27lower_bound_config_selectorIN6thrust23THRUST_200600_302600_NS5tupleIiiNS6_9null_typeES8_S8_S8_S8_S8_S8_S8_EElEEZNS1_14transform_implILb0ES3_SA_NS6_6detail15normal_iteratorINS6_7pointerIS9_NS6_11hip_rocprim5par_tENS6_11use_defaultESH_EEEENSD_INSE_IlSG_SH_SH_EEEEZNS1_13binary_searchIS3_SA_NSD_INS6_10device_ptrIS9_EEEESJ_SL_NS1_21lower_bound_search_opENSC_16wrapped_functionINS6_6system6detail7generic6detail18binary_search_lessEbEEEE10hipError_tPvRmT1_T2_T3_mmT4_T5_P12ihipStream_tbEUlRKS9_E_EESY_S12_S13_mS14_S17_bEUlT_E_NS1_11comp_targetILNS1_3genE9ELNS1_11target_archE1100ELNS1_3gpuE3ELNS1_3repE0EEENS1_30default_config_static_selectorELNS0_4arch9wavefront6targetE0EEEvS11_.num_vgpr, 0
	.set _ZN7rocprim17ROCPRIM_400000_NS6detail17trampoline_kernelINS0_14default_configENS1_27lower_bound_config_selectorIN6thrust23THRUST_200600_302600_NS5tupleIiiNS6_9null_typeES8_S8_S8_S8_S8_S8_S8_EElEEZNS1_14transform_implILb0ES3_SA_NS6_6detail15normal_iteratorINS6_7pointerIS9_NS6_11hip_rocprim5par_tENS6_11use_defaultESH_EEEENSD_INSE_IlSG_SH_SH_EEEEZNS1_13binary_searchIS3_SA_NSD_INS6_10device_ptrIS9_EEEESJ_SL_NS1_21lower_bound_search_opENSC_16wrapped_functionINS6_6system6detail7generic6detail18binary_search_lessEbEEEE10hipError_tPvRmT1_T2_T3_mmT4_T5_P12ihipStream_tbEUlRKS9_E_EESY_S12_S13_mS14_S17_bEUlT_E_NS1_11comp_targetILNS1_3genE9ELNS1_11target_archE1100ELNS1_3gpuE3ELNS1_3repE0EEENS1_30default_config_static_selectorELNS0_4arch9wavefront6targetE0EEEvS11_.num_agpr, 0
	.set _ZN7rocprim17ROCPRIM_400000_NS6detail17trampoline_kernelINS0_14default_configENS1_27lower_bound_config_selectorIN6thrust23THRUST_200600_302600_NS5tupleIiiNS6_9null_typeES8_S8_S8_S8_S8_S8_S8_EElEEZNS1_14transform_implILb0ES3_SA_NS6_6detail15normal_iteratorINS6_7pointerIS9_NS6_11hip_rocprim5par_tENS6_11use_defaultESH_EEEENSD_INSE_IlSG_SH_SH_EEEEZNS1_13binary_searchIS3_SA_NSD_INS6_10device_ptrIS9_EEEESJ_SL_NS1_21lower_bound_search_opENSC_16wrapped_functionINS6_6system6detail7generic6detail18binary_search_lessEbEEEE10hipError_tPvRmT1_T2_T3_mmT4_T5_P12ihipStream_tbEUlRKS9_E_EESY_S12_S13_mS14_S17_bEUlT_E_NS1_11comp_targetILNS1_3genE9ELNS1_11target_archE1100ELNS1_3gpuE3ELNS1_3repE0EEENS1_30default_config_static_selectorELNS0_4arch9wavefront6targetE0EEEvS11_.numbered_sgpr, 0
	.set _ZN7rocprim17ROCPRIM_400000_NS6detail17trampoline_kernelINS0_14default_configENS1_27lower_bound_config_selectorIN6thrust23THRUST_200600_302600_NS5tupleIiiNS6_9null_typeES8_S8_S8_S8_S8_S8_S8_EElEEZNS1_14transform_implILb0ES3_SA_NS6_6detail15normal_iteratorINS6_7pointerIS9_NS6_11hip_rocprim5par_tENS6_11use_defaultESH_EEEENSD_INSE_IlSG_SH_SH_EEEEZNS1_13binary_searchIS3_SA_NSD_INS6_10device_ptrIS9_EEEESJ_SL_NS1_21lower_bound_search_opENSC_16wrapped_functionINS6_6system6detail7generic6detail18binary_search_lessEbEEEE10hipError_tPvRmT1_T2_T3_mmT4_T5_P12ihipStream_tbEUlRKS9_E_EESY_S12_S13_mS14_S17_bEUlT_E_NS1_11comp_targetILNS1_3genE9ELNS1_11target_archE1100ELNS1_3gpuE3ELNS1_3repE0EEENS1_30default_config_static_selectorELNS0_4arch9wavefront6targetE0EEEvS11_.num_named_barrier, 0
	.set _ZN7rocprim17ROCPRIM_400000_NS6detail17trampoline_kernelINS0_14default_configENS1_27lower_bound_config_selectorIN6thrust23THRUST_200600_302600_NS5tupleIiiNS6_9null_typeES8_S8_S8_S8_S8_S8_S8_EElEEZNS1_14transform_implILb0ES3_SA_NS6_6detail15normal_iteratorINS6_7pointerIS9_NS6_11hip_rocprim5par_tENS6_11use_defaultESH_EEEENSD_INSE_IlSG_SH_SH_EEEEZNS1_13binary_searchIS3_SA_NSD_INS6_10device_ptrIS9_EEEESJ_SL_NS1_21lower_bound_search_opENSC_16wrapped_functionINS6_6system6detail7generic6detail18binary_search_lessEbEEEE10hipError_tPvRmT1_T2_T3_mmT4_T5_P12ihipStream_tbEUlRKS9_E_EESY_S12_S13_mS14_S17_bEUlT_E_NS1_11comp_targetILNS1_3genE9ELNS1_11target_archE1100ELNS1_3gpuE3ELNS1_3repE0EEENS1_30default_config_static_selectorELNS0_4arch9wavefront6targetE0EEEvS11_.private_seg_size, 0
	.set _ZN7rocprim17ROCPRIM_400000_NS6detail17trampoline_kernelINS0_14default_configENS1_27lower_bound_config_selectorIN6thrust23THRUST_200600_302600_NS5tupleIiiNS6_9null_typeES8_S8_S8_S8_S8_S8_S8_EElEEZNS1_14transform_implILb0ES3_SA_NS6_6detail15normal_iteratorINS6_7pointerIS9_NS6_11hip_rocprim5par_tENS6_11use_defaultESH_EEEENSD_INSE_IlSG_SH_SH_EEEEZNS1_13binary_searchIS3_SA_NSD_INS6_10device_ptrIS9_EEEESJ_SL_NS1_21lower_bound_search_opENSC_16wrapped_functionINS6_6system6detail7generic6detail18binary_search_lessEbEEEE10hipError_tPvRmT1_T2_T3_mmT4_T5_P12ihipStream_tbEUlRKS9_E_EESY_S12_S13_mS14_S17_bEUlT_E_NS1_11comp_targetILNS1_3genE9ELNS1_11target_archE1100ELNS1_3gpuE3ELNS1_3repE0EEENS1_30default_config_static_selectorELNS0_4arch9wavefront6targetE0EEEvS11_.uses_vcc, 0
	.set _ZN7rocprim17ROCPRIM_400000_NS6detail17trampoline_kernelINS0_14default_configENS1_27lower_bound_config_selectorIN6thrust23THRUST_200600_302600_NS5tupleIiiNS6_9null_typeES8_S8_S8_S8_S8_S8_S8_EElEEZNS1_14transform_implILb0ES3_SA_NS6_6detail15normal_iteratorINS6_7pointerIS9_NS6_11hip_rocprim5par_tENS6_11use_defaultESH_EEEENSD_INSE_IlSG_SH_SH_EEEEZNS1_13binary_searchIS3_SA_NSD_INS6_10device_ptrIS9_EEEESJ_SL_NS1_21lower_bound_search_opENSC_16wrapped_functionINS6_6system6detail7generic6detail18binary_search_lessEbEEEE10hipError_tPvRmT1_T2_T3_mmT4_T5_P12ihipStream_tbEUlRKS9_E_EESY_S12_S13_mS14_S17_bEUlT_E_NS1_11comp_targetILNS1_3genE9ELNS1_11target_archE1100ELNS1_3gpuE3ELNS1_3repE0EEENS1_30default_config_static_selectorELNS0_4arch9wavefront6targetE0EEEvS11_.uses_flat_scratch, 0
	.set _ZN7rocprim17ROCPRIM_400000_NS6detail17trampoline_kernelINS0_14default_configENS1_27lower_bound_config_selectorIN6thrust23THRUST_200600_302600_NS5tupleIiiNS6_9null_typeES8_S8_S8_S8_S8_S8_S8_EElEEZNS1_14transform_implILb0ES3_SA_NS6_6detail15normal_iteratorINS6_7pointerIS9_NS6_11hip_rocprim5par_tENS6_11use_defaultESH_EEEENSD_INSE_IlSG_SH_SH_EEEEZNS1_13binary_searchIS3_SA_NSD_INS6_10device_ptrIS9_EEEESJ_SL_NS1_21lower_bound_search_opENSC_16wrapped_functionINS6_6system6detail7generic6detail18binary_search_lessEbEEEE10hipError_tPvRmT1_T2_T3_mmT4_T5_P12ihipStream_tbEUlRKS9_E_EESY_S12_S13_mS14_S17_bEUlT_E_NS1_11comp_targetILNS1_3genE9ELNS1_11target_archE1100ELNS1_3gpuE3ELNS1_3repE0EEENS1_30default_config_static_selectorELNS0_4arch9wavefront6targetE0EEEvS11_.has_dyn_sized_stack, 0
	.set _ZN7rocprim17ROCPRIM_400000_NS6detail17trampoline_kernelINS0_14default_configENS1_27lower_bound_config_selectorIN6thrust23THRUST_200600_302600_NS5tupleIiiNS6_9null_typeES8_S8_S8_S8_S8_S8_S8_EElEEZNS1_14transform_implILb0ES3_SA_NS6_6detail15normal_iteratorINS6_7pointerIS9_NS6_11hip_rocprim5par_tENS6_11use_defaultESH_EEEENSD_INSE_IlSG_SH_SH_EEEEZNS1_13binary_searchIS3_SA_NSD_INS6_10device_ptrIS9_EEEESJ_SL_NS1_21lower_bound_search_opENSC_16wrapped_functionINS6_6system6detail7generic6detail18binary_search_lessEbEEEE10hipError_tPvRmT1_T2_T3_mmT4_T5_P12ihipStream_tbEUlRKS9_E_EESY_S12_S13_mS14_S17_bEUlT_E_NS1_11comp_targetILNS1_3genE9ELNS1_11target_archE1100ELNS1_3gpuE3ELNS1_3repE0EEENS1_30default_config_static_selectorELNS0_4arch9wavefront6targetE0EEEvS11_.has_recursion, 0
	.set _ZN7rocprim17ROCPRIM_400000_NS6detail17trampoline_kernelINS0_14default_configENS1_27lower_bound_config_selectorIN6thrust23THRUST_200600_302600_NS5tupleIiiNS6_9null_typeES8_S8_S8_S8_S8_S8_S8_EElEEZNS1_14transform_implILb0ES3_SA_NS6_6detail15normal_iteratorINS6_7pointerIS9_NS6_11hip_rocprim5par_tENS6_11use_defaultESH_EEEENSD_INSE_IlSG_SH_SH_EEEEZNS1_13binary_searchIS3_SA_NSD_INS6_10device_ptrIS9_EEEESJ_SL_NS1_21lower_bound_search_opENSC_16wrapped_functionINS6_6system6detail7generic6detail18binary_search_lessEbEEEE10hipError_tPvRmT1_T2_T3_mmT4_T5_P12ihipStream_tbEUlRKS9_E_EESY_S12_S13_mS14_S17_bEUlT_E_NS1_11comp_targetILNS1_3genE9ELNS1_11target_archE1100ELNS1_3gpuE3ELNS1_3repE0EEENS1_30default_config_static_selectorELNS0_4arch9wavefront6targetE0EEEvS11_.has_indirect_call, 0
	.section	.AMDGPU.csdata,"",@progbits
; Kernel info:
; codeLenInByte = 0
; TotalNumSgprs: 0
; NumVgprs: 0
; ScratchSize: 0
; MemoryBound: 0
; FloatMode: 240
; IeeeMode: 1
; LDSByteSize: 0 bytes/workgroup (compile time only)
; SGPRBlocks: 0
; VGPRBlocks: 0
; NumSGPRsForWavesPerEU: 1
; NumVGPRsForWavesPerEU: 1
; Occupancy: 16
; WaveLimiterHint : 0
; COMPUTE_PGM_RSRC2:SCRATCH_EN: 0
; COMPUTE_PGM_RSRC2:USER_SGPR: 6
; COMPUTE_PGM_RSRC2:TRAP_HANDLER: 0
; COMPUTE_PGM_RSRC2:TGID_X_EN: 1
; COMPUTE_PGM_RSRC2:TGID_Y_EN: 0
; COMPUTE_PGM_RSRC2:TGID_Z_EN: 0
; COMPUTE_PGM_RSRC2:TIDIG_COMP_CNT: 0
	.section	.text._ZN7rocprim17ROCPRIM_400000_NS6detail17trampoline_kernelINS0_14default_configENS1_27lower_bound_config_selectorIN6thrust23THRUST_200600_302600_NS5tupleIiiNS6_9null_typeES8_S8_S8_S8_S8_S8_S8_EElEEZNS1_14transform_implILb0ES3_SA_NS6_6detail15normal_iteratorINS6_7pointerIS9_NS6_11hip_rocprim5par_tENS6_11use_defaultESH_EEEENSD_INSE_IlSG_SH_SH_EEEEZNS1_13binary_searchIS3_SA_NSD_INS6_10device_ptrIS9_EEEESJ_SL_NS1_21lower_bound_search_opENSC_16wrapped_functionINS6_6system6detail7generic6detail18binary_search_lessEbEEEE10hipError_tPvRmT1_T2_T3_mmT4_T5_P12ihipStream_tbEUlRKS9_E_EESY_S12_S13_mS14_S17_bEUlT_E_NS1_11comp_targetILNS1_3genE8ELNS1_11target_archE1030ELNS1_3gpuE2ELNS1_3repE0EEENS1_30default_config_static_selectorELNS0_4arch9wavefront6targetE0EEEvS11_,"axG",@progbits,_ZN7rocprim17ROCPRIM_400000_NS6detail17trampoline_kernelINS0_14default_configENS1_27lower_bound_config_selectorIN6thrust23THRUST_200600_302600_NS5tupleIiiNS6_9null_typeES8_S8_S8_S8_S8_S8_S8_EElEEZNS1_14transform_implILb0ES3_SA_NS6_6detail15normal_iteratorINS6_7pointerIS9_NS6_11hip_rocprim5par_tENS6_11use_defaultESH_EEEENSD_INSE_IlSG_SH_SH_EEEEZNS1_13binary_searchIS3_SA_NSD_INS6_10device_ptrIS9_EEEESJ_SL_NS1_21lower_bound_search_opENSC_16wrapped_functionINS6_6system6detail7generic6detail18binary_search_lessEbEEEE10hipError_tPvRmT1_T2_T3_mmT4_T5_P12ihipStream_tbEUlRKS9_E_EESY_S12_S13_mS14_S17_bEUlT_E_NS1_11comp_targetILNS1_3genE8ELNS1_11target_archE1030ELNS1_3gpuE2ELNS1_3repE0EEENS1_30default_config_static_selectorELNS0_4arch9wavefront6targetE0EEEvS11_,comdat
	.protected	_ZN7rocprim17ROCPRIM_400000_NS6detail17trampoline_kernelINS0_14default_configENS1_27lower_bound_config_selectorIN6thrust23THRUST_200600_302600_NS5tupleIiiNS6_9null_typeES8_S8_S8_S8_S8_S8_S8_EElEEZNS1_14transform_implILb0ES3_SA_NS6_6detail15normal_iteratorINS6_7pointerIS9_NS6_11hip_rocprim5par_tENS6_11use_defaultESH_EEEENSD_INSE_IlSG_SH_SH_EEEEZNS1_13binary_searchIS3_SA_NSD_INS6_10device_ptrIS9_EEEESJ_SL_NS1_21lower_bound_search_opENSC_16wrapped_functionINS6_6system6detail7generic6detail18binary_search_lessEbEEEE10hipError_tPvRmT1_T2_T3_mmT4_T5_P12ihipStream_tbEUlRKS9_E_EESY_S12_S13_mS14_S17_bEUlT_E_NS1_11comp_targetILNS1_3genE8ELNS1_11target_archE1030ELNS1_3gpuE2ELNS1_3repE0EEENS1_30default_config_static_selectorELNS0_4arch9wavefront6targetE0EEEvS11_ ; -- Begin function _ZN7rocprim17ROCPRIM_400000_NS6detail17trampoline_kernelINS0_14default_configENS1_27lower_bound_config_selectorIN6thrust23THRUST_200600_302600_NS5tupleIiiNS6_9null_typeES8_S8_S8_S8_S8_S8_S8_EElEEZNS1_14transform_implILb0ES3_SA_NS6_6detail15normal_iteratorINS6_7pointerIS9_NS6_11hip_rocprim5par_tENS6_11use_defaultESH_EEEENSD_INSE_IlSG_SH_SH_EEEEZNS1_13binary_searchIS3_SA_NSD_INS6_10device_ptrIS9_EEEESJ_SL_NS1_21lower_bound_search_opENSC_16wrapped_functionINS6_6system6detail7generic6detail18binary_search_lessEbEEEE10hipError_tPvRmT1_T2_T3_mmT4_T5_P12ihipStream_tbEUlRKS9_E_EESY_S12_S13_mS14_S17_bEUlT_E_NS1_11comp_targetILNS1_3genE8ELNS1_11target_archE1030ELNS1_3gpuE2ELNS1_3repE0EEENS1_30default_config_static_selectorELNS0_4arch9wavefront6targetE0EEEvS11_
	.globl	_ZN7rocprim17ROCPRIM_400000_NS6detail17trampoline_kernelINS0_14default_configENS1_27lower_bound_config_selectorIN6thrust23THRUST_200600_302600_NS5tupleIiiNS6_9null_typeES8_S8_S8_S8_S8_S8_S8_EElEEZNS1_14transform_implILb0ES3_SA_NS6_6detail15normal_iteratorINS6_7pointerIS9_NS6_11hip_rocprim5par_tENS6_11use_defaultESH_EEEENSD_INSE_IlSG_SH_SH_EEEEZNS1_13binary_searchIS3_SA_NSD_INS6_10device_ptrIS9_EEEESJ_SL_NS1_21lower_bound_search_opENSC_16wrapped_functionINS6_6system6detail7generic6detail18binary_search_lessEbEEEE10hipError_tPvRmT1_T2_T3_mmT4_T5_P12ihipStream_tbEUlRKS9_E_EESY_S12_S13_mS14_S17_bEUlT_E_NS1_11comp_targetILNS1_3genE8ELNS1_11target_archE1030ELNS1_3gpuE2ELNS1_3repE0EEENS1_30default_config_static_selectorELNS0_4arch9wavefront6targetE0EEEvS11_
	.p2align	8
	.type	_ZN7rocprim17ROCPRIM_400000_NS6detail17trampoline_kernelINS0_14default_configENS1_27lower_bound_config_selectorIN6thrust23THRUST_200600_302600_NS5tupleIiiNS6_9null_typeES8_S8_S8_S8_S8_S8_S8_EElEEZNS1_14transform_implILb0ES3_SA_NS6_6detail15normal_iteratorINS6_7pointerIS9_NS6_11hip_rocprim5par_tENS6_11use_defaultESH_EEEENSD_INSE_IlSG_SH_SH_EEEEZNS1_13binary_searchIS3_SA_NSD_INS6_10device_ptrIS9_EEEESJ_SL_NS1_21lower_bound_search_opENSC_16wrapped_functionINS6_6system6detail7generic6detail18binary_search_lessEbEEEE10hipError_tPvRmT1_T2_T3_mmT4_T5_P12ihipStream_tbEUlRKS9_E_EESY_S12_S13_mS14_S17_bEUlT_E_NS1_11comp_targetILNS1_3genE8ELNS1_11target_archE1030ELNS1_3gpuE2ELNS1_3repE0EEENS1_30default_config_static_selectorELNS0_4arch9wavefront6targetE0EEEvS11_,@function
_ZN7rocprim17ROCPRIM_400000_NS6detail17trampoline_kernelINS0_14default_configENS1_27lower_bound_config_selectorIN6thrust23THRUST_200600_302600_NS5tupleIiiNS6_9null_typeES8_S8_S8_S8_S8_S8_S8_EElEEZNS1_14transform_implILb0ES3_SA_NS6_6detail15normal_iteratorINS6_7pointerIS9_NS6_11hip_rocprim5par_tENS6_11use_defaultESH_EEEENSD_INSE_IlSG_SH_SH_EEEEZNS1_13binary_searchIS3_SA_NSD_INS6_10device_ptrIS9_EEEESJ_SL_NS1_21lower_bound_search_opENSC_16wrapped_functionINS6_6system6detail7generic6detail18binary_search_lessEbEEEE10hipError_tPvRmT1_T2_T3_mmT4_T5_P12ihipStream_tbEUlRKS9_E_EESY_S12_S13_mS14_S17_bEUlT_E_NS1_11comp_targetILNS1_3genE8ELNS1_11target_archE1030ELNS1_3gpuE2ELNS1_3repE0EEENS1_30default_config_static_selectorELNS0_4arch9wavefront6targetE0EEEvS11_: ; @_ZN7rocprim17ROCPRIM_400000_NS6detail17trampoline_kernelINS0_14default_configENS1_27lower_bound_config_selectorIN6thrust23THRUST_200600_302600_NS5tupleIiiNS6_9null_typeES8_S8_S8_S8_S8_S8_S8_EElEEZNS1_14transform_implILb0ES3_SA_NS6_6detail15normal_iteratorINS6_7pointerIS9_NS6_11hip_rocprim5par_tENS6_11use_defaultESH_EEEENSD_INSE_IlSG_SH_SH_EEEEZNS1_13binary_searchIS3_SA_NSD_INS6_10device_ptrIS9_EEEESJ_SL_NS1_21lower_bound_search_opENSC_16wrapped_functionINS6_6system6detail7generic6detail18binary_search_lessEbEEEE10hipError_tPvRmT1_T2_T3_mmT4_T5_P12ihipStream_tbEUlRKS9_E_EESY_S12_S13_mS14_S17_bEUlT_E_NS1_11comp_targetILNS1_3genE8ELNS1_11target_archE1030ELNS1_3gpuE2ELNS1_3repE0EEENS1_30default_config_static_selectorELNS0_4arch9wavefront6targetE0EEEvS11_
; %bb.0:
	s_clause 0x3
	s_load_dwordx4 s[16:19], s[4:5], 0x0
	s_load_dwordx4 s[8:11], s[4:5], 0x18
	s_load_dword s15, s[4:5], 0x38
	s_load_dwordx2 s[2:3], s[4:5], 0x28
	s_waitcnt lgkmcnt(0)
	s_lshl_b64 s[0:1], s[18:19], 3
	s_add_u32 s13, s16, s0
	s_addc_u32 s14, s17, s1
	s_add_u32 s7, s8, s0
	s_addc_u32 s12, s9, s1
	s_add_i32 s15, s15, -1
	s_lshl_b32 s8, s6, 8
	s_mov_b32 s9, 0
	s_cmp_lg_u32 s6, s15
	s_mov_b32 s0, -1
	s_cbranch_scc0 .LBB439_7
; %bb.1:
	s_cmp_eq_u64 s[2:3], 0
	s_cbranch_scc1 .LBB439_5
; %bb.2:
	v_lshlrev_b32_e32 v1, 3, v0
	s_lshl_b64 s[0:1], s[8:9], 3
	v_mov_b32_e32 v6, s3
	s_add_u32 s0, s13, s0
	s_addc_u32 s1, s14, s1
	v_add_co_u32 v1, s0, s0, v1
	v_add_co_ci_u32_e64 v2, null, s1, 0, s0
	v_mov_b32_e32 v5, s2
	s_mov_b32 s6, 0
	flat_load_dwordx2 v[3:4], v[1:2]
	v_mov_b32_e32 v1, 0
	v_mov_b32_e32 v2, 0
	s_inst_prefetch 0x1
	.p2align	6
.LBB439_3:                              ; =>This Inner Loop Header: Depth=1
	v_sub_co_u32 v7, vcc_lo, v5, v1
	v_sub_co_ci_u32_e64 v8, null, v6, v2, vcc_lo
	v_lshrrev_b64 v[9:10], 1, v[7:8]
	v_lshrrev_b64 v[7:8], 6, v[7:8]
	v_add_co_u32 v9, vcc_lo, v9, v1
	v_add_co_ci_u32_e64 v10, null, v10, v2, vcc_lo
	v_add_co_u32 v7, vcc_lo, v9, v7
	v_add_co_ci_u32_e64 v8, null, v10, v8, vcc_lo
	v_lshlrev_b64 v[9:10], 3, v[7:8]
	v_add_co_u32 v9, vcc_lo, s10, v9
	v_add_co_ci_u32_e64 v10, null, s11, v10, vcc_lo
	v_add_co_u32 v11, vcc_lo, v7, 1
	v_add_co_ci_u32_e64 v12, null, 0, v8, vcc_lo
	global_load_dwordx2 v[9:10], v[9:10], off
	s_waitcnt vmcnt(0) lgkmcnt(0)
	v_cmp_ge_i32_e32 vcc_lo, v3, v9
	v_cmp_lt_i32_e64 s0, v10, v4
	v_cmp_lt_i32_e64 s1, v9, v3
	s_and_b32 s0, vcc_lo, s0
	s_or_b32 vcc_lo, s1, s0
	v_cndmask_b32_e32 v6, v8, v6, vcc_lo
	v_cndmask_b32_e32 v5, v7, v5, vcc_lo
	v_cndmask_b32_e32 v2, v2, v12, vcc_lo
	v_cndmask_b32_e32 v1, v1, v11, vcc_lo
	v_cmp_ge_u64_e32 vcc_lo, v[1:2], v[5:6]
	s_or_b32 s6, vcc_lo, s6
	s_andn2_b32 exec_lo, exec_lo, s6
	s_cbranch_execnz .LBB439_3
; %bb.4:
	s_inst_prefetch 0x2
	s_or_b32 exec_lo, exec_lo, s6
	s_branch .LBB439_6
.LBB439_5:
	v_mov_b32_e32 v1, 0
	v_mov_b32_e32 v2, 0
.LBB439_6:
	v_lshlrev_b32_e32 v3, 3, v0
	s_lshl_b64 s[0:1], s[8:9], 3
	s_add_u32 s0, s7, s0
	s_addc_u32 s1, s12, s1
	v_add_co_u32 v3, s0, s0, v3
	v_add_co_ci_u32_e64 v4, null, s1, 0, s0
	s_mov_b32 s0, 0
	flat_store_dwordx2 v[3:4], v[1:2]
.LBB439_7:
	s_and_b32 vcc_lo, exec_lo, s0
	s_cbranch_vccz .LBB439_16
; %bb.8:
	s_load_dword s0, s[4:5], 0x10
	v_mov_b32_e32 v4, 0
	v_mov_b32_e32 v3, 0
	s_waitcnt lgkmcnt(0)
	s_sub_i32 s1, s0, s8
	v_cmp_le_u32_e64 s0, s1, v0
	v_cmp_gt_u32_e32 vcc_lo, s1, v0
	s_and_saveexec_b32 s1, vcc_lo
	s_cbranch_execz .LBB439_10
; %bb.9:
	v_lshlrev_b32_e32 v1, 3, v0
	s_lshl_b64 s[4:5], s[8:9], 3
	s_add_u32 s4, s13, s4
	s_addc_u32 s5, s14, s5
	v_add_co_u32 v1, s4, s4, v1
	v_add_co_ci_u32_e64 v2, null, s5, 0, s4
	flat_load_dwordx2 v[3:4], v[1:2]
.LBB439_10:
	s_or_b32 exec_lo, exec_lo, s1
	s_cmp_lg_u64 s[2:3], 0
	v_mov_b32_e32 v1, 0
	v_mov_b32_e32 v2, 0
	s_cselect_b32 s1, -1, 0
	s_xor_b32 s0, s0, -1
	s_and_b32 s0, s0, s1
	s_and_saveexec_b32 s4, s0
	s_cbranch_execz .LBB439_14
; %bb.11:
	v_mov_b32_e32 v1, 0
	v_mov_b32_e32 v6, s3
	;; [unrolled: 1-line block ×4, first 2 shown]
	s_mov_b32 s3, 0
.LBB439_12:                             ; =>This Inner Loop Header: Depth=1
	v_sub_co_u32 v7, s0, v5, v1
	v_sub_co_ci_u32_e64 v8, null, v6, v2, s0
	v_lshrrev_b64 v[9:10], 1, v[7:8]
	v_lshrrev_b64 v[7:8], 6, v[7:8]
	v_add_co_u32 v9, s0, v9, v1
	v_add_co_ci_u32_e64 v10, null, v10, v2, s0
	v_add_co_u32 v7, s0, v9, v7
	v_add_co_ci_u32_e64 v8, null, v10, v8, s0
	v_lshlrev_b64 v[9:10], 3, v[7:8]
	v_add_co_u32 v9, s0, s10, v9
	v_add_co_ci_u32_e64 v10, null, s11, v10, s0
	v_add_co_u32 v11, s0, v7, 1
	v_add_co_ci_u32_e64 v12, null, 0, v8, s0
	global_load_dwordx2 v[9:10], v[9:10], off
	s_waitcnt vmcnt(0) lgkmcnt(0)
	v_cmp_ge_i32_e64 s0, v3, v9
	v_cmp_lt_i32_e64 s1, v10, v4
	v_cmp_lt_i32_e64 s2, v9, v3
	s_and_b32 s0, s0, s1
	s_or_b32 s0, s2, s0
	v_cndmask_b32_e64 v6, v8, v6, s0
	v_cndmask_b32_e64 v5, v7, v5, s0
	;; [unrolled: 1-line block ×4, first 2 shown]
	v_cmp_ge_u64_e64 s0, v[1:2], v[5:6]
	s_or_b32 s3, s0, s3
	s_andn2_b32 exec_lo, exec_lo, s3
	s_cbranch_execnz .LBB439_12
; %bb.13:
	s_or_b32 exec_lo, exec_lo, s3
.LBB439_14:
	s_or_b32 exec_lo, exec_lo, s4
	s_and_saveexec_b32 s0, vcc_lo
	s_cbranch_execz .LBB439_16
; %bb.15:
	v_lshlrev_b32_e32 v0, 3, v0
	s_lshl_b64 s[0:1], s[8:9], 3
	s_add_u32 s0, s7, s0
	s_addc_u32 s1, s12, s1
	s_waitcnt vmcnt(0) lgkmcnt(0)
	v_add_co_u32 v3, s0, s0, v0
	v_add_co_ci_u32_e64 v4, null, s1, 0, s0
	flat_store_dwordx2 v[3:4], v[1:2]
.LBB439_16:
	s_endpgm
	.section	.rodata,"a",@progbits
	.p2align	6, 0x0
	.amdhsa_kernel _ZN7rocprim17ROCPRIM_400000_NS6detail17trampoline_kernelINS0_14default_configENS1_27lower_bound_config_selectorIN6thrust23THRUST_200600_302600_NS5tupleIiiNS6_9null_typeES8_S8_S8_S8_S8_S8_S8_EElEEZNS1_14transform_implILb0ES3_SA_NS6_6detail15normal_iteratorINS6_7pointerIS9_NS6_11hip_rocprim5par_tENS6_11use_defaultESH_EEEENSD_INSE_IlSG_SH_SH_EEEEZNS1_13binary_searchIS3_SA_NSD_INS6_10device_ptrIS9_EEEESJ_SL_NS1_21lower_bound_search_opENSC_16wrapped_functionINS6_6system6detail7generic6detail18binary_search_lessEbEEEE10hipError_tPvRmT1_T2_T3_mmT4_T5_P12ihipStream_tbEUlRKS9_E_EESY_S12_S13_mS14_S17_bEUlT_E_NS1_11comp_targetILNS1_3genE8ELNS1_11target_archE1030ELNS1_3gpuE2ELNS1_3repE0EEENS1_30default_config_static_selectorELNS0_4arch9wavefront6targetE0EEEvS11_
		.amdhsa_group_segment_fixed_size 0
		.amdhsa_private_segment_fixed_size 0
		.amdhsa_kernarg_size 312
		.amdhsa_user_sgpr_count 6
		.amdhsa_user_sgpr_private_segment_buffer 1
		.amdhsa_user_sgpr_dispatch_ptr 0
		.amdhsa_user_sgpr_queue_ptr 0
		.amdhsa_user_sgpr_kernarg_segment_ptr 1
		.amdhsa_user_sgpr_dispatch_id 0
		.amdhsa_user_sgpr_flat_scratch_init 0
		.amdhsa_user_sgpr_private_segment_size 0
		.amdhsa_wavefront_size32 1
		.amdhsa_uses_dynamic_stack 0
		.amdhsa_system_sgpr_private_segment_wavefront_offset 0
		.amdhsa_system_sgpr_workgroup_id_x 1
		.amdhsa_system_sgpr_workgroup_id_y 0
		.amdhsa_system_sgpr_workgroup_id_z 0
		.amdhsa_system_sgpr_workgroup_info 0
		.amdhsa_system_vgpr_workitem_id 0
		.amdhsa_next_free_vgpr 13
		.amdhsa_next_free_sgpr 20
		.amdhsa_reserve_vcc 1
		.amdhsa_reserve_flat_scratch 0
		.amdhsa_float_round_mode_32 0
		.amdhsa_float_round_mode_16_64 0
		.amdhsa_float_denorm_mode_32 3
		.amdhsa_float_denorm_mode_16_64 3
		.amdhsa_dx10_clamp 1
		.amdhsa_ieee_mode 1
		.amdhsa_fp16_overflow 0
		.amdhsa_workgroup_processor_mode 1
		.amdhsa_memory_ordered 1
		.amdhsa_forward_progress 1
		.amdhsa_shared_vgpr_count 0
		.amdhsa_exception_fp_ieee_invalid_op 0
		.amdhsa_exception_fp_denorm_src 0
		.amdhsa_exception_fp_ieee_div_zero 0
		.amdhsa_exception_fp_ieee_overflow 0
		.amdhsa_exception_fp_ieee_underflow 0
		.amdhsa_exception_fp_ieee_inexact 0
		.amdhsa_exception_int_div_zero 0
	.end_amdhsa_kernel
	.section	.text._ZN7rocprim17ROCPRIM_400000_NS6detail17trampoline_kernelINS0_14default_configENS1_27lower_bound_config_selectorIN6thrust23THRUST_200600_302600_NS5tupleIiiNS6_9null_typeES8_S8_S8_S8_S8_S8_S8_EElEEZNS1_14transform_implILb0ES3_SA_NS6_6detail15normal_iteratorINS6_7pointerIS9_NS6_11hip_rocprim5par_tENS6_11use_defaultESH_EEEENSD_INSE_IlSG_SH_SH_EEEEZNS1_13binary_searchIS3_SA_NSD_INS6_10device_ptrIS9_EEEESJ_SL_NS1_21lower_bound_search_opENSC_16wrapped_functionINS6_6system6detail7generic6detail18binary_search_lessEbEEEE10hipError_tPvRmT1_T2_T3_mmT4_T5_P12ihipStream_tbEUlRKS9_E_EESY_S12_S13_mS14_S17_bEUlT_E_NS1_11comp_targetILNS1_3genE8ELNS1_11target_archE1030ELNS1_3gpuE2ELNS1_3repE0EEENS1_30default_config_static_selectorELNS0_4arch9wavefront6targetE0EEEvS11_,"axG",@progbits,_ZN7rocprim17ROCPRIM_400000_NS6detail17trampoline_kernelINS0_14default_configENS1_27lower_bound_config_selectorIN6thrust23THRUST_200600_302600_NS5tupleIiiNS6_9null_typeES8_S8_S8_S8_S8_S8_S8_EElEEZNS1_14transform_implILb0ES3_SA_NS6_6detail15normal_iteratorINS6_7pointerIS9_NS6_11hip_rocprim5par_tENS6_11use_defaultESH_EEEENSD_INSE_IlSG_SH_SH_EEEEZNS1_13binary_searchIS3_SA_NSD_INS6_10device_ptrIS9_EEEESJ_SL_NS1_21lower_bound_search_opENSC_16wrapped_functionINS6_6system6detail7generic6detail18binary_search_lessEbEEEE10hipError_tPvRmT1_T2_T3_mmT4_T5_P12ihipStream_tbEUlRKS9_E_EESY_S12_S13_mS14_S17_bEUlT_E_NS1_11comp_targetILNS1_3genE8ELNS1_11target_archE1030ELNS1_3gpuE2ELNS1_3repE0EEENS1_30default_config_static_selectorELNS0_4arch9wavefront6targetE0EEEvS11_,comdat
.Lfunc_end439:
	.size	_ZN7rocprim17ROCPRIM_400000_NS6detail17trampoline_kernelINS0_14default_configENS1_27lower_bound_config_selectorIN6thrust23THRUST_200600_302600_NS5tupleIiiNS6_9null_typeES8_S8_S8_S8_S8_S8_S8_EElEEZNS1_14transform_implILb0ES3_SA_NS6_6detail15normal_iteratorINS6_7pointerIS9_NS6_11hip_rocprim5par_tENS6_11use_defaultESH_EEEENSD_INSE_IlSG_SH_SH_EEEEZNS1_13binary_searchIS3_SA_NSD_INS6_10device_ptrIS9_EEEESJ_SL_NS1_21lower_bound_search_opENSC_16wrapped_functionINS6_6system6detail7generic6detail18binary_search_lessEbEEEE10hipError_tPvRmT1_T2_T3_mmT4_T5_P12ihipStream_tbEUlRKS9_E_EESY_S12_S13_mS14_S17_bEUlT_E_NS1_11comp_targetILNS1_3genE8ELNS1_11target_archE1030ELNS1_3gpuE2ELNS1_3repE0EEENS1_30default_config_static_selectorELNS0_4arch9wavefront6targetE0EEEvS11_, .Lfunc_end439-_ZN7rocprim17ROCPRIM_400000_NS6detail17trampoline_kernelINS0_14default_configENS1_27lower_bound_config_selectorIN6thrust23THRUST_200600_302600_NS5tupleIiiNS6_9null_typeES8_S8_S8_S8_S8_S8_S8_EElEEZNS1_14transform_implILb0ES3_SA_NS6_6detail15normal_iteratorINS6_7pointerIS9_NS6_11hip_rocprim5par_tENS6_11use_defaultESH_EEEENSD_INSE_IlSG_SH_SH_EEEEZNS1_13binary_searchIS3_SA_NSD_INS6_10device_ptrIS9_EEEESJ_SL_NS1_21lower_bound_search_opENSC_16wrapped_functionINS6_6system6detail7generic6detail18binary_search_lessEbEEEE10hipError_tPvRmT1_T2_T3_mmT4_T5_P12ihipStream_tbEUlRKS9_E_EESY_S12_S13_mS14_S17_bEUlT_E_NS1_11comp_targetILNS1_3genE8ELNS1_11target_archE1030ELNS1_3gpuE2ELNS1_3repE0EEENS1_30default_config_static_selectorELNS0_4arch9wavefront6targetE0EEEvS11_
                                        ; -- End function
	.set _ZN7rocprim17ROCPRIM_400000_NS6detail17trampoline_kernelINS0_14default_configENS1_27lower_bound_config_selectorIN6thrust23THRUST_200600_302600_NS5tupleIiiNS6_9null_typeES8_S8_S8_S8_S8_S8_S8_EElEEZNS1_14transform_implILb0ES3_SA_NS6_6detail15normal_iteratorINS6_7pointerIS9_NS6_11hip_rocprim5par_tENS6_11use_defaultESH_EEEENSD_INSE_IlSG_SH_SH_EEEEZNS1_13binary_searchIS3_SA_NSD_INS6_10device_ptrIS9_EEEESJ_SL_NS1_21lower_bound_search_opENSC_16wrapped_functionINS6_6system6detail7generic6detail18binary_search_lessEbEEEE10hipError_tPvRmT1_T2_T3_mmT4_T5_P12ihipStream_tbEUlRKS9_E_EESY_S12_S13_mS14_S17_bEUlT_E_NS1_11comp_targetILNS1_3genE8ELNS1_11target_archE1030ELNS1_3gpuE2ELNS1_3repE0EEENS1_30default_config_static_selectorELNS0_4arch9wavefront6targetE0EEEvS11_.num_vgpr, 13
	.set _ZN7rocprim17ROCPRIM_400000_NS6detail17trampoline_kernelINS0_14default_configENS1_27lower_bound_config_selectorIN6thrust23THRUST_200600_302600_NS5tupleIiiNS6_9null_typeES8_S8_S8_S8_S8_S8_S8_EElEEZNS1_14transform_implILb0ES3_SA_NS6_6detail15normal_iteratorINS6_7pointerIS9_NS6_11hip_rocprim5par_tENS6_11use_defaultESH_EEEENSD_INSE_IlSG_SH_SH_EEEEZNS1_13binary_searchIS3_SA_NSD_INS6_10device_ptrIS9_EEEESJ_SL_NS1_21lower_bound_search_opENSC_16wrapped_functionINS6_6system6detail7generic6detail18binary_search_lessEbEEEE10hipError_tPvRmT1_T2_T3_mmT4_T5_P12ihipStream_tbEUlRKS9_E_EESY_S12_S13_mS14_S17_bEUlT_E_NS1_11comp_targetILNS1_3genE8ELNS1_11target_archE1030ELNS1_3gpuE2ELNS1_3repE0EEENS1_30default_config_static_selectorELNS0_4arch9wavefront6targetE0EEEvS11_.num_agpr, 0
	.set _ZN7rocprim17ROCPRIM_400000_NS6detail17trampoline_kernelINS0_14default_configENS1_27lower_bound_config_selectorIN6thrust23THRUST_200600_302600_NS5tupleIiiNS6_9null_typeES8_S8_S8_S8_S8_S8_S8_EElEEZNS1_14transform_implILb0ES3_SA_NS6_6detail15normal_iteratorINS6_7pointerIS9_NS6_11hip_rocprim5par_tENS6_11use_defaultESH_EEEENSD_INSE_IlSG_SH_SH_EEEEZNS1_13binary_searchIS3_SA_NSD_INS6_10device_ptrIS9_EEEESJ_SL_NS1_21lower_bound_search_opENSC_16wrapped_functionINS6_6system6detail7generic6detail18binary_search_lessEbEEEE10hipError_tPvRmT1_T2_T3_mmT4_T5_P12ihipStream_tbEUlRKS9_E_EESY_S12_S13_mS14_S17_bEUlT_E_NS1_11comp_targetILNS1_3genE8ELNS1_11target_archE1030ELNS1_3gpuE2ELNS1_3repE0EEENS1_30default_config_static_selectorELNS0_4arch9wavefront6targetE0EEEvS11_.numbered_sgpr, 20
	.set _ZN7rocprim17ROCPRIM_400000_NS6detail17trampoline_kernelINS0_14default_configENS1_27lower_bound_config_selectorIN6thrust23THRUST_200600_302600_NS5tupleIiiNS6_9null_typeES8_S8_S8_S8_S8_S8_S8_EElEEZNS1_14transform_implILb0ES3_SA_NS6_6detail15normal_iteratorINS6_7pointerIS9_NS6_11hip_rocprim5par_tENS6_11use_defaultESH_EEEENSD_INSE_IlSG_SH_SH_EEEEZNS1_13binary_searchIS3_SA_NSD_INS6_10device_ptrIS9_EEEESJ_SL_NS1_21lower_bound_search_opENSC_16wrapped_functionINS6_6system6detail7generic6detail18binary_search_lessEbEEEE10hipError_tPvRmT1_T2_T3_mmT4_T5_P12ihipStream_tbEUlRKS9_E_EESY_S12_S13_mS14_S17_bEUlT_E_NS1_11comp_targetILNS1_3genE8ELNS1_11target_archE1030ELNS1_3gpuE2ELNS1_3repE0EEENS1_30default_config_static_selectorELNS0_4arch9wavefront6targetE0EEEvS11_.num_named_barrier, 0
	.set _ZN7rocprim17ROCPRIM_400000_NS6detail17trampoline_kernelINS0_14default_configENS1_27lower_bound_config_selectorIN6thrust23THRUST_200600_302600_NS5tupleIiiNS6_9null_typeES8_S8_S8_S8_S8_S8_S8_EElEEZNS1_14transform_implILb0ES3_SA_NS6_6detail15normal_iteratorINS6_7pointerIS9_NS6_11hip_rocprim5par_tENS6_11use_defaultESH_EEEENSD_INSE_IlSG_SH_SH_EEEEZNS1_13binary_searchIS3_SA_NSD_INS6_10device_ptrIS9_EEEESJ_SL_NS1_21lower_bound_search_opENSC_16wrapped_functionINS6_6system6detail7generic6detail18binary_search_lessEbEEEE10hipError_tPvRmT1_T2_T3_mmT4_T5_P12ihipStream_tbEUlRKS9_E_EESY_S12_S13_mS14_S17_bEUlT_E_NS1_11comp_targetILNS1_3genE8ELNS1_11target_archE1030ELNS1_3gpuE2ELNS1_3repE0EEENS1_30default_config_static_selectorELNS0_4arch9wavefront6targetE0EEEvS11_.private_seg_size, 0
	.set _ZN7rocprim17ROCPRIM_400000_NS6detail17trampoline_kernelINS0_14default_configENS1_27lower_bound_config_selectorIN6thrust23THRUST_200600_302600_NS5tupleIiiNS6_9null_typeES8_S8_S8_S8_S8_S8_S8_EElEEZNS1_14transform_implILb0ES3_SA_NS6_6detail15normal_iteratorINS6_7pointerIS9_NS6_11hip_rocprim5par_tENS6_11use_defaultESH_EEEENSD_INSE_IlSG_SH_SH_EEEEZNS1_13binary_searchIS3_SA_NSD_INS6_10device_ptrIS9_EEEESJ_SL_NS1_21lower_bound_search_opENSC_16wrapped_functionINS6_6system6detail7generic6detail18binary_search_lessEbEEEE10hipError_tPvRmT1_T2_T3_mmT4_T5_P12ihipStream_tbEUlRKS9_E_EESY_S12_S13_mS14_S17_bEUlT_E_NS1_11comp_targetILNS1_3genE8ELNS1_11target_archE1030ELNS1_3gpuE2ELNS1_3repE0EEENS1_30default_config_static_selectorELNS0_4arch9wavefront6targetE0EEEvS11_.uses_vcc, 1
	.set _ZN7rocprim17ROCPRIM_400000_NS6detail17trampoline_kernelINS0_14default_configENS1_27lower_bound_config_selectorIN6thrust23THRUST_200600_302600_NS5tupleIiiNS6_9null_typeES8_S8_S8_S8_S8_S8_S8_EElEEZNS1_14transform_implILb0ES3_SA_NS6_6detail15normal_iteratorINS6_7pointerIS9_NS6_11hip_rocprim5par_tENS6_11use_defaultESH_EEEENSD_INSE_IlSG_SH_SH_EEEEZNS1_13binary_searchIS3_SA_NSD_INS6_10device_ptrIS9_EEEESJ_SL_NS1_21lower_bound_search_opENSC_16wrapped_functionINS6_6system6detail7generic6detail18binary_search_lessEbEEEE10hipError_tPvRmT1_T2_T3_mmT4_T5_P12ihipStream_tbEUlRKS9_E_EESY_S12_S13_mS14_S17_bEUlT_E_NS1_11comp_targetILNS1_3genE8ELNS1_11target_archE1030ELNS1_3gpuE2ELNS1_3repE0EEENS1_30default_config_static_selectorELNS0_4arch9wavefront6targetE0EEEvS11_.uses_flat_scratch, 0
	.set _ZN7rocprim17ROCPRIM_400000_NS6detail17trampoline_kernelINS0_14default_configENS1_27lower_bound_config_selectorIN6thrust23THRUST_200600_302600_NS5tupleIiiNS6_9null_typeES8_S8_S8_S8_S8_S8_S8_EElEEZNS1_14transform_implILb0ES3_SA_NS6_6detail15normal_iteratorINS6_7pointerIS9_NS6_11hip_rocprim5par_tENS6_11use_defaultESH_EEEENSD_INSE_IlSG_SH_SH_EEEEZNS1_13binary_searchIS3_SA_NSD_INS6_10device_ptrIS9_EEEESJ_SL_NS1_21lower_bound_search_opENSC_16wrapped_functionINS6_6system6detail7generic6detail18binary_search_lessEbEEEE10hipError_tPvRmT1_T2_T3_mmT4_T5_P12ihipStream_tbEUlRKS9_E_EESY_S12_S13_mS14_S17_bEUlT_E_NS1_11comp_targetILNS1_3genE8ELNS1_11target_archE1030ELNS1_3gpuE2ELNS1_3repE0EEENS1_30default_config_static_selectorELNS0_4arch9wavefront6targetE0EEEvS11_.has_dyn_sized_stack, 0
	.set _ZN7rocprim17ROCPRIM_400000_NS6detail17trampoline_kernelINS0_14default_configENS1_27lower_bound_config_selectorIN6thrust23THRUST_200600_302600_NS5tupleIiiNS6_9null_typeES8_S8_S8_S8_S8_S8_S8_EElEEZNS1_14transform_implILb0ES3_SA_NS6_6detail15normal_iteratorINS6_7pointerIS9_NS6_11hip_rocprim5par_tENS6_11use_defaultESH_EEEENSD_INSE_IlSG_SH_SH_EEEEZNS1_13binary_searchIS3_SA_NSD_INS6_10device_ptrIS9_EEEESJ_SL_NS1_21lower_bound_search_opENSC_16wrapped_functionINS6_6system6detail7generic6detail18binary_search_lessEbEEEE10hipError_tPvRmT1_T2_T3_mmT4_T5_P12ihipStream_tbEUlRKS9_E_EESY_S12_S13_mS14_S17_bEUlT_E_NS1_11comp_targetILNS1_3genE8ELNS1_11target_archE1030ELNS1_3gpuE2ELNS1_3repE0EEENS1_30default_config_static_selectorELNS0_4arch9wavefront6targetE0EEEvS11_.has_recursion, 0
	.set _ZN7rocprim17ROCPRIM_400000_NS6detail17trampoline_kernelINS0_14default_configENS1_27lower_bound_config_selectorIN6thrust23THRUST_200600_302600_NS5tupleIiiNS6_9null_typeES8_S8_S8_S8_S8_S8_S8_EElEEZNS1_14transform_implILb0ES3_SA_NS6_6detail15normal_iteratorINS6_7pointerIS9_NS6_11hip_rocprim5par_tENS6_11use_defaultESH_EEEENSD_INSE_IlSG_SH_SH_EEEEZNS1_13binary_searchIS3_SA_NSD_INS6_10device_ptrIS9_EEEESJ_SL_NS1_21lower_bound_search_opENSC_16wrapped_functionINS6_6system6detail7generic6detail18binary_search_lessEbEEEE10hipError_tPvRmT1_T2_T3_mmT4_T5_P12ihipStream_tbEUlRKS9_E_EESY_S12_S13_mS14_S17_bEUlT_E_NS1_11comp_targetILNS1_3genE8ELNS1_11target_archE1030ELNS1_3gpuE2ELNS1_3repE0EEENS1_30default_config_static_selectorELNS0_4arch9wavefront6targetE0EEEvS11_.has_indirect_call, 0
	.section	.AMDGPU.csdata,"",@progbits
; Kernel info:
; codeLenInByte = 844
; TotalNumSgprs: 22
; NumVgprs: 13
; ScratchSize: 0
; MemoryBound: 0
; FloatMode: 240
; IeeeMode: 1
; LDSByteSize: 0 bytes/workgroup (compile time only)
; SGPRBlocks: 0
; VGPRBlocks: 1
; NumSGPRsForWavesPerEU: 22
; NumVGPRsForWavesPerEU: 13
; Occupancy: 16
; WaveLimiterHint : 0
; COMPUTE_PGM_RSRC2:SCRATCH_EN: 0
; COMPUTE_PGM_RSRC2:USER_SGPR: 6
; COMPUTE_PGM_RSRC2:TRAP_HANDLER: 0
; COMPUTE_PGM_RSRC2:TGID_X_EN: 1
; COMPUTE_PGM_RSRC2:TGID_Y_EN: 0
; COMPUTE_PGM_RSRC2:TGID_Z_EN: 0
; COMPUTE_PGM_RSRC2:TIDIG_COMP_CNT: 0
	.section	.text._ZN6thrust23THRUST_200600_302600_NS11hip_rocprim14__parallel_for6kernelILj256ENS1_20__uninitialized_copy7functorINS0_7pointerINS0_5tupleIiiNS0_9null_typeES8_S8_S8_S8_S8_S8_S8_EENS1_5par_tENS0_11use_defaultESB_EESC_EEmLj1EEEvT0_T1_SF_,"axG",@progbits,_ZN6thrust23THRUST_200600_302600_NS11hip_rocprim14__parallel_for6kernelILj256ENS1_20__uninitialized_copy7functorINS0_7pointerINS0_5tupleIiiNS0_9null_typeES8_S8_S8_S8_S8_S8_S8_EENS1_5par_tENS0_11use_defaultESB_EESC_EEmLj1EEEvT0_T1_SF_,comdat
	.protected	_ZN6thrust23THRUST_200600_302600_NS11hip_rocprim14__parallel_for6kernelILj256ENS1_20__uninitialized_copy7functorINS0_7pointerINS0_5tupleIiiNS0_9null_typeES8_S8_S8_S8_S8_S8_S8_EENS1_5par_tENS0_11use_defaultESB_EESC_EEmLj1EEEvT0_T1_SF_ ; -- Begin function _ZN6thrust23THRUST_200600_302600_NS11hip_rocprim14__parallel_for6kernelILj256ENS1_20__uninitialized_copy7functorINS0_7pointerINS0_5tupleIiiNS0_9null_typeES8_S8_S8_S8_S8_S8_S8_EENS1_5par_tENS0_11use_defaultESB_EESC_EEmLj1EEEvT0_T1_SF_
	.globl	_ZN6thrust23THRUST_200600_302600_NS11hip_rocprim14__parallel_for6kernelILj256ENS1_20__uninitialized_copy7functorINS0_7pointerINS0_5tupleIiiNS0_9null_typeES8_S8_S8_S8_S8_S8_S8_EENS1_5par_tENS0_11use_defaultESB_EESC_EEmLj1EEEvT0_T1_SF_
	.p2align	8
	.type	_ZN6thrust23THRUST_200600_302600_NS11hip_rocprim14__parallel_for6kernelILj256ENS1_20__uninitialized_copy7functorINS0_7pointerINS0_5tupleIiiNS0_9null_typeES8_S8_S8_S8_S8_S8_S8_EENS1_5par_tENS0_11use_defaultESB_EESC_EEmLj1EEEvT0_T1_SF_,@function
_ZN6thrust23THRUST_200600_302600_NS11hip_rocprim14__parallel_for6kernelILj256ENS1_20__uninitialized_copy7functorINS0_7pointerINS0_5tupleIiiNS0_9null_typeES8_S8_S8_S8_S8_S8_S8_EENS1_5par_tENS0_11use_defaultESB_EESC_EEmLj1EEEvT0_T1_SF_: ; @_ZN6thrust23THRUST_200600_302600_NS11hip_rocprim14__parallel_for6kernelILj256ENS1_20__uninitialized_copy7functorINS0_7pointerINS0_5tupleIiiNS0_9null_typeES8_S8_S8_S8_S8_S8_S8_EENS1_5par_tENS0_11use_defaultESB_EESC_EEmLj1EEEvT0_T1_SF_
; %bb.0:
	s_load_dwordx8 s[8:15], s[4:5], 0x0
	s_lshl_b32 s0, s6, 8
	s_waitcnt lgkmcnt(0)
	s_add_u32 s2, s14, s0
	s_addc_u32 s3, s15, 0
	s_sub_u32 s0, s12, s2
	s_subb_u32 s1, s13, s3
	v_cmp_lt_u64_e64 s1, 0xff, s[0:1]
	s_and_b32 vcc_lo, exec_lo, s1
	s_mov_b32 s1, -1
	s_cbranch_vccz .LBB440_3
; %bb.1:
	s_andn2_b32 vcc_lo, exec_lo, s1
	s_cbranch_vccz .LBB440_6
.LBB440_2:
	s_endpgm
.LBB440_3:
	v_cmp_gt_u32_e32 vcc_lo, s0, v0
	s_and_saveexec_b32 s0, vcc_lo
	s_cbranch_execz .LBB440_5
; %bb.4:
	v_add_co_u32 v1, s1, s2, v0
	v_add_co_ci_u32_e64 v2, null, s3, 0, s1
	v_lshlrev_b64 v[1:2], 3, v[1:2]
	v_add_co_u32 v3, vcc_lo, s8, v1
	v_add_co_ci_u32_e64 v4, null, s9, v2, vcc_lo
	v_add_co_u32 v1, vcc_lo, s10, v1
	v_add_co_ci_u32_e64 v2, null, s11, v2, vcc_lo
	flat_load_dwordx2 v[3:4], v[3:4]
	s_waitcnt vmcnt(0) lgkmcnt(0)
	flat_store_dwordx2 v[1:2], v[3:4]
.LBB440_5:
	s_or_b32 exec_lo, exec_lo, s0
	s_cbranch_execnz .LBB440_2
.LBB440_6:
	v_add_co_u32 v0, s0, s2, v0
	v_add_co_ci_u32_e64 v1, null, s3, 0, s0
	v_lshlrev_b64 v[0:1], 3, v[0:1]
	v_add_co_u32 v2, vcc_lo, s8, v0
	v_add_co_ci_u32_e64 v3, null, s9, v1, vcc_lo
	v_add_co_u32 v0, vcc_lo, s10, v0
	v_add_co_ci_u32_e64 v1, null, s11, v1, vcc_lo
	flat_load_dwordx2 v[2:3], v[2:3]
	s_waitcnt vmcnt(0) lgkmcnt(0)
	flat_store_dwordx2 v[0:1], v[2:3]
	s_endpgm
	.section	.rodata,"a",@progbits
	.p2align	6, 0x0
	.amdhsa_kernel _ZN6thrust23THRUST_200600_302600_NS11hip_rocprim14__parallel_for6kernelILj256ENS1_20__uninitialized_copy7functorINS0_7pointerINS0_5tupleIiiNS0_9null_typeES8_S8_S8_S8_S8_S8_S8_EENS1_5par_tENS0_11use_defaultESB_EESC_EEmLj1EEEvT0_T1_SF_
		.amdhsa_group_segment_fixed_size 0
		.amdhsa_private_segment_fixed_size 0
		.amdhsa_kernarg_size 32
		.amdhsa_user_sgpr_count 6
		.amdhsa_user_sgpr_private_segment_buffer 1
		.amdhsa_user_sgpr_dispatch_ptr 0
		.amdhsa_user_sgpr_queue_ptr 0
		.amdhsa_user_sgpr_kernarg_segment_ptr 1
		.amdhsa_user_sgpr_dispatch_id 0
		.amdhsa_user_sgpr_flat_scratch_init 0
		.amdhsa_user_sgpr_private_segment_size 0
		.amdhsa_wavefront_size32 1
		.amdhsa_uses_dynamic_stack 0
		.amdhsa_system_sgpr_private_segment_wavefront_offset 0
		.amdhsa_system_sgpr_workgroup_id_x 1
		.amdhsa_system_sgpr_workgroup_id_y 0
		.amdhsa_system_sgpr_workgroup_id_z 0
		.amdhsa_system_sgpr_workgroup_info 0
		.amdhsa_system_vgpr_workitem_id 0
		.amdhsa_next_free_vgpr 5
		.amdhsa_next_free_sgpr 16
		.amdhsa_reserve_vcc 1
		.amdhsa_reserve_flat_scratch 0
		.amdhsa_float_round_mode_32 0
		.amdhsa_float_round_mode_16_64 0
		.amdhsa_float_denorm_mode_32 3
		.amdhsa_float_denorm_mode_16_64 3
		.amdhsa_dx10_clamp 1
		.amdhsa_ieee_mode 1
		.amdhsa_fp16_overflow 0
		.amdhsa_workgroup_processor_mode 1
		.amdhsa_memory_ordered 1
		.amdhsa_forward_progress 1
		.amdhsa_shared_vgpr_count 0
		.amdhsa_exception_fp_ieee_invalid_op 0
		.amdhsa_exception_fp_denorm_src 0
		.amdhsa_exception_fp_ieee_div_zero 0
		.amdhsa_exception_fp_ieee_overflow 0
		.amdhsa_exception_fp_ieee_underflow 0
		.amdhsa_exception_fp_ieee_inexact 0
		.amdhsa_exception_int_div_zero 0
	.end_amdhsa_kernel
	.section	.text._ZN6thrust23THRUST_200600_302600_NS11hip_rocprim14__parallel_for6kernelILj256ENS1_20__uninitialized_copy7functorINS0_7pointerINS0_5tupleIiiNS0_9null_typeES8_S8_S8_S8_S8_S8_S8_EENS1_5par_tENS0_11use_defaultESB_EESC_EEmLj1EEEvT0_T1_SF_,"axG",@progbits,_ZN6thrust23THRUST_200600_302600_NS11hip_rocprim14__parallel_for6kernelILj256ENS1_20__uninitialized_copy7functorINS0_7pointerINS0_5tupleIiiNS0_9null_typeES8_S8_S8_S8_S8_S8_S8_EENS1_5par_tENS0_11use_defaultESB_EESC_EEmLj1EEEvT0_T1_SF_,comdat
.Lfunc_end440:
	.size	_ZN6thrust23THRUST_200600_302600_NS11hip_rocprim14__parallel_for6kernelILj256ENS1_20__uninitialized_copy7functorINS0_7pointerINS0_5tupleIiiNS0_9null_typeES8_S8_S8_S8_S8_S8_S8_EENS1_5par_tENS0_11use_defaultESB_EESC_EEmLj1EEEvT0_T1_SF_, .Lfunc_end440-_ZN6thrust23THRUST_200600_302600_NS11hip_rocprim14__parallel_for6kernelILj256ENS1_20__uninitialized_copy7functorINS0_7pointerINS0_5tupleIiiNS0_9null_typeES8_S8_S8_S8_S8_S8_S8_EENS1_5par_tENS0_11use_defaultESB_EESC_EEmLj1EEEvT0_T1_SF_
                                        ; -- End function
	.set _ZN6thrust23THRUST_200600_302600_NS11hip_rocprim14__parallel_for6kernelILj256ENS1_20__uninitialized_copy7functorINS0_7pointerINS0_5tupleIiiNS0_9null_typeES8_S8_S8_S8_S8_S8_S8_EENS1_5par_tENS0_11use_defaultESB_EESC_EEmLj1EEEvT0_T1_SF_.num_vgpr, 5
	.set _ZN6thrust23THRUST_200600_302600_NS11hip_rocprim14__parallel_for6kernelILj256ENS1_20__uninitialized_copy7functorINS0_7pointerINS0_5tupleIiiNS0_9null_typeES8_S8_S8_S8_S8_S8_S8_EENS1_5par_tENS0_11use_defaultESB_EESC_EEmLj1EEEvT0_T1_SF_.num_agpr, 0
	.set _ZN6thrust23THRUST_200600_302600_NS11hip_rocprim14__parallel_for6kernelILj256ENS1_20__uninitialized_copy7functorINS0_7pointerINS0_5tupleIiiNS0_9null_typeES8_S8_S8_S8_S8_S8_S8_EENS1_5par_tENS0_11use_defaultESB_EESC_EEmLj1EEEvT0_T1_SF_.numbered_sgpr, 16
	.set _ZN6thrust23THRUST_200600_302600_NS11hip_rocprim14__parallel_for6kernelILj256ENS1_20__uninitialized_copy7functorINS0_7pointerINS0_5tupleIiiNS0_9null_typeES8_S8_S8_S8_S8_S8_S8_EENS1_5par_tENS0_11use_defaultESB_EESC_EEmLj1EEEvT0_T1_SF_.num_named_barrier, 0
	.set _ZN6thrust23THRUST_200600_302600_NS11hip_rocprim14__parallel_for6kernelILj256ENS1_20__uninitialized_copy7functorINS0_7pointerINS0_5tupleIiiNS0_9null_typeES8_S8_S8_S8_S8_S8_S8_EENS1_5par_tENS0_11use_defaultESB_EESC_EEmLj1EEEvT0_T1_SF_.private_seg_size, 0
	.set _ZN6thrust23THRUST_200600_302600_NS11hip_rocprim14__parallel_for6kernelILj256ENS1_20__uninitialized_copy7functorINS0_7pointerINS0_5tupleIiiNS0_9null_typeES8_S8_S8_S8_S8_S8_S8_EENS1_5par_tENS0_11use_defaultESB_EESC_EEmLj1EEEvT0_T1_SF_.uses_vcc, 1
	.set _ZN6thrust23THRUST_200600_302600_NS11hip_rocprim14__parallel_for6kernelILj256ENS1_20__uninitialized_copy7functorINS0_7pointerINS0_5tupleIiiNS0_9null_typeES8_S8_S8_S8_S8_S8_S8_EENS1_5par_tENS0_11use_defaultESB_EESC_EEmLj1EEEvT0_T1_SF_.uses_flat_scratch, 0
	.set _ZN6thrust23THRUST_200600_302600_NS11hip_rocprim14__parallel_for6kernelILj256ENS1_20__uninitialized_copy7functorINS0_7pointerINS0_5tupleIiiNS0_9null_typeES8_S8_S8_S8_S8_S8_S8_EENS1_5par_tENS0_11use_defaultESB_EESC_EEmLj1EEEvT0_T1_SF_.has_dyn_sized_stack, 0
	.set _ZN6thrust23THRUST_200600_302600_NS11hip_rocprim14__parallel_for6kernelILj256ENS1_20__uninitialized_copy7functorINS0_7pointerINS0_5tupleIiiNS0_9null_typeES8_S8_S8_S8_S8_S8_S8_EENS1_5par_tENS0_11use_defaultESB_EESC_EEmLj1EEEvT0_T1_SF_.has_recursion, 0
	.set _ZN6thrust23THRUST_200600_302600_NS11hip_rocprim14__parallel_for6kernelILj256ENS1_20__uninitialized_copy7functorINS0_7pointerINS0_5tupleIiiNS0_9null_typeES8_S8_S8_S8_S8_S8_S8_EENS1_5par_tENS0_11use_defaultESB_EESC_EEmLj1EEEvT0_T1_SF_.has_indirect_call, 0
	.section	.AMDGPU.csdata,"",@progbits
; Kernel info:
; codeLenInByte = 244
; TotalNumSgprs: 18
; NumVgprs: 5
; ScratchSize: 0
; MemoryBound: 0
; FloatMode: 240
; IeeeMode: 1
; LDSByteSize: 0 bytes/workgroup (compile time only)
; SGPRBlocks: 0
; VGPRBlocks: 0
; NumSGPRsForWavesPerEU: 18
; NumVGPRsForWavesPerEU: 5
; Occupancy: 16
; WaveLimiterHint : 0
; COMPUTE_PGM_RSRC2:SCRATCH_EN: 0
; COMPUTE_PGM_RSRC2:USER_SGPR: 6
; COMPUTE_PGM_RSRC2:TRAP_HANDLER: 0
; COMPUTE_PGM_RSRC2:TGID_X_EN: 1
; COMPUTE_PGM_RSRC2:TGID_Y_EN: 0
; COMPUTE_PGM_RSRC2:TGID_Z_EN: 0
; COMPUTE_PGM_RSRC2:TIDIG_COMP_CNT: 0
	.section	.text._ZN7rocprim17ROCPRIM_400000_NS6detail17trampoline_kernelINS0_14default_configENS1_27lower_bound_config_selectorIiiEEZNS1_14transform_implILb0ES3_S5_N6thrust23THRUST_200600_302600_NS6detail15normal_iteratorINS8_10device_ptrIiEEEESD_ZNS1_13binary_searchIS3_S5_SD_SD_SD_NS1_21lower_bound_search_opENS9_16wrapped_functionINS0_4lessIvEEbEEEE10hipError_tPvRmT1_T2_T3_mmT4_T5_P12ihipStream_tbEUlRKiE_EESK_SO_SP_mSQ_ST_bEUlT_E_NS1_11comp_targetILNS1_3genE0ELNS1_11target_archE4294967295ELNS1_3gpuE0ELNS1_3repE0EEENS1_30default_config_static_selectorELNS0_4arch9wavefront6targetE0EEEvSN_,"axG",@progbits,_ZN7rocprim17ROCPRIM_400000_NS6detail17trampoline_kernelINS0_14default_configENS1_27lower_bound_config_selectorIiiEEZNS1_14transform_implILb0ES3_S5_N6thrust23THRUST_200600_302600_NS6detail15normal_iteratorINS8_10device_ptrIiEEEESD_ZNS1_13binary_searchIS3_S5_SD_SD_SD_NS1_21lower_bound_search_opENS9_16wrapped_functionINS0_4lessIvEEbEEEE10hipError_tPvRmT1_T2_T3_mmT4_T5_P12ihipStream_tbEUlRKiE_EESK_SO_SP_mSQ_ST_bEUlT_E_NS1_11comp_targetILNS1_3genE0ELNS1_11target_archE4294967295ELNS1_3gpuE0ELNS1_3repE0EEENS1_30default_config_static_selectorELNS0_4arch9wavefront6targetE0EEEvSN_,comdat
	.protected	_ZN7rocprim17ROCPRIM_400000_NS6detail17trampoline_kernelINS0_14default_configENS1_27lower_bound_config_selectorIiiEEZNS1_14transform_implILb0ES3_S5_N6thrust23THRUST_200600_302600_NS6detail15normal_iteratorINS8_10device_ptrIiEEEESD_ZNS1_13binary_searchIS3_S5_SD_SD_SD_NS1_21lower_bound_search_opENS9_16wrapped_functionINS0_4lessIvEEbEEEE10hipError_tPvRmT1_T2_T3_mmT4_T5_P12ihipStream_tbEUlRKiE_EESK_SO_SP_mSQ_ST_bEUlT_E_NS1_11comp_targetILNS1_3genE0ELNS1_11target_archE4294967295ELNS1_3gpuE0ELNS1_3repE0EEENS1_30default_config_static_selectorELNS0_4arch9wavefront6targetE0EEEvSN_ ; -- Begin function _ZN7rocprim17ROCPRIM_400000_NS6detail17trampoline_kernelINS0_14default_configENS1_27lower_bound_config_selectorIiiEEZNS1_14transform_implILb0ES3_S5_N6thrust23THRUST_200600_302600_NS6detail15normal_iteratorINS8_10device_ptrIiEEEESD_ZNS1_13binary_searchIS3_S5_SD_SD_SD_NS1_21lower_bound_search_opENS9_16wrapped_functionINS0_4lessIvEEbEEEE10hipError_tPvRmT1_T2_T3_mmT4_T5_P12ihipStream_tbEUlRKiE_EESK_SO_SP_mSQ_ST_bEUlT_E_NS1_11comp_targetILNS1_3genE0ELNS1_11target_archE4294967295ELNS1_3gpuE0ELNS1_3repE0EEENS1_30default_config_static_selectorELNS0_4arch9wavefront6targetE0EEEvSN_
	.globl	_ZN7rocprim17ROCPRIM_400000_NS6detail17trampoline_kernelINS0_14default_configENS1_27lower_bound_config_selectorIiiEEZNS1_14transform_implILb0ES3_S5_N6thrust23THRUST_200600_302600_NS6detail15normal_iteratorINS8_10device_ptrIiEEEESD_ZNS1_13binary_searchIS3_S5_SD_SD_SD_NS1_21lower_bound_search_opENS9_16wrapped_functionINS0_4lessIvEEbEEEE10hipError_tPvRmT1_T2_T3_mmT4_T5_P12ihipStream_tbEUlRKiE_EESK_SO_SP_mSQ_ST_bEUlT_E_NS1_11comp_targetILNS1_3genE0ELNS1_11target_archE4294967295ELNS1_3gpuE0ELNS1_3repE0EEENS1_30default_config_static_selectorELNS0_4arch9wavefront6targetE0EEEvSN_
	.p2align	8
	.type	_ZN7rocprim17ROCPRIM_400000_NS6detail17trampoline_kernelINS0_14default_configENS1_27lower_bound_config_selectorIiiEEZNS1_14transform_implILb0ES3_S5_N6thrust23THRUST_200600_302600_NS6detail15normal_iteratorINS8_10device_ptrIiEEEESD_ZNS1_13binary_searchIS3_S5_SD_SD_SD_NS1_21lower_bound_search_opENS9_16wrapped_functionINS0_4lessIvEEbEEEE10hipError_tPvRmT1_T2_T3_mmT4_T5_P12ihipStream_tbEUlRKiE_EESK_SO_SP_mSQ_ST_bEUlT_E_NS1_11comp_targetILNS1_3genE0ELNS1_11target_archE4294967295ELNS1_3gpuE0ELNS1_3repE0EEENS1_30default_config_static_selectorELNS0_4arch9wavefront6targetE0EEEvSN_,@function
_ZN7rocprim17ROCPRIM_400000_NS6detail17trampoline_kernelINS0_14default_configENS1_27lower_bound_config_selectorIiiEEZNS1_14transform_implILb0ES3_S5_N6thrust23THRUST_200600_302600_NS6detail15normal_iteratorINS8_10device_ptrIiEEEESD_ZNS1_13binary_searchIS3_S5_SD_SD_SD_NS1_21lower_bound_search_opENS9_16wrapped_functionINS0_4lessIvEEbEEEE10hipError_tPvRmT1_T2_T3_mmT4_T5_P12ihipStream_tbEUlRKiE_EESK_SO_SP_mSQ_ST_bEUlT_E_NS1_11comp_targetILNS1_3genE0ELNS1_11target_archE4294967295ELNS1_3gpuE0ELNS1_3repE0EEENS1_30default_config_static_selectorELNS0_4arch9wavefront6targetE0EEEvSN_: ; @_ZN7rocprim17ROCPRIM_400000_NS6detail17trampoline_kernelINS0_14default_configENS1_27lower_bound_config_selectorIiiEEZNS1_14transform_implILb0ES3_S5_N6thrust23THRUST_200600_302600_NS6detail15normal_iteratorINS8_10device_ptrIiEEEESD_ZNS1_13binary_searchIS3_S5_SD_SD_SD_NS1_21lower_bound_search_opENS9_16wrapped_functionINS0_4lessIvEEbEEEE10hipError_tPvRmT1_T2_T3_mmT4_T5_P12ihipStream_tbEUlRKiE_EESK_SO_SP_mSQ_ST_bEUlT_E_NS1_11comp_targetILNS1_3genE0ELNS1_11target_archE4294967295ELNS1_3gpuE0ELNS1_3repE0EEENS1_30default_config_static_selectorELNS0_4arch9wavefront6targetE0EEEvSN_
; %bb.0:
	.section	.rodata,"a",@progbits
	.p2align	6, 0x0
	.amdhsa_kernel _ZN7rocprim17ROCPRIM_400000_NS6detail17trampoline_kernelINS0_14default_configENS1_27lower_bound_config_selectorIiiEEZNS1_14transform_implILb0ES3_S5_N6thrust23THRUST_200600_302600_NS6detail15normal_iteratorINS8_10device_ptrIiEEEESD_ZNS1_13binary_searchIS3_S5_SD_SD_SD_NS1_21lower_bound_search_opENS9_16wrapped_functionINS0_4lessIvEEbEEEE10hipError_tPvRmT1_T2_T3_mmT4_T5_P12ihipStream_tbEUlRKiE_EESK_SO_SP_mSQ_ST_bEUlT_E_NS1_11comp_targetILNS1_3genE0ELNS1_11target_archE4294967295ELNS1_3gpuE0ELNS1_3repE0EEENS1_30default_config_static_selectorELNS0_4arch9wavefront6targetE0EEEvSN_
		.amdhsa_group_segment_fixed_size 0
		.amdhsa_private_segment_fixed_size 0
		.amdhsa_kernarg_size 56
		.amdhsa_user_sgpr_count 6
		.amdhsa_user_sgpr_private_segment_buffer 1
		.amdhsa_user_sgpr_dispatch_ptr 0
		.amdhsa_user_sgpr_queue_ptr 0
		.amdhsa_user_sgpr_kernarg_segment_ptr 1
		.amdhsa_user_sgpr_dispatch_id 0
		.amdhsa_user_sgpr_flat_scratch_init 0
		.amdhsa_user_sgpr_private_segment_size 0
		.amdhsa_wavefront_size32 1
		.amdhsa_uses_dynamic_stack 0
		.amdhsa_system_sgpr_private_segment_wavefront_offset 0
		.amdhsa_system_sgpr_workgroup_id_x 1
		.amdhsa_system_sgpr_workgroup_id_y 0
		.amdhsa_system_sgpr_workgroup_id_z 0
		.amdhsa_system_sgpr_workgroup_info 0
		.amdhsa_system_vgpr_workitem_id 0
		.amdhsa_next_free_vgpr 1
		.amdhsa_next_free_sgpr 1
		.amdhsa_reserve_vcc 0
		.amdhsa_reserve_flat_scratch 0
		.amdhsa_float_round_mode_32 0
		.amdhsa_float_round_mode_16_64 0
		.amdhsa_float_denorm_mode_32 3
		.amdhsa_float_denorm_mode_16_64 3
		.amdhsa_dx10_clamp 1
		.amdhsa_ieee_mode 1
		.amdhsa_fp16_overflow 0
		.amdhsa_workgroup_processor_mode 1
		.amdhsa_memory_ordered 1
		.amdhsa_forward_progress 1
		.amdhsa_shared_vgpr_count 0
		.amdhsa_exception_fp_ieee_invalid_op 0
		.amdhsa_exception_fp_denorm_src 0
		.amdhsa_exception_fp_ieee_div_zero 0
		.amdhsa_exception_fp_ieee_overflow 0
		.amdhsa_exception_fp_ieee_underflow 0
		.amdhsa_exception_fp_ieee_inexact 0
		.amdhsa_exception_int_div_zero 0
	.end_amdhsa_kernel
	.section	.text._ZN7rocprim17ROCPRIM_400000_NS6detail17trampoline_kernelINS0_14default_configENS1_27lower_bound_config_selectorIiiEEZNS1_14transform_implILb0ES3_S5_N6thrust23THRUST_200600_302600_NS6detail15normal_iteratorINS8_10device_ptrIiEEEESD_ZNS1_13binary_searchIS3_S5_SD_SD_SD_NS1_21lower_bound_search_opENS9_16wrapped_functionINS0_4lessIvEEbEEEE10hipError_tPvRmT1_T2_T3_mmT4_T5_P12ihipStream_tbEUlRKiE_EESK_SO_SP_mSQ_ST_bEUlT_E_NS1_11comp_targetILNS1_3genE0ELNS1_11target_archE4294967295ELNS1_3gpuE0ELNS1_3repE0EEENS1_30default_config_static_selectorELNS0_4arch9wavefront6targetE0EEEvSN_,"axG",@progbits,_ZN7rocprim17ROCPRIM_400000_NS6detail17trampoline_kernelINS0_14default_configENS1_27lower_bound_config_selectorIiiEEZNS1_14transform_implILb0ES3_S5_N6thrust23THRUST_200600_302600_NS6detail15normal_iteratorINS8_10device_ptrIiEEEESD_ZNS1_13binary_searchIS3_S5_SD_SD_SD_NS1_21lower_bound_search_opENS9_16wrapped_functionINS0_4lessIvEEbEEEE10hipError_tPvRmT1_T2_T3_mmT4_T5_P12ihipStream_tbEUlRKiE_EESK_SO_SP_mSQ_ST_bEUlT_E_NS1_11comp_targetILNS1_3genE0ELNS1_11target_archE4294967295ELNS1_3gpuE0ELNS1_3repE0EEENS1_30default_config_static_selectorELNS0_4arch9wavefront6targetE0EEEvSN_,comdat
.Lfunc_end441:
	.size	_ZN7rocprim17ROCPRIM_400000_NS6detail17trampoline_kernelINS0_14default_configENS1_27lower_bound_config_selectorIiiEEZNS1_14transform_implILb0ES3_S5_N6thrust23THRUST_200600_302600_NS6detail15normal_iteratorINS8_10device_ptrIiEEEESD_ZNS1_13binary_searchIS3_S5_SD_SD_SD_NS1_21lower_bound_search_opENS9_16wrapped_functionINS0_4lessIvEEbEEEE10hipError_tPvRmT1_T2_T3_mmT4_T5_P12ihipStream_tbEUlRKiE_EESK_SO_SP_mSQ_ST_bEUlT_E_NS1_11comp_targetILNS1_3genE0ELNS1_11target_archE4294967295ELNS1_3gpuE0ELNS1_3repE0EEENS1_30default_config_static_selectorELNS0_4arch9wavefront6targetE0EEEvSN_, .Lfunc_end441-_ZN7rocprim17ROCPRIM_400000_NS6detail17trampoline_kernelINS0_14default_configENS1_27lower_bound_config_selectorIiiEEZNS1_14transform_implILb0ES3_S5_N6thrust23THRUST_200600_302600_NS6detail15normal_iteratorINS8_10device_ptrIiEEEESD_ZNS1_13binary_searchIS3_S5_SD_SD_SD_NS1_21lower_bound_search_opENS9_16wrapped_functionINS0_4lessIvEEbEEEE10hipError_tPvRmT1_T2_T3_mmT4_T5_P12ihipStream_tbEUlRKiE_EESK_SO_SP_mSQ_ST_bEUlT_E_NS1_11comp_targetILNS1_3genE0ELNS1_11target_archE4294967295ELNS1_3gpuE0ELNS1_3repE0EEENS1_30default_config_static_selectorELNS0_4arch9wavefront6targetE0EEEvSN_
                                        ; -- End function
	.set _ZN7rocprim17ROCPRIM_400000_NS6detail17trampoline_kernelINS0_14default_configENS1_27lower_bound_config_selectorIiiEEZNS1_14transform_implILb0ES3_S5_N6thrust23THRUST_200600_302600_NS6detail15normal_iteratorINS8_10device_ptrIiEEEESD_ZNS1_13binary_searchIS3_S5_SD_SD_SD_NS1_21lower_bound_search_opENS9_16wrapped_functionINS0_4lessIvEEbEEEE10hipError_tPvRmT1_T2_T3_mmT4_T5_P12ihipStream_tbEUlRKiE_EESK_SO_SP_mSQ_ST_bEUlT_E_NS1_11comp_targetILNS1_3genE0ELNS1_11target_archE4294967295ELNS1_3gpuE0ELNS1_3repE0EEENS1_30default_config_static_selectorELNS0_4arch9wavefront6targetE0EEEvSN_.num_vgpr, 0
	.set _ZN7rocprim17ROCPRIM_400000_NS6detail17trampoline_kernelINS0_14default_configENS1_27lower_bound_config_selectorIiiEEZNS1_14transform_implILb0ES3_S5_N6thrust23THRUST_200600_302600_NS6detail15normal_iteratorINS8_10device_ptrIiEEEESD_ZNS1_13binary_searchIS3_S5_SD_SD_SD_NS1_21lower_bound_search_opENS9_16wrapped_functionINS0_4lessIvEEbEEEE10hipError_tPvRmT1_T2_T3_mmT4_T5_P12ihipStream_tbEUlRKiE_EESK_SO_SP_mSQ_ST_bEUlT_E_NS1_11comp_targetILNS1_3genE0ELNS1_11target_archE4294967295ELNS1_3gpuE0ELNS1_3repE0EEENS1_30default_config_static_selectorELNS0_4arch9wavefront6targetE0EEEvSN_.num_agpr, 0
	.set _ZN7rocprim17ROCPRIM_400000_NS6detail17trampoline_kernelINS0_14default_configENS1_27lower_bound_config_selectorIiiEEZNS1_14transform_implILb0ES3_S5_N6thrust23THRUST_200600_302600_NS6detail15normal_iteratorINS8_10device_ptrIiEEEESD_ZNS1_13binary_searchIS3_S5_SD_SD_SD_NS1_21lower_bound_search_opENS9_16wrapped_functionINS0_4lessIvEEbEEEE10hipError_tPvRmT1_T2_T3_mmT4_T5_P12ihipStream_tbEUlRKiE_EESK_SO_SP_mSQ_ST_bEUlT_E_NS1_11comp_targetILNS1_3genE0ELNS1_11target_archE4294967295ELNS1_3gpuE0ELNS1_3repE0EEENS1_30default_config_static_selectorELNS0_4arch9wavefront6targetE0EEEvSN_.numbered_sgpr, 0
	.set _ZN7rocprim17ROCPRIM_400000_NS6detail17trampoline_kernelINS0_14default_configENS1_27lower_bound_config_selectorIiiEEZNS1_14transform_implILb0ES3_S5_N6thrust23THRUST_200600_302600_NS6detail15normal_iteratorINS8_10device_ptrIiEEEESD_ZNS1_13binary_searchIS3_S5_SD_SD_SD_NS1_21lower_bound_search_opENS9_16wrapped_functionINS0_4lessIvEEbEEEE10hipError_tPvRmT1_T2_T3_mmT4_T5_P12ihipStream_tbEUlRKiE_EESK_SO_SP_mSQ_ST_bEUlT_E_NS1_11comp_targetILNS1_3genE0ELNS1_11target_archE4294967295ELNS1_3gpuE0ELNS1_3repE0EEENS1_30default_config_static_selectorELNS0_4arch9wavefront6targetE0EEEvSN_.num_named_barrier, 0
	.set _ZN7rocprim17ROCPRIM_400000_NS6detail17trampoline_kernelINS0_14default_configENS1_27lower_bound_config_selectorIiiEEZNS1_14transform_implILb0ES3_S5_N6thrust23THRUST_200600_302600_NS6detail15normal_iteratorINS8_10device_ptrIiEEEESD_ZNS1_13binary_searchIS3_S5_SD_SD_SD_NS1_21lower_bound_search_opENS9_16wrapped_functionINS0_4lessIvEEbEEEE10hipError_tPvRmT1_T2_T3_mmT4_T5_P12ihipStream_tbEUlRKiE_EESK_SO_SP_mSQ_ST_bEUlT_E_NS1_11comp_targetILNS1_3genE0ELNS1_11target_archE4294967295ELNS1_3gpuE0ELNS1_3repE0EEENS1_30default_config_static_selectorELNS0_4arch9wavefront6targetE0EEEvSN_.private_seg_size, 0
	.set _ZN7rocprim17ROCPRIM_400000_NS6detail17trampoline_kernelINS0_14default_configENS1_27lower_bound_config_selectorIiiEEZNS1_14transform_implILb0ES3_S5_N6thrust23THRUST_200600_302600_NS6detail15normal_iteratorINS8_10device_ptrIiEEEESD_ZNS1_13binary_searchIS3_S5_SD_SD_SD_NS1_21lower_bound_search_opENS9_16wrapped_functionINS0_4lessIvEEbEEEE10hipError_tPvRmT1_T2_T3_mmT4_T5_P12ihipStream_tbEUlRKiE_EESK_SO_SP_mSQ_ST_bEUlT_E_NS1_11comp_targetILNS1_3genE0ELNS1_11target_archE4294967295ELNS1_3gpuE0ELNS1_3repE0EEENS1_30default_config_static_selectorELNS0_4arch9wavefront6targetE0EEEvSN_.uses_vcc, 0
	.set _ZN7rocprim17ROCPRIM_400000_NS6detail17trampoline_kernelINS0_14default_configENS1_27lower_bound_config_selectorIiiEEZNS1_14transform_implILb0ES3_S5_N6thrust23THRUST_200600_302600_NS6detail15normal_iteratorINS8_10device_ptrIiEEEESD_ZNS1_13binary_searchIS3_S5_SD_SD_SD_NS1_21lower_bound_search_opENS9_16wrapped_functionINS0_4lessIvEEbEEEE10hipError_tPvRmT1_T2_T3_mmT4_T5_P12ihipStream_tbEUlRKiE_EESK_SO_SP_mSQ_ST_bEUlT_E_NS1_11comp_targetILNS1_3genE0ELNS1_11target_archE4294967295ELNS1_3gpuE0ELNS1_3repE0EEENS1_30default_config_static_selectorELNS0_4arch9wavefront6targetE0EEEvSN_.uses_flat_scratch, 0
	.set _ZN7rocprim17ROCPRIM_400000_NS6detail17trampoline_kernelINS0_14default_configENS1_27lower_bound_config_selectorIiiEEZNS1_14transform_implILb0ES3_S5_N6thrust23THRUST_200600_302600_NS6detail15normal_iteratorINS8_10device_ptrIiEEEESD_ZNS1_13binary_searchIS3_S5_SD_SD_SD_NS1_21lower_bound_search_opENS9_16wrapped_functionINS0_4lessIvEEbEEEE10hipError_tPvRmT1_T2_T3_mmT4_T5_P12ihipStream_tbEUlRKiE_EESK_SO_SP_mSQ_ST_bEUlT_E_NS1_11comp_targetILNS1_3genE0ELNS1_11target_archE4294967295ELNS1_3gpuE0ELNS1_3repE0EEENS1_30default_config_static_selectorELNS0_4arch9wavefront6targetE0EEEvSN_.has_dyn_sized_stack, 0
	.set _ZN7rocprim17ROCPRIM_400000_NS6detail17trampoline_kernelINS0_14default_configENS1_27lower_bound_config_selectorIiiEEZNS1_14transform_implILb0ES3_S5_N6thrust23THRUST_200600_302600_NS6detail15normal_iteratorINS8_10device_ptrIiEEEESD_ZNS1_13binary_searchIS3_S5_SD_SD_SD_NS1_21lower_bound_search_opENS9_16wrapped_functionINS0_4lessIvEEbEEEE10hipError_tPvRmT1_T2_T3_mmT4_T5_P12ihipStream_tbEUlRKiE_EESK_SO_SP_mSQ_ST_bEUlT_E_NS1_11comp_targetILNS1_3genE0ELNS1_11target_archE4294967295ELNS1_3gpuE0ELNS1_3repE0EEENS1_30default_config_static_selectorELNS0_4arch9wavefront6targetE0EEEvSN_.has_recursion, 0
	.set _ZN7rocprim17ROCPRIM_400000_NS6detail17trampoline_kernelINS0_14default_configENS1_27lower_bound_config_selectorIiiEEZNS1_14transform_implILb0ES3_S5_N6thrust23THRUST_200600_302600_NS6detail15normal_iteratorINS8_10device_ptrIiEEEESD_ZNS1_13binary_searchIS3_S5_SD_SD_SD_NS1_21lower_bound_search_opENS9_16wrapped_functionINS0_4lessIvEEbEEEE10hipError_tPvRmT1_T2_T3_mmT4_T5_P12ihipStream_tbEUlRKiE_EESK_SO_SP_mSQ_ST_bEUlT_E_NS1_11comp_targetILNS1_3genE0ELNS1_11target_archE4294967295ELNS1_3gpuE0ELNS1_3repE0EEENS1_30default_config_static_selectorELNS0_4arch9wavefront6targetE0EEEvSN_.has_indirect_call, 0
	.section	.AMDGPU.csdata,"",@progbits
; Kernel info:
; codeLenInByte = 0
; TotalNumSgprs: 0
; NumVgprs: 0
; ScratchSize: 0
; MemoryBound: 0
; FloatMode: 240
; IeeeMode: 1
; LDSByteSize: 0 bytes/workgroup (compile time only)
; SGPRBlocks: 0
; VGPRBlocks: 0
; NumSGPRsForWavesPerEU: 1
; NumVGPRsForWavesPerEU: 1
; Occupancy: 16
; WaveLimiterHint : 0
; COMPUTE_PGM_RSRC2:SCRATCH_EN: 0
; COMPUTE_PGM_RSRC2:USER_SGPR: 6
; COMPUTE_PGM_RSRC2:TRAP_HANDLER: 0
; COMPUTE_PGM_RSRC2:TGID_X_EN: 1
; COMPUTE_PGM_RSRC2:TGID_Y_EN: 0
; COMPUTE_PGM_RSRC2:TGID_Z_EN: 0
; COMPUTE_PGM_RSRC2:TIDIG_COMP_CNT: 0
	.section	.text._ZN7rocprim17ROCPRIM_400000_NS6detail17trampoline_kernelINS0_14default_configENS1_27lower_bound_config_selectorIiiEEZNS1_14transform_implILb0ES3_S5_N6thrust23THRUST_200600_302600_NS6detail15normal_iteratorINS8_10device_ptrIiEEEESD_ZNS1_13binary_searchIS3_S5_SD_SD_SD_NS1_21lower_bound_search_opENS9_16wrapped_functionINS0_4lessIvEEbEEEE10hipError_tPvRmT1_T2_T3_mmT4_T5_P12ihipStream_tbEUlRKiE_EESK_SO_SP_mSQ_ST_bEUlT_E_NS1_11comp_targetILNS1_3genE5ELNS1_11target_archE942ELNS1_3gpuE9ELNS1_3repE0EEENS1_30default_config_static_selectorELNS0_4arch9wavefront6targetE0EEEvSN_,"axG",@progbits,_ZN7rocprim17ROCPRIM_400000_NS6detail17trampoline_kernelINS0_14default_configENS1_27lower_bound_config_selectorIiiEEZNS1_14transform_implILb0ES3_S5_N6thrust23THRUST_200600_302600_NS6detail15normal_iteratorINS8_10device_ptrIiEEEESD_ZNS1_13binary_searchIS3_S5_SD_SD_SD_NS1_21lower_bound_search_opENS9_16wrapped_functionINS0_4lessIvEEbEEEE10hipError_tPvRmT1_T2_T3_mmT4_T5_P12ihipStream_tbEUlRKiE_EESK_SO_SP_mSQ_ST_bEUlT_E_NS1_11comp_targetILNS1_3genE5ELNS1_11target_archE942ELNS1_3gpuE9ELNS1_3repE0EEENS1_30default_config_static_selectorELNS0_4arch9wavefront6targetE0EEEvSN_,comdat
	.protected	_ZN7rocprim17ROCPRIM_400000_NS6detail17trampoline_kernelINS0_14default_configENS1_27lower_bound_config_selectorIiiEEZNS1_14transform_implILb0ES3_S5_N6thrust23THRUST_200600_302600_NS6detail15normal_iteratorINS8_10device_ptrIiEEEESD_ZNS1_13binary_searchIS3_S5_SD_SD_SD_NS1_21lower_bound_search_opENS9_16wrapped_functionINS0_4lessIvEEbEEEE10hipError_tPvRmT1_T2_T3_mmT4_T5_P12ihipStream_tbEUlRKiE_EESK_SO_SP_mSQ_ST_bEUlT_E_NS1_11comp_targetILNS1_3genE5ELNS1_11target_archE942ELNS1_3gpuE9ELNS1_3repE0EEENS1_30default_config_static_selectorELNS0_4arch9wavefront6targetE0EEEvSN_ ; -- Begin function _ZN7rocprim17ROCPRIM_400000_NS6detail17trampoline_kernelINS0_14default_configENS1_27lower_bound_config_selectorIiiEEZNS1_14transform_implILb0ES3_S5_N6thrust23THRUST_200600_302600_NS6detail15normal_iteratorINS8_10device_ptrIiEEEESD_ZNS1_13binary_searchIS3_S5_SD_SD_SD_NS1_21lower_bound_search_opENS9_16wrapped_functionINS0_4lessIvEEbEEEE10hipError_tPvRmT1_T2_T3_mmT4_T5_P12ihipStream_tbEUlRKiE_EESK_SO_SP_mSQ_ST_bEUlT_E_NS1_11comp_targetILNS1_3genE5ELNS1_11target_archE942ELNS1_3gpuE9ELNS1_3repE0EEENS1_30default_config_static_selectorELNS0_4arch9wavefront6targetE0EEEvSN_
	.globl	_ZN7rocprim17ROCPRIM_400000_NS6detail17trampoline_kernelINS0_14default_configENS1_27lower_bound_config_selectorIiiEEZNS1_14transform_implILb0ES3_S5_N6thrust23THRUST_200600_302600_NS6detail15normal_iteratorINS8_10device_ptrIiEEEESD_ZNS1_13binary_searchIS3_S5_SD_SD_SD_NS1_21lower_bound_search_opENS9_16wrapped_functionINS0_4lessIvEEbEEEE10hipError_tPvRmT1_T2_T3_mmT4_T5_P12ihipStream_tbEUlRKiE_EESK_SO_SP_mSQ_ST_bEUlT_E_NS1_11comp_targetILNS1_3genE5ELNS1_11target_archE942ELNS1_3gpuE9ELNS1_3repE0EEENS1_30default_config_static_selectorELNS0_4arch9wavefront6targetE0EEEvSN_
	.p2align	8
	.type	_ZN7rocprim17ROCPRIM_400000_NS6detail17trampoline_kernelINS0_14default_configENS1_27lower_bound_config_selectorIiiEEZNS1_14transform_implILb0ES3_S5_N6thrust23THRUST_200600_302600_NS6detail15normal_iteratorINS8_10device_ptrIiEEEESD_ZNS1_13binary_searchIS3_S5_SD_SD_SD_NS1_21lower_bound_search_opENS9_16wrapped_functionINS0_4lessIvEEbEEEE10hipError_tPvRmT1_T2_T3_mmT4_T5_P12ihipStream_tbEUlRKiE_EESK_SO_SP_mSQ_ST_bEUlT_E_NS1_11comp_targetILNS1_3genE5ELNS1_11target_archE942ELNS1_3gpuE9ELNS1_3repE0EEENS1_30default_config_static_selectorELNS0_4arch9wavefront6targetE0EEEvSN_,@function
_ZN7rocprim17ROCPRIM_400000_NS6detail17trampoline_kernelINS0_14default_configENS1_27lower_bound_config_selectorIiiEEZNS1_14transform_implILb0ES3_S5_N6thrust23THRUST_200600_302600_NS6detail15normal_iteratorINS8_10device_ptrIiEEEESD_ZNS1_13binary_searchIS3_S5_SD_SD_SD_NS1_21lower_bound_search_opENS9_16wrapped_functionINS0_4lessIvEEbEEEE10hipError_tPvRmT1_T2_T3_mmT4_T5_P12ihipStream_tbEUlRKiE_EESK_SO_SP_mSQ_ST_bEUlT_E_NS1_11comp_targetILNS1_3genE5ELNS1_11target_archE942ELNS1_3gpuE9ELNS1_3repE0EEENS1_30default_config_static_selectorELNS0_4arch9wavefront6targetE0EEEvSN_: ; @_ZN7rocprim17ROCPRIM_400000_NS6detail17trampoline_kernelINS0_14default_configENS1_27lower_bound_config_selectorIiiEEZNS1_14transform_implILb0ES3_S5_N6thrust23THRUST_200600_302600_NS6detail15normal_iteratorINS8_10device_ptrIiEEEESD_ZNS1_13binary_searchIS3_S5_SD_SD_SD_NS1_21lower_bound_search_opENS9_16wrapped_functionINS0_4lessIvEEbEEEE10hipError_tPvRmT1_T2_T3_mmT4_T5_P12ihipStream_tbEUlRKiE_EESK_SO_SP_mSQ_ST_bEUlT_E_NS1_11comp_targetILNS1_3genE5ELNS1_11target_archE942ELNS1_3gpuE9ELNS1_3repE0EEENS1_30default_config_static_selectorELNS0_4arch9wavefront6targetE0EEEvSN_
; %bb.0:
	.section	.rodata,"a",@progbits
	.p2align	6, 0x0
	.amdhsa_kernel _ZN7rocprim17ROCPRIM_400000_NS6detail17trampoline_kernelINS0_14default_configENS1_27lower_bound_config_selectorIiiEEZNS1_14transform_implILb0ES3_S5_N6thrust23THRUST_200600_302600_NS6detail15normal_iteratorINS8_10device_ptrIiEEEESD_ZNS1_13binary_searchIS3_S5_SD_SD_SD_NS1_21lower_bound_search_opENS9_16wrapped_functionINS0_4lessIvEEbEEEE10hipError_tPvRmT1_T2_T3_mmT4_T5_P12ihipStream_tbEUlRKiE_EESK_SO_SP_mSQ_ST_bEUlT_E_NS1_11comp_targetILNS1_3genE5ELNS1_11target_archE942ELNS1_3gpuE9ELNS1_3repE0EEENS1_30default_config_static_selectorELNS0_4arch9wavefront6targetE0EEEvSN_
		.amdhsa_group_segment_fixed_size 0
		.amdhsa_private_segment_fixed_size 0
		.amdhsa_kernarg_size 56
		.amdhsa_user_sgpr_count 6
		.amdhsa_user_sgpr_private_segment_buffer 1
		.amdhsa_user_sgpr_dispatch_ptr 0
		.amdhsa_user_sgpr_queue_ptr 0
		.amdhsa_user_sgpr_kernarg_segment_ptr 1
		.amdhsa_user_sgpr_dispatch_id 0
		.amdhsa_user_sgpr_flat_scratch_init 0
		.amdhsa_user_sgpr_private_segment_size 0
		.amdhsa_wavefront_size32 1
		.amdhsa_uses_dynamic_stack 0
		.amdhsa_system_sgpr_private_segment_wavefront_offset 0
		.amdhsa_system_sgpr_workgroup_id_x 1
		.amdhsa_system_sgpr_workgroup_id_y 0
		.amdhsa_system_sgpr_workgroup_id_z 0
		.amdhsa_system_sgpr_workgroup_info 0
		.amdhsa_system_vgpr_workitem_id 0
		.amdhsa_next_free_vgpr 1
		.amdhsa_next_free_sgpr 1
		.amdhsa_reserve_vcc 0
		.amdhsa_reserve_flat_scratch 0
		.amdhsa_float_round_mode_32 0
		.amdhsa_float_round_mode_16_64 0
		.amdhsa_float_denorm_mode_32 3
		.amdhsa_float_denorm_mode_16_64 3
		.amdhsa_dx10_clamp 1
		.amdhsa_ieee_mode 1
		.amdhsa_fp16_overflow 0
		.amdhsa_workgroup_processor_mode 1
		.amdhsa_memory_ordered 1
		.amdhsa_forward_progress 1
		.amdhsa_shared_vgpr_count 0
		.amdhsa_exception_fp_ieee_invalid_op 0
		.amdhsa_exception_fp_denorm_src 0
		.amdhsa_exception_fp_ieee_div_zero 0
		.amdhsa_exception_fp_ieee_overflow 0
		.amdhsa_exception_fp_ieee_underflow 0
		.amdhsa_exception_fp_ieee_inexact 0
		.amdhsa_exception_int_div_zero 0
	.end_amdhsa_kernel
	.section	.text._ZN7rocprim17ROCPRIM_400000_NS6detail17trampoline_kernelINS0_14default_configENS1_27lower_bound_config_selectorIiiEEZNS1_14transform_implILb0ES3_S5_N6thrust23THRUST_200600_302600_NS6detail15normal_iteratorINS8_10device_ptrIiEEEESD_ZNS1_13binary_searchIS3_S5_SD_SD_SD_NS1_21lower_bound_search_opENS9_16wrapped_functionINS0_4lessIvEEbEEEE10hipError_tPvRmT1_T2_T3_mmT4_T5_P12ihipStream_tbEUlRKiE_EESK_SO_SP_mSQ_ST_bEUlT_E_NS1_11comp_targetILNS1_3genE5ELNS1_11target_archE942ELNS1_3gpuE9ELNS1_3repE0EEENS1_30default_config_static_selectorELNS0_4arch9wavefront6targetE0EEEvSN_,"axG",@progbits,_ZN7rocprim17ROCPRIM_400000_NS6detail17trampoline_kernelINS0_14default_configENS1_27lower_bound_config_selectorIiiEEZNS1_14transform_implILb0ES3_S5_N6thrust23THRUST_200600_302600_NS6detail15normal_iteratorINS8_10device_ptrIiEEEESD_ZNS1_13binary_searchIS3_S5_SD_SD_SD_NS1_21lower_bound_search_opENS9_16wrapped_functionINS0_4lessIvEEbEEEE10hipError_tPvRmT1_T2_T3_mmT4_T5_P12ihipStream_tbEUlRKiE_EESK_SO_SP_mSQ_ST_bEUlT_E_NS1_11comp_targetILNS1_3genE5ELNS1_11target_archE942ELNS1_3gpuE9ELNS1_3repE0EEENS1_30default_config_static_selectorELNS0_4arch9wavefront6targetE0EEEvSN_,comdat
.Lfunc_end442:
	.size	_ZN7rocprim17ROCPRIM_400000_NS6detail17trampoline_kernelINS0_14default_configENS1_27lower_bound_config_selectorIiiEEZNS1_14transform_implILb0ES3_S5_N6thrust23THRUST_200600_302600_NS6detail15normal_iteratorINS8_10device_ptrIiEEEESD_ZNS1_13binary_searchIS3_S5_SD_SD_SD_NS1_21lower_bound_search_opENS9_16wrapped_functionINS0_4lessIvEEbEEEE10hipError_tPvRmT1_T2_T3_mmT4_T5_P12ihipStream_tbEUlRKiE_EESK_SO_SP_mSQ_ST_bEUlT_E_NS1_11comp_targetILNS1_3genE5ELNS1_11target_archE942ELNS1_3gpuE9ELNS1_3repE0EEENS1_30default_config_static_selectorELNS0_4arch9wavefront6targetE0EEEvSN_, .Lfunc_end442-_ZN7rocprim17ROCPRIM_400000_NS6detail17trampoline_kernelINS0_14default_configENS1_27lower_bound_config_selectorIiiEEZNS1_14transform_implILb0ES3_S5_N6thrust23THRUST_200600_302600_NS6detail15normal_iteratorINS8_10device_ptrIiEEEESD_ZNS1_13binary_searchIS3_S5_SD_SD_SD_NS1_21lower_bound_search_opENS9_16wrapped_functionINS0_4lessIvEEbEEEE10hipError_tPvRmT1_T2_T3_mmT4_T5_P12ihipStream_tbEUlRKiE_EESK_SO_SP_mSQ_ST_bEUlT_E_NS1_11comp_targetILNS1_3genE5ELNS1_11target_archE942ELNS1_3gpuE9ELNS1_3repE0EEENS1_30default_config_static_selectorELNS0_4arch9wavefront6targetE0EEEvSN_
                                        ; -- End function
	.set _ZN7rocprim17ROCPRIM_400000_NS6detail17trampoline_kernelINS0_14default_configENS1_27lower_bound_config_selectorIiiEEZNS1_14transform_implILb0ES3_S5_N6thrust23THRUST_200600_302600_NS6detail15normal_iteratorINS8_10device_ptrIiEEEESD_ZNS1_13binary_searchIS3_S5_SD_SD_SD_NS1_21lower_bound_search_opENS9_16wrapped_functionINS0_4lessIvEEbEEEE10hipError_tPvRmT1_T2_T3_mmT4_T5_P12ihipStream_tbEUlRKiE_EESK_SO_SP_mSQ_ST_bEUlT_E_NS1_11comp_targetILNS1_3genE5ELNS1_11target_archE942ELNS1_3gpuE9ELNS1_3repE0EEENS1_30default_config_static_selectorELNS0_4arch9wavefront6targetE0EEEvSN_.num_vgpr, 0
	.set _ZN7rocprim17ROCPRIM_400000_NS6detail17trampoline_kernelINS0_14default_configENS1_27lower_bound_config_selectorIiiEEZNS1_14transform_implILb0ES3_S5_N6thrust23THRUST_200600_302600_NS6detail15normal_iteratorINS8_10device_ptrIiEEEESD_ZNS1_13binary_searchIS3_S5_SD_SD_SD_NS1_21lower_bound_search_opENS9_16wrapped_functionINS0_4lessIvEEbEEEE10hipError_tPvRmT1_T2_T3_mmT4_T5_P12ihipStream_tbEUlRKiE_EESK_SO_SP_mSQ_ST_bEUlT_E_NS1_11comp_targetILNS1_3genE5ELNS1_11target_archE942ELNS1_3gpuE9ELNS1_3repE0EEENS1_30default_config_static_selectorELNS0_4arch9wavefront6targetE0EEEvSN_.num_agpr, 0
	.set _ZN7rocprim17ROCPRIM_400000_NS6detail17trampoline_kernelINS0_14default_configENS1_27lower_bound_config_selectorIiiEEZNS1_14transform_implILb0ES3_S5_N6thrust23THRUST_200600_302600_NS6detail15normal_iteratorINS8_10device_ptrIiEEEESD_ZNS1_13binary_searchIS3_S5_SD_SD_SD_NS1_21lower_bound_search_opENS9_16wrapped_functionINS0_4lessIvEEbEEEE10hipError_tPvRmT1_T2_T3_mmT4_T5_P12ihipStream_tbEUlRKiE_EESK_SO_SP_mSQ_ST_bEUlT_E_NS1_11comp_targetILNS1_3genE5ELNS1_11target_archE942ELNS1_3gpuE9ELNS1_3repE0EEENS1_30default_config_static_selectorELNS0_4arch9wavefront6targetE0EEEvSN_.numbered_sgpr, 0
	.set _ZN7rocprim17ROCPRIM_400000_NS6detail17trampoline_kernelINS0_14default_configENS1_27lower_bound_config_selectorIiiEEZNS1_14transform_implILb0ES3_S5_N6thrust23THRUST_200600_302600_NS6detail15normal_iteratorINS8_10device_ptrIiEEEESD_ZNS1_13binary_searchIS3_S5_SD_SD_SD_NS1_21lower_bound_search_opENS9_16wrapped_functionINS0_4lessIvEEbEEEE10hipError_tPvRmT1_T2_T3_mmT4_T5_P12ihipStream_tbEUlRKiE_EESK_SO_SP_mSQ_ST_bEUlT_E_NS1_11comp_targetILNS1_3genE5ELNS1_11target_archE942ELNS1_3gpuE9ELNS1_3repE0EEENS1_30default_config_static_selectorELNS0_4arch9wavefront6targetE0EEEvSN_.num_named_barrier, 0
	.set _ZN7rocprim17ROCPRIM_400000_NS6detail17trampoline_kernelINS0_14default_configENS1_27lower_bound_config_selectorIiiEEZNS1_14transform_implILb0ES3_S5_N6thrust23THRUST_200600_302600_NS6detail15normal_iteratorINS8_10device_ptrIiEEEESD_ZNS1_13binary_searchIS3_S5_SD_SD_SD_NS1_21lower_bound_search_opENS9_16wrapped_functionINS0_4lessIvEEbEEEE10hipError_tPvRmT1_T2_T3_mmT4_T5_P12ihipStream_tbEUlRKiE_EESK_SO_SP_mSQ_ST_bEUlT_E_NS1_11comp_targetILNS1_3genE5ELNS1_11target_archE942ELNS1_3gpuE9ELNS1_3repE0EEENS1_30default_config_static_selectorELNS0_4arch9wavefront6targetE0EEEvSN_.private_seg_size, 0
	.set _ZN7rocprim17ROCPRIM_400000_NS6detail17trampoline_kernelINS0_14default_configENS1_27lower_bound_config_selectorIiiEEZNS1_14transform_implILb0ES3_S5_N6thrust23THRUST_200600_302600_NS6detail15normal_iteratorINS8_10device_ptrIiEEEESD_ZNS1_13binary_searchIS3_S5_SD_SD_SD_NS1_21lower_bound_search_opENS9_16wrapped_functionINS0_4lessIvEEbEEEE10hipError_tPvRmT1_T2_T3_mmT4_T5_P12ihipStream_tbEUlRKiE_EESK_SO_SP_mSQ_ST_bEUlT_E_NS1_11comp_targetILNS1_3genE5ELNS1_11target_archE942ELNS1_3gpuE9ELNS1_3repE0EEENS1_30default_config_static_selectorELNS0_4arch9wavefront6targetE0EEEvSN_.uses_vcc, 0
	.set _ZN7rocprim17ROCPRIM_400000_NS6detail17trampoline_kernelINS0_14default_configENS1_27lower_bound_config_selectorIiiEEZNS1_14transform_implILb0ES3_S5_N6thrust23THRUST_200600_302600_NS6detail15normal_iteratorINS8_10device_ptrIiEEEESD_ZNS1_13binary_searchIS3_S5_SD_SD_SD_NS1_21lower_bound_search_opENS9_16wrapped_functionINS0_4lessIvEEbEEEE10hipError_tPvRmT1_T2_T3_mmT4_T5_P12ihipStream_tbEUlRKiE_EESK_SO_SP_mSQ_ST_bEUlT_E_NS1_11comp_targetILNS1_3genE5ELNS1_11target_archE942ELNS1_3gpuE9ELNS1_3repE0EEENS1_30default_config_static_selectorELNS0_4arch9wavefront6targetE0EEEvSN_.uses_flat_scratch, 0
	.set _ZN7rocprim17ROCPRIM_400000_NS6detail17trampoline_kernelINS0_14default_configENS1_27lower_bound_config_selectorIiiEEZNS1_14transform_implILb0ES3_S5_N6thrust23THRUST_200600_302600_NS6detail15normal_iteratorINS8_10device_ptrIiEEEESD_ZNS1_13binary_searchIS3_S5_SD_SD_SD_NS1_21lower_bound_search_opENS9_16wrapped_functionINS0_4lessIvEEbEEEE10hipError_tPvRmT1_T2_T3_mmT4_T5_P12ihipStream_tbEUlRKiE_EESK_SO_SP_mSQ_ST_bEUlT_E_NS1_11comp_targetILNS1_3genE5ELNS1_11target_archE942ELNS1_3gpuE9ELNS1_3repE0EEENS1_30default_config_static_selectorELNS0_4arch9wavefront6targetE0EEEvSN_.has_dyn_sized_stack, 0
	.set _ZN7rocprim17ROCPRIM_400000_NS6detail17trampoline_kernelINS0_14default_configENS1_27lower_bound_config_selectorIiiEEZNS1_14transform_implILb0ES3_S5_N6thrust23THRUST_200600_302600_NS6detail15normal_iteratorINS8_10device_ptrIiEEEESD_ZNS1_13binary_searchIS3_S5_SD_SD_SD_NS1_21lower_bound_search_opENS9_16wrapped_functionINS0_4lessIvEEbEEEE10hipError_tPvRmT1_T2_T3_mmT4_T5_P12ihipStream_tbEUlRKiE_EESK_SO_SP_mSQ_ST_bEUlT_E_NS1_11comp_targetILNS1_3genE5ELNS1_11target_archE942ELNS1_3gpuE9ELNS1_3repE0EEENS1_30default_config_static_selectorELNS0_4arch9wavefront6targetE0EEEvSN_.has_recursion, 0
	.set _ZN7rocprim17ROCPRIM_400000_NS6detail17trampoline_kernelINS0_14default_configENS1_27lower_bound_config_selectorIiiEEZNS1_14transform_implILb0ES3_S5_N6thrust23THRUST_200600_302600_NS6detail15normal_iteratorINS8_10device_ptrIiEEEESD_ZNS1_13binary_searchIS3_S5_SD_SD_SD_NS1_21lower_bound_search_opENS9_16wrapped_functionINS0_4lessIvEEbEEEE10hipError_tPvRmT1_T2_T3_mmT4_T5_P12ihipStream_tbEUlRKiE_EESK_SO_SP_mSQ_ST_bEUlT_E_NS1_11comp_targetILNS1_3genE5ELNS1_11target_archE942ELNS1_3gpuE9ELNS1_3repE0EEENS1_30default_config_static_selectorELNS0_4arch9wavefront6targetE0EEEvSN_.has_indirect_call, 0
	.section	.AMDGPU.csdata,"",@progbits
; Kernel info:
; codeLenInByte = 0
; TotalNumSgprs: 0
; NumVgprs: 0
; ScratchSize: 0
; MemoryBound: 0
; FloatMode: 240
; IeeeMode: 1
; LDSByteSize: 0 bytes/workgroup (compile time only)
; SGPRBlocks: 0
; VGPRBlocks: 0
; NumSGPRsForWavesPerEU: 1
; NumVGPRsForWavesPerEU: 1
; Occupancy: 16
; WaveLimiterHint : 0
; COMPUTE_PGM_RSRC2:SCRATCH_EN: 0
; COMPUTE_PGM_RSRC2:USER_SGPR: 6
; COMPUTE_PGM_RSRC2:TRAP_HANDLER: 0
; COMPUTE_PGM_RSRC2:TGID_X_EN: 1
; COMPUTE_PGM_RSRC2:TGID_Y_EN: 0
; COMPUTE_PGM_RSRC2:TGID_Z_EN: 0
; COMPUTE_PGM_RSRC2:TIDIG_COMP_CNT: 0
	.section	.text._ZN7rocprim17ROCPRIM_400000_NS6detail17trampoline_kernelINS0_14default_configENS1_27lower_bound_config_selectorIiiEEZNS1_14transform_implILb0ES3_S5_N6thrust23THRUST_200600_302600_NS6detail15normal_iteratorINS8_10device_ptrIiEEEESD_ZNS1_13binary_searchIS3_S5_SD_SD_SD_NS1_21lower_bound_search_opENS9_16wrapped_functionINS0_4lessIvEEbEEEE10hipError_tPvRmT1_T2_T3_mmT4_T5_P12ihipStream_tbEUlRKiE_EESK_SO_SP_mSQ_ST_bEUlT_E_NS1_11comp_targetILNS1_3genE4ELNS1_11target_archE910ELNS1_3gpuE8ELNS1_3repE0EEENS1_30default_config_static_selectorELNS0_4arch9wavefront6targetE0EEEvSN_,"axG",@progbits,_ZN7rocprim17ROCPRIM_400000_NS6detail17trampoline_kernelINS0_14default_configENS1_27lower_bound_config_selectorIiiEEZNS1_14transform_implILb0ES3_S5_N6thrust23THRUST_200600_302600_NS6detail15normal_iteratorINS8_10device_ptrIiEEEESD_ZNS1_13binary_searchIS3_S5_SD_SD_SD_NS1_21lower_bound_search_opENS9_16wrapped_functionINS0_4lessIvEEbEEEE10hipError_tPvRmT1_T2_T3_mmT4_T5_P12ihipStream_tbEUlRKiE_EESK_SO_SP_mSQ_ST_bEUlT_E_NS1_11comp_targetILNS1_3genE4ELNS1_11target_archE910ELNS1_3gpuE8ELNS1_3repE0EEENS1_30default_config_static_selectorELNS0_4arch9wavefront6targetE0EEEvSN_,comdat
	.protected	_ZN7rocprim17ROCPRIM_400000_NS6detail17trampoline_kernelINS0_14default_configENS1_27lower_bound_config_selectorIiiEEZNS1_14transform_implILb0ES3_S5_N6thrust23THRUST_200600_302600_NS6detail15normal_iteratorINS8_10device_ptrIiEEEESD_ZNS1_13binary_searchIS3_S5_SD_SD_SD_NS1_21lower_bound_search_opENS9_16wrapped_functionINS0_4lessIvEEbEEEE10hipError_tPvRmT1_T2_T3_mmT4_T5_P12ihipStream_tbEUlRKiE_EESK_SO_SP_mSQ_ST_bEUlT_E_NS1_11comp_targetILNS1_3genE4ELNS1_11target_archE910ELNS1_3gpuE8ELNS1_3repE0EEENS1_30default_config_static_selectorELNS0_4arch9wavefront6targetE0EEEvSN_ ; -- Begin function _ZN7rocprim17ROCPRIM_400000_NS6detail17trampoline_kernelINS0_14default_configENS1_27lower_bound_config_selectorIiiEEZNS1_14transform_implILb0ES3_S5_N6thrust23THRUST_200600_302600_NS6detail15normal_iteratorINS8_10device_ptrIiEEEESD_ZNS1_13binary_searchIS3_S5_SD_SD_SD_NS1_21lower_bound_search_opENS9_16wrapped_functionINS0_4lessIvEEbEEEE10hipError_tPvRmT1_T2_T3_mmT4_T5_P12ihipStream_tbEUlRKiE_EESK_SO_SP_mSQ_ST_bEUlT_E_NS1_11comp_targetILNS1_3genE4ELNS1_11target_archE910ELNS1_3gpuE8ELNS1_3repE0EEENS1_30default_config_static_selectorELNS0_4arch9wavefront6targetE0EEEvSN_
	.globl	_ZN7rocprim17ROCPRIM_400000_NS6detail17trampoline_kernelINS0_14default_configENS1_27lower_bound_config_selectorIiiEEZNS1_14transform_implILb0ES3_S5_N6thrust23THRUST_200600_302600_NS6detail15normal_iteratorINS8_10device_ptrIiEEEESD_ZNS1_13binary_searchIS3_S5_SD_SD_SD_NS1_21lower_bound_search_opENS9_16wrapped_functionINS0_4lessIvEEbEEEE10hipError_tPvRmT1_T2_T3_mmT4_T5_P12ihipStream_tbEUlRKiE_EESK_SO_SP_mSQ_ST_bEUlT_E_NS1_11comp_targetILNS1_3genE4ELNS1_11target_archE910ELNS1_3gpuE8ELNS1_3repE0EEENS1_30default_config_static_selectorELNS0_4arch9wavefront6targetE0EEEvSN_
	.p2align	8
	.type	_ZN7rocprim17ROCPRIM_400000_NS6detail17trampoline_kernelINS0_14default_configENS1_27lower_bound_config_selectorIiiEEZNS1_14transform_implILb0ES3_S5_N6thrust23THRUST_200600_302600_NS6detail15normal_iteratorINS8_10device_ptrIiEEEESD_ZNS1_13binary_searchIS3_S5_SD_SD_SD_NS1_21lower_bound_search_opENS9_16wrapped_functionINS0_4lessIvEEbEEEE10hipError_tPvRmT1_T2_T3_mmT4_T5_P12ihipStream_tbEUlRKiE_EESK_SO_SP_mSQ_ST_bEUlT_E_NS1_11comp_targetILNS1_3genE4ELNS1_11target_archE910ELNS1_3gpuE8ELNS1_3repE0EEENS1_30default_config_static_selectorELNS0_4arch9wavefront6targetE0EEEvSN_,@function
_ZN7rocprim17ROCPRIM_400000_NS6detail17trampoline_kernelINS0_14default_configENS1_27lower_bound_config_selectorIiiEEZNS1_14transform_implILb0ES3_S5_N6thrust23THRUST_200600_302600_NS6detail15normal_iteratorINS8_10device_ptrIiEEEESD_ZNS1_13binary_searchIS3_S5_SD_SD_SD_NS1_21lower_bound_search_opENS9_16wrapped_functionINS0_4lessIvEEbEEEE10hipError_tPvRmT1_T2_T3_mmT4_T5_P12ihipStream_tbEUlRKiE_EESK_SO_SP_mSQ_ST_bEUlT_E_NS1_11comp_targetILNS1_3genE4ELNS1_11target_archE910ELNS1_3gpuE8ELNS1_3repE0EEENS1_30default_config_static_selectorELNS0_4arch9wavefront6targetE0EEEvSN_: ; @_ZN7rocprim17ROCPRIM_400000_NS6detail17trampoline_kernelINS0_14default_configENS1_27lower_bound_config_selectorIiiEEZNS1_14transform_implILb0ES3_S5_N6thrust23THRUST_200600_302600_NS6detail15normal_iteratorINS8_10device_ptrIiEEEESD_ZNS1_13binary_searchIS3_S5_SD_SD_SD_NS1_21lower_bound_search_opENS9_16wrapped_functionINS0_4lessIvEEbEEEE10hipError_tPvRmT1_T2_T3_mmT4_T5_P12ihipStream_tbEUlRKiE_EESK_SO_SP_mSQ_ST_bEUlT_E_NS1_11comp_targetILNS1_3genE4ELNS1_11target_archE910ELNS1_3gpuE8ELNS1_3repE0EEENS1_30default_config_static_selectorELNS0_4arch9wavefront6targetE0EEEvSN_
; %bb.0:
	.section	.rodata,"a",@progbits
	.p2align	6, 0x0
	.amdhsa_kernel _ZN7rocprim17ROCPRIM_400000_NS6detail17trampoline_kernelINS0_14default_configENS1_27lower_bound_config_selectorIiiEEZNS1_14transform_implILb0ES3_S5_N6thrust23THRUST_200600_302600_NS6detail15normal_iteratorINS8_10device_ptrIiEEEESD_ZNS1_13binary_searchIS3_S5_SD_SD_SD_NS1_21lower_bound_search_opENS9_16wrapped_functionINS0_4lessIvEEbEEEE10hipError_tPvRmT1_T2_T3_mmT4_T5_P12ihipStream_tbEUlRKiE_EESK_SO_SP_mSQ_ST_bEUlT_E_NS1_11comp_targetILNS1_3genE4ELNS1_11target_archE910ELNS1_3gpuE8ELNS1_3repE0EEENS1_30default_config_static_selectorELNS0_4arch9wavefront6targetE0EEEvSN_
		.amdhsa_group_segment_fixed_size 0
		.amdhsa_private_segment_fixed_size 0
		.amdhsa_kernarg_size 56
		.amdhsa_user_sgpr_count 6
		.amdhsa_user_sgpr_private_segment_buffer 1
		.amdhsa_user_sgpr_dispatch_ptr 0
		.amdhsa_user_sgpr_queue_ptr 0
		.amdhsa_user_sgpr_kernarg_segment_ptr 1
		.amdhsa_user_sgpr_dispatch_id 0
		.amdhsa_user_sgpr_flat_scratch_init 0
		.amdhsa_user_sgpr_private_segment_size 0
		.amdhsa_wavefront_size32 1
		.amdhsa_uses_dynamic_stack 0
		.amdhsa_system_sgpr_private_segment_wavefront_offset 0
		.amdhsa_system_sgpr_workgroup_id_x 1
		.amdhsa_system_sgpr_workgroup_id_y 0
		.amdhsa_system_sgpr_workgroup_id_z 0
		.amdhsa_system_sgpr_workgroup_info 0
		.amdhsa_system_vgpr_workitem_id 0
		.amdhsa_next_free_vgpr 1
		.amdhsa_next_free_sgpr 1
		.amdhsa_reserve_vcc 0
		.amdhsa_reserve_flat_scratch 0
		.amdhsa_float_round_mode_32 0
		.amdhsa_float_round_mode_16_64 0
		.amdhsa_float_denorm_mode_32 3
		.amdhsa_float_denorm_mode_16_64 3
		.amdhsa_dx10_clamp 1
		.amdhsa_ieee_mode 1
		.amdhsa_fp16_overflow 0
		.amdhsa_workgroup_processor_mode 1
		.amdhsa_memory_ordered 1
		.amdhsa_forward_progress 1
		.amdhsa_shared_vgpr_count 0
		.amdhsa_exception_fp_ieee_invalid_op 0
		.amdhsa_exception_fp_denorm_src 0
		.amdhsa_exception_fp_ieee_div_zero 0
		.amdhsa_exception_fp_ieee_overflow 0
		.amdhsa_exception_fp_ieee_underflow 0
		.amdhsa_exception_fp_ieee_inexact 0
		.amdhsa_exception_int_div_zero 0
	.end_amdhsa_kernel
	.section	.text._ZN7rocprim17ROCPRIM_400000_NS6detail17trampoline_kernelINS0_14default_configENS1_27lower_bound_config_selectorIiiEEZNS1_14transform_implILb0ES3_S5_N6thrust23THRUST_200600_302600_NS6detail15normal_iteratorINS8_10device_ptrIiEEEESD_ZNS1_13binary_searchIS3_S5_SD_SD_SD_NS1_21lower_bound_search_opENS9_16wrapped_functionINS0_4lessIvEEbEEEE10hipError_tPvRmT1_T2_T3_mmT4_T5_P12ihipStream_tbEUlRKiE_EESK_SO_SP_mSQ_ST_bEUlT_E_NS1_11comp_targetILNS1_3genE4ELNS1_11target_archE910ELNS1_3gpuE8ELNS1_3repE0EEENS1_30default_config_static_selectorELNS0_4arch9wavefront6targetE0EEEvSN_,"axG",@progbits,_ZN7rocprim17ROCPRIM_400000_NS6detail17trampoline_kernelINS0_14default_configENS1_27lower_bound_config_selectorIiiEEZNS1_14transform_implILb0ES3_S5_N6thrust23THRUST_200600_302600_NS6detail15normal_iteratorINS8_10device_ptrIiEEEESD_ZNS1_13binary_searchIS3_S5_SD_SD_SD_NS1_21lower_bound_search_opENS9_16wrapped_functionINS0_4lessIvEEbEEEE10hipError_tPvRmT1_T2_T3_mmT4_T5_P12ihipStream_tbEUlRKiE_EESK_SO_SP_mSQ_ST_bEUlT_E_NS1_11comp_targetILNS1_3genE4ELNS1_11target_archE910ELNS1_3gpuE8ELNS1_3repE0EEENS1_30default_config_static_selectorELNS0_4arch9wavefront6targetE0EEEvSN_,comdat
.Lfunc_end443:
	.size	_ZN7rocprim17ROCPRIM_400000_NS6detail17trampoline_kernelINS0_14default_configENS1_27lower_bound_config_selectorIiiEEZNS1_14transform_implILb0ES3_S5_N6thrust23THRUST_200600_302600_NS6detail15normal_iteratorINS8_10device_ptrIiEEEESD_ZNS1_13binary_searchIS3_S5_SD_SD_SD_NS1_21lower_bound_search_opENS9_16wrapped_functionINS0_4lessIvEEbEEEE10hipError_tPvRmT1_T2_T3_mmT4_T5_P12ihipStream_tbEUlRKiE_EESK_SO_SP_mSQ_ST_bEUlT_E_NS1_11comp_targetILNS1_3genE4ELNS1_11target_archE910ELNS1_3gpuE8ELNS1_3repE0EEENS1_30default_config_static_selectorELNS0_4arch9wavefront6targetE0EEEvSN_, .Lfunc_end443-_ZN7rocprim17ROCPRIM_400000_NS6detail17trampoline_kernelINS0_14default_configENS1_27lower_bound_config_selectorIiiEEZNS1_14transform_implILb0ES3_S5_N6thrust23THRUST_200600_302600_NS6detail15normal_iteratorINS8_10device_ptrIiEEEESD_ZNS1_13binary_searchIS3_S5_SD_SD_SD_NS1_21lower_bound_search_opENS9_16wrapped_functionINS0_4lessIvEEbEEEE10hipError_tPvRmT1_T2_T3_mmT4_T5_P12ihipStream_tbEUlRKiE_EESK_SO_SP_mSQ_ST_bEUlT_E_NS1_11comp_targetILNS1_3genE4ELNS1_11target_archE910ELNS1_3gpuE8ELNS1_3repE0EEENS1_30default_config_static_selectorELNS0_4arch9wavefront6targetE0EEEvSN_
                                        ; -- End function
	.set _ZN7rocprim17ROCPRIM_400000_NS6detail17trampoline_kernelINS0_14default_configENS1_27lower_bound_config_selectorIiiEEZNS1_14transform_implILb0ES3_S5_N6thrust23THRUST_200600_302600_NS6detail15normal_iteratorINS8_10device_ptrIiEEEESD_ZNS1_13binary_searchIS3_S5_SD_SD_SD_NS1_21lower_bound_search_opENS9_16wrapped_functionINS0_4lessIvEEbEEEE10hipError_tPvRmT1_T2_T3_mmT4_T5_P12ihipStream_tbEUlRKiE_EESK_SO_SP_mSQ_ST_bEUlT_E_NS1_11comp_targetILNS1_3genE4ELNS1_11target_archE910ELNS1_3gpuE8ELNS1_3repE0EEENS1_30default_config_static_selectorELNS0_4arch9wavefront6targetE0EEEvSN_.num_vgpr, 0
	.set _ZN7rocprim17ROCPRIM_400000_NS6detail17trampoline_kernelINS0_14default_configENS1_27lower_bound_config_selectorIiiEEZNS1_14transform_implILb0ES3_S5_N6thrust23THRUST_200600_302600_NS6detail15normal_iteratorINS8_10device_ptrIiEEEESD_ZNS1_13binary_searchIS3_S5_SD_SD_SD_NS1_21lower_bound_search_opENS9_16wrapped_functionINS0_4lessIvEEbEEEE10hipError_tPvRmT1_T2_T3_mmT4_T5_P12ihipStream_tbEUlRKiE_EESK_SO_SP_mSQ_ST_bEUlT_E_NS1_11comp_targetILNS1_3genE4ELNS1_11target_archE910ELNS1_3gpuE8ELNS1_3repE0EEENS1_30default_config_static_selectorELNS0_4arch9wavefront6targetE0EEEvSN_.num_agpr, 0
	.set _ZN7rocprim17ROCPRIM_400000_NS6detail17trampoline_kernelINS0_14default_configENS1_27lower_bound_config_selectorIiiEEZNS1_14transform_implILb0ES3_S5_N6thrust23THRUST_200600_302600_NS6detail15normal_iteratorINS8_10device_ptrIiEEEESD_ZNS1_13binary_searchIS3_S5_SD_SD_SD_NS1_21lower_bound_search_opENS9_16wrapped_functionINS0_4lessIvEEbEEEE10hipError_tPvRmT1_T2_T3_mmT4_T5_P12ihipStream_tbEUlRKiE_EESK_SO_SP_mSQ_ST_bEUlT_E_NS1_11comp_targetILNS1_3genE4ELNS1_11target_archE910ELNS1_3gpuE8ELNS1_3repE0EEENS1_30default_config_static_selectorELNS0_4arch9wavefront6targetE0EEEvSN_.numbered_sgpr, 0
	.set _ZN7rocprim17ROCPRIM_400000_NS6detail17trampoline_kernelINS0_14default_configENS1_27lower_bound_config_selectorIiiEEZNS1_14transform_implILb0ES3_S5_N6thrust23THRUST_200600_302600_NS6detail15normal_iteratorINS8_10device_ptrIiEEEESD_ZNS1_13binary_searchIS3_S5_SD_SD_SD_NS1_21lower_bound_search_opENS9_16wrapped_functionINS0_4lessIvEEbEEEE10hipError_tPvRmT1_T2_T3_mmT4_T5_P12ihipStream_tbEUlRKiE_EESK_SO_SP_mSQ_ST_bEUlT_E_NS1_11comp_targetILNS1_3genE4ELNS1_11target_archE910ELNS1_3gpuE8ELNS1_3repE0EEENS1_30default_config_static_selectorELNS0_4arch9wavefront6targetE0EEEvSN_.num_named_barrier, 0
	.set _ZN7rocprim17ROCPRIM_400000_NS6detail17trampoline_kernelINS0_14default_configENS1_27lower_bound_config_selectorIiiEEZNS1_14transform_implILb0ES3_S5_N6thrust23THRUST_200600_302600_NS6detail15normal_iteratorINS8_10device_ptrIiEEEESD_ZNS1_13binary_searchIS3_S5_SD_SD_SD_NS1_21lower_bound_search_opENS9_16wrapped_functionINS0_4lessIvEEbEEEE10hipError_tPvRmT1_T2_T3_mmT4_T5_P12ihipStream_tbEUlRKiE_EESK_SO_SP_mSQ_ST_bEUlT_E_NS1_11comp_targetILNS1_3genE4ELNS1_11target_archE910ELNS1_3gpuE8ELNS1_3repE0EEENS1_30default_config_static_selectorELNS0_4arch9wavefront6targetE0EEEvSN_.private_seg_size, 0
	.set _ZN7rocprim17ROCPRIM_400000_NS6detail17trampoline_kernelINS0_14default_configENS1_27lower_bound_config_selectorIiiEEZNS1_14transform_implILb0ES3_S5_N6thrust23THRUST_200600_302600_NS6detail15normal_iteratorINS8_10device_ptrIiEEEESD_ZNS1_13binary_searchIS3_S5_SD_SD_SD_NS1_21lower_bound_search_opENS9_16wrapped_functionINS0_4lessIvEEbEEEE10hipError_tPvRmT1_T2_T3_mmT4_T5_P12ihipStream_tbEUlRKiE_EESK_SO_SP_mSQ_ST_bEUlT_E_NS1_11comp_targetILNS1_3genE4ELNS1_11target_archE910ELNS1_3gpuE8ELNS1_3repE0EEENS1_30default_config_static_selectorELNS0_4arch9wavefront6targetE0EEEvSN_.uses_vcc, 0
	.set _ZN7rocprim17ROCPRIM_400000_NS6detail17trampoline_kernelINS0_14default_configENS1_27lower_bound_config_selectorIiiEEZNS1_14transform_implILb0ES3_S5_N6thrust23THRUST_200600_302600_NS6detail15normal_iteratorINS8_10device_ptrIiEEEESD_ZNS1_13binary_searchIS3_S5_SD_SD_SD_NS1_21lower_bound_search_opENS9_16wrapped_functionINS0_4lessIvEEbEEEE10hipError_tPvRmT1_T2_T3_mmT4_T5_P12ihipStream_tbEUlRKiE_EESK_SO_SP_mSQ_ST_bEUlT_E_NS1_11comp_targetILNS1_3genE4ELNS1_11target_archE910ELNS1_3gpuE8ELNS1_3repE0EEENS1_30default_config_static_selectorELNS0_4arch9wavefront6targetE0EEEvSN_.uses_flat_scratch, 0
	.set _ZN7rocprim17ROCPRIM_400000_NS6detail17trampoline_kernelINS0_14default_configENS1_27lower_bound_config_selectorIiiEEZNS1_14transform_implILb0ES3_S5_N6thrust23THRUST_200600_302600_NS6detail15normal_iteratorINS8_10device_ptrIiEEEESD_ZNS1_13binary_searchIS3_S5_SD_SD_SD_NS1_21lower_bound_search_opENS9_16wrapped_functionINS0_4lessIvEEbEEEE10hipError_tPvRmT1_T2_T3_mmT4_T5_P12ihipStream_tbEUlRKiE_EESK_SO_SP_mSQ_ST_bEUlT_E_NS1_11comp_targetILNS1_3genE4ELNS1_11target_archE910ELNS1_3gpuE8ELNS1_3repE0EEENS1_30default_config_static_selectorELNS0_4arch9wavefront6targetE0EEEvSN_.has_dyn_sized_stack, 0
	.set _ZN7rocprim17ROCPRIM_400000_NS6detail17trampoline_kernelINS0_14default_configENS1_27lower_bound_config_selectorIiiEEZNS1_14transform_implILb0ES3_S5_N6thrust23THRUST_200600_302600_NS6detail15normal_iteratorINS8_10device_ptrIiEEEESD_ZNS1_13binary_searchIS3_S5_SD_SD_SD_NS1_21lower_bound_search_opENS9_16wrapped_functionINS0_4lessIvEEbEEEE10hipError_tPvRmT1_T2_T3_mmT4_T5_P12ihipStream_tbEUlRKiE_EESK_SO_SP_mSQ_ST_bEUlT_E_NS1_11comp_targetILNS1_3genE4ELNS1_11target_archE910ELNS1_3gpuE8ELNS1_3repE0EEENS1_30default_config_static_selectorELNS0_4arch9wavefront6targetE0EEEvSN_.has_recursion, 0
	.set _ZN7rocprim17ROCPRIM_400000_NS6detail17trampoline_kernelINS0_14default_configENS1_27lower_bound_config_selectorIiiEEZNS1_14transform_implILb0ES3_S5_N6thrust23THRUST_200600_302600_NS6detail15normal_iteratorINS8_10device_ptrIiEEEESD_ZNS1_13binary_searchIS3_S5_SD_SD_SD_NS1_21lower_bound_search_opENS9_16wrapped_functionINS0_4lessIvEEbEEEE10hipError_tPvRmT1_T2_T3_mmT4_T5_P12ihipStream_tbEUlRKiE_EESK_SO_SP_mSQ_ST_bEUlT_E_NS1_11comp_targetILNS1_3genE4ELNS1_11target_archE910ELNS1_3gpuE8ELNS1_3repE0EEENS1_30default_config_static_selectorELNS0_4arch9wavefront6targetE0EEEvSN_.has_indirect_call, 0
	.section	.AMDGPU.csdata,"",@progbits
; Kernel info:
; codeLenInByte = 0
; TotalNumSgprs: 0
; NumVgprs: 0
; ScratchSize: 0
; MemoryBound: 0
; FloatMode: 240
; IeeeMode: 1
; LDSByteSize: 0 bytes/workgroup (compile time only)
; SGPRBlocks: 0
; VGPRBlocks: 0
; NumSGPRsForWavesPerEU: 1
; NumVGPRsForWavesPerEU: 1
; Occupancy: 16
; WaveLimiterHint : 0
; COMPUTE_PGM_RSRC2:SCRATCH_EN: 0
; COMPUTE_PGM_RSRC2:USER_SGPR: 6
; COMPUTE_PGM_RSRC2:TRAP_HANDLER: 0
; COMPUTE_PGM_RSRC2:TGID_X_EN: 1
; COMPUTE_PGM_RSRC2:TGID_Y_EN: 0
; COMPUTE_PGM_RSRC2:TGID_Z_EN: 0
; COMPUTE_PGM_RSRC2:TIDIG_COMP_CNT: 0
	.section	.text._ZN7rocprim17ROCPRIM_400000_NS6detail17trampoline_kernelINS0_14default_configENS1_27lower_bound_config_selectorIiiEEZNS1_14transform_implILb0ES3_S5_N6thrust23THRUST_200600_302600_NS6detail15normal_iteratorINS8_10device_ptrIiEEEESD_ZNS1_13binary_searchIS3_S5_SD_SD_SD_NS1_21lower_bound_search_opENS9_16wrapped_functionINS0_4lessIvEEbEEEE10hipError_tPvRmT1_T2_T3_mmT4_T5_P12ihipStream_tbEUlRKiE_EESK_SO_SP_mSQ_ST_bEUlT_E_NS1_11comp_targetILNS1_3genE3ELNS1_11target_archE908ELNS1_3gpuE7ELNS1_3repE0EEENS1_30default_config_static_selectorELNS0_4arch9wavefront6targetE0EEEvSN_,"axG",@progbits,_ZN7rocprim17ROCPRIM_400000_NS6detail17trampoline_kernelINS0_14default_configENS1_27lower_bound_config_selectorIiiEEZNS1_14transform_implILb0ES3_S5_N6thrust23THRUST_200600_302600_NS6detail15normal_iteratorINS8_10device_ptrIiEEEESD_ZNS1_13binary_searchIS3_S5_SD_SD_SD_NS1_21lower_bound_search_opENS9_16wrapped_functionINS0_4lessIvEEbEEEE10hipError_tPvRmT1_T2_T3_mmT4_T5_P12ihipStream_tbEUlRKiE_EESK_SO_SP_mSQ_ST_bEUlT_E_NS1_11comp_targetILNS1_3genE3ELNS1_11target_archE908ELNS1_3gpuE7ELNS1_3repE0EEENS1_30default_config_static_selectorELNS0_4arch9wavefront6targetE0EEEvSN_,comdat
	.protected	_ZN7rocprim17ROCPRIM_400000_NS6detail17trampoline_kernelINS0_14default_configENS1_27lower_bound_config_selectorIiiEEZNS1_14transform_implILb0ES3_S5_N6thrust23THRUST_200600_302600_NS6detail15normal_iteratorINS8_10device_ptrIiEEEESD_ZNS1_13binary_searchIS3_S5_SD_SD_SD_NS1_21lower_bound_search_opENS9_16wrapped_functionINS0_4lessIvEEbEEEE10hipError_tPvRmT1_T2_T3_mmT4_T5_P12ihipStream_tbEUlRKiE_EESK_SO_SP_mSQ_ST_bEUlT_E_NS1_11comp_targetILNS1_3genE3ELNS1_11target_archE908ELNS1_3gpuE7ELNS1_3repE0EEENS1_30default_config_static_selectorELNS0_4arch9wavefront6targetE0EEEvSN_ ; -- Begin function _ZN7rocprim17ROCPRIM_400000_NS6detail17trampoline_kernelINS0_14default_configENS1_27lower_bound_config_selectorIiiEEZNS1_14transform_implILb0ES3_S5_N6thrust23THRUST_200600_302600_NS6detail15normal_iteratorINS8_10device_ptrIiEEEESD_ZNS1_13binary_searchIS3_S5_SD_SD_SD_NS1_21lower_bound_search_opENS9_16wrapped_functionINS0_4lessIvEEbEEEE10hipError_tPvRmT1_T2_T3_mmT4_T5_P12ihipStream_tbEUlRKiE_EESK_SO_SP_mSQ_ST_bEUlT_E_NS1_11comp_targetILNS1_3genE3ELNS1_11target_archE908ELNS1_3gpuE7ELNS1_3repE0EEENS1_30default_config_static_selectorELNS0_4arch9wavefront6targetE0EEEvSN_
	.globl	_ZN7rocprim17ROCPRIM_400000_NS6detail17trampoline_kernelINS0_14default_configENS1_27lower_bound_config_selectorIiiEEZNS1_14transform_implILb0ES3_S5_N6thrust23THRUST_200600_302600_NS6detail15normal_iteratorINS8_10device_ptrIiEEEESD_ZNS1_13binary_searchIS3_S5_SD_SD_SD_NS1_21lower_bound_search_opENS9_16wrapped_functionINS0_4lessIvEEbEEEE10hipError_tPvRmT1_T2_T3_mmT4_T5_P12ihipStream_tbEUlRKiE_EESK_SO_SP_mSQ_ST_bEUlT_E_NS1_11comp_targetILNS1_3genE3ELNS1_11target_archE908ELNS1_3gpuE7ELNS1_3repE0EEENS1_30default_config_static_selectorELNS0_4arch9wavefront6targetE0EEEvSN_
	.p2align	8
	.type	_ZN7rocprim17ROCPRIM_400000_NS6detail17trampoline_kernelINS0_14default_configENS1_27lower_bound_config_selectorIiiEEZNS1_14transform_implILb0ES3_S5_N6thrust23THRUST_200600_302600_NS6detail15normal_iteratorINS8_10device_ptrIiEEEESD_ZNS1_13binary_searchIS3_S5_SD_SD_SD_NS1_21lower_bound_search_opENS9_16wrapped_functionINS0_4lessIvEEbEEEE10hipError_tPvRmT1_T2_T3_mmT4_T5_P12ihipStream_tbEUlRKiE_EESK_SO_SP_mSQ_ST_bEUlT_E_NS1_11comp_targetILNS1_3genE3ELNS1_11target_archE908ELNS1_3gpuE7ELNS1_3repE0EEENS1_30default_config_static_selectorELNS0_4arch9wavefront6targetE0EEEvSN_,@function
_ZN7rocprim17ROCPRIM_400000_NS6detail17trampoline_kernelINS0_14default_configENS1_27lower_bound_config_selectorIiiEEZNS1_14transform_implILb0ES3_S5_N6thrust23THRUST_200600_302600_NS6detail15normal_iteratorINS8_10device_ptrIiEEEESD_ZNS1_13binary_searchIS3_S5_SD_SD_SD_NS1_21lower_bound_search_opENS9_16wrapped_functionINS0_4lessIvEEbEEEE10hipError_tPvRmT1_T2_T3_mmT4_T5_P12ihipStream_tbEUlRKiE_EESK_SO_SP_mSQ_ST_bEUlT_E_NS1_11comp_targetILNS1_3genE3ELNS1_11target_archE908ELNS1_3gpuE7ELNS1_3repE0EEENS1_30default_config_static_selectorELNS0_4arch9wavefront6targetE0EEEvSN_: ; @_ZN7rocprim17ROCPRIM_400000_NS6detail17trampoline_kernelINS0_14default_configENS1_27lower_bound_config_selectorIiiEEZNS1_14transform_implILb0ES3_S5_N6thrust23THRUST_200600_302600_NS6detail15normal_iteratorINS8_10device_ptrIiEEEESD_ZNS1_13binary_searchIS3_S5_SD_SD_SD_NS1_21lower_bound_search_opENS9_16wrapped_functionINS0_4lessIvEEbEEEE10hipError_tPvRmT1_T2_T3_mmT4_T5_P12ihipStream_tbEUlRKiE_EESK_SO_SP_mSQ_ST_bEUlT_E_NS1_11comp_targetILNS1_3genE3ELNS1_11target_archE908ELNS1_3gpuE7ELNS1_3repE0EEENS1_30default_config_static_selectorELNS0_4arch9wavefront6targetE0EEEvSN_
; %bb.0:
	.section	.rodata,"a",@progbits
	.p2align	6, 0x0
	.amdhsa_kernel _ZN7rocprim17ROCPRIM_400000_NS6detail17trampoline_kernelINS0_14default_configENS1_27lower_bound_config_selectorIiiEEZNS1_14transform_implILb0ES3_S5_N6thrust23THRUST_200600_302600_NS6detail15normal_iteratorINS8_10device_ptrIiEEEESD_ZNS1_13binary_searchIS3_S5_SD_SD_SD_NS1_21lower_bound_search_opENS9_16wrapped_functionINS0_4lessIvEEbEEEE10hipError_tPvRmT1_T2_T3_mmT4_T5_P12ihipStream_tbEUlRKiE_EESK_SO_SP_mSQ_ST_bEUlT_E_NS1_11comp_targetILNS1_3genE3ELNS1_11target_archE908ELNS1_3gpuE7ELNS1_3repE0EEENS1_30default_config_static_selectorELNS0_4arch9wavefront6targetE0EEEvSN_
		.amdhsa_group_segment_fixed_size 0
		.amdhsa_private_segment_fixed_size 0
		.amdhsa_kernarg_size 56
		.amdhsa_user_sgpr_count 6
		.amdhsa_user_sgpr_private_segment_buffer 1
		.amdhsa_user_sgpr_dispatch_ptr 0
		.amdhsa_user_sgpr_queue_ptr 0
		.amdhsa_user_sgpr_kernarg_segment_ptr 1
		.amdhsa_user_sgpr_dispatch_id 0
		.amdhsa_user_sgpr_flat_scratch_init 0
		.amdhsa_user_sgpr_private_segment_size 0
		.amdhsa_wavefront_size32 1
		.amdhsa_uses_dynamic_stack 0
		.amdhsa_system_sgpr_private_segment_wavefront_offset 0
		.amdhsa_system_sgpr_workgroup_id_x 1
		.amdhsa_system_sgpr_workgroup_id_y 0
		.amdhsa_system_sgpr_workgroup_id_z 0
		.amdhsa_system_sgpr_workgroup_info 0
		.amdhsa_system_vgpr_workitem_id 0
		.amdhsa_next_free_vgpr 1
		.amdhsa_next_free_sgpr 1
		.amdhsa_reserve_vcc 0
		.amdhsa_reserve_flat_scratch 0
		.amdhsa_float_round_mode_32 0
		.amdhsa_float_round_mode_16_64 0
		.amdhsa_float_denorm_mode_32 3
		.amdhsa_float_denorm_mode_16_64 3
		.amdhsa_dx10_clamp 1
		.amdhsa_ieee_mode 1
		.amdhsa_fp16_overflow 0
		.amdhsa_workgroup_processor_mode 1
		.amdhsa_memory_ordered 1
		.amdhsa_forward_progress 1
		.amdhsa_shared_vgpr_count 0
		.amdhsa_exception_fp_ieee_invalid_op 0
		.amdhsa_exception_fp_denorm_src 0
		.amdhsa_exception_fp_ieee_div_zero 0
		.amdhsa_exception_fp_ieee_overflow 0
		.amdhsa_exception_fp_ieee_underflow 0
		.amdhsa_exception_fp_ieee_inexact 0
		.amdhsa_exception_int_div_zero 0
	.end_amdhsa_kernel
	.section	.text._ZN7rocprim17ROCPRIM_400000_NS6detail17trampoline_kernelINS0_14default_configENS1_27lower_bound_config_selectorIiiEEZNS1_14transform_implILb0ES3_S5_N6thrust23THRUST_200600_302600_NS6detail15normal_iteratorINS8_10device_ptrIiEEEESD_ZNS1_13binary_searchIS3_S5_SD_SD_SD_NS1_21lower_bound_search_opENS9_16wrapped_functionINS0_4lessIvEEbEEEE10hipError_tPvRmT1_T2_T3_mmT4_T5_P12ihipStream_tbEUlRKiE_EESK_SO_SP_mSQ_ST_bEUlT_E_NS1_11comp_targetILNS1_3genE3ELNS1_11target_archE908ELNS1_3gpuE7ELNS1_3repE0EEENS1_30default_config_static_selectorELNS0_4arch9wavefront6targetE0EEEvSN_,"axG",@progbits,_ZN7rocprim17ROCPRIM_400000_NS6detail17trampoline_kernelINS0_14default_configENS1_27lower_bound_config_selectorIiiEEZNS1_14transform_implILb0ES3_S5_N6thrust23THRUST_200600_302600_NS6detail15normal_iteratorINS8_10device_ptrIiEEEESD_ZNS1_13binary_searchIS3_S5_SD_SD_SD_NS1_21lower_bound_search_opENS9_16wrapped_functionINS0_4lessIvEEbEEEE10hipError_tPvRmT1_T2_T3_mmT4_T5_P12ihipStream_tbEUlRKiE_EESK_SO_SP_mSQ_ST_bEUlT_E_NS1_11comp_targetILNS1_3genE3ELNS1_11target_archE908ELNS1_3gpuE7ELNS1_3repE0EEENS1_30default_config_static_selectorELNS0_4arch9wavefront6targetE0EEEvSN_,comdat
.Lfunc_end444:
	.size	_ZN7rocprim17ROCPRIM_400000_NS6detail17trampoline_kernelINS0_14default_configENS1_27lower_bound_config_selectorIiiEEZNS1_14transform_implILb0ES3_S5_N6thrust23THRUST_200600_302600_NS6detail15normal_iteratorINS8_10device_ptrIiEEEESD_ZNS1_13binary_searchIS3_S5_SD_SD_SD_NS1_21lower_bound_search_opENS9_16wrapped_functionINS0_4lessIvEEbEEEE10hipError_tPvRmT1_T2_T3_mmT4_T5_P12ihipStream_tbEUlRKiE_EESK_SO_SP_mSQ_ST_bEUlT_E_NS1_11comp_targetILNS1_3genE3ELNS1_11target_archE908ELNS1_3gpuE7ELNS1_3repE0EEENS1_30default_config_static_selectorELNS0_4arch9wavefront6targetE0EEEvSN_, .Lfunc_end444-_ZN7rocprim17ROCPRIM_400000_NS6detail17trampoline_kernelINS0_14default_configENS1_27lower_bound_config_selectorIiiEEZNS1_14transform_implILb0ES3_S5_N6thrust23THRUST_200600_302600_NS6detail15normal_iteratorINS8_10device_ptrIiEEEESD_ZNS1_13binary_searchIS3_S5_SD_SD_SD_NS1_21lower_bound_search_opENS9_16wrapped_functionINS0_4lessIvEEbEEEE10hipError_tPvRmT1_T2_T3_mmT4_T5_P12ihipStream_tbEUlRKiE_EESK_SO_SP_mSQ_ST_bEUlT_E_NS1_11comp_targetILNS1_3genE3ELNS1_11target_archE908ELNS1_3gpuE7ELNS1_3repE0EEENS1_30default_config_static_selectorELNS0_4arch9wavefront6targetE0EEEvSN_
                                        ; -- End function
	.set _ZN7rocprim17ROCPRIM_400000_NS6detail17trampoline_kernelINS0_14default_configENS1_27lower_bound_config_selectorIiiEEZNS1_14transform_implILb0ES3_S5_N6thrust23THRUST_200600_302600_NS6detail15normal_iteratorINS8_10device_ptrIiEEEESD_ZNS1_13binary_searchIS3_S5_SD_SD_SD_NS1_21lower_bound_search_opENS9_16wrapped_functionINS0_4lessIvEEbEEEE10hipError_tPvRmT1_T2_T3_mmT4_T5_P12ihipStream_tbEUlRKiE_EESK_SO_SP_mSQ_ST_bEUlT_E_NS1_11comp_targetILNS1_3genE3ELNS1_11target_archE908ELNS1_3gpuE7ELNS1_3repE0EEENS1_30default_config_static_selectorELNS0_4arch9wavefront6targetE0EEEvSN_.num_vgpr, 0
	.set _ZN7rocprim17ROCPRIM_400000_NS6detail17trampoline_kernelINS0_14default_configENS1_27lower_bound_config_selectorIiiEEZNS1_14transform_implILb0ES3_S5_N6thrust23THRUST_200600_302600_NS6detail15normal_iteratorINS8_10device_ptrIiEEEESD_ZNS1_13binary_searchIS3_S5_SD_SD_SD_NS1_21lower_bound_search_opENS9_16wrapped_functionINS0_4lessIvEEbEEEE10hipError_tPvRmT1_T2_T3_mmT4_T5_P12ihipStream_tbEUlRKiE_EESK_SO_SP_mSQ_ST_bEUlT_E_NS1_11comp_targetILNS1_3genE3ELNS1_11target_archE908ELNS1_3gpuE7ELNS1_3repE0EEENS1_30default_config_static_selectorELNS0_4arch9wavefront6targetE0EEEvSN_.num_agpr, 0
	.set _ZN7rocprim17ROCPRIM_400000_NS6detail17trampoline_kernelINS0_14default_configENS1_27lower_bound_config_selectorIiiEEZNS1_14transform_implILb0ES3_S5_N6thrust23THRUST_200600_302600_NS6detail15normal_iteratorINS8_10device_ptrIiEEEESD_ZNS1_13binary_searchIS3_S5_SD_SD_SD_NS1_21lower_bound_search_opENS9_16wrapped_functionINS0_4lessIvEEbEEEE10hipError_tPvRmT1_T2_T3_mmT4_T5_P12ihipStream_tbEUlRKiE_EESK_SO_SP_mSQ_ST_bEUlT_E_NS1_11comp_targetILNS1_3genE3ELNS1_11target_archE908ELNS1_3gpuE7ELNS1_3repE0EEENS1_30default_config_static_selectorELNS0_4arch9wavefront6targetE0EEEvSN_.numbered_sgpr, 0
	.set _ZN7rocprim17ROCPRIM_400000_NS6detail17trampoline_kernelINS0_14default_configENS1_27lower_bound_config_selectorIiiEEZNS1_14transform_implILb0ES3_S5_N6thrust23THRUST_200600_302600_NS6detail15normal_iteratorINS8_10device_ptrIiEEEESD_ZNS1_13binary_searchIS3_S5_SD_SD_SD_NS1_21lower_bound_search_opENS9_16wrapped_functionINS0_4lessIvEEbEEEE10hipError_tPvRmT1_T2_T3_mmT4_T5_P12ihipStream_tbEUlRKiE_EESK_SO_SP_mSQ_ST_bEUlT_E_NS1_11comp_targetILNS1_3genE3ELNS1_11target_archE908ELNS1_3gpuE7ELNS1_3repE0EEENS1_30default_config_static_selectorELNS0_4arch9wavefront6targetE0EEEvSN_.num_named_barrier, 0
	.set _ZN7rocprim17ROCPRIM_400000_NS6detail17trampoline_kernelINS0_14default_configENS1_27lower_bound_config_selectorIiiEEZNS1_14transform_implILb0ES3_S5_N6thrust23THRUST_200600_302600_NS6detail15normal_iteratorINS8_10device_ptrIiEEEESD_ZNS1_13binary_searchIS3_S5_SD_SD_SD_NS1_21lower_bound_search_opENS9_16wrapped_functionINS0_4lessIvEEbEEEE10hipError_tPvRmT1_T2_T3_mmT4_T5_P12ihipStream_tbEUlRKiE_EESK_SO_SP_mSQ_ST_bEUlT_E_NS1_11comp_targetILNS1_3genE3ELNS1_11target_archE908ELNS1_3gpuE7ELNS1_3repE0EEENS1_30default_config_static_selectorELNS0_4arch9wavefront6targetE0EEEvSN_.private_seg_size, 0
	.set _ZN7rocprim17ROCPRIM_400000_NS6detail17trampoline_kernelINS0_14default_configENS1_27lower_bound_config_selectorIiiEEZNS1_14transform_implILb0ES3_S5_N6thrust23THRUST_200600_302600_NS6detail15normal_iteratorINS8_10device_ptrIiEEEESD_ZNS1_13binary_searchIS3_S5_SD_SD_SD_NS1_21lower_bound_search_opENS9_16wrapped_functionINS0_4lessIvEEbEEEE10hipError_tPvRmT1_T2_T3_mmT4_T5_P12ihipStream_tbEUlRKiE_EESK_SO_SP_mSQ_ST_bEUlT_E_NS1_11comp_targetILNS1_3genE3ELNS1_11target_archE908ELNS1_3gpuE7ELNS1_3repE0EEENS1_30default_config_static_selectorELNS0_4arch9wavefront6targetE0EEEvSN_.uses_vcc, 0
	.set _ZN7rocprim17ROCPRIM_400000_NS6detail17trampoline_kernelINS0_14default_configENS1_27lower_bound_config_selectorIiiEEZNS1_14transform_implILb0ES3_S5_N6thrust23THRUST_200600_302600_NS6detail15normal_iteratorINS8_10device_ptrIiEEEESD_ZNS1_13binary_searchIS3_S5_SD_SD_SD_NS1_21lower_bound_search_opENS9_16wrapped_functionINS0_4lessIvEEbEEEE10hipError_tPvRmT1_T2_T3_mmT4_T5_P12ihipStream_tbEUlRKiE_EESK_SO_SP_mSQ_ST_bEUlT_E_NS1_11comp_targetILNS1_3genE3ELNS1_11target_archE908ELNS1_3gpuE7ELNS1_3repE0EEENS1_30default_config_static_selectorELNS0_4arch9wavefront6targetE0EEEvSN_.uses_flat_scratch, 0
	.set _ZN7rocprim17ROCPRIM_400000_NS6detail17trampoline_kernelINS0_14default_configENS1_27lower_bound_config_selectorIiiEEZNS1_14transform_implILb0ES3_S5_N6thrust23THRUST_200600_302600_NS6detail15normal_iteratorINS8_10device_ptrIiEEEESD_ZNS1_13binary_searchIS3_S5_SD_SD_SD_NS1_21lower_bound_search_opENS9_16wrapped_functionINS0_4lessIvEEbEEEE10hipError_tPvRmT1_T2_T3_mmT4_T5_P12ihipStream_tbEUlRKiE_EESK_SO_SP_mSQ_ST_bEUlT_E_NS1_11comp_targetILNS1_3genE3ELNS1_11target_archE908ELNS1_3gpuE7ELNS1_3repE0EEENS1_30default_config_static_selectorELNS0_4arch9wavefront6targetE0EEEvSN_.has_dyn_sized_stack, 0
	.set _ZN7rocprim17ROCPRIM_400000_NS6detail17trampoline_kernelINS0_14default_configENS1_27lower_bound_config_selectorIiiEEZNS1_14transform_implILb0ES3_S5_N6thrust23THRUST_200600_302600_NS6detail15normal_iteratorINS8_10device_ptrIiEEEESD_ZNS1_13binary_searchIS3_S5_SD_SD_SD_NS1_21lower_bound_search_opENS9_16wrapped_functionINS0_4lessIvEEbEEEE10hipError_tPvRmT1_T2_T3_mmT4_T5_P12ihipStream_tbEUlRKiE_EESK_SO_SP_mSQ_ST_bEUlT_E_NS1_11comp_targetILNS1_3genE3ELNS1_11target_archE908ELNS1_3gpuE7ELNS1_3repE0EEENS1_30default_config_static_selectorELNS0_4arch9wavefront6targetE0EEEvSN_.has_recursion, 0
	.set _ZN7rocprim17ROCPRIM_400000_NS6detail17trampoline_kernelINS0_14default_configENS1_27lower_bound_config_selectorIiiEEZNS1_14transform_implILb0ES3_S5_N6thrust23THRUST_200600_302600_NS6detail15normal_iteratorINS8_10device_ptrIiEEEESD_ZNS1_13binary_searchIS3_S5_SD_SD_SD_NS1_21lower_bound_search_opENS9_16wrapped_functionINS0_4lessIvEEbEEEE10hipError_tPvRmT1_T2_T3_mmT4_T5_P12ihipStream_tbEUlRKiE_EESK_SO_SP_mSQ_ST_bEUlT_E_NS1_11comp_targetILNS1_3genE3ELNS1_11target_archE908ELNS1_3gpuE7ELNS1_3repE0EEENS1_30default_config_static_selectorELNS0_4arch9wavefront6targetE0EEEvSN_.has_indirect_call, 0
	.section	.AMDGPU.csdata,"",@progbits
; Kernel info:
; codeLenInByte = 0
; TotalNumSgprs: 0
; NumVgprs: 0
; ScratchSize: 0
; MemoryBound: 0
; FloatMode: 240
; IeeeMode: 1
; LDSByteSize: 0 bytes/workgroup (compile time only)
; SGPRBlocks: 0
; VGPRBlocks: 0
; NumSGPRsForWavesPerEU: 1
; NumVGPRsForWavesPerEU: 1
; Occupancy: 16
; WaveLimiterHint : 0
; COMPUTE_PGM_RSRC2:SCRATCH_EN: 0
; COMPUTE_PGM_RSRC2:USER_SGPR: 6
; COMPUTE_PGM_RSRC2:TRAP_HANDLER: 0
; COMPUTE_PGM_RSRC2:TGID_X_EN: 1
; COMPUTE_PGM_RSRC2:TGID_Y_EN: 0
; COMPUTE_PGM_RSRC2:TGID_Z_EN: 0
; COMPUTE_PGM_RSRC2:TIDIG_COMP_CNT: 0
	.section	.text._ZN7rocprim17ROCPRIM_400000_NS6detail17trampoline_kernelINS0_14default_configENS1_27lower_bound_config_selectorIiiEEZNS1_14transform_implILb0ES3_S5_N6thrust23THRUST_200600_302600_NS6detail15normal_iteratorINS8_10device_ptrIiEEEESD_ZNS1_13binary_searchIS3_S5_SD_SD_SD_NS1_21lower_bound_search_opENS9_16wrapped_functionINS0_4lessIvEEbEEEE10hipError_tPvRmT1_T2_T3_mmT4_T5_P12ihipStream_tbEUlRKiE_EESK_SO_SP_mSQ_ST_bEUlT_E_NS1_11comp_targetILNS1_3genE2ELNS1_11target_archE906ELNS1_3gpuE6ELNS1_3repE0EEENS1_30default_config_static_selectorELNS0_4arch9wavefront6targetE0EEEvSN_,"axG",@progbits,_ZN7rocprim17ROCPRIM_400000_NS6detail17trampoline_kernelINS0_14default_configENS1_27lower_bound_config_selectorIiiEEZNS1_14transform_implILb0ES3_S5_N6thrust23THRUST_200600_302600_NS6detail15normal_iteratorINS8_10device_ptrIiEEEESD_ZNS1_13binary_searchIS3_S5_SD_SD_SD_NS1_21lower_bound_search_opENS9_16wrapped_functionINS0_4lessIvEEbEEEE10hipError_tPvRmT1_T2_T3_mmT4_T5_P12ihipStream_tbEUlRKiE_EESK_SO_SP_mSQ_ST_bEUlT_E_NS1_11comp_targetILNS1_3genE2ELNS1_11target_archE906ELNS1_3gpuE6ELNS1_3repE0EEENS1_30default_config_static_selectorELNS0_4arch9wavefront6targetE0EEEvSN_,comdat
	.protected	_ZN7rocprim17ROCPRIM_400000_NS6detail17trampoline_kernelINS0_14default_configENS1_27lower_bound_config_selectorIiiEEZNS1_14transform_implILb0ES3_S5_N6thrust23THRUST_200600_302600_NS6detail15normal_iteratorINS8_10device_ptrIiEEEESD_ZNS1_13binary_searchIS3_S5_SD_SD_SD_NS1_21lower_bound_search_opENS9_16wrapped_functionINS0_4lessIvEEbEEEE10hipError_tPvRmT1_T2_T3_mmT4_T5_P12ihipStream_tbEUlRKiE_EESK_SO_SP_mSQ_ST_bEUlT_E_NS1_11comp_targetILNS1_3genE2ELNS1_11target_archE906ELNS1_3gpuE6ELNS1_3repE0EEENS1_30default_config_static_selectorELNS0_4arch9wavefront6targetE0EEEvSN_ ; -- Begin function _ZN7rocprim17ROCPRIM_400000_NS6detail17trampoline_kernelINS0_14default_configENS1_27lower_bound_config_selectorIiiEEZNS1_14transform_implILb0ES3_S5_N6thrust23THRUST_200600_302600_NS6detail15normal_iteratorINS8_10device_ptrIiEEEESD_ZNS1_13binary_searchIS3_S5_SD_SD_SD_NS1_21lower_bound_search_opENS9_16wrapped_functionINS0_4lessIvEEbEEEE10hipError_tPvRmT1_T2_T3_mmT4_T5_P12ihipStream_tbEUlRKiE_EESK_SO_SP_mSQ_ST_bEUlT_E_NS1_11comp_targetILNS1_3genE2ELNS1_11target_archE906ELNS1_3gpuE6ELNS1_3repE0EEENS1_30default_config_static_selectorELNS0_4arch9wavefront6targetE0EEEvSN_
	.globl	_ZN7rocprim17ROCPRIM_400000_NS6detail17trampoline_kernelINS0_14default_configENS1_27lower_bound_config_selectorIiiEEZNS1_14transform_implILb0ES3_S5_N6thrust23THRUST_200600_302600_NS6detail15normal_iteratorINS8_10device_ptrIiEEEESD_ZNS1_13binary_searchIS3_S5_SD_SD_SD_NS1_21lower_bound_search_opENS9_16wrapped_functionINS0_4lessIvEEbEEEE10hipError_tPvRmT1_T2_T3_mmT4_T5_P12ihipStream_tbEUlRKiE_EESK_SO_SP_mSQ_ST_bEUlT_E_NS1_11comp_targetILNS1_3genE2ELNS1_11target_archE906ELNS1_3gpuE6ELNS1_3repE0EEENS1_30default_config_static_selectorELNS0_4arch9wavefront6targetE0EEEvSN_
	.p2align	8
	.type	_ZN7rocprim17ROCPRIM_400000_NS6detail17trampoline_kernelINS0_14default_configENS1_27lower_bound_config_selectorIiiEEZNS1_14transform_implILb0ES3_S5_N6thrust23THRUST_200600_302600_NS6detail15normal_iteratorINS8_10device_ptrIiEEEESD_ZNS1_13binary_searchIS3_S5_SD_SD_SD_NS1_21lower_bound_search_opENS9_16wrapped_functionINS0_4lessIvEEbEEEE10hipError_tPvRmT1_T2_T3_mmT4_T5_P12ihipStream_tbEUlRKiE_EESK_SO_SP_mSQ_ST_bEUlT_E_NS1_11comp_targetILNS1_3genE2ELNS1_11target_archE906ELNS1_3gpuE6ELNS1_3repE0EEENS1_30default_config_static_selectorELNS0_4arch9wavefront6targetE0EEEvSN_,@function
_ZN7rocprim17ROCPRIM_400000_NS6detail17trampoline_kernelINS0_14default_configENS1_27lower_bound_config_selectorIiiEEZNS1_14transform_implILb0ES3_S5_N6thrust23THRUST_200600_302600_NS6detail15normal_iteratorINS8_10device_ptrIiEEEESD_ZNS1_13binary_searchIS3_S5_SD_SD_SD_NS1_21lower_bound_search_opENS9_16wrapped_functionINS0_4lessIvEEbEEEE10hipError_tPvRmT1_T2_T3_mmT4_T5_P12ihipStream_tbEUlRKiE_EESK_SO_SP_mSQ_ST_bEUlT_E_NS1_11comp_targetILNS1_3genE2ELNS1_11target_archE906ELNS1_3gpuE6ELNS1_3repE0EEENS1_30default_config_static_selectorELNS0_4arch9wavefront6targetE0EEEvSN_: ; @_ZN7rocprim17ROCPRIM_400000_NS6detail17trampoline_kernelINS0_14default_configENS1_27lower_bound_config_selectorIiiEEZNS1_14transform_implILb0ES3_S5_N6thrust23THRUST_200600_302600_NS6detail15normal_iteratorINS8_10device_ptrIiEEEESD_ZNS1_13binary_searchIS3_S5_SD_SD_SD_NS1_21lower_bound_search_opENS9_16wrapped_functionINS0_4lessIvEEbEEEE10hipError_tPvRmT1_T2_T3_mmT4_T5_P12ihipStream_tbEUlRKiE_EESK_SO_SP_mSQ_ST_bEUlT_E_NS1_11comp_targetILNS1_3genE2ELNS1_11target_archE906ELNS1_3gpuE6ELNS1_3repE0EEENS1_30default_config_static_selectorELNS0_4arch9wavefront6targetE0EEEvSN_
; %bb.0:
	.section	.rodata,"a",@progbits
	.p2align	6, 0x0
	.amdhsa_kernel _ZN7rocprim17ROCPRIM_400000_NS6detail17trampoline_kernelINS0_14default_configENS1_27lower_bound_config_selectorIiiEEZNS1_14transform_implILb0ES3_S5_N6thrust23THRUST_200600_302600_NS6detail15normal_iteratorINS8_10device_ptrIiEEEESD_ZNS1_13binary_searchIS3_S5_SD_SD_SD_NS1_21lower_bound_search_opENS9_16wrapped_functionINS0_4lessIvEEbEEEE10hipError_tPvRmT1_T2_T3_mmT4_T5_P12ihipStream_tbEUlRKiE_EESK_SO_SP_mSQ_ST_bEUlT_E_NS1_11comp_targetILNS1_3genE2ELNS1_11target_archE906ELNS1_3gpuE6ELNS1_3repE0EEENS1_30default_config_static_selectorELNS0_4arch9wavefront6targetE0EEEvSN_
		.amdhsa_group_segment_fixed_size 0
		.amdhsa_private_segment_fixed_size 0
		.amdhsa_kernarg_size 56
		.amdhsa_user_sgpr_count 6
		.amdhsa_user_sgpr_private_segment_buffer 1
		.amdhsa_user_sgpr_dispatch_ptr 0
		.amdhsa_user_sgpr_queue_ptr 0
		.amdhsa_user_sgpr_kernarg_segment_ptr 1
		.amdhsa_user_sgpr_dispatch_id 0
		.amdhsa_user_sgpr_flat_scratch_init 0
		.amdhsa_user_sgpr_private_segment_size 0
		.amdhsa_wavefront_size32 1
		.amdhsa_uses_dynamic_stack 0
		.amdhsa_system_sgpr_private_segment_wavefront_offset 0
		.amdhsa_system_sgpr_workgroup_id_x 1
		.amdhsa_system_sgpr_workgroup_id_y 0
		.amdhsa_system_sgpr_workgroup_id_z 0
		.amdhsa_system_sgpr_workgroup_info 0
		.amdhsa_system_vgpr_workitem_id 0
		.amdhsa_next_free_vgpr 1
		.amdhsa_next_free_sgpr 1
		.amdhsa_reserve_vcc 0
		.amdhsa_reserve_flat_scratch 0
		.amdhsa_float_round_mode_32 0
		.amdhsa_float_round_mode_16_64 0
		.amdhsa_float_denorm_mode_32 3
		.amdhsa_float_denorm_mode_16_64 3
		.amdhsa_dx10_clamp 1
		.amdhsa_ieee_mode 1
		.amdhsa_fp16_overflow 0
		.amdhsa_workgroup_processor_mode 1
		.amdhsa_memory_ordered 1
		.amdhsa_forward_progress 1
		.amdhsa_shared_vgpr_count 0
		.amdhsa_exception_fp_ieee_invalid_op 0
		.amdhsa_exception_fp_denorm_src 0
		.amdhsa_exception_fp_ieee_div_zero 0
		.amdhsa_exception_fp_ieee_overflow 0
		.amdhsa_exception_fp_ieee_underflow 0
		.amdhsa_exception_fp_ieee_inexact 0
		.amdhsa_exception_int_div_zero 0
	.end_amdhsa_kernel
	.section	.text._ZN7rocprim17ROCPRIM_400000_NS6detail17trampoline_kernelINS0_14default_configENS1_27lower_bound_config_selectorIiiEEZNS1_14transform_implILb0ES3_S5_N6thrust23THRUST_200600_302600_NS6detail15normal_iteratorINS8_10device_ptrIiEEEESD_ZNS1_13binary_searchIS3_S5_SD_SD_SD_NS1_21lower_bound_search_opENS9_16wrapped_functionINS0_4lessIvEEbEEEE10hipError_tPvRmT1_T2_T3_mmT4_T5_P12ihipStream_tbEUlRKiE_EESK_SO_SP_mSQ_ST_bEUlT_E_NS1_11comp_targetILNS1_3genE2ELNS1_11target_archE906ELNS1_3gpuE6ELNS1_3repE0EEENS1_30default_config_static_selectorELNS0_4arch9wavefront6targetE0EEEvSN_,"axG",@progbits,_ZN7rocprim17ROCPRIM_400000_NS6detail17trampoline_kernelINS0_14default_configENS1_27lower_bound_config_selectorIiiEEZNS1_14transform_implILb0ES3_S5_N6thrust23THRUST_200600_302600_NS6detail15normal_iteratorINS8_10device_ptrIiEEEESD_ZNS1_13binary_searchIS3_S5_SD_SD_SD_NS1_21lower_bound_search_opENS9_16wrapped_functionINS0_4lessIvEEbEEEE10hipError_tPvRmT1_T2_T3_mmT4_T5_P12ihipStream_tbEUlRKiE_EESK_SO_SP_mSQ_ST_bEUlT_E_NS1_11comp_targetILNS1_3genE2ELNS1_11target_archE906ELNS1_3gpuE6ELNS1_3repE0EEENS1_30default_config_static_selectorELNS0_4arch9wavefront6targetE0EEEvSN_,comdat
.Lfunc_end445:
	.size	_ZN7rocprim17ROCPRIM_400000_NS6detail17trampoline_kernelINS0_14default_configENS1_27lower_bound_config_selectorIiiEEZNS1_14transform_implILb0ES3_S5_N6thrust23THRUST_200600_302600_NS6detail15normal_iteratorINS8_10device_ptrIiEEEESD_ZNS1_13binary_searchIS3_S5_SD_SD_SD_NS1_21lower_bound_search_opENS9_16wrapped_functionINS0_4lessIvEEbEEEE10hipError_tPvRmT1_T2_T3_mmT4_T5_P12ihipStream_tbEUlRKiE_EESK_SO_SP_mSQ_ST_bEUlT_E_NS1_11comp_targetILNS1_3genE2ELNS1_11target_archE906ELNS1_3gpuE6ELNS1_3repE0EEENS1_30default_config_static_selectorELNS0_4arch9wavefront6targetE0EEEvSN_, .Lfunc_end445-_ZN7rocprim17ROCPRIM_400000_NS6detail17trampoline_kernelINS0_14default_configENS1_27lower_bound_config_selectorIiiEEZNS1_14transform_implILb0ES3_S5_N6thrust23THRUST_200600_302600_NS6detail15normal_iteratorINS8_10device_ptrIiEEEESD_ZNS1_13binary_searchIS3_S5_SD_SD_SD_NS1_21lower_bound_search_opENS9_16wrapped_functionINS0_4lessIvEEbEEEE10hipError_tPvRmT1_T2_T3_mmT4_T5_P12ihipStream_tbEUlRKiE_EESK_SO_SP_mSQ_ST_bEUlT_E_NS1_11comp_targetILNS1_3genE2ELNS1_11target_archE906ELNS1_3gpuE6ELNS1_3repE0EEENS1_30default_config_static_selectorELNS0_4arch9wavefront6targetE0EEEvSN_
                                        ; -- End function
	.set _ZN7rocprim17ROCPRIM_400000_NS6detail17trampoline_kernelINS0_14default_configENS1_27lower_bound_config_selectorIiiEEZNS1_14transform_implILb0ES3_S5_N6thrust23THRUST_200600_302600_NS6detail15normal_iteratorINS8_10device_ptrIiEEEESD_ZNS1_13binary_searchIS3_S5_SD_SD_SD_NS1_21lower_bound_search_opENS9_16wrapped_functionINS0_4lessIvEEbEEEE10hipError_tPvRmT1_T2_T3_mmT4_T5_P12ihipStream_tbEUlRKiE_EESK_SO_SP_mSQ_ST_bEUlT_E_NS1_11comp_targetILNS1_3genE2ELNS1_11target_archE906ELNS1_3gpuE6ELNS1_3repE0EEENS1_30default_config_static_selectorELNS0_4arch9wavefront6targetE0EEEvSN_.num_vgpr, 0
	.set _ZN7rocprim17ROCPRIM_400000_NS6detail17trampoline_kernelINS0_14default_configENS1_27lower_bound_config_selectorIiiEEZNS1_14transform_implILb0ES3_S5_N6thrust23THRUST_200600_302600_NS6detail15normal_iteratorINS8_10device_ptrIiEEEESD_ZNS1_13binary_searchIS3_S5_SD_SD_SD_NS1_21lower_bound_search_opENS9_16wrapped_functionINS0_4lessIvEEbEEEE10hipError_tPvRmT1_T2_T3_mmT4_T5_P12ihipStream_tbEUlRKiE_EESK_SO_SP_mSQ_ST_bEUlT_E_NS1_11comp_targetILNS1_3genE2ELNS1_11target_archE906ELNS1_3gpuE6ELNS1_3repE0EEENS1_30default_config_static_selectorELNS0_4arch9wavefront6targetE0EEEvSN_.num_agpr, 0
	.set _ZN7rocprim17ROCPRIM_400000_NS6detail17trampoline_kernelINS0_14default_configENS1_27lower_bound_config_selectorIiiEEZNS1_14transform_implILb0ES3_S5_N6thrust23THRUST_200600_302600_NS6detail15normal_iteratorINS8_10device_ptrIiEEEESD_ZNS1_13binary_searchIS3_S5_SD_SD_SD_NS1_21lower_bound_search_opENS9_16wrapped_functionINS0_4lessIvEEbEEEE10hipError_tPvRmT1_T2_T3_mmT4_T5_P12ihipStream_tbEUlRKiE_EESK_SO_SP_mSQ_ST_bEUlT_E_NS1_11comp_targetILNS1_3genE2ELNS1_11target_archE906ELNS1_3gpuE6ELNS1_3repE0EEENS1_30default_config_static_selectorELNS0_4arch9wavefront6targetE0EEEvSN_.numbered_sgpr, 0
	.set _ZN7rocprim17ROCPRIM_400000_NS6detail17trampoline_kernelINS0_14default_configENS1_27lower_bound_config_selectorIiiEEZNS1_14transform_implILb0ES3_S5_N6thrust23THRUST_200600_302600_NS6detail15normal_iteratorINS8_10device_ptrIiEEEESD_ZNS1_13binary_searchIS3_S5_SD_SD_SD_NS1_21lower_bound_search_opENS9_16wrapped_functionINS0_4lessIvEEbEEEE10hipError_tPvRmT1_T2_T3_mmT4_T5_P12ihipStream_tbEUlRKiE_EESK_SO_SP_mSQ_ST_bEUlT_E_NS1_11comp_targetILNS1_3genE2ELNS1_11target_archE906ELNS1_3gpuE6ELNS1_3repE0EEENS1_30default_config_static_selectorELNS0_4arch9wavefront6targetE0EEEvSN_.num_named_barrier, 0
	.set _ZN7rocprim17ROCPRIM_400000_NS6detail17trampoline_kernelINS0_14default_configENS1_27lower_bound_config_selectorIiiEEZNS1_14transform_implILb0ES3_S5_N6thrust23THRUST_200600_302600_NS6detail15normal_iteratorINS8_10device_ptrIiEEEESD_ZNS1_13binary_searchIS3_S5_SD_SD_SD_NS1_21lower_bound_search_opENS9_16wrapped_functionINS0_4lessIvEEbEEEE10hipError_tPvRmT1_T2_T3_mmT4_T5_P12ihipStream_tbEUlRKiE_EESK_SO_SP_mSQ_ST_bEUlT_E_NS1_11comp_targetILNS1_3genE2ELNS1_11target_archE906ELNS1_3gpuE6ELNS1_3repE0EEENS1_30default_config_static_selectorELNS0_4arch9wavefront6targetE0EEEvSN_.private_seg_size, 0
	.set _ZN7rocprim17ROCPRIM_400000_NS6detail17trampoline_kernelINS0_14default_configENS1_27lower_bound_config_selectorIiiEEZNS1_14transform_implILb0ES3_S5_N6thrust23THRUST_200600_302600_NS6detail15normal_iteratorINS8_10device_ptrIiEEEESD_ZNS1_13binary_searchIS3_S5_SD_SD_SD_NS1_21lower_bound_search_opENS9_16wrapped_functionINS0_4lessIvEEbEEEE10hipError_tPvRmT1_T2_T3_mmT4_T5_P12ihipStream_tbEUlRKiE_EESK_SO_SP_mSQ_ST_bEUlT_E_NS1_11comp_targetILNS1_3genE2ELNS1_11target_archE906ELNS1_3gpuE6ELNS1_3repE0EEENS1_30default_config_static_selectorELNS0_4arch9wavefront6targetE0EEEvSN_.uses_vcc, 0
	.set _ZN7rocprim17ROCPRIM_400000_NS6detail17trampoline_kernelINS0_14default_configENS1_27lower_bound_config_selectorIiiEEZNS1_14transform_implILb0ES3_S5_N6thrust23THRUST_200600_302600_NS6detail15normal_iteratorINS8_10device_ptrIiEEEESD_ZNS1_13binary_searchIS3_S5_SD_SD_SD_NS1_21lower_bound_search_opENS9_16wrapped_functionINS0_4lessIvEEbEEEE10hipError_tPvRmT1_T2_T3_mmT4_T5_P12ihipStream_tbEUlRKiE_EESK_SO_SP_mSQ_ST_bEUlT_E_NS1_11comp_targetILNS1_3genE2ELNS1_11target_archE906ELNS1_3gpuE6ELNS1_3repE0EEENS1_30default_config_static_selectorELNS0_4arch9wavefront6targetE0EEEvSN_.uses_flat_scratch, 0
	.set _ZN7rocprim17ROCPRIM_400000_NS6detail17trampoline_kernelINS0_14default_configENS1_27lower_bound_config_selectorIiiEEZNS1_14transform_implILb0ES3_S5_N6thrust23THRUST_200600_302600_NS6detail15normal_iteratorINS8_10device_ptrIiEEEESD_ZNS1_13binary_searchIS3_S5_SD_SD_SD_NS1_21lower_bound_search_opENS9_16wrapped_functionINS0_4lessIvEEbEEEE10hipError_tPvRmT1_T2_T3_mmT4_T5_P12ihipStream_tbEUlRKiE_EESK_SO_SP_mSQ_ST_bEUlT_E_NS1_11comp_targetILNS1_3genE2ELNS1_11target_archE906ELNS1_3gpuE6ELNS1_3repE0EEENS1_30default_config_static_selectorELNS0_4arch9wavefront6targetE0EEEvSN_.has_dyn_sized_stack, 0
	.set _ZN7rocprim17ROCPRIM_400000_NS6detail17trampoline_kernelINS0_14default_configENS1_27lower_bound_config_selectorIiiEEZNS1_14transform_implILb0ES3_S5_N6thrust23THRUST_200600_302600_NS6detail15normal_iteratorINS8_10device_ptrIiEEEESD_ZNS1_13binary_searchIS3_S5_SD_SD_SD_NS1_21lower_bound_search_opENS9_16wrapped_functionINS0_4lessIvEEbEEEE10hipError_tPvRmT1_T2_T3_mmT4_T5_P12ihipStream_tbEUlRKiE_EESK_SO_SP_mSQ_ST_bEUlT_E_NS1_11comp_targetILNS1_3genE2ELNS1_11target_archE906ELNS1_3gpuE6ELNS1_3repE0EEENS1_30default_config_static_selectorELNS0_4arch9wavefront6targetE0EEEvSN_.has_recursion, 0
	.set _ZN7rocprim17ROCPRIM_400000_NS6detail17trampoline_kernelINS0_14default_configENS1_27lower_bound_config_selectorIiiEEZNS1_14transform_implILb0ES3_S5_N6thrust23THRUST_200600_302600_NS6detail15normal_iteratorINS8_10device_ptrIiEEEESD_ZNS1_13binary_searchIS3_S5_SD_SD_SD_NS1_21lower_bound_search_opENS9_16wrapped_functionINS0_4lessIvEEbEEEE10hipError_tPvRmT1_T2_T3_mmT4_T5_P12ihipStream_tbEUlRKiE_EESK_SO_SP_mSQ_ST_bEUlT_E_NS1_11comp_targetILNS1_3genE2ELNS1_11target_archE906ELNS1_3gpuE6ELNS1_3repE0EEENS1_30default_config_static_selectorELNS0_4arch9wavefront6targetE0EEEvSN_.has_indirect_call, 0
	.section	.AMDGPU.csdata,"",@progbits
; Kernel info:
; codeLenInByte = 0
; TotalNumSgprs: 0
; NumVgprs: 0
; ScratchSize: 0
; MemoryBound: 0
; FloatMode: 240
; IeeeMode: 1
; LDSByteSize: 0 bytes/workgroup (compile time only)
; SGPRBlocks: 0
; VGPRBlocks: 0
; NumSGPRsForWavesPerEU: 1
; NumVGPRsForWavesPerEU: 1
; Occupancy: 16
; WaveLimiterHint : 0
; COMPUTE_PGM_RSRC2:SCRATCH_EN: 0
; COMPUTE_PGM_RSRC2:USER_SGPR: 6
; COMPUTE_PGM_RSRC2:TRAP_HANDLER: 0
; COMPUTE_PGM_RSRC2:TGID_X_EN: 1
; COMPUTE_PGM_RSRC2:TGID_Y_EN: 0
; COMPUTE_PGM_RSRC2:TGID_Z_EN: 0
; COMPUTE_PGM_RSRC2:TIDIG_COMP_CNT: 0
	.section	.text._ZN7rocprim17ROCPRIM_400000_NS6detail17trampoline_kernelINS0_14default_configENS1_27lower_bound_config_selectorIiiEEZNS1_14transform_implILb0ES3_S5_N6thrust23THRUST_200600_302600_NS6detail15normal_iteratorINS8_10device_ptrIiEEEESD_ZNS1_13binary_searchIS3_S5_SD_SD_SD_NS1_21lower_bound_search_opENS9_16wrapped_functionINS0_4lessIvEEbEEEE10hipError_tPvRmT1_T2_T3_mmT4_T5_P12ihipStream_tbEUlRKiE_EESK_SO_SP_mSQ_ST_bEUlT_E_NS1_11comp_targetILNS1_3genE10ELNS1_11target_archE1201ELNS1_3gpuE5ELNS1_3repE0EEENS1_30default_config_static_selectorELNS0_4arch9wavefront6targetE0EEEvSN_,"axG",@progbits,_ZN7rocprim17ROCPRIM_400000_NS6detail17trampoline_kernelINS0_14default_configENS1_27lower_bound_config_selectorIiiEEZNS1_14transform_implILb0ES3_S5_N6thrust23THRUST_200600_302600_NS6detail15normal_iteratorINS8_10device_ptrIiEEEESD_ZNS1_13binary_searchIS3_S5_SD_SD_SD_NS1_21lower_bound_search_opENS9_16wrapped_functionINS0_4lessIvEEbEEEE10hipError_tPvRmT1_T2_T3_mmT4_T5_P12ihipStream_tbEUlRKiE_EESK_SO_SP_mSQ_ST_bEUlT_E_NS1_11comp_targetILNS1_3genE10ELNS1_11target_archE1201ELNS1_3gpuE5ELNS1_3repE0EEENS1_30default_config_static_selectorELNS0_4arch9wavefront6targetE0EEEvSN_,comdat
	.protected	_ZN7rocprim17ROCPRIM_400000_NS6detail17trampoline_kernelINS0_14default_configENS1_27lower_bound_config_selectorIiiEEZNS1_14transform_implILb0ES3_S5_N6thrust23THRUST_200600_302600_NS6detail15normal_iteratorINS8_10device_ptrIiEEEESD_ZNS1_13binary_searchIS3_S5_SD_SD_SD_NS1_21lower_bound_search_opENS9_16wrapped_functionINS0_4lessIvEEbEEEE10hipError_tPvRmT1_T2_T3_mmT4_T5_P12ihipStream_tbEUlRKiE_EESK_SO_SP_mSQ_ST_bEUlT_E_NS1_11comp_targetILNS1_3genE10ELNS1_11target_archE1201ELNS1_3gpuE5ELNS1_3repE0EEENS1_30default_config_static_selectorELNS0_4arch9wavefront6targetE0EEEvSN_ ; -- Begin function _ZN7rocprim17ROCPRIM_400000_NS6detail17trampoline_kernelINS0_14default_configENS1_27lower_bound_config_selectorIiiEEZNS1_14transform_implILb0ES3_S5_N6thrust23THRUST_200600_302600_NS6detail15normal_iteratorINS8_10device_ptrIiEEEESD_ZNS1_13binary_searchIS3_S5_SD_SD_SD_NS1_21lower_bound_search_opENS9_16wrapped_functionINS0_4lessIvEEbEEEE10hipError_tPvRmT1_T2_T3_mmT4_T5_P12ihipStream_tbEUlRKiE_EESK_SO_SP_mSQ_ST_bEUlT_E_NS1_11comp_targetILNS1_3genE10ELNS1_11target_archE1201ELNS1_3gpuE5ELNS1_3repE0EEENS1_30default_config_static_selectorELNS0_4arch9wavefront6targetE0EEEvSN_
	.globl	_ZN7rocprim17ROCPRIM_400000_NS6detail17trampoline_kernelINS0_14default_configENS1_27lower_bound_config_selectorIiiEEZNS1_14transform_implILb0ES3_S5_N6thrust23THRUST_200600_302600_NS6detail15normal_iteratorINS8_10device_ptrIiEEEESD_ZNS1_13binary_searchIS3_S5_SD_SD_SD_NS1_21lower_bound_search_opENS9_16wrapped_functionINS0_4lessIvEEbEEEE10hipError_tPvRmT1_T2_T3_mmT4_T5_P12ihipStream_tbEUlRKiE_EESK_SO_SP_mSQ_ST_bEUlT_E_NS1_11comp_targetILNS1_3genE10ELNS1_11target_archE1201ELNS1_3gpuE5ELNS1_3repE0EEENS1_30default_config_static_selectorELNS0_4arch9wavefront6targetE0EEEvSN_
	.p2align	8
	.type	_ZN7rocprim17ROCPRIM_400000_NS6detail17trampoline_kernelINS0_14default_configENS1_27lower_bound_config_selectorIiiEEZNS1_14transform_implILb0ES3_S5_N6thrust23THRUST_200600_302600_NS6detail15normal_iteratorINS8_10device_ptrIiEEEESD_ZNS1_13binary_searchIS3_S5_SD_SD_SD_NS1_21lower_bound_search_opENS9_16wrapped_functionINS0_4lessIvEEbEEEE10hipError_tPvRmT1_T2_T3_mmT4_T5_P12ihipStream_tbEUlRKiE_EESK_SO_SP_mSQ_ST_bEUlT_E_NS1_11comp_targetILNS1_3genE10ELNS1_11target_archE1201ELNS1_3gpuE5ELNS1_3repE0EEENS1_30default_config_static_selectorELNS0_4arch9wavefront6targetE0EEEvSN_,@function
_ZN7rocprim17ROCPRIM_400000_NS6detail17trampoline_kernelINS0_14default_configENS1_27lower_bound_config_selectorIiiEEZNS1_14transform_implILb0ES3_S5_N6thrust23THRUST_200600_302600_NS6detail15normal_iteratorINS8_10device_ptrIiEEEESD_ZNS1_13binary_searchIS3_S5_SD_SD_SD_NS1_21lower_bound_search_opENS9_16wrapped_functionINS0_4lessIvEEbEEEE10hipError_tPvRmT1_T2_T3_mmT4_T5_P12ihipStream_tbEUlRKiE_EESK_SO_SP_mSQ_ST_bEUlT_E_NS1_11comp_targetILNS1_3genE10ELNS1_11target_archE1201ELNS1_3gpuE5ELNS1_3repE0EEENS1_30default_config_static_selectorELNS0_4arch9wavefront6targetE0EEEvSN_: ; @_ZN7rocprim17ROCPRIM_400000_NS6detail17trampoline_kernelINS0_14default_configENS1_27lower_bound_config_selectorIiiEEZNS1_14transform_implILb0ES3_S5_N6thrust23THRUST_200600_302600_NS6detail15normal_iteratorINS8_10device_ptrIiEEEESD_ZNS1_13binary_searchIS3_S5_SD_SD_SD_NS1_21lower_bound_search_opENS9_16wrapped_functionINS0_4lessIvEEbEEEE10hipError_tPvRmT1_T2_T3_mmT4_T5_P12ihipStream_tbEUlRKiE_EESK_SO_SP_mSQ_ST_bEUlT_E_NS1_11comp_targetILNS1_3genE10ELNS1_11target_archE1201ELNS1_3gpuE5ELNS1_3repE0EEENS1_30default_config_static_selectorELNS0_4arch9wavefront6targetE0EEEvSN_
; %bb.0:
	.section	.rodata,"a",@progbits
	.p2align	6, 0x0
	.amdhsa_kernel _ZN7rocprim17ROCPRIM_400000_NS6detail17trampoline_kernelINS0_14default_configENS1_27lower_bound_config_selectorIiiEEZNS1_14transform_implILb0ES3_S5_N6thrust23THRUST_200600_302600_NS6detail15normal_iteratorINS8_10device_ptrIiEEEESD_ZNS1_13binary_searchIS3_S5_SD_SD_SD_NS1_21lower_bound_search_opENS9_16wrapped_functionINS0_4lessIvEEbEEEE10hipError_tPvRmT1_T2_T3_mmT4_T5_P12ihipStream_tbEUlRKiE_EESK_SO_SP_mSQ_ST_bEUlT_E_NS1_11comp_targetILNS1_3genE10ELNS1_11target_archE1201ELNS1_3gpuE5ELNS1_3repE0EEENS1_30default_config_static_selectorELNS0_4arch9wavefront6targetE0EEEvSN_
		.amdhsa_group_segment_fixed_size 0
		.amdhsa_private_segment_fixed_size 0
		.amdhsa_kernarg_size 56
		.amdhsa_user_sgpr_count 6
		.amdhsa_user_sgpr_private_segment_buffer 1
		.amdhsa_user_sgpr_dispatch_ptr 0
		.amdhsa_user_sgpr_queue_ptr 0
		.amdhsa_user_sgpr_kernarg_segment_ptr 1
		.amdhsa_user_sgpr_dispatch_id 0
		.amdhsa_user_sgpr_flat_scratch_init 0
		.amdhsa_user_sgpr_private_segment_size 0
		.amdhsa_wavefront_size32 1
		.amdhsa_uses_dynamic_stack 0
		.amdhsa_system_sgpr_private_segment_wavefront_offset 0
		.amdhsa_system_sgpr_workgroup_id_x 1
		.amdhsa_system_sgpr_workgroup_id_y 0
		.amdhsa_system_sgpr_workgroup_id_z 0
		.amdhsa_system_sgpr_workgroup_info 0
		.amdhsa_system_vgpr_workitem_id 0
		.amdhsa_next_free_vgpr 1
		.amdhsa_next_free_sgpr 1
		.amdhsa_reserve_vcc 0
		.amdhsa_reserve_flat_scratch 0
		.amdhsa_float_round_mode_32 0
		.amdhsa_float_round_mode_16_64 0
		.amdhsa_float_denorm_mode_32 3
		.amdhsa_float_denorm_mode_16_64 3
		.amdhsa_dx10_clamp 1
		.amdhsa_ieee_mode 1
		.amdhsa_fp16_overflow 0
		.amdhsa_workgroup_processor_mode 1
		.amdhsa_memory_ordered 1
		.amdhsa_forward_progress 1
		.amdhsa_shared_vgpr_count 0
		.amdhsa_exception_fp_ieee_invalid_op 0
		.amdhsa_exception_fp_denorm_src 0
		.amdhsa_exception_fp_ieee_div_zero 0
		.amdhsa_exception_fp_ieee_overflow 0
		.amdhsa_exception_fp_ieee_underflow 0
		.amdhsa_exception_fp_ieee_inexact 0
		.amdhsa_exception_int_div_zero 0
	.end_amdhsa_kernel
	.section	.text._ZN7rocprim17ROCPRIM_400000_NS6detail17trampoline_kernelINS0_14default_configENS1_27lower_bound_config_selectorIiiEEZNS1_14transform_implILb0ES3_S5_N6thrust23THRUST_200600_302600_NS6detail15normal_iteratorINS8_10device_ptrIiEEEESD_ZNS1_13binary_searchIS3_S5_SD_SD_SD_NS1_21lower_bound_search_opENS9_16wrapped_functionINS0_4lessIvEEbEEEE10hipError_tPvRmT1_T2_T3_mmT4_T5_P12ihipStream_tbEUlRKiE_EESK_SO_SP_mSQ_ST_bEUlT_E_NS1_11comp_targetILNS1_3genE10ELNS1_11target_archE1201ELNS1_3gpuE5ELNS1_3repE0EEENS1_30default_config_static_selectorELNS0_4arch9wavefront6targetE0EEEvSN_,"axG",@progbits,_ZN7rocprim17ROCPRIM_400000_NS6detail17trampoline_kernelINS0_14default_configENS1_27lower_bound_config_selectorIiiEEZNS1_14transform_implILb0ES3_S5_N6thrust23THRUST_200600_302600_NS6detail15normal_iteratorINS8_10device_ptrIiEEEESD_ZNS1_13binary_searchIS3_S5_SD_SD_SD_NS1_21lower_bound_search_opENS9_16wrapped_functionINS0_4lessIvEEbEEEE10hipError_tPvRmT1_T2_T3_mmT4_T5_P12ihipStream_tbEUlRKiE_EESK_SO_SP_mSQ_ST_bEUlT_E_NS1_11comp_targetILNS1_3genE10ELNS1_11target_archE1201ELNS1_3gpuE5ELNS1_3repE0EEENS1_30default_config_static_selectorELNS0_4arch9wavefront6targetE0EEEvSN_,comdat
.Lfunc_end446:
	.size	_ZN7rocprim17ROCPRIM_400000_NS6detail17trampoline_kernelINS0_14default_configENS1_27lower_bound_config_selectorIiiEEZNS1_14transform_implILb0ES3_S5_N6thrust23THRUST_200600_302600_NS6detail15normal_iteratorINS8_10device_ptrIiEEEESD_ZNS1_13binary_searchIS3_S5_SD_SD_SD_NS1_21lower_bound_search_opENS9_16wrapped_functionINS0_4lessIvEEbEEEE10hipError_tPvRmT1_T2_T3_mmT4_T5_P12ihipStream_tbEUlRKiE_EESK_SO_SP_mSQ_ST_bEUlT_E_NS1_11comp_targetILNS1_3genE10ELNS1_11target_archE1201ELNS1_3gpuE5ELNS1_3repE0EEENS1_30default_config_static_selectorELNS0_4arch9wavefront6targetE0EEEvSN_, .Lfunc_end446-_ZN7rocprim17ROCPRIM_400000_NS6detail17trampoline_kernelINS0_14default_configENS1_27lower_bound_config_selectorIiiEEZNS1_14transform_implILb0ES3_S5_N6thrust23THRUST_200600_302600_NS6detail15normal_iteratorINS8_10device_ptrIiEEEESD_ZNS1_13binary_searchIS3_S5_SD_SD_SD_NS1_21lower_bound_search_opENS9_16wrapped_functionINS0_4lessIvEEbEEEE10hipError_tPvRmT1_T2_T3_mmT4_T5_P12ihipStream_tbEUlRKiE_EESK_SO_SP_mSQ_ST_bEUlT_E_NS1_11comp_targetILNS1_3genE10ELNS1_11target_archE1201ELNS1_3gpuE5ELNS1_3repE0EEENS1_30default_config_static_selectorELNS0_4arch9wavefront6targetE0EEEvSN_
                                        ; -- End function
	.set _ZN7rocprim17ROCPRIM_400000_NS6detail17trampoline_kernelINS0_14default_configENS1_27lower_bound_config_selectorIiiEEZNS1_14transform_implILb0ES3_S5_N6thrust23THRUST_200600_302600_NS6detail15normal_iteratorINS8_10device_ptrIiEEEESD_ZNS1_13binary_searchIS3_S5_SD_SD_SD_NS1_21lower_bound_search_opENS9_16wrapped_functionINS0_4lessIvEEbEEEE10hipError_tPvRmT1_T2_T3_mmT4_T5_P12ihipStream_tbEUlRKiE_EESK_SO_SP_mSQ_ST_bEUlT_E_NS1_11comp_targetILNS1_3genE10ELNS1_11target_archE1201ELNS1_3gpuE5ELNS1_3repE0EEENS1_30default_config_static_selectorELNS0_4arch9wavefront6targetE0EEEvSN_.num_vgpr, 0
	.set _ZN7rocprim17ROCPRIM_400000_NS6detail17trampoline_kernelINS0_14default_configENS1_27lower_bound_config_selectorIiiEEZNS1_14transform_implILb0ES3_S5_N6thrust23THRUST_200600_302600_NS6detail15normal_iteratorINS8_10device_ptrIiEEEESD_ZNS1_13binary_searchIS3_S5_SD_SD_SD_NS1_21lower_bound_search_opENS9_16wrapped_functionINS0_4lessIvEEbEEEE10hipError_tPvRmT1_T2_T3_mmT4_T5_P12ihipStream_tbEUlRKiE_EESK_SO_SP_mSQ_ST_bEUlT_E_NS1_11comp_targetILNS1_3genE10ELNS1_11target_archE1201ELNS1_3gpuE5ELNS1_3repE0EEENS1_30default_config_static_selectorELNS0_4arch9wavefront6targetE0EEEvSN_.num_agpr, 0
	.set _ZN7rocprim17ROCPRIM_400000_NS6detail17trampoline_kernelINS0_14default_configENS1_27lower_bound_config_selectorIiiEEZNS1_14transform_implILb0ES3_S5_N6thrust23THRUST_200600_302600_NS6detail15normal_iteratorINS8_10device_ptrIiEEEESD_ZNS1_13binary_searchIS3_S5_SD_SD_SD_NS1_21lower_bound_search_opENS9_16wrapped_functionINS0_4lessIvEEbEEEE10hipError_tPvRmT1_T2_T3_mmT4_T5_P12ihipStream_tbEUlRKiE_EESK_SO_SP_mSQ_ST_bEUlT_E_NS1_11comp_targetILNS1_3genE10ELNS1_11target_archE1201ELNS1_3gpuE5ELNS1_3repE0EEENS1_30default_config_static_selectorELNS0_4arch9wavefront6targetE0EEEvSN_.numbered_sgpr, 0
	.set _ZN7rocprim17ROCPRIM_400000_NS6detail17trampoline_kernelINS0_14default_configENS1_27lower_bound_config_selectorIiiEEZNS1_14transform_implILb0ES3_S5_N6thrust23THRUST_200600_302600_NS6detail15normal_iteratorINS8_10device_ptrIiEEEESD_ZNS1_13binary_searchIS3_S5_SD_SD_SD_NS1_21lower_bound_search_opENS9_16wrapped_functionINS0_4lessIvEEbEEEE10hipError_tPvRmT1_T2_T3_mmT4_T5_P12ihipStream_tbEUlRKiE_EESK_SO_SP_mSQ_ST_bEUlT_E_NS1_11comp_targetILNS1_3genE10ELNS1_11target_archE1201ELNS1_3gpuE5ELNS1_3repE0EEENS1_30default_config_static_selectorELNS0_4arch9wavefront6targetE0EEEvSN_.num_named_barrier, 0
	.set _ZN7rocprim17ROCPRIM_400000_NS6detail17trampoline_kernelINS0_14default_configENS1_27lower_bound_config_selectorIiiEEZNS1_14transform_implILb0ES3_S5_N6thrust23THRUST_200600_302600_NS6detail15normal_iteratorINS8_10device_ptrIiEEEESD_ZNS1_13binary_searchIS3_S5_SD_SD_SD_NS1_21lower_bound_search_opENS9_16wrapped_functionINS0_4lessIvEEbEEEE10hipError_tPvRmT1_T2_T3_mmT4_T5_P12ihipStream_tbEUlRKiE_EESK_SO_SP_mSQ_ST_bEUlT_E_NS1_11comp_targetILNS1_3genE10ELNS1_11target_archE1201ELNS1_3gpuE5ELNS1_3repE0EEENS1_30default_config_static_selectorELNS0_4arch9wavefront6targetE0EEEvSN_.private_seg_size, 0
	.set _ZN7rocprim17ROCPRIM_400000_NS6detail17trampoline_kernelINS0_14default_configENS1_27lower_bound_config_selectorIiiEEZNS1_14transform_implILb0ES3_S5_N6thrust23THRUST_200600_302600_NS6detail15normal_iteratorINS8_10device_ptrIiEEEESD_ZNS1_13binary_searchIS3_S5_SD_SD_SD_NS1_21lower_bound_search_opENS9_16wrapped_functionINS0_4lessIvEEbEEEE10hipError_tPvRmT1_T2_T3_mmT4_T5_P12ihipStream_tbEUlRKiE_EESK_SO_SP_mSQ_ST_bEUlT_E_NS1_11comp_targetILNS1_3genE10ELNS1_11target_archE1201ELNS1_3gpuE5ELNS1_3repE0EEENS1_30default_config_static_selectorELNS0_4arch9wavefront6targetE0EEEvSN_.uses_vcc, 0
	.set _ZN7rocprim17ROCPRIM_400000_NS6detail17trampoline_kernelINS0_14default_configENS1_27lower_bound_config_selectorIiiEEZNS1_14transform_implILb0ES3_S5_N6thrust23THRUST_200600_302600_NS6detail15normal_iteratorINS8_10device_ptrIiEEEESD_ZNS1_13binary_searchIS3_S5_SD_SD_SD_NS1_21lower_bound_search_opENS9_16wrapped_functionINS0_4lessIvEEbEEEE10hipError_tPvRmT1_T2_T3_mmT4_T5_P12ihipStream_tbEUlRKiE_EESK_SO_SP_mSQ_ST_bEUlT_E_NS1_11comp_targetILNS1_3genE10ELNS1_11target_archE1201ELNS1_3gpuE5ELNS1_3repE0EEENS1_30default_config_static_selectorELNS0_4arch9wavefront6targetE0EEEvSN_.uses_flat_scratch, 0
	.set _ZN7rocprim17ROCPRIM_400000_NS6detail17trampoline_kernelINS0_14default_configENS1_27lower_bound_config_selectorIiiEEZNS1_14transform_implILb0ES3_S5_N6thrust23THRUST_200600_302600_NS6detail15normal_iteratorINS8_10device_ptrIiEEEESD_ZNS1_13binary_searchIS3_S5_SD_SD_SD_NS1_21lower_bound_search_opENS9_16wrapped_functionINS0_4lessIvEEbEEEE10hipError_tPvRmT1_T2_T3_mmT4_T5_P12ihipStream_tbEUlRKiE_EESK_SO_SP_mSQ_ST_bEUlT_E_NS1_11comp_targetILNS1_3genE10ELNS1_11target_archE1201ELNS1_3gpuE5ELNS1_3repE0EEENS1_30default_config_static_selectorELNS0_4arch9wavefront6targetE0EEEvSN_.has_dyn_sized_stack, 0
	.set _ZN7rocprim17ROCPRIM_400000_NS6detail17trampoline_kernelINS0_14default_configENS1_27lower_bound_config_selectorIiiEEZNS1_14transform_implILb0ES3_S5_N6thrust23THRUST_200600_302600_NS6detail15normal_iteratorINS8_10device_ptrIiEEEESD_ZNS1_13binary_searchIS3_S5_SD_SD_SD_NS1_21lower_bound_search_opENS9_16wrapped_functionINS0_4lessIvEEbEEEE10hipError_tPvRmT1_T2_T3_mmT4_T5_P12ihipStream_tbEUlRKiE_EESK_SO_SP_mSQ_ST_bEUlT_E_NS1_11comp_targetILNS1_3genE10ELNS1_11target_archE1201ELNS1_3gpuE5ELNS1_3repE0EEENS1_30default_config_static_selectorELNS0_4arch9wavefront6targetE0EEEvSN_.has_recursion, 0
	.set _ZN7rocprim17ROCPRIM_400000_NS6detail17trampoline_kernelINS0_14default_configENS1_27lower_bound_config_selectorIiiEEZNS1_14transform_implILb0ES3_S5_N6thrust23THRUST_200600_302600_NS6detail15normal_iteratorINS8_10device_ptrIiEEEESD_ZNS1_13binary_searchIS3_S5_SD_SD_SD_NS1_21lower_bound_search_opENS9_16wrapped_functionINS0_4lessIvEEbEEEE10hipError_tPvRmT1_T2_T3_mmT4_T5_P12ihipStream_tbEUlRKiE_EESK_SO_SP_mSQ_ST_bEUlT_E_NS1_11comp_targetILNS1_3genE10ELNS1_11target_archE1201ELNS1_3gpuE5ELNS1_3repE0EEENS1_30default_config_static_selectorELNS0_4arch9wavefront6targetE0EEEvSN_.has_indirect_call, 0
	.section	.AMDGPU.csdata,"",@progbits
; Kernel info:
; codeLenInByte = 0
; TotalNumSgprs: 0
; NumVgprs: 0
; ScratchSize: 0
; MemoryBound: 0
; FloatMode: 240
; IeeeMode: 1
; LDSByteSize: 0 bytes/workgroup (compile time only)
; SGPRBlocks: 0
; VGPRBlocks: 0
; NumSGPRsForWavesPerEU: 1
; NumVGPRsForWavesPerEU: 1
; Occupancy: 16
; WaveLimiterHint : 0
; COMPUTE_PGM_RSRC2:SCRATCH_EN: 0
; COMPUTE_PGM_RSRC2:USER_SGPR: 6
; COMPUTE_PGM_RSRC2:TRAP_HANDLER: 0
; COMPUTE_PGM_RSRC2:TGID_X_EN: 1
; COMPUTE_PGM_RSRC2:TGID_Y_EN: 0
; COMPUTE_PGM_RSRC2:TGID_Z_EN: 0
; COMPUTE_PGM_RSRC2:TIDIG_COMP_CNT: 0
	.section	.text._ZN7rocprim17ROCPRIM_400000_NS6detail17trampoline_kernelINS0_14default_configENS1_27lower_bound_config_selectorIiiEEZNS1_14transform_implILb0ES3_S5_N6thrust23THRUST_200600_302600_NS6detail15normal_iteratorINS8_10device_ptrIiEEEESD_ZNS1_13binary_searchIS3_S5_SD_SD_SD_NS1_21lower_bound_search_opENS9_16wrapped_functionINS0_4lessIvEEbEEEE10hipError_tPvRmT1_T2_T3_mmT4_T5_P12ihipStream_tbEUlRKiE_EESK_SO_SP_mSQ_ST_bEUlT_E_NS1_11comp_targetILNS1_3genE10ELNS1_11target_archE1200ELNS1_3gpuE4ELNS1_3repE0EEENS1_30default_config_static_selectorELNS0_4arch9wavefront6targetE0EEEvSN_,"axG",@progbits,_ZN7rocprim17ROCPRIM_400000_NS6detail17trampoline_kernelINS0_14default_configENS1_27lower_bound_config_selectorIiiEEZNS1_14transform_implILb0ES3_S5_N6thrust23THRUST_200600_302600_NS6detail15normal_iteratorINS8_10device_ptrIiEEEESD_ZNS1_13binary_searchIS3_S5_SD_SD_SD_NS1_21lower_bound_search_opENS9_16wrapped_functionINS0_4lessIvEEbEEEE10hipError_tPvRmT1_T2_T3_mmT4_T5_P12ihipStream_tbEUlRKiE_EESK_SO_SP_mSQ_ST_bEUlT_E_NS1_11comp_targetILNS1_3genE10ELNS1_11target_archE1200ELNS1_3gpuE4ELNS1_3repE0EEENS1_30default_config_static_selectorELNS0_4arch9wavefront6targetE0EEEvSN_,comdat
	.protected	_ZN7rocprim17ROCPRIM_400000_NS6detail17trampoline_kernelINS0_14default_configENS1_27lower_bound_config_selectorIiiEEZNS1_14transform_implILb0ES3_S5_N6thrust23THRUST_200600_302600_NS6detail15normal_iteratorINS8_10device_ptrIiEEEESD_ZNS1_13binary_searchIS3_S5_SD_SD_SD_NS1_21lower_bound_search_opENS9_16wrapped_functionINS0_4lessIvEEbEEEE10hipError_tPvRmT1_T2_T3_mmT4_T5_P12ihipStream_tbEUlRKiE_EESK_SO_SP_mSQ_ST_bEUlT_E_NS1_11comp_targetILNS1_3genE10ELNS1_11target_archE1200ELNS1_3gpuE4ELNS1_3repE0EEENS1_30default_config_static_selectorELNS0_4arch9wavefront6targetE0EEEvSN_ ; -- Begin function _ZN7rocprim17ROCPRIM_400000_NS6detail17trampoline_kernelINS0_14default_configENS1_27lower_bound_config_selectorIiiEEZNS1_14transform_implILb0ES3_S5_N6thrust23THRUST_200600_302600_NS6detail15normal_iteratorINS8_10device_ptrIiEEEESD_ZNS1_13binary_searchIS3_S5_SD_SD_SD_NS1_21lower_bound_search_opENS9_16wrapped_functionINS0_4lessIvEEbEEEE10hipError_tPvRmT1_T2_T3_mmT4_T5_P12ihipStream_tbEUlRKiE_EESK_SO_SP_mSQ_ST_bEUlT_E_NS1_11comp_targetILNS1_3genE10ELNS1_11target_archE1200ELNS1_3gpuE4ELNS1_3repE0EEENS1_30default_config_static_selectorELNS0_4arch9wavefront6targetE0EEEvSN_
	.globl	_ZN7rocprim17ROCPRIM_400000_NS6detail17trampoline_kernelINS0_14default_configENS1_27lower_bound_config_selectorIiiEEZNS1_14transform_implILb0ES3_S5_N6thrust23THRUST_200600_302600_NS6detail15normal_iteratorINS8_10device_ptrIiEEEESD_ZNS1_13binary_searchIS3_S5_SD_SD_SD_NS1_21lower_bound_search_opENS9_16wrapped_functionINS0_4lessIvEEbEEEE10hipError_tPvRmT1_T2_T3_mmT4_T5_P12ihipStream_tbEUlRKiE_EESK_SO_SP_mSQ_ST_bEUlT_E_NS1_11comp_targetILNS1_3genE10ELNS1_11target_archE1200ELNS1_3gpuE4ELNS1_3repE0EEENS1_30default_config_static_selectorELNS0_4arch9wavefront6targetE0EEEvSN_
	.p2align	8
	.type	_ZN7rocprim17ROCPRIM_400000_NS6detail17trampoline_kernelINS0_14default_configENS1_27lower_bound_config_selectorIiiEEZNS1_14transform_implILb0ES3_S5_N6thrust23THRUST_200600_302600_NS6detail15normal_iteratorINS8_10device_ptrIiEEEESD_ZNS1_13binary_searchIS3_S5_SD_SD_SD_NS1_21lower_bound_search_opENS9_16wrapped_functionINS0_4lessIvEEbEEEE10hipError_tPvRmT1_T2_T3_mmT4_T5_P12ihipStream_tbEUlRKiE_EESK_SO_SP_mSQ_ST_bEUlT_E_NS1_11comp_targetILNS1_3genE10ELNS1_11target_archE1200ELNS1_3gpuE4ELNS1_3repE0EEENS1_30default_config_static_selectorELNS0_4arch9wavefront6targetE0EEEvSN_,@function
_ZN7rocprim17ROCPRIM_400000_NS6detail17trampoline_kernelINS0_14default_configENS1_27lower_bound_config_selectorIiiEEZNS1_14transform_implILb0ES3_S5_N6thrust23THRUST_200600_302600_NS6detail15normal_iteratorINS8_10device_ptrIiEEEESD_ZNS1_13binary_searchIS3_S5_SD_SD_SD_NS1_21lower_bound_search_opENS9_16wrapped_functionINS0_4lessIvEEbEEEE10hipError_tPvRmT1_T2_T3_mmT4_T5_P12ihipStream_tbEUlRKiE_EESK_SO_SP_mSQ_ST_bEUlT_E_NS1_11comp_targetILNS1_3genE10ELNS1_11target_archE1200ELNS1_3gpuE4ELNS1_3repE0EEENS1_30default_config_static_selectorELNS0_4arch9wavefront6targetE0EEEvSN_: ; @_ZN7rocprim17ROCPRIM_400000_NS6detail17trampoline_kernelINS0_14default_configENS1_27lower_bound_config_selectorIiiEEZNS1_14transform_implILb0ES3_S5_N6thrust23THRUST_200600_302600_NS6detail15normal_iteratorINS8_10device_ptrIiEEEESD_ZNS1_13binary_searchIS3_S5_SD_SD_SD_NS1_21lower_bound_search_opENS9_16wrapped_functionINS0_4lessIvEEbEEEE10hipError_tPvRmT1_T2_T3_mmT4_T5_P12ihipStream_tbEUlRKiE_EESK_SO_SP_mSQ_ST_bEUlT_E_NS1_11comp_targetILNS1_3genE10ELNS1_11target_archE1200ELNS1_3gpuE4ELNS1_3repE0EEENS1_30default_config_static_selectorELNS0_4arch9wavefront6targetE0EEEvSN_
; %bb.0:
	.section	.rodata,"a",@progbits
	.p2align	6, 0x0
	.amdhsa_kernel _ZN7rocprim17ROCPRIM_400000_NS6detail17trampoline_kernelINS0_14default_configENS1_27lower_bound_config_selectorIiiEEZNS1_14transform_implILb0ES3_S5_N6thrust23THRUST_200600_302600_NS6detail15normal_iteratorINS8_10device_ptrIiEEEESD_ZNS1_13binary_searchIS3_S5_SD_SD_SD_NS1_21lower_bound_search_opENS9_16wrapped_functionINS0_4lessIvEEbEEEE10hipError_tPvRmT1_T2_T3_mmT4_T5_P12ihipStream_tbEUlRKiE_EESK_SO_SP_mSQ_ST_bEUlT_E_NS1_11comp_targetILNS1_3genE10ELNS1_11target_archE1200ELNS1_3gpuE4ELNS1_3repE0EEENS1_30default_config_static_selectorELNS0_4arch9wavefront6targetE0EEEvSN_
		.amdhsa_group_segment_fixed_size 0
		.amdhsa_private_segment_fixed_size 0
		.amdhsa_kernarg_size 56
		.amdhsa_user_sgpr_count 6
		.amdhsa_user_sgpr_private_segment_buffer 1
		.amdhsa_user_sgpr_dispatch_ptr 0
		.amdhsa_user_sgpr_queue_ptr 0
		.amdhsa_user_sgpr_kernarg_segment_ptr 1
		.amdhsa_user_sgpr_dispatch_id 0
		.amdhsa_user_sgpr_flat_scratch_init 0
		.amdhsa_user_sgpr_private_segment_size 0
		.amdhsa_wavefront_size32 1
		.amdhsa_uses_dynamic_stack 0
		.amdhsa_system_sgpr_private_segment_wavefront_offset 0
		.amdhsa_system_sgpr_workgroup_id_x 1
		.amdhsa_system_sgpr_workgroup_id_y 0
		.amdhsa_system_sgpr_workgroup_id_z 0
		.amdhsa_system_sgpr_workgroup_info 0
		.amdhsa_system_vgpr_workitem_id 0
		.amdhsa_next_free_vgpr 1
		.amdhsa_next_free_sgpr 1
		.amdhsa_reserve_vcc 0
		.amdhsa_reserve_flat_scratch 0
		.amdhsa_float_round_mode_32 0
		.amdhsa_float_round_mode_16_64 0
		.amdhsa_float_denorm_mode_32 3
		.amdhsa_float_denorm_mode_16_64 3
		.amdhsa_dx10_clamp 1
		.amdhsa_ieee_mode 1
		.amdhsa_fp16_overflow 0
		.amdhsa_workgroup_processor_mode 1
		.amdhsa_memory_ordered 1
		.amdhsa_forward_progress 1
		.amdhsa_shared_vgpr_count 0
		.amdhsa_exception_fp_ieee_invalid_op 0
		.amdhsa_exception_fp_denorm_src 0
		.amdhsa_exception_fp_ieee_div_zero 0
		.amdhsa_exception_fp_ieee_overflow 0
		.amdhsa_exception_fp_ieee_underflow 0
		.amdhsa_exception_fp_ieee_inexact 0
		.amdhsa_exception_int_div_zero 0
	.end_amdhsa_kernel
	.section	.text._ZN7rocprim17ROCPRIM_400000_NS6detail17trampoline_kernelINS0_14default_configENS1_27lower_bound_config_selectorIiiEEZNS1_14transform_implILb0ES3_S5_N6thrust23THRUST_200600_302600_NS6detail15normal_iteratorINS8_10device_ptrIiEEEESD_ZNS1_13binary_searchIS3_S5_SD_SD_SD_NS1_21lower_bound_search_opENS9_16wrapped_functionINS0_4lessIvEEbEEEE10hipError_tPvRmT1_T2_T3_mmT4_T5_P12ihipStream_tbEUlRKiE_EESK_SO_SP_mSQ_ST_bEUlT_E_NS1_11comp_targetILNS1_3genE10ELNS1_11target_archE1200ELNS1_3gpuE4ELNS1_3repE0EEENS1_30default_config_static_selectorELNS0_4arch9wavefront6targetE0EEEvSN_,"axG",@progbits,_ZN7rocprim17ROCPRIM_400000_NS6detail17trampoline_kernelINS0_14default_configENS1_27lower_bound_config_selectorIiiEEZNS1_14transform_implILb0ES3_S5_N6thrust23THRUST_200600_302600_NS6detail15normal_iteratorINS8_10device_ptrIiEEEESD_ZNS1_13binary_searchIS3_S5_SD_SD_SD_NS1_21lower_bound_search_opENS9_16wrapped_functionINS0_4lessIvEEbEEEE10hipError_tPvRmT1_T2_T3_mmT4_T5_P12ihipStream_tbEUlRKiE_EESK_SO_SP_mSQ_ST_bEUlT_E_NS1_11comp_targetILNS1_3genE10ELNS1_11target_archE1200ELNS1_3gpuE4ELNS1_3repE0EEENS1_30default_config_static_selectorELNS0_4arch9wavefront6targetE0EEEvSN_,comdat
.Lfunc_end447:
	.size	_ZN7rocprim17ROCPRIM_400000_NS6detail17trampoline_kernelINS0_14default_configENS1_27lower_bound_config_selectorIiiEEZNS1_14transform_implILb0ES3_S5_N6thrust23THRUST_200600_302600_NS6detail15normal_iteratorINS8_10device_ptrIiEEEESD_ZNS1_13binary_searchIS3_S5_SD_SD_SD_NS1_21lower_bound_search_opENS9_16wrapped_functionINS0_4lessIvEEbEEEE10hipError_tPvRmT1_T2_T3_mmT4_T5_P12ihipStream_tbEUlRKiE_EESK_SO_SP_mSQ_ST_bEUlT_E_NS1_11comp_targetILNS1_3genE10ELNS1_11target_archE1200ELNS1_3gpuE4ELNS1_3repE0EEENS1_30default_config_static_selectorELNS0_4arch9wavefront6targetE0EEEvSN_, .Lfunc_end447-_ZN7rocprim17ROCPRIM_400000_NS6detail17trampoline_kernelINS0_14default_configENS1_27lower_bound_config_selectorIiiEEZNS1_14transform_implILb0ES3_S5_N6thrust23THRUST_200600_302600_NS6detail15normal_iteratorINS8_10device_ptrIiEEEESD_ZNS1_13binary_searchIS3_S5_SD_SD_SD_NS1_21lower_bound_search_opENS9_16wrapped_functionINS0_4lessIvEEbEEEE10hipError_tPvRmT1_T2_T3_mmT4_T5_P12ihipStream_tbEUlRKiE_EESK_SO_SP_mSQ_ST_bEUlT_E_NS1_11comp_targetILNS1_3genE10ELNS1_11target_archE1200ELNS1_3gpuE4ELNS1_3repE0EEENS1_30default_config_static_selectorELNS0_4arch9wavefront6targetE0EEEvSN_
                                        ; -- End function
	.set _ZN7rocprim17ROCPRIM_400000_NS6detail17trampoline_kernelINS0_14default_configENS1_27lower_bound_config_selectorIiiEEZNS1_14transform_implILb0ES3_S5_N6thrust23THRUST_200600_302600_NS6detail15normal_iteratorINS8_10device_ptrIiEEEESD_ZNS1_13binary_searchIS3_S5_SD_SD_SD_NS1_21lower_bound_search_opENS9_16wrapped_functionINS0_4lessIvEEbEEEE10hipError_tPvRmT1_T2_T3_mmT4_T5_P12ihipStream_tbEUlRKiE_EESK_SO_SP_mSQ_ST_bEUlT_E_NS1_11comp_targetILNS1_3genE10ELNS1_11target_archE1200ELNS1_3gpuE4ELNS1_3repE0EEENS1_30default_config_static_selectorELNS0_4arch9wavefront6targetE0EEEvSN_.num_vgpr, 0
	.set _ZN7rocprim17ROCPRIM_400000_NS6detail17trampoline_kernelINS0_14default_configENS1_27lower_bound_config_selectorIiiEEZNS1_14transform_implILb0ES3_S5_N6thrust23THRUST_200600_302600_NS6detail15normal_iteratorINS8_10device_ptrIiEEEESD_ZNS1_13binary_searchIS3_S5_SD_SD_SD_NS1_21lower_bound_search_opENS9_16wrapped_functionINS0_4lessIvEEbEEEE10hipError_tPvRmT1_T2_T3_mmT4_T5_P12ihipStream_tbEUlRKiE_EESK_SO_SP_mSQ_ST_bEUlT_E_NS1_11comp_targetILNS1_3genE10ELNS1_11target_archE1200ELNS1_3gpuE4ELNS1_3repE0EEENS1_30default_config_static_selectorELNS0_4arch9wavefront6targetE0EEEvSN_.num_agpr, 0
	.set _ZN7rocprim17ROCPRIM_400000_NS6detail17trampoline_kernelINS0_14default_configENS1_27lower_bound_config_selectorIiiEEZNS1_14transform_implILb0ES3_S5_N6thrust23THRUST_200600_302600_NS6detail15normal_iteratorINS8_10device_ptrIiEEEESD_ZNS1_13binary_searchIS3_S5_SD_SD_SD_NS1_21lower_bound_search_opENS9_16wrapped_functionINS0_4lessIvEEbEEEE10hipError_tPvRmT1_T2_T3_mmT4_T5_P12ihipStream_tbEUlRKiE_EESK_SO_SP_mSQ_ST_bEUlT_E_NS1_11comp_targetILNS1_3genE10ELNS1_11target_archE1200ELNS1_3gpuE4ELNS1_3repE0EEENS1_30default_config_static_selectorELNS0_4arch9wavefront6targetE0EEEvSN_.numbered_sgpr, 0
	.set _ZN7rocprim17ROCPRIM_400000_NS6detail17trampoline_kernelINS0_14default_configENS1_27lower_bound_config_selectorIiiEEZNS1_14transform_implILb0ES3_S5_N6thrust23THRUST_200600_302600_NS6detail15normal_iteratorINS8_10device_ptrIiEEEESD_ZNS1_13binary_searchIS3_S5_SD_SD_SD_NS1_21lower_bound_search_opENS9_16wrapped_functionINS0_4lessIvEEbEEEE10hipError_tPvRmT1_T2_T3_mmT4_T5_P12ihipStream_tbEUlRKiE_EESK_SO_SP_mSQ_ST_bEUlT_E_NS1_11comp_targetILNS1_3genE10ELNS1_11target_archE1200ELNS1_3gpuE4ELNS1_3repE0EEENS1_30default_config_static_selectorELNS0_4arch9wavefront6targetE0EEEvSN_.num_named_barrier, 0
	.set _ZN7rocprim17ROCPRIM_400000_NS6detail17trampoline_kernelINS0_14default_configENS1_27lower_bound_config_selectorIiiEEZNS1_14transform_implILb0ES3_S5_N6thrust23THRUST_200600_302600_NS6detail15normal_iteratorINS8_10device_ptrIiEEEESD_ZNS1_13binary_searchIS3_S5_SD_SD_SD_NS1_21lower_bound_search_opENS9_16wrapped_functionINS0_4lessIvEEbEEEE10hipError_tPvRmT1_T2_T3_mmT4_T5_P12ihipStream_tbEUlRKiE_EESK_SO_SP_mSQ_ST_bEUlT_E_NS1_11comp_targetILNS1_3genE10ELNS1_11target_archE1200ELNS1_3gpuE4ELNS1_3repE0EEENS1_30default_config_static_selectorELNS0_4arch9wavefront6targetE0EEEvSN_.private_seg_size, 0
	.set _ZN7rocprim17ROCPRIM_400000_NS6detail17trampoline_kernelINS0_14default_configENS1_27lower_bound_config_selectorIiiEEZNS1_14transform_implILb0ES3_S5_N6thrust23THRUST_200600_302600_NS6detail15normal_iteratorINS8_10device_ptrIiEEEESD_ZNS1_13binary_searchIS3_S5_SD_SD_SD_NS1_21lower_bound_search_opENS9_16wrapped_functionINS0_4lessIvEEbEEEE10hipError_tPvRmT1_T2_T3_mmT4_T5_P12ihipStream_tbEUlRKiE_EESK_SO_SP_mSQ_ST_bEUlT_E_NS1_11comp_targetILNS1_3genE10ELNS1_11target_archE1200ELNS1_3gpuE4ELNS1_3repE0EEENS1_30default_config_static_selectorELNS0_4arch9wavefront6targetE0EEEvSN_.uses_vcc, 0
	.set _ZN7rocprim17ROCPRIM_400000_NS6detail17trampoline_kernelINS0_14default_configENS1_27lower_bound_config_selectorIiiEEZNS1_14transform_implILb0ES3_S5_N6thrust23THRUST_200600_302600_NS6detail15normal_iteratorINS8_10device_ptrIiEEEESD_ZNS1_13binary_searchIS3_S5_SD_SD_SD_NS1_21lower_bound_search_opENS9_16wrapped_functionINS0_4lessIvEEbEEEE10hipError_tPvRmT1_T2_T3_mmT4_T5_P12ihipStream_tbEUlRKiE_EESK_SO_SP_mSQ_ST_bEUlT_E_NS1_11comp_targetILNS1_3genE10ELNS1_11target_archE1200ELNS1_3gpuE4ELNS1_3repE0EEENS1_30default_config_static_selectorELNS0_4arch9wavefront6targetE0EEEvSN_.uses_flat_scratch, 0
	.set _ZN7rocprim17ROCPRIM_400000_NS6detail17trampoline_kernelINS0_14default_configENS1_27lower_bound_config_selectorIiiEEZNS1_14transform_implILb0ES3_S5_N6thrust23THRUST_200600_302600_NS6detail15normal_iteratorINS8_10device_ptrIiEEEESD_ZNS1_13binary_searchIS3_S5_SD_SD_SD_NS1_21lower_bound_search_opENS9_16wrapped_functionINS0_4lessIvEEbEEEE10hipError_tPvRmT1_T2_T3_mmT4_T5_P12ihipStream_tbEUlRKiE_EESK_SO_SP_mSQ_ST_bEUlT_E_NS1_11comp_targetILNS1_3genE10ELNS1_11target_archE1200ELNS1_3gpuE4ELNS1_3repE0EEENS1_30default_config_static_selectorELNS0_4arch9wavefront6targetE0EEEvSN_.has_dyn_sized_stack, 0
	.set _ZN7rocprim17ROCPRIM_400000_NS6detail17trampoline_kernelINS0_14default_configENS1_27lower_bound_config_selectorIiiEEZNS1_14transform_implILb0ES3_S5_N6thrust23THRUST_200600_302600_NS6detail15normal_iteratorINS8_10device_ptrIiEEEESD_ZNS1_13binary_searchIS3_S5_SD_SD_SD_NS1_21lower_bound_search_opENS9_16wrapped_functionINS0_4lessIvEEbEEEE10hipError_tPvRmT1_T2_T3_mmT4_T5_P12ihipStream_tbEUlRKiE_EESK_SO_SP_mSQ_ST_bEUlT_E_NS1_11comp_targetILNS1_3genE10ELNS1_11target_archE1200ELNS1_3gpuE4ELNS1_3repE0EEENS1_30default_config_static_selectorELNS0_4arch9wavefront6targetE0EEEvSN_.has_recursion, 0
	.set _ZN7rocprim17ROCPRIM_400000_NS6detail17trampoline_kernelINS0_14default_configENS1_27lower_bound_config_selectorIiiEEZNS1_14transform_implILb0ES3_S5_N6thrust23THRUST_200600_302600_NS6detail15normal_iteratorINS8_10device_ptrIiEEEESD_ZNS1_13binary_searchIS3_S5_SD_SD_SD_NS1_21lower_bound_search_opENS9_16wrapped_functionINS0_4lessIvEEbEEEE10hipError_tPvRmT1_T2_T3_mmT4_T5_P12ihipStream_tbEUlRKiE_EESK_SO_SP_mSQ_ST_bEUlT_E_NS1_11comp_targetILNS1_3genE10ELNS1_11target_archE1200ELNS1_3gpuE4ELNS1_3repE0EEENS1_30default_config_static_selectorELNS0_4arch9wavefront6targetE0EEEvSN_.has_indirect_call, 0
	.section	.AMDGPU.csdata,"",@progbits
; Kernel info:
; codeLenInByte = 0
; TotalNumSgprs: 0
; NumVgprs: 0
; ScratchSize: 0
; MemoryBound: 0
; FloatMode: 240
; IeeeMode: 1
; LDSByteSize: 0 bytes/workgroup (compile time only)
; SGPRBlocks: 0
; VGPRBlocks: 0
; NumSGPRsForWavesPerEU: 1
; NumVGPRsForWavesPerEU: 1
; Occupancy: 16
; WaveLimiterHint : 0
; COMPUTE_PGM_RSRC2:SCRATCH_EN: 0
; COMPUTE_PGM_RSRC2:USER_SGPR: 6
; COMPUTE_PGM_RSRC2:TRAP_HANDLER: 0
; COMPUTE_PGM_RSRC2:TGID_X_EN: 1
; COMPUTE_PGM_RSRC2:TGID_Y_EN: 0
; COMPUTE_PGM_RSRC2:TGID_Z_EN: 0
; COMPUTE_PGM_RSRC2:TIDIG_COMP_CNT: 0
	.section	.text._ZN7rocprim17ROCPRIM_400000_NS6detail17trampoline_kernelINS0_14default_configENS1_27lower_bound_config_selectorIiiEEZNS1_14transform_implILb0ES3_S5_N6thrust23THRUST_200600_302600_NS6detail15normal_iteratorINS8_10device_ptrIiEEEESD_ZNS1_13binary_searchIS3_S5_SD_SD_SD_NS1_21lower_bound_search_opENS9_16wrapped_functionINS0_4lessIvEEbEEEE10hipError_tPvRmT1_T2_T3_mmT4_T5_P12ihipStream_tbEUlRKiE_EESK_SO_SP_mSQ_ST_bEUlT_E_NS1_11comp_targetILNS1_3genE9ELNS1_11target_archE1100ELNS1_3gpuE3ELNS1_3repE0EEENS1_30default_config_static_selectorELNS0_4arch9wavefront6targetE0EEEvSN_,"axG",@progbits,_ZN7rocprim17ROCPRIM_400000_NS6detail17trampoline_kernelINS0_14default_configENS1_27lower_bound_config_selectorIiiEEZNS1_14transform_implILb0ES3_S5_N6thrust23THRUST_200600_302600_NS6detail15normal_iteratorINS8_10device_ptrIiEEEESD_ZNS1_13binary_searchIS3_S5_SD_SD_SD_NS1_21lower_bound_search_opENS9_16wrapped_functionINS0_4lessIvEEbEEEE10hipError_tPvRmT1_T2_T3_mmT4_T5_P12ihipStream_tbEUlRKiE_EESK_SO_SP_mSQ_ST_bEUlT_E_NS1_11comp_targetILNS1_3genE9ELNS1_11target_archE1100ELNS1_3gpuE3ELNS1_3repE0EEENS1_30default_config_static_selectorELNS0_4arch9wavefront6targetE0EEEvSN_,comdat
	.protected	_ZN7rocprim17ROCPRIM_400000_NS6detail17trampoline_kernelINS0_14default_configENS1_27lower_bound_config_selectorIiiEEZNS1_14transform_implILb0ES3_S5_N6thrust23THRUST_200600_302600_NS6detail15normal_iteratorINS8_10device_ptrIiEEEESD_ZNS1_13binary_searchIS3_S5_SD_SD_SD_NS1_21lower_bound_search_opENS9_16wrapped_functionINS0_4lessIvEEbEEEE10hipError_tPvRmT1_T2_T3_mmT4_T5_P12ihipStream_tbEUlRKiE_EESK_SO_SP_mSQ_ST_bEUlT_E_NS1_11comp_targetILNS1_3genE9ELNS1_11target_archE1100ELNS1_3gpuE3ELNS1_3repE0EEENS1_30default_config_static_selectorELNS0_4arch9wavefront6targetE0EEEvSN_ ; -- Begin function _ZN7rocprim17ROCPRIM_400000_NS6detail17trampoline_kernelINS0_14default_configENS1_27lower_bound_config_selectorIiiEEZNS1_14transform_implILb0ES3_S5_N6thrust23THRUST_200600_302600_NS6detail15normal_iteratorINS8_10device_ptrIiEEEESD_ZNS1_13binary_searchIS3_S5_SD_SD_SD_NS1_21lower_bound_search_opENS9_16wrapped_functionINS0_4lessIvEEbEEEE10hipError_tPvRmT1_T2_T3_mmT4_T5_P12ihipStream_tbEUlRKiE_EESK_SO_SP_mSQ_ST_bEUlT_E_NS1_11comp_targetILNS1_3genE9ELNS1_11target_archE1100ELNS1_3gpuE3ELNS1_3repE0EEENS1_30default_config_static_selectorELNS0_4arch9wavefront6targetE0EEEvSN_
	.globl	_ZN7rocprim17ROCPRIM_400000_NS6detail17trampoline_kernelINS0_14default_configENS1_27lower_bound_config_selectorIiiEEZNS1_14transform_implILb0ES3_S5_N6thrust23THRUST_200600_302600_NS6detail15normal_iteratorINS8_10device_ptrIiEEEESD_ZNS1_13binary_searchIS3_S5_SD_SD_SD_NS1_21lower_bound_search_opENS9_16wrapped_functionINS0_4lessIvEEbEEEE10hipError_tPvRmT1_T2_T3_mmT4_T5_P12ihipStream_tbEUlRKiE_EESK_SO_SP_mSQ_ST_bEUlT_E_NS1_11comp_targetILNS1_3genE9ELNS1_11target_archE1100ELNS1_3gpuE3ELNS1_3repE0EEENS1_30default_config_static_selectorELNS0_4arch9wavefront6targetE0EEEvSN_
	.p2align	8
	.type	_ZN7rocprim17ROCPRIM_400000_NS6detail17trampoline_kernelINS0_14default_configENS1_27lower_bound_config_selectorIiiEEZNS1_14transform_implILb0ES3_S5_N6thrust23THRUST_200600_302600_NS6detail15normal_iteratorINS8_10device_ptrIiEEEESD_ZNS1_13binary_searchIS3_S5_SD_SD_SD_NS1_21lower_bound_search_opENS9_16wrapped_functionINS0_4lessIvEEbEEEE10hipError_tPvRmT1_T2_T3_mmT4_T5_P12ihipStream_tbEUlRKiE_EESK_SO_SP_mSQ_ST_bEUlT_E_NS1_11comp_targetILNS1_3genE9ELNS1_11target_archE1100ELNS1_3gpuE3ELNS1_3repE0EEENS1_30default_config_static_selectorELNS0_4arch9wavefront6targetE0EEEvSN_,@function
_ZN7rocprim17ROCPRIM_400000_NS6detail17trampoline_kernelINS0_14default_configENS1_27lower_bound_config_selectorIiiEEZNS1_14transform_implILb0ES3_S5_N6thrust23THRUST_200600_302600_NS6detail15normal_iteratorINS8_10device_ptrIiEEEESD_ZNS1_13binary_searchIS3_S5_SD_SD_SD_NS1_21lower_bound_search_opENS9_16wrapped_functionINS0_4lessIvEEbEEEE10hipError_tPvRmT1_T2_T3_mmT4_T5_P12ihipStream_tbEUlRKiE_EESK_SO_SP_mSQ_ST_bEUlT_E_NS1_11comp_targetILNS1_3genE9ELNS1_11target_archE1100ELNS1_3gpuE3ELNS1_3repE0EEENS1_30default_config_static_selectorELNS0_4arch9wavefront6targetE0EEEvSN_: ; @_ZN7rocprim17ROCPRIM_400000_NS6detail17trampoline_kernelINS0_14default_configENS1_27lower_bound_config_selectorIiiEEZNS1_14transform_implILb0ES3_S5_N6thrust23THRUST_200600_302600_NS6detail15normal_iteratorINS8_10device_ptrIiEEEESD_ZNS1_13binary_searchIS3_S5_SD_SD_SD_NS1_21lower_bound_search_opENS9_16wrapped_functionINS0_4lessIvEEbEEEE10hipError_tPvRmT1_T2_T3_mmT4_T5_P12ihipStream_tbEUlRKiE_EESK_SO_SP_mSQ_ST_bEUlT_E_NS1_11comp_targetILNS1_3genE9ELNS1_11target_archE1100ELNS1_3gpuE3ELNS1_3repE0EEENS1_30default_config_static_selectorELNS0_4arch9wavefront6targetE0EEEvSN_
; %bb.0:
	.section	.rodata,"a",@progbits
	.p2align	6, 0x0
	.amdhsa_kernel _ZN7rocprim17ROCPRIM_400000_NS6detail17trampoline_kernelINS0_14default_configENS1_27lower_bound_config_selectorIiiEEZNS1_14transform_implILb0ES3_S5_N6thrust23THRUST_200600_302600_NS6detail15normal_iteratorINS8_10device_ptrIiEEEESD_ZNS1_13binary_searchIS3_S5_SD_SD_SD_NS1_21lower_bound_search_opENS9_16wrapped_functionINS0_4lessIvEEbEEEE10hipError_tPvRmT1_T2_T3_mmT4_T5_P12ihipStream_tbEUlRKiE_EESK_SO_SP_mSQ_ST_bEUlT_E_NS1_11comp_targetILNS1_3genE9ELNS1_11target_archE1100ELNS1_3gpuE3ELNS1_3repE0EEENS1_30default_config_static_selectorELNS0_4arch9wavefront6targetE0EEEvSN_
		.amdhsa_group_segment_fixed_size 0
		.amdhsa_private_segment_fixed_size 0
		.amdhsa_kernarg_size 56
		.amdhsa_user_sgpr_count 6
		.amdhsa_user_sgpr_private_segment_buffer 1
		.amdhsa_user_sgpr_dispatch_ptr 0
		.amdhsa_user_sgpr_queue_ptr 0
		.amdhsa_user_sgpr_kernarg_segment_ptr 1
		.amdhsa_user_sgpr_dispatch_id 0
		.amdhsa_user_sgpr_flat_scratch_init 0
		.amdhsa_user_sgpr_private_segment_size 0
		.amdhsa_wavefront_size32 1
		.amdhsa_uses_dynamic_stack 0
		.amdhsa_system_sgpr_private_segment_wavefront_offset 0
		.amdhsa_system_sgpr_workgroup_id_x 1
		.amdhsa_system_sgpr_workgroup_id_y 0
		.amdhsa_system_sgpr_workgroup_id_z 0
		.amdhsa_system_sgpr_workgroup_info 0
		.amdhsa_system_vgpr_workitem_id 0
		.amdhsa_next_free_vgpr 1
		.amdhsa_next_free_sgpr 1
		.amdhsa_reserve_vcc 0
		.amdhsa_reserve_flat_scratch 0
		.amdhsa_float_round_mode_32 0
		.amdhsa_float_round_mode_16_64 0
		.amdhsa_float_denorm_mode_32 3
		.amdhsa_float_denorm_mode_16_64 3
		.amdhsa_dx10_clamp 1
		.amdhsa_ieee_mode 1
		.amdhsa_fp16_overflow 0
		.amdhsa_workgroup_processor_mode 1
		.amdhsa_memory_ordered 1
		.amdhsa_forward_progress 1
		.amdhsa_shared_vgpr_count 0
		.amdhsa_exception_fp_ieee_invalid_op 0
		.amdhsa_exception_fp_denorm_src 0
		.amdhsa_exception_fp_ieee_div_zero 0
		.amdhsa_exception_fp_ieee_overflow 0
		.amdhsa_exception_fp_ieee_underflow 0
		.amdhsa_exception_fp_ieee_inexact 0
		.amdhsa_exception_int_div_zero 0
	.end_amdhsa_kernel
	.section	.text._ZN7rocprim17ROCPRIM_400000_NS6detail17trampoline_kernelINS0_14default_configENS1_27lower_bound_config_selectorIiiEEZNS1_14transform_implILb0ES3_S5_N6thrust23THRUST_200600_302600_NS6detail15normal_iteratorINS8_10device_ptrIiEEEESD_ZNS1_13binary_searchIS3_S5_SD_SD_SD_NS1_21lower_bound_search_opENS9_16wrapped_functionINS0_4lessIvEEbEEEE10hipError_tPvRmT1_T2_T3_mmT4_T5_P12ihipStream_tbEUlRKiE_EESK_SO_SP_mSQ_ST_bEUlT_E_NS1_11comp_targetILNS1_3genE9ELNS1_11target_archE1100ELNS1_3gpuE3ELNS1_3repE0EEENS1_30default_config_static_selectorELNS0_4arch9wavefront6targetE0EEEvSN_,"axG",@progbits,_ZN7rocprim17ROCPRIM_400000_NS6detail17trampoline_kernelINS0_14default_configENS1_27lower_bound_config_selectorIiiEEZNS1_14transform_implILb0ES3_S5_N6thrust23THRUST_200600_302600_NS6detail15normal_iteratorINS8_10device_ptrIiEEEESD_ZNS1_13binary_searchIS3_S5_SD_SD_SD_NS1_21lower_bound_search_opENS9_16wrapped_functionINS0_4lessIvEEbEEEE10hipError_tPvRmT1_T2_T3_mmT4_T5_P12ihipStream_tbEUlRKiE_EESK_SO_SP_mSQ_ST_bEUlT_E_NS1_11comp_targetILNS1_3genE9ELNS1_11target_archE1100ELNS1_3gpuE3ELNS1_3repE0EEENS1_30default_config_static_selectorELNS0_4arch9wavefront6targetE0EEEvSN_,comdat
.Lfunc_end448:
	.size	_ZN7rocprim17ROCPRIM_400000_NS6detail17trampoline_kernelINS0_14default_configENS1_27lower_bound_config_selectorIiiEEZNS1_14transform_implILb0ES3_S5_N6thrust23THRUST_200600_302600_NS6detail15normal_iteratorINS8_10device_ptrIiEEEESD_ZNS1_13binary_searchIS3_S5_SD_SD_SD_NS1_21lower_bound_search_opENS9_16wrapped_functionINS0_4lessIvEEbEEEE10hipError_tPvRmT1_T2_T3_mmT4_T5_P12ihipStream_tbEUlRKiE_EESK_SO_SP_mSQ_ST_bEUlT_E_NS1_11comp_targetILNS1_3genE9ELNS1_11target_archE1100ELNS1_3gpuE3ELNS1_3repE0EEENS1_30default_config_static_selectorELNS0_4arch9wavefront6targetE0EEEvSN_, .Lfunc_end448-_ZN7rocprim17ROCPRIM_400000_NS6detail17trampoline_kernelINS0_14default_configENS1_27lower_bound_config_selectorIiiEEZNS1_14transform_implILb0ES3_S5_N6thrust23THRUST_200600_302600_NS6detail15normal_iteratorINS8_10device_ptrIiEEEESD_ZNS1_13binary_searchIS3_S5_SD_SD_SD_NS1_21lower_bound_search_opENS9_16wrapped_functionINS0_4lessIvEEbEEEE10hipError_tPvRmT1_T2_T3_mmT4_T5_P12ihipStream_tbEUlRKiE_EESK_SO_SP_mSQ_ST_bEUlT_E_NS1_11comp_targetILNS1_3genE9ELNS1_11target_archE1100ELNS1_3gpuE3ELNS1_3repE0EEENS1_30default_config_static_selectorELNS0_4arch9wavefront6targetE0EEEvSN_
                                        ; -- End function
	.set _ZN7rocprim17ROCPRIM_400000_NS6detail17trampoline_kernelINS0_14default_configENS1_27lower_bound_config_selectorIiiEEZNS1_14transform_implILb0ES3_S5_N6thrust23THRUST_200600_302600_NS6detail15normal_iteratorINS8_10device_ptrIiEEEESD_ZNS1_13binary_searchIS3_S5_SD_SD_SD_NS1_21lower_bound_search_opENS9_16wrapped_functionINS0_4lessIvEEbEEEE10hipError_tPvRmT1_T2_T3_mmT4_T5_P12ihipStream_tbEUlRKiE_EESK_SO_SP_mSQ_ST_bEUlT_E_NS1_11comp_targetILNS1_3genE9ELNS1_11target_archE1100ELNS1_3gpuE3ELNS1_3repE0EEENS1_30default_config_static_selectorELNS0_4arch9wavefront6targetE0EEEvSN_.num_vgpr, 0
	.set _ZN7rocprim17ROCPRIM_400000_NS6detail17trampoline_kernelINS0_14default_configENS1_27lower_bound_config_selectorIiiEEZNS1_14transform_implILb0ES3_S5_N6thrust23THRUST_200600_302600_NS6detail15normal_iteratorINS8_10device_ptrIiEEEESD_ZNS1_13binary_searchIS3_S5_SD_SD_SD_NS1_21lower_bound_search_opENS9_16wrapped_functionINS0_4lessIvEEbEEEE10hipError_tPvRmT1_T2_T3_mmT4_T5_P12ihipStream_tbEUlRKiE_EESK_SO_SP_mSQ_ST_bEUlT_E_NS1_11comp_targetILNS1_3genE9ELNS1_11target_archE1100ELNS1_3gpuE3ELNS1_3repE0EEENS1_30default_config_static_selectorELNS0_4arch9wavefront6targetE0EEEvSN_.num_agpr, 0
	.set _ZN7rocprim17ROCPRIM_400000_NS6detail17trampoline_kernelINS0_14default_configENS1_27lower_bound_config_selectorIiiEEZNS1_14transform_implILb0ES3_S5_N6thrust23THRUST_200600_302600_NS6detail15normal_iteratorINS8_10device_ptrIiEEEESD_ZNS1_13binary_searchIS3_S5_SD_SD_SD_NS1_21lower_bound_search_opENS9_16wrapped_functionINS0_4lessIvEEbEEEE10hipError_tPvRmT1_T2_T3_mmT4_T5_P12ihipStream_tbEUlRKiE_EESK_SO_SP_mSQ_ST_bEUlT_E_NS1_11comp_targetILNS1_3genE9ELNS1_11target_archE1100ELNS1_3gpuE3ELNS1_3repE0EEENS1_30default_config_static_selectorELNS0_4arch9wavefront6targetE0EEEvSN_.numbered_sgpr, 0
	.set _ZN7rocprim17ROCPRIM_400000_NS6detail17trampoline_kernelINS0_14default_configENS1_27lower_bound_config_selectorIiiEEZNS1_14transform_implILb0ES3_S5_N6thrust23THRUST_200600_302600_NS6detail15normal_iteratorINS8_10device_ptrIiEEEESD_ZNS1_13binary_searchIS3_S5_SD_SD_SD_NS1_21lower_bound_search_opENS9_16wrapped_functionINS0_4lessIvEEbEEEE10hipError_tPvRmT1_T2_T3_mmT4_T5_P12ihipStream_tbEUlRKiE_EESK_SO_SP_mSQ_ST_bEUlT_E_NS1_11comp_targetILNS1_3genE9ELNS1_11target_archE1100ELNS1_3gpuE3ELNS1_3repE0EEENS1_30default_config_static_selectorELNS0_4arch9wavefront6targetE0EEEvSN_.num_named_barrier, 0
	.set _ZN7rocprim17ROCPRIM_400000_NS6detail17trampoline_kernelINS0_14default_configENS1_27lower_bound_config_selectorIiiEEZNS1_14transform_implILb0ES3_S5_N6thrust23THRUST_200600_302600_NS6detail15normal_iteratorINS8_10device_ptrIiEEEESD_ZNS1_13binary_searchIS3_S5_SD_SD_SD_NS1_21lower_bound_search_opENS9_16wrapped_functionINS0_4lessIvEEbEEEE10hipError_tPvRmT1_T2_T3_mmT4_T5_P12ihipStream_tbEUlRKiE_EESK_SO_SP_mSQ_ST_bEUlT_E_NS1_11comp_targetILNS1_3genE9ELNS1_11target_archE1100ELNS1_3gpuE3ELNS1_3repE0EEENS1_30default_config_static_selectorELNS0_4arch9wavefront6targetE0EEEvSN_.private_seg_size, 0
	.set _ZN7rocprim17ROCPRIM_400000_NS6detail17trampoline_kernelINS0_14default_configENS1_27lower_bound_config_selectorIiiEEZNS1_14transform_implILb0ES3_S5_N6thrust23THRUST_200600_302600_NS6detail15normal_iteratorINS8_10device_ptrIiEEEESD_ZNS1_13binary_searchIS3_S5_SD_SD_SD_NS1_21lower_bound_search_opENS9_16wrapped_functionINS0_4lessIvEEbEEEE10hipError_tPvRmT1_T2_T3_mmT4_T5_P12ihipStream_tbEUlRKiE_EESK_SO_SP_mSQ_ST_bEUlT_E_NS1_11comp_targetILNS1_3genE9ELNS1_11target_archE1100ELNS1_3gpuE3ELNS1_3repE0EEENS1_30default_config_static_selectorELNS0_4arch9wavefront6targetE0EEEvSN_.uses_vcc, 0
	.set _ZN7rocprim17ROCPRIM_400000_NS6detail17trampoline_kernelINS0_14default_configENS1_27lower_bound_config_selectorIiiEEZNS1_14transform_implILb0ES3_S5_N6thrust23THRUST_200600_302600_NS6detail15normal_iteratorINS8_10device_ptrIiEEEESD_ZNS1_13binary_searchIS3_S5_SD_SD_SD_NS1_21lower_bound_search_opENS9_16wrapped_functionINS0_4lessIvEEbEEEE10hipError_tPvRmT1_T2_T3_mmT4_T5_P12ihipStream_tbEUlRKiE_EESK_SO_SP_mSQ_ST_bEUlT_E_NS1_11comp_targetILNS1_3genE9ELNS1_11target_archE1100ELNS1_3gpuE3ELNS1_3repE0EEENS1_30default_config_static_selectorELNS0_4arch9wavefront6targetE0EEEvSN_.uses_flat_scratch, 0
	.set _ZN7rocprim17ROCPRIM_400000_NS6detail17trampoline_kernelINS0_14default_configENS1_27lower_bound_config_selectorIiiEEZNS1_14transform_implILb0ES3_S5_N6thrust23THRUST_200600_302600_NS6detail15normal_iteratorINS8_10device_ptrIiEEEESD_ZNS1_13binary_searchIS3_S5_SD_SD_SD_NS1_21lower_bound_search_opENS9_16wrapped_functionINS0_4lessIvEEbEEEE10hipError_tPvRmT1_T2_T3_mmT4_T5_P12ihipStream_tbEUlRKiE_EESK_SO_SP_mSQ_ST_bEUlT_E_NS1_11comp_targetILNS1_3genE9ELNS1_11target_archE1100ELNS1_3gpuE3ELNS1_3repE0EEENS1_30default_config_static_selectorELNS0_4arch9wavefront6targetE0EEEvSN_.has_dyn_sized_stack, 0
	.set _ZN7rocprim17ROCPRIM_400000_NS6detail17trampoline_kernelINS0_14default_configENS1_27lower_bound_config_selectorIiiEEZNS1_14transform_implILb0ES3_S5_N6thrust23THRUST_200600_302600_NS6detail15normal_iteratorINS8_10device_ptrIiEEEESD_ZNS1_13binary_searchIS3_S5_SD_SD_SD_NS1_21lower_bound_search_opENS9_16wrapped_functionINS0_4lessIvEEbEEEE10hipError_tPvRmT1_T2_T3_mmT4_T5_P12ihipStream_tbEUlRKiE_EESK_SO_SP_mSQ_ST_bEUlT_E_NS1_11comp_targetILNS1_3genE9ELNS1_11target_archE1100ELNS1_3gpuE3ELNS1_3repE0EEENS1_30default_config_static_selectorELNS0_4arch9wavefront6targetE0EEEvSN_.has_recursion, 0
	.set _ZN7rocprim17ROCPRIM_400000_NS6detail17trampoline_kernelINS0_14default_configENS1_27lower_bound_config_selectorIiiEEZNS1_14transform_implILb0ES3_S5_N6thrust23THRUST_200600_302600_NS6detail15normal_iteratorINS8_10device_ptrIiEEEESD_ZNS1_13binary_searchIS3_S5_SD_SD_SD_NS1_21lower_bound_search_opENS9_16wrapped_functionINS0_4lessIvEEbEEEE10hipError_tPvRmT1_T2_T3_mmT4_T5_P12ihipStream_tbEUlRKiE_EESK_SO_SP_mSQ_ST_bEUlT_E_NS1_11comp_targetILNS1_3genE9ELNS1_11target_archE1100ELNS1_3gpuE3ELNS1_3repE0EEENS1_30default_config_static_selectorELNS0_4arch9wavefront6targetE0EEEvSN_.has_indirect_call, 0
	.section	.AMDGPU.csdata,"",@progbits
; Kernel info:
; codeLenInByte = 0
; TotalNumSgprs: 0
; NumVgprs: 0
; ScratchSize: 0
; MemoryBound: 0
; FloatMode: 240
; IeeeMode: 1
; LDSByteSize: 0 bytes/workgroup (compile time only)
; SGPRBlocks: 0
; VGPRBlocks: 0
; NumSGPRsForWavesPerEU: 1
; NumVGPRsForWavesPerEU: 1
; Occupancy: 16
; WaveLimiterHint : 0
; COMPUTE_PGM_RSRC2:SCRATCH_EN: 0
; COMPUTE_PGM_RSRC2:USER_SGPR: 6
; COMPUTE_PGM_RSRC2:TRAP_HANDLER: 0
; COMPUTE_PGM_RSRC2:TGID_X_EN: 1
; COMPUTE_PGM_RSRC2:TGID_Y_EN: 0
; COMPUTE_PGM_RSRC2:TGID_Z_EN: 0
; COMPUTE_PGM_RSRC2:TIDIG_COMP_CNT: 0
	.section	.text._ZN7rocprim17ROCPRIM_400000_NS6detail17trampoline_kernelINS0_14default_configENS1_27lower_bound_config_selectorIiiEEZNS1_14transform_implILb0ES3_S5_N6thrust23THRUST_200600_302600_NS6detail15normal_iteratorINS8_10device_ptrIiEEEESD_ZNS1_13binary_searchIS3_S5_SD_SD_SD_NS1_21lower_bound_search_opENS9_16wrapped_functionINS0_4lessIvEEbEEEE10hipError_tPvRmT1_T2_T3_mmT4_T5_P12ihipStream_tbEUlRKiE_EESK_SO_SP_mSQ_ST_bEUlT_E_NS1_11comp_targetILNS1_3genE8ELNS1_11target_archE1030ELNS1_3gpuE2ELNS1_3repE0EEENS1_30default_config_static_selectorELNS0_4arch9wavefront6targetE0EEEvSN_,"axG",@progbits,_ZN7rocprim17ROCPRIM_400000_NS6detail17trampoline_kernelINS0_14default_configENS1_27lower_bound_config_selectorIiiEEZNS1_14transform_implILb0ES3_S5_N6thrust23THRUST_200600_302600_NS6detail15normal_iteratorINS8_10device_ptrIiEEEESD_ZNS1_13binary_searchIS3_S5_SD_SD_SD_NS1_21lower_bound_search_opENS9_16wrapped_functionINS0_4lessIvEEbEEEE10hipError_tPvRmT1_T2_T3_mmT4_T5_P12ihipStream_tbEUlRKiE_EESK_SO_SP_mSQ_ST_bEUlT_E_NS1_11comp_targetILNS1_3genE8ELNS1_11target_archE1030ELNS1_3gpuE2ELNS1_3repE0EEENS1_30default_config_static_selectorELNS0_4arch9wavefront6targetE0EEEvSN_,comdat
	.protected	_ZN7rocprim17ROCPRIM_400000_NS6detail17trampoline_kernelINS0_14default_configENS1_27lower_bound_config_selectorIiiEEZNS1_14transform_implILb0ES3_S5_N6thrust23THRUST_200600_302600_NS6detail15normal_iteratorINS8_10device_ptrIiEEEESD_ZNS1_13binary_searchIS3_S5_SD_SD_SD_NS1_21lower_bound_search_opENS9_16wrapped_functionINS0_4lessIvEEbEEEE10hipError_tPvRmT1_T2_T3_mmT4_T5_P12ihipStream_tbEUlRKiE_EESK_SO_SP_mSQ_ST_bEUlT_E_NS1_11comp_targetILNS1_3genE8ELNS1_11target_archE1030ELNS1_3gpuE2ELNS1_3repE0EEENS1_30default_config_static_selectorELNS0_4arch9wavefront6targetE0EEEvSN_ ; -- Begin function _ZN7rocprim17ROCPRIM_400000_NS6detail17trampoline_kernelINS0_14default_configENS1_27lower_bound_config_selectorIiiEEZNS1_14transform_implILb0ES3_S5_N6thrust23THRUST_200600_302600_NS6detail15normal_iteratorINS8_10device_ptrIiEEEESD_ZNS1_13binary_searchIS3_S5_SD_SD_SD_NS1_21lower_bound_search_opENS9_16wrapped_functionINS0_4lessIvEEbEEEE10hipError_tPvRmT1_T2_T3_mmT4_T5_P12ihipStream_tbEUlRKiE_EESK_SO_SP_mSQ_ST_bEUlT_E_NS1_11comp_targetILNS1_3genE8ELNS1_11target_archE1030ELNS1_3gpuE2ELNS1_3repE0EEENS1_30default_config_static_selectorELNS0_4arch9wavefront6targetE0EEEvSN_
	.globl	_ZN7rocprim17ROCPRIM_400000_NS6detail17trampoline_kernelINS0_14default_configENS1_27lower_bound_config_selectorIiiEEZNS1_14transform_implILb0ES3_S5_N6thrust23THRUST_200600_302600_NS6detail15normal_iteratorINS8_10device_ptrIiEEEESD_ZNS1_13binary_searchIS3_S5_SD_SD_SD_NS1_21lower_bound_search_opENS9_16wrapped_functionINS0_4lessIvEEbEEEE10hipError_tPvRmT1_T2_T3_mmT4_T5_P12ihipStream_tbEUlRKiE_EESK_SO_SP_mSQ_ST_bEUlT_E_NS1_11comp_targetILNS1_3genE8ELNS1_11target_archE1030ELNS1_3gpuE2ELNS1_3repE0EEENS1_30default_config_static_selectorELNS0_4arch9wavefront6targetE0EEEvSN_
	.p2align	8
	.type	_ZN7rocprim17ROCPRIM_400000_NS6detail17trampoline_kernelINS0_14default_configENS1_27lower_bound_config_selectorIiiEEZNS1_14transform_implILb0ES3_S5_N6thrust23THRUST_200600_302600_NS6detail15normal_iteratorINS8_10device_ptrIiEEEESD_ZNS1_13binary_searchIS3_S5_SD_SD_SD_NS1_21lower_bound_search_opENS9_16wrapped_functionINS0_4lessIvEEbEEEE10hipError_tPvRmT1_T2_T3_mmT4_T5_P12ihipStream_tbEUlRKiE_EESK_SO_SP_mSQ_ST_bEUlT_E_NS1_11comp_targetILNS1_3genE8ELNS1_11target_archE1030ELNS1_3gpuE2ELNS1_3repE0EEENS1_30default_config_static_selectorELNS0_4arch9wavefront6targetE0EEEvSN_,@function
_ZN7rocprim17ROCPRIM_400000_NS6detail17trampoline_kernelINS0_14default_configENS1_27lower_bound_config_selectorIiiEEZNS1_14transform_implILb0ES3_S5_N6thrust23THRUST_200600_302600_NS6detail15normal_iteratorINS8_10device_ptrIiEEEESD_ZNS1_13binary_searchIS3_S5_SD_SD_SD_NS1_21lower_bound_search_opENS9_16wrapped_functionINS0_4lessIvEEbEEEE10hipError_tPvRmT1_T2_T3_mmT4_T5_P12ihipStream_tbEUlRKiE_EESK_SO_SP_mSQ_ST_bEUlT_E_NS1_11comp_targetILNS1_3genE8ELNS1_11target_archE1030ELNS1_3gpuE2ELNS1_3repE0EEENS1_30default_config_static_selectorELNS0_4arch9wavefront6targetE0EEEvSN_: ; @_ZN7rocprim17ROCPRIM_400000_NS6detail17trampoline_kernelINS0_14default_configENS1_27lower_bound_config_selectorIiiEEZNS1_14transform_implILb0ES3_S5_N6thrust23THRUST_200600_302600_NS6detail15normal_iteratorINS8_10device_ptrIiEEEESD_ZNS1_13binary_searchIS3_S5_SD_SD_SD_NS1_21lower_bound_search_opENS9_16wrapped_functionINS0_4lessIvEEbEEEE10hipError_tPvRmT1_T2_T3_mmT4_T5_P12ihipStream_tbEUlRKiE_EESK_SO_SP_mSQ_ST_bEUlT_E_NS1_11comp_targetILNS1_3genE8ELNS1_11target_archE1030ELNS1_3gpuE2ELNS1_3repE0EEENS1_30default_config_static_selectorELNS0_4arch9wavefront6targetE0EEEvSN_
; %bb.0:
	s_clause 0x3
	s_load_dwordx4 s[8:11], s[4:5], 0x0
	s_load_dword s15, s[4:5], 0x38
	s_load_dwordx2 s[12:13], s[4:5], 0x28
	s_load_dwordx4 s[0:3], s[4:5], 0x18
	s_waitcnt lgkmcnt(0)
	s_lshl_b64 s[10:11], s[10:11], 2
	s_add_u32 s7, s8, s10
	s_addc_u32 s14, s9, s11
	s_add_i32 s15, s15, -1
	s_lshl_b32 s8, s6, 8
	s_mov_b32 s9, 0
	s_cmp_lg_u32 s6, s15
	s_mov_b32 s15, -1
	s_cbranch_scc0 .LBB449_6
; %bb.1:
	v_mov_b32_e32 v1, 0
	s_cmp_eq_u64 s[12:13], 0
	v_mov_b32_e32 v2, v1
	s_cbranch_scc1 .LBB449_5
; %bb.2:
	v_lshlrev_b32_e32 v2, 2, v0
	s_lshl_b64 s[16:17], s[8:9], 2
	v_mov_b32_e32 v4, s12
	s_add_u32 s6, s7, s16
	s_addc_u32 s15, s14, s17
	v_add_co_u32 v2, s6, s6, v2
	v_add_co_ci_u32_e64 v3, null, s15, 0, s6
	v_mov_b32_e32 v5, s13
	s_mov_b32 s6, 0
	flat_load_dword v6, v[2:3]
	v_mov_b32_e32 v2, 0
	v_mov_b32_e32 v3, 0
	s_inst_prefetch 0x1
	.p2align	6
.LBB449_3:                              ; =>This Inner Loop Header: Depth=1
	v_sub_co_u32 v7, vcc_lo, v4, v2
	v_sub_co_ci_u32_e64 v8, null, v5, v3, vcc_lo
	v_lshrrev_b64 v[9:10], 1, v[7:8]
	v_lshrrev_b64 v[7:8], 6, v[7:8]
	v_add_co_u32 v9, vcc_lo, v9, v2
	v_add_co_ci_u32_e64 v10, null, v10, v3, vcc_lo
	v_add_co_u32 v7, vcc_lo, v9, v7
	v_add_co_ci_u32_e64 v8, null, v10, v8, vcc_lo
	v_lshlrev_b64 v[9:10], 2, v[7:8]
	v_add_co_u32 v9, vcc_lo, s2, v9
	v_add_co_ci_u32_e64 v10, null, s3, v10, vcc_lo
	global_load_dword v9, v[9:10], off
	v_add_co_u32 v10, vcc_lo, v7, 1
	v_add_co_ci_u32_e64 v11, null, 0, v8, vcc_lo
	s_waitcnt vmcnt(0) lgkmcnt(0)
	v_cmp_lt_i32_e32 vcc_lo, v9, v6
	v_cndmask_b32_e32 v5, v8, v5, vcc_lo
	v_cndmask_b32_e32 v4, v7, v4, vcc_lo
	;; [unrolled: 1-line block ×4, first 2 shown]
	v_cmp_ge_u64_e32 vcc_lo, v[2:3], v[4:5]
	s_or_b32 s6, vcc_lo, s6
	s_andn2_b32 exec_lo, exec_lo, s6
	s_cbranch_execnz .LBB449_3
; %bb.4:
	s_inst_prefetch 0x2
	s_or_b32 exec_lo, exec_lo, s6
.LBB449_5:
	s_mov_b32 s6, -1
	s_cbranch_execz .LBB449_7
	s_branch .LBB449_14
.LBB449_6:
	s_mov_b32 s6, s9
                                        ; implicit-def: $vgpr2
	s_andn2_b32 vcc_lo, exec_lo, s15
	s_cbranch_vccnz .LBB449_14
.LBB449_7:
	s_load_dword s4, s[4:5], 0x10
                                        ; implicit-def: $vgpr2
	s_waitcnt lgkmcnt(0)
	s_sub_i32 s4, s4, s8
	v_cmp_gt_u32_e32 vcc_lo, s4, v0
	s_and_saveexec_b32 s4, vcc_lo
	s_cbranch_execz .LBB449_13
; %bb.8:
	v_mov_b32_e32 v1, 0
	s_cmp_eq_u64 s[12:13], 0
	v_mov_b32_e32 v2, v1
	s_cbranch_scc1 .LBB449_12
; %bb.9:
	v_lshlrev_b32_e32 v2, 2, v0
	s_lshl_b64 s[16:17], s[8:9], 2
	v_mov_b32_e32 v4, s12
	s_add_u32 s5, s7, s16
	s_addc_u32 s7, s14, s17
	v_add_co_u32 v2, s5, s5, v2
	v_add_co_ci_u32_e64 v3, null, s7, 0, s5
	v_mov_b32_e32 v5, s13
	s_mov_b32 s5, 0
	flat_load_dword v6, v[2:3]
	v_mov_b32_e32 v2, 0
	v_mov_b32_e32 v3, 0
	s_inst_prefetch 0x1
	.p2align	6
.LBB449_10:                             ; =>This Inner Loop Header: Depth=1
	v_sub_co_u32 v7, vcc_lo, v4, v2
	v_sub_co_ci_u32_e64 v8, null, v5, v3, vcc_lo
	v_lshrrev_b64 v[9:10], 1, v[7:8]
	v_lshrrev_b64 v[7:8], 6, v[7:8]
	v_add_co_u32 v9, vcc_lo, v9, v2
	v_add_co_ci_u32_e64 v10, null, v10, v3, vcc_lo
	v_add_co_u32 v7, vcc_lo, v9, v7
	v_add_co_ci_u32_e64 v8, null, v10, v8, vcc_lo
	v_lshlrev_b64 v[9:10], 2, v[7:8]
	v_add_co_u32 v9, vcc_lo, s2, v9
	v_add_co_ci_u32_e64 v10, null, s3, v10, vcc_lo
	global_load_dword v9, v[9:10], off
	v_add_co_u32 v10, vcc_lo, v7, 1
	v_add_co_ci_u32_e64 v11, null, 0, v8, vcc_lo
	s_waitcnt vmcnt(0) lgkmcnt(0)
	v_cmp_lt_i32_e32 vcc_lo, v9, v6
	v_cndmask_b32_e32 v5, v8, v5, vcc_lo
	v_cndmask_b32_e32 v4, v7, v4, vcc_lo
	;; [unrolled: 1-line block ×4, first 2 shown]
	v_cmp_ge_u64_e32 vcc_lo, v[2:3], v[4:5]
	s_or_b32 s5, vcc_lo, s5
	s_andn2_b32 exec_lo, exec_lo, s5
	s_cbranch_execnz .LBB449_10
; %bb.11:
	s_inst_prefetch 0x2
	s_or_b32 exec_lo, exec_lo, s5
.LBB449_12:
	s_or_b32 s6, s6, exec_lo
.LBB449_13:
	s_or_b32 exec_lo, exec_lo, s4
.LBB449_14:
	s_and_saveexec_b32 s2, s6
	s_cbranch_execnz .LBB449_16
; %bb.15:
	s_endpgm
.LBB449_16:
	v_lshlrev_b64 v[0:1], 2, v[0:1]
	s_add_u32 s2, s0, s10
	s_addc_u32 s3, s1, s11
	s_lshl_b64 s[0:1], s[8:9], 2
	s_add_u32 s0, s2, s0
	s_addc_u32 s1, s3, s1
	v_add_co_u32 v0, vcc_lo, s0, v0
	v_add_co_ci_u32_e64 v1, null, s1, v1, vcc_lo
	flat_store_dword v[0:1], v2
	s_endpgm
	.section	.rodata,"a",@progbits
	.p2align	6, 0x0
	.amdhsa_kernel _ZN7rocprim17ROCPRIM_400000_NS6detail17trampoline_kernelINS0_14default_configENS1_27lower_bound_config_selectorIiiEEZNS1_14transform_implILb0ES3_S5_N6thrust23THRUST_200600_302600_NS6detail15normal_iteratorINS8_10device_ptrIiEEEESD_ZNS1_13binary_searchIS3_S5_SD_SD_SD_NS1_21lower_bound_search_opENS9_16wrapped_functionINS0_4lessIvEEbEEEE10hipError_tPvRmT1_T2_T3_mmT4_T5_P12ihipStream_tbEUlRKiE_EESK_SO_SP_mSQ_ST_bEUlT_E_NS1_11comp_targetILNS1_3genE8ELNS1_11target_archE1030ELNS1_3gpuE2ELNS1_3repE0EEENS1_30default_config_static_selectorELNS0_4arch9wavefront6targetE0EEEvSN_
		.amdhsa_group_segment_fixed_size 0
		.amdhsa_private_segment_fixed_size 0
		.amdhsa_kernarg_size 312
		.amdhsa_user_sgpr_count 6
		.amdhsa_user_sgpr_private_segment_buffer 1
		.amdhsa_user_sgpr_dispatch_ptr 0
		.amdhsa_user_sgpr_queue_ptr 0
		.amdhsa_user_sgpr_kernarg_segment_ptr 1
		.amdhsa_user_sgpr_dispatch_id 0
		.amdhsa_user_sgpr_flat_scratch_init 0
		.amdhsa_user_sgpr_private_segment_size 0
		.amdhsa_wavefront_size32 1
		.amdhsa_uses_dynamic_stack 0
		.amdhsa_system_sgpr_private_segment_wavefront_offset 0
		.amdhsa_system_sgpr_workgroup_id_x 1
		.amdhsa_system_sgpr_workgroup_id_y 0
		.amdhsa_system_sgpr_workgroup_id_z 0
		.amdhsa_system_sgpr_workgroup_info 0
		.amdhsa_system_vgpr_workitem_id 0
		.amdhsa_next_free_vgpr 12
		.amdhsa_next_free_sgpr 18
		.amdhsa_reserve_vcc 1
		.amdhsa_reserve_flat_scratch 0
		.amdhsa_float_round_mode_32 0
		.amdhsa_float_round_mode_16_64 0
		.amdhsa_float_denorm_mode_32 3
		.amdhsa_float_denorm_mode_16_64 3
		.amdhsa_dx10_clamp 1
		.amdhsa_ieee_mode 1
		.amdhsa_fp16_overflow 0
		.amdhsa_workgroup_processor_mode 1
		.amdhsa_memory_ordered 1
		.amdhsa_forward_progress 1
		.amdhsa_shared_vgpr_count 0
		.amdhsa_exception_fp_ieee_invalid_op 0
		.amdhsa_exception_fp_denorm_src 0
		.amdhsa_exception_fp_ieee_div_zero 0
		.amdhsa_exception_fp_ieee_overflow 0
		.amdhsa_exception_fp_ieee_underflow 0
		.amdhsa_exception_fp_ieee_inexact 0
		.amdhsa_exception_int_div_zero 0
	.end_amdhsa_kernel
	.section	.text._ZN7rocprim17ROCPRIM_400000_NS6detail17trampoline_kernelINS0_14default_configENS1_27lower_bound_config_selectorIiiEEZNS1_14transform_implILb0ES3_S5_N6thrust23THRUST_200600_302600_NS6detail15normal_iteratorINS8_10device_ptrIiEEEESD_ZNS1_13binary_searchIS3_S5_SD_SD_SD_NS1_21lower_bound_search_opENS9_16wrapped_functionINS0_4lessIvEEbEEEE10hipError_tPvRmT1_T2_T3_mmT4_T5_P12ihipStream_tbEUlRKiE_EESK_SO_SP_mSQ_ST_bEUlT_E_NS1_11comp_targetILNS1_3genE8ELNS1_11target_archE1030ELNS1_3gpuE2ELNS1_3repE0EEENS1_30default_config_static_selectorELNS0_4arch9wavefront6targetE0EEEvSN_,"axG",@progbits,_ZN7rocprim17ROCPRIM_400000_NS6detail17trampoline_kernelINS0_14default_configENS1_27lower_bound_config_selectorIiiEEZNS1_14transform_implILb0ES3_S5_N6thrust23THRUST_200600_302600_NS6detail15normal_iteratorINS8_10device_ptrIiEEEESD_ZNS1_13binary_searchIS3_S5_SD_SD_SD_NS1_21lower_bound_search_opENS9_16wrapped_functionINS0_4lessIvEEbEEEE10hipError_tPvRmT1_T2_T3_mmT4_T5_P12ihipStream_tbEUlRKiE_EESK_SO_SP_mSQ_ST_bEUlT_E_NS1_11comp_targetILNS1_3genE8ELNS1_11target_archE1030ELNS1_3gpuE2ELNS1_3repE0EEENS1_30default_config_static_selectorELNS0_4arch9wavefront6targetE0EEEvSN_,comdat
.Lfunc_end449:
	.size	_ZN7rocprim17ROCPRIM_400000_NS6detail17trampoline_kernelINS0_14default_configENS1_27lower_bound_config_selectorIiiEEZNS1_14transform_implILb0ES3_S5_N6thrust23THRUST_200600_302600_NS6detail15normal_iteratorINS8_10device_ptrIiEEEESD_ZNS1_13binary_searchIS3_S5_SD_SD_SD_NS1_21lower_bound_search_opENS9_16wrapped_functionINS0_4lessIvEEbEEEE10hipError_tPvRmT1_T2_T3_mmT4_T5_P12ihipStream_tbEUlRKiE_EESK_SO_SP_mSQ_ST_bEUlT_E_NS1_11comp_targetILNS1_3genE8ELNS1_11target_archE1030ELNS1_3gpuE2ELNS1_3repE0EEENS1_30default_config_static_selectorELNS0_4arch9wavefront6targetE0EEEvSN_, .Lfunc_end449-_ZN7rocprim17ROCPRIM_400000_NS6detail17trampoline_kernelINS0_14default_configENS1_27lower_bound_config_selectorIiiEEZNS1_14transform_implILb0ES3_S5_N6thrust23THRUST_200600_302600_NS6detail15normal_iteratorINS8_10device_ptrIiEEEESD_ZNS1_13binary_searchIS3_S5_SD_SD_SD_NS1_21lower_bound_search_opENS9_16wrapped_functionINS0_4lessIvEEbEEEE10hipError_tPvRmT1_T2_T3_mmT4_T5_P12ihipStream_tbEUlRKiE_EESK_SO_SP_mSQ_ST_bEUlT_E_NS1_11comp_targetILNS1_3genE8ELNS1_11target_archE1030ELNS1_3gpuE2ELNS1_3repE0EEENS1_30default_config_static_selectorELNS0_4arch9wavefront6targetE0EEEvSN_
                                        ; -- End function
	.set _ZN7rocprim17ROCPRIM_400000_NS6detail17trampoline_kernelINS0_14default_configENS1_27lower_bound_config_selectorIiiEEZNS1_14transform_implILb0ES3_S5_N6thrust23THRUST_200600_302600_NS6detail15normal_iteratorINS8_10device_ptrIiEEEESD_ZNS1_13binary_searchIS3_S5_SD_SD_SD_NS1_21lower_bound_search_opENS9_16wrapped_functionINS0_4lessIvEEbEEEE10hipError_tPvRmT1_T2_T3_mmT4_T5_P12ihipStream_tbEUlRKiE_EESK_SO_SP_mSQ_ST_bEUlT_E_NS1_11comp_targetILNS1_3genE8ELNS1_11target_archE1030ELNS1_3gpuE2ELNS1_3repE0EEENS1_30default_config_static_selectorELNS0_4arch9wavefront6targetE0EEEvSN_.num_vgpr, 12
	.set _ZN7rocprim17ROCPRIM_400000_NS6detail17trampoline_kernelINS0_14default_configENS1_27lower_bound_config_selectorIiiEEZNS1_14transform_implILb0ES3_S5_N6thrust23THRUST_200600_302600_NS6detail15normal_iteratorINS8_10device_ptrIiEEEESD_ZNS1_13binary_searchIS3_S5_SD_SD_SD_NS1_21lower_bound_search_opENS9_16wrapped_functionINS0_4lessIvEEbEEEE10hipError_tPvRmT1_T2_T3_mmT4_T5_P12ihipStream_tbEUlRKiE_EESK_SO_SP_mSQ_ST_bEUlT_E_NS1_11comp_targetILNS1_3genE8ELNS1_11target_archE1030ELNS1_3gpuE2ELNS1_3repE0EEENS1_30default_config_static_selectorELNS0_4arch9wavefront6targetE0EEEvSN_.num_agpr, 0
	.set _ZN7rocprim17ROCPRIM_400000_NS6detail17trampoline_kernelINS0_14default_configENS1_27lower_bound_config_selectorIiiEEZNS1_14transform_implILb0ES3_S5_N6thrust23THRUST_200600_302600_NS6detail15normal_iteratorINS8_10device_ptrIiEEEESD_ZNS1_13binary_searchIS3_S5_SD_SD_SD_NS1_21lower_bound_search_opENS9_16wrapped_functionINS0_4lessIvEEbEEEE10hipError_tPvRmT1_T2_T3_mmT4_T5_P12ihipStream_tbEUlRKiE_EESK_SO_SP_mSQ_ST_bEUlT_E_NS1_11comp_targetILNS1_3genE8ELNS1_11target_archE1030ELNS1_3gpuE2ELNS1_3repE0EEENS1_30default_config_static_selectorELNS0_4arch9wavefront6targetE0EEEvSN_.numbered_sgpr, 18
	.set _ZN7rocprim17ROCPRIM_400000_NS6detail17trampoline_kernelINS0_14default_configENS1_27lower_bound_config_selectorIiiEEZNS1_14transform_implILb0ES3_S5_N6thrust23THRUST_200600_302600_NS6detail15normal_iteratorINS8_10device_ptrIiEEEESD_ZNS1_13binary_searchIS3_S5_SD_SD_SD_NS1_21lower_bound_search_opENS9_16wrapped_functionINS0_4lessIvEEbEEEE10hipError_tPvRmT1_T2_T3_mmT4_T5_P12ihipStream_tbEUlRKiE_EESK_SO_SP_mSQ_ST_bEUlT_E_NS1_11comp_targetILNS1_3genE8ELNS1_11target_archE1030ELNS1_3gpuE2ELNS1_3repE0EEENS1_30default_config_static_selectorELNS0_4arch9wavefront6targetE0EEEvSN_.num_named_barrier, 0
	.set _ZN7rocprim17ROCPRIM_400000_NS6detail17trampoline_kernelINS0_14default_configENS1_27lower_bound_config_selectorIiiEEZNS1_14transform_implILb0ES3_S5_N6thrust23THRUST_200600_302600_NS6detail15normal_iteratorINS8_10device_ptrIiEEEESD_ZNS1_13binary_searchIS3_S5_SD_SD_SD_NS1_21lower_bound_search_opENS9_16wrapped_functionINS0_4lessIvEEbEEEE10hipError_tPvRmT1_T2_T3_mmT4_T5_P12ihipStream_tbEUlRKiE_EESK_SO_SP_mSQ_ST_bEUlT_E_NS1_11comp_targetILNS1_3genE8ELNS1_11target_archE1030ELNS1_3gpuE2ELNS1_3repE0EEENS1_30default_config_static_selectorELNS0_4arch9wavefront6targetE0EEEvSN_.private_seg_size, 0
	.set _ZN7rocprim17ROCPRIM_400000_NS6detail17trampoline_kernelINS0_14default_configENS1_27lower_bound_config_selectorIiiEEZNS1_14transform_implILb0ES3_S5_N6thrust23THRUST_200600_302600_NS6detail15normal_iteratorINS8_10device_ptrIiEEEESD_ZNS1_13binary_searchIS3_S5_SD_SD_SD_NS1_21lower_bound_search_opENS9_16wrapped_functionINS0_4lessIvEEbEEEE10hipError_tPvRmT1_T2_T3_mmT4_T5_P12ihipStream_tbEUlRKiE_EESK_SO_SP_mSQ_ST_bEUlT_E_NS1_11comp_targetILNS1_3genE8ELNS1_11target_archE1030ELNS1_3gpuE2ELNS1_3repE0EEENS1_30default_config_static_selectorELNS0_4arch9wavefront6targetE0EEEvSN_.uses_vcc, 1
	.set _ZN7rocprim17ROCPRIM_400000_NS6detail17trampoline_kernelINS0_14default_configENS1_27lower_bound_config_selectorIiiEEZNS1_14transform_implILb0ES3_S5_N6thrust23THRUST_200600_302600_NS6detail15normal_iteratorINS8_10device_ptrIiEEEESD_ZNS1_13binary_searchIS3_S5_SD_SD_SD_NS1_21lower_bound_search_opENS9_16wrapped_functionINS0_4lessIvEEbEEEE10hipError_tPvRmT1_T2_T3_mmT4_T5_P12ihipStream_tbEUlRKiE_EESK_SO_SP_mSQ_ST_bEUlT_E_NS1_11comp_targetILNS1_3genE8ELNS1_11target_archE1030ELNS1_3gpuE2ELNS1_3repE0EEENS1_30default_config_static_selectorELNS0_4arch9wavefront6targetE0EEEvSN_.uses_flat_scratch, 0
	.set _ZN7rocprim17ROCPRIM_400000_NS6detail17trampoline_kernelINS0_14default_configENS1_27lower_bound_config_selectorIiiEEZNS1_14transform_implILb0ES3_S5_N6thrust23THRUST_200600_302600_NS6detail15normal_iteratorINS8_10device_ptrIiEEEESD_ZNS1_13binary_searchIS3_S5_SD_SD_SD_NS1_21lower_bound_search_opENS9_16wrapped_functionINS0_4lessIvEEbEEEE10hipError_tPvRmT1_T2_T3_mmT4_T5_P12ihipStream_tbEUlRKiE_EESK_SO_SP_mSQ_ST_bEUlT_E_NS1_11comp_targetILNS1_3genE8ELNS1_11target_archE1030ELNS1_3gpuE2ELNS1_3repE0EEENS1_30default_config_static_selectorELNS0_4arch9wavefront6targetE0EEEvSN_.has_dyn_sized_stack, 0
	.set _ZN7rocprim17ROCPRIM_400000_NS6detail17trampoline_kernelINS0_14default_configENS1_27lower_bound_config_selectorIiiEEZNS1_14transform_implILb0ES3_S5_N6thrust23THRUST_200600_302600_NS6detail15normal_iteratorINS8_10device_ptrIiEEEESD_ZNS1_13binary_searchIS3_S5_SD_SD_SD_NS1_21lower_bound_search_opENS9_16wrapped_functionINS0_4lessIvEEbEEEE10hipError_tPvRmT1_T2_T3_mmT4_T5_P12ihipStream_tbEUlRKiE_EESK_SO_SP_mSQ_ST_bEUlT_E_NS1_11comp_targetILNS1_3genE8ELNS1_11target_archE1030ELNS1_3gpuE2ELNS1_3repE0EEENS1_30default_config_static_selectorELNS0_4arch9wavefront6targetE0EEEvSN_.has_recursion, 0
	.set _ZN7rocprim17ROCPRIM_400000_NS6detail17trampoline_kernelINS0_14default_configENS1_27lower_bound_config_selectorIiiEEZNS1_14transform_implILb0ES3_S5_N6thrust23THRUST_200600_302600_NS6detail15normal_iteratorINS8_10device_ptrIiEEEESD_ZNS1_13binary_searchIS3_S5_SD_SD_SD_NS1_21lower_bound_search_opENS9_16wrapped_functionINS0_4lessIvEEbEEEE10hipError_tPvRmT1_T2_T3_mmT4_T5_P12ihipStream_tbEUlRKiE_EESK_SO_SP_mSQ_ST_bEUlT_E_NS1_11comp_targetILNS1_3genE8ELNS1_11target_archE1030ELNS1_3gpuE2ELNS1_3repE0EEENS1_30default_config_static_selectorELNS0_4arch9wavefront6targetE0EEEvSN_.has_indirect_call, 0
	.section	.AMDGPU.csdata,"",@progbits
; Kernel info:
; codeLenInByte = 748
; TotalNumSgprs: 20
; NumVgprs: 12
; ScratchSize: 0
; MemoryBound: 0
; FloatMode: 240
; IeeeMode: 1
; LDSByteSize: 0 bytes/workgroup (compile time only)
; SGPRBlocks: 0
; VGPRBlocks: 1
; NumSGPRsForWavesPerEU: 20
; NumVGPRsForWavesPerEU: 12
; Occupancy: 16
; WaveLimiterHint : 0
; COMPUTE_PGM_RSRC2:SCRATCH_EN: 0
; COMPUTE_PGM_RSRC2:USER_SGPR: 6
; COMPUTE_PGM_RSRC2:TRAP_HANDLER: 0
; COMPUTE_PGM_RSRC2:TGID_X_EN: 1
; COMPUTE_PGM_RSRC2:TGID_Y_EN: 0
; COMPUTE_PGM_RSRC2:TGID_Z_EN: 0
; COMPUTE_PGM_RSRC2:TIDIG_COMP_CNT: 0
	.section	.text._ZN7rocprim17ROCPRIM_400000_NS6detail17trampoline_kernelINS0_14default_configENS1_22reduce_config_selectorIN6thrust23THRUST_200600_302600_NS5tupleIblNS6_9null_typeES8_S8_S8_S8_S8_S8_S8_EEEEZNS1_11reduce_implILb1ES3_PS9_SC_S9_NS6_11hip_rocprim9__find_if7functorIS9_EEEE10hipError_tPvRmT1_T2_T3_mT4_P12ihipStream_tbEUlT_E0_NS1_11comp_targetILNS1_3genE0ELNS1_11target_archE4294967295ELNS1_3gpuE0ELNS1_3repE0EEENS1_30default_config_static_selectorELNS0_4arch9wavefront6targetE0EEEvSK_,"axG",@progbits,_ZN7rocprim17ROCPRIM_400000_NS6detail17trampoline_kernelINS0_14default_configENS1_22reduce_config_selectorIN6thrust23THRUST_200600_302600_NS5tupleIblNS6_9null_typeES8_S8_S8_S8_S8_S8_S8_EEEEZNS1_11reduce_implILb1ES3_PS9_SC_S9_NS6_11hip_rocprim9__find_if7functorIS9_EEEE10hipError_tPvRmT1_T2_T3_mT4_P12ihipStream_tbEUlT_E0_NS1_11comp_targetILNS1_3genE0ELNS1_11target_archE4294967295ELNS1_3gpuE0ELNS1_3repE0EEENS1_30default_config_static_selectorELNS0_4arch9wavefront6targetE0EEEvSK_,comdat
	.protected	_ZN7rocprim17ROCPRIM_400000_NS6detail17trampoline_kernelINS0_14default_configENS1_22reduce_config_selectorIN6thrust23THRUST_200600_302600_NS5tupleIblNS6_9null_typeES8_S8_S8_S8_S8_S8_S8_EEEEZNS1_11reduce_implILb1ES3_PS9_SC_S9_NS6_11hip_rocprim9__find_if7functorIS9_EEEE10hipError_tPvRmT1_T2_T3_mT4_P12ihipStream_tbEUlT_E0_NS1_11comp_targetILNS1_3genE0ELNS1_11target_archE4294967295ELNS1_3gpuE0ELNS1_3repE0EEENS1_30default_config_static_selectorELNS0_4arch9wavefront6targetE0EEEvSK_ ; -- Begin function _ZN7rocprim17ROCPRIM_400000_NS6detail17trampoline_kernelINS0_14default_configENS1_22reduce_config_selectorIN6thrust23THRUST_200600_302600_NS5tupleIblNS6_9null_typeES8_S8_S8_S8_S8_S8_S8_EEEEZNS1_11reduce_implILb1ES3_PS9_SC_S9_NS6_11hip_rocprim9__find_if7functorIS9_EEEE10hipError_tPvRmT1_T2_T3_mT4_P12ihipStream_tbEUlT_E0_NS1_11comp_targetILNS1_3genE0ELNS1_11target_archE4294967295ELNS1_3gpuE0ELNS1_3repE0EEENS1_30default_config_static_selectorELNS0_4arch9wavefront6targetE0EEEvSK_
	.globl	_ZN7rocprim17ROCPRIM_400000_NS6detail17trampoline_kernelINS0_14default_configENS1_22reduce_config_selectorIN6thrust23THRUST_200600_302600_NS5tupleIblNS6_9null_typeES8_S8_S8_S8_S8_S8_S8_EEEEZNS1_11reduce_implILb1ES3_PS9_SC_S9_NS6_11hip_rocprim9__find_if7functorIS9_EEEE10hipError_tPvRmT1_T2_T3_mT4_P12ihipStream_tbEUlT_E0_NS1_11comp_targetILNS1_3genE0ELNS1_11target_archE4294967295ELNS1_3gpuE0ELNS1_3repE0EEENS1_30default_config_static_selectorELNS0_4arch9wavefront6targetE0EEEvSK_
	.p2align	8
	.type	_ZN7rocprim17ROCPRIM_400000_NS6detail17trampoline_kernelINS0_14default_configENS1_22reduce_config_selectorIN6thrust23THRUST_200600_302600_NS5tupleIblNS6_9null_typeES8_S8_S8_S8_S8_S8_S8_EEEEZNS1_11reduce_implILb1ES3_PS9_SC_S9_NS6_11hip_rocprim9__find_if7functorIS9_EEEE10hipError_tPvRmT1_T2_T3_mT4_P12ihipStream_tbEUlT_E0_NS1_11comp_targetILNS1_3genE0ELNS1_11target_archE4294967295ELNS1_3gpuE0ELNS1_3repE0EEENS1_30default_config_static_selectorELNS0_4arch9wavefront6targetE0EEEvSK_,@function
_ZN7rocprim17ROCPRIM_400000_NS6detail17trampoline_kernelINS0_14default_configENS1_22reduce_config_selectorIN6thrust23THRUST_200600_302600_NS5tupleIblNS6_9null_typeES8_S8_S8_S8_S8_S8_S8_EEEEZNS1_11reduce_implILb1ES3_PS9_SC_S9_NS6_11hip_rocprim9__find_if7functorIS9_EEEE10hipError_tPvRmT1_T2_T3_mT4_P12ihipStream_tbEUlT_E0_NS1_11comp_targetILNS1_3genE0ELNS1_11target_archE4294967295ELNS1_3gpuE0ELNS1_3repE0EEENS1_30default_config_static_selectorELNS0_4arch9wavefront6targetE0EEEvSK_: ; @_ZN7rocprim17ROCPRIM_400000_NS6detail17trampoline_kernelINS0_14default_configENS1_22reduce_config_selectorIN6thrust23THRUST_200600_302600_NS5tupleIblNS6_9null_typeES8_S8_S8_S8_S8_S8_S8_EEEEZNS1_11reduce_implILb1ES3_PS9_SC_S9_NS6_11hip_rocprim9__find_if7functorIS9_EEEE10hipError_tPvRmT1_T2_T3_mT4_P12ihipStream_tbEUlT_E0_NS1_11comp_targetILNS1_3genE0ELNS1_11target_archE4294967295ELNS1_3gpuE0ELNS1_3repE0EEENS1_30default_config_static_selectorELNS0_4arch9wavefront6targetE0EEEvSK_
; %bb.0:
	.section	.rodata,"a",@progbits
	.p2align	6, 0x0
	.amdhsa_kernel _ZN7rocprim17ROCPRIM_400000_NS6detail17trampoline_kernelINS0_14default_configENS1_22reduce_config_selectorIN6thrust23THRUST_200600_302600_NS5tupleIblNS6_9null_typeES8_S8_S8_S8_S8_S8_S8_EEEEZNS1_11reduce_implILb1ES3_PS9_SC_S9_NS6_11hip_rocprim9__find_if7functorIS9_EEEE10hipError_tPvRmT1_T2_T3_mT4_P12ihipStream_tbEUlT_E0_NS1_11comp_targetILNS1_3genE0ELNS1_11target_archE4294967295ELNS1_3gpuE0ELNS1_3repE0EEENS1_30default_config_static_selectorELNS0_4arch9wavefront6targetE0EEEvSK_
		.amdhsa_group_segment_fixed_size 0
		.amdhsa_private_segment_fixed_size 0
		.amdhsa_kernarg_size 72
		.amdhsa_user_sgpr_count 6
		.amdhsa_user_sgpr_private_segment_buffer 1
		.amdhsa_user_sgpr_dispatch_ptr 0
		.amdhsa_user_sgpr_queue_ptr 0
		.amdhsa_user_sgpr_kernarg_segment_ptr 1
		.amdhsa_user_sgpr_dispatch_id 0
		.amdhsa_user_sgpr_flat_scratch_init 0
		.amdhsa_user_sgpr_private_segment_size 0
		.amdhsa_wavefront_size32 1
		.amdhsa_uses_dynamic_stack 0
		.amdhsa_system_sgpr_private_segment_wavefront_offset 0
		.amdhsa_system_sgpr_workgroup_id_x 1
		.amdhsa_system_sgpr_workgroup_id_y 0
		.amdhsa_system_sgpr_workgroup_id_z 0
		.amdhsa_system_sgpr_workgroup_info 0
		.amdhsa_system_vgpr_workitem_id 0
		.amdhsa_next_free_vgpr 1
		.amdhsa_next_free_sgpr 1
		.amdhsa_reserve_vcc 0
		.amdhsa_reserve_flat_scratch 0
		.amdhsa_float_round_mode_32 0
		.amdhsa_float_round_mode_16_64 0
		.amdhsa_float_denorm_mode_32 3
		.amdhsa_float_denorm_mode_16_64 3
		.amdhsa_dx10_clamp 1
		.amdhsa_ieee_mode 1
		.amdhsa_fp16_overflow 0
		.amdhsa_workgroup_processor_mode 1
		.amdhsa_memory_ordered 1
		.amdhsa_forward_progress 1
		.amdhsa_shared_vgpr_count 0
		.amdhsa_exception_fp_ieee_invalid_op 0
		.amdhsa_exception_fp_denorm_src 0
		.amdhsa_exception_fp_ieee_div_zero 0
		.amdhsa_exception_fp_ieee_overflow 0
		.amdhsa_exception_fp_ieee_underflow 0
		.amdhsa_exception_fp_ieee_inexact 0
		.amdhsa_exception_int_div_zero 0
	.end_amdhsa_kernel
	.section	.text._ZN7rocprim17ROCPRIM_400000_NS6detail17trampoline_kernelINS0_14default_configENS1_22reduce_config_selectorIN6thrust23THRUST_200600_302600_NS5tupleIblNS6_9null_typeES8_S8_S8_S8_S8_S8_S8_EEEEZNS1_11reduce_implILb1ES3_PS9_SC_S9_NS6_11hip_rocprim9__find_if7functorIS9_EEEE10hipError_tPvRmT1_T2_T3_mT4_P12ihipStream_tbEUlT_E0_NS1_11comp_targetILNS1_3genE0ELNS1_11target_archE4294967295ELNS1_3gpuE0ELNS1_3repE0EEENS1_30default_config_static_selectorELNS0_4arch9wavefront6targetE0EEEvSK_,"axG",@progbits,_ZN7rocprim17ROCPRIM_400000_NS6detail17trampoline_kernelINS0_14default_configENS1_22reduce_config_selectorIN6thrust23THRUST_200600_302600_NS5tupleIblNS6_9null_typeES8_S8_S8_S8_S8_S8_S8_EEEEZNS1_11reduce_implILb1ES3_PS9_SC_S9_NS6_11hip_rocprim9__find_if7functorIS9_EEEE10hipError_tPvRmT1_T2_T3_mT4_P12ihipStream_tbEUlT_E0_NS1_11comp_targetILNS1_3genE0ELNS1_11target_archE4294967295ELNS1_3gpuE0ELNS1_3repE0EEENS1_30default_config_static_selectorELNS0_4arch9wavefront6targetE0EEEvSK_,comdat
.Lfunc_end450:
	.size	_ZN7rocprim17ROCPRIM_400000_NS6detail17trampoline_kernelINS0_14default_configENS1_22reduce_config_selectorIN6thrust23THRUST_200600_302600_NS5tupleIblNS6_9null_typeES8_S8_S8_S8_S8_S8_S8_EEEEZNS1_11reduce_implILb1ES3_PS9_SC_S9_NS6_11hip_rocprim9__find_if7functorIS9_EEEE10hipError_tPvRmT1_T2_T3_mT4_P12ihipStream_tbEUlT_E0_NS1_11comp_targetILNS1_3genE0ELNS1_11target_archE4294967295ELNS1_3gpuE0ELNS1_3repE0EEENS1_30default_config_static_selectorELNS0_4arch9wavefront6targetE0EEEvSK_, .Lfunc_end450-_ZN7rocprim17ROCPRIM_400000_NS6detail17trampoline_kernelINS0_14default_configENS1_22reduce_config_selectorIN6thrust23THRUST_200600_302600_NS5tupleIblNS6_9null_typeES8_S8_S8_S8_S8_S8_S8_EEEEZNS1_11reduce_implILb1ES3_PS9_SC_S9_NS6_11hip_rocprim9__find_if7functorIS9_EEEE10hipError_tPvRmT1_T2_T3_mT4_P12ihipStream_tbEUlT_E0_NS1_11comp_targetILNS1_3genE0ELNS1_11target_archE4294967295ELNS1_3gpuE0ELNS1_3repE0EEENS1_30default_config_static_selectorELNS0_4arch9wavefront6targetE0EEEvSK_
                                        ; -- End function
	.set _ZN7rocprim17ROCPRIM_400000_NS6detail17trampoline_kernelINS0_14default_configENS1_22reduce_config_selectorIN6thrust23THRUST_200600_302600_NS5tupleIblNS6_9null_typeES8_S8_S8_S8_S8_S8_S8_EEEEZNS1_11reduce_implILb1ES3_PS9_SC_S9_NS6_11hip_rocprim9__find_if7functorIS9_EEEE10hipError_tPvRmT1_T2_T3_mT4_P12ihipStream_tbEUlT_E0_NS1_11comp_targetILNS1_3genE0ELNS1_11target_archE4294967295ELNS1_3gpuE0ELNS1_3repE0EEENS1_30default_config_static_selectorELNS0_4arch9wavefront6targetE0EEEvSK_.num_vgpr, 0
	.set _ZN7rocprim17ROCPRIM_400000_NS6detail17trampoline_kernelINS0_14default_configENS1_22reduce_config_selectorIN6thrust23THRUST_200600_302600_NS5tupleIblNS6_9null_typeES8_S8_S8_S8_S8_S8_S8_EEEEZNS1_11reduce_implILb1ES3_PS9_SC_S9_NS6_11hip_rocprim9__find_if7functorIS9_EEEE10hipError_tPvRmT1_T2_T3_mT4_P12ihipStream_tbEUlT_E0_NS1_11comp_targetILNS1_3genE0ELNS1_11target_archE4294967295ELNS1_3gpuE0ELNS1_3repE0EEENS1_30default_config_static_selectorELNS0_4arch9wavefront6targetE0EEEvSK_.num_agpr, 0
	.set _ZN7rocprim17ROCPRIM_400000_NS6detail17trampoline_kernelINS0_14default_configENS1_22reduce_config_selectorIN6thrust23THRUST_200600_302600_NS5tupleIblNS6_9null_typeES8_S8_S8_S8_S8_S8_S8_EEEEZNS1_11reduce_implILb1ES3_PS9_SC_S9_NS6_11hip_rocprim9__find_if7functorIS9_EEEE10hipError_tPvRmT1_T2_T3_mT4_P12ihipStream_tbEUlT_E0_NS1_11comp_targetILNS1_3genE0ELNS1_11target_archE4294967295ELNS1_3gpuE0ELNS1_3repE0EEENS1_30default_config_static_selectorELNS0_4arch9wavefront6targetE0EEEvSK_.numbered_sgpr, 0
	.set _ZN7rocprim17ROCPRIM_400000_NS6detail17trampoline_kernelINS0_14default_configENS1_22reduce_config_selectorIN6thrust23THRUST_200600_302600_NS5tupleIblNS6_9null_typeES8_S8_S8_S8_S8_S8_S8_EEEEZNS1_11reduce_implILb1ES3_PS9_SC_S9_NS6_11hip_rocprim9__find_if7functorIS9_EEEE10hipError_tPvRmT1_T2_T3_mT4_P12ihipStream_tbEUlT_E0_NS1_11comp_targetILNS1_3genE0ELNS1_11target_archE4294967295ELNS1_3gpuE0ELNS1_3repE0EEENS1_30default_config_static_selectorELNS0_4arch9wavefront6targetE0EEEvSK_.num_named_barrier, 0
	.set _ZN7rocprim17ROCPRIM_400000_NS6detail17trampoline_kernelINS0_14default_configENS1_22reduce_config_selectorIN6thrust23THRUST_200600_302600_NS5tupleIblNS6_9null_typeES8_S8_S8_S8_S8_S8_S8_EEEEZNS1_11reduce_implILb1ES3_PS9_SC_S9_NS6_11hip_rocprim9__find_if7functorIS9_EEEE10hipError_tPvRmT1_T2_T3_mT4_P12ihipStream_tbEUlT_E0_NS1_11comp_targetILNS1_3genE0ELNS1_11target_archE4294967295ELNS1_3gpuE0ELNS1_3repE0EEENS1_30default_config_static_selectorELNS0_4arch9wavefront6targetE0EEEvSK_.private_seg_size, 0
	.set _ZN7rocprim17ROCPRIM_400000_NS6detail17trampoline_kernelINS0_14default_configENS1_22reduce_config_selectorIN6thrust23THRUST_200600_302600_NS5tupleIblNS6_9null_typeES8_S8_S8_S8_S8_S8_S8_EEEEZNS1_11reduce_implILb1ES3_PS9_SC_S9_NS6_11hip_rocprim9__find_if7functorIS9_EEEE10hipError_tPvRmT1_T2_T3_mT4_P12ihipStream_tbEUlT_E0_NS1_11comp_targetILNS1_3genE0ELNS1_11target_archE4294967295ELNS1_3gpuE0ELNS1_3repE0EEENS1_30default_config_static_selectorELNS0_4arch9wavefront6targetE0EEEvSK_.uses_vcc, 0
	.set _ZN7rocprim17ROCPRIM_400000_NS6detail17trampoline_kernelINS0_14default_configENS1_22reduce_config_selectorIN6thrust23THRUST_200600_302600_NS5tupleIblNS6_9null_typeES8_S8_S8_S8_S8_S8_S8_EEEEZNS1_11reduce_implILb1ES3_PS9_SC_S9_NS6_11hip_rocprim9__find_if7functorIS9_EEEE10hipError_tPvRmT1_T2_T3_mT4_P12ihipStream_tbEUlT_E0_NS1_11comp_targetILNS1_3genE0ELNS1_11target_archE4294967295ELNS1_3gpuE0ELNS1_3repE0EEENS1_30default_config_static_selectorELNS0_4arch9wavefront6targetE0EEEvSK_.uses_flat_scratch, 0
	.set _ZN7rocprim17ROCPRIM_400000_NS6detail17trampoline_kernelINS0_14default_configENS1_22reduce_config_selectorIN6thrust23THRUST_200600_302600_NS5tupleIblNS6_9null_typeES8_S8_S8_S8_S8_S8_S8_EEEEZNS1_11reduce_implILb1ES3_PS9_SC_S9_NS6_11hip_rocprim9__find_if7functorIS9_EEEE10hipError_tPvRmT1_T2_T3_mT4_P12ihipStream_tbEUlT_E0_NS1_11comp_targetILNS1_3genE0ELNS1_11target_archE4294967295ELNS1_3gpuE0ELNS1_3repE0EEENS1_30default_config_static_selectorELNS0_4arch9wavefront6targetE0EEEvSK_.has_dyn_sized_stack, 0
	.set _ZN7rocprim17ROCPRIM_400000_NS6detail17trampoline_kernelINS0_14default_configENS1_22reduce_config_selectorIN6thrust23THRUST_200600_302600_NS5tupleIblNS6_9null_typeES8_S8_S8_S8_S8_S8_S8_EEEEZNS1_11reduce_implILb1ES3_PS9_SC_S9_NS6_11hip_rocprim9__find_if7functorIS9_EEEE10hipError_tPvRmT1_T2_T3_mT4_P12ihipStream_tbEUlT_E0_NS1_11comp_targetILNS1_3genE0ELNS1_11target_archE4294967295ELNS1_3gpuE0ELNS1_3repE0EEENS1_30default_config_static_selectorELNS0_4arch9wavefront6targetE0EEEvSK_.has_recursion, 0
	.set _ZN7rocprim17ROCPRIM_400000_NS6detail17trampoline_kernelINS0_14default_configENS1_22reduce_config_selectorIN6thrust23THRUST_200600_302600_NS5tupleIblNS6_9null_typeES8_S8_S8_S8_S8_S8_S8_EEEEZNS1_11reduce_implILb1ES3_PS9_SC_S9_NS6_11hip_rocprim9__find_if7functorIS9_EEEE10hipError_tPvRmT1_T2_T3_mT4_P12ihipStream_tbEUlT_E0_NS1_11comp_targetILNS1_3genE0ELNS1_11target_archE4294967295ELNS1_3gpuE0ELNS1_3repE0EEENS1_30default_config_static_selectorELNS0_4arch9wavefront6targetE0EEEvSK_.has_indirect_call, 0
	.section	.AMDGPU.csdata,"",@progbits
; Kernel info:
; codeLenInByte = 0
; TotalNumSgprs: 0
; NumVgprs: 0
; ScratchSize: 0
; MemoryBound: 0
; FloatMode: 240
; IeeeMode: 1
; LDSByteSize: 0 bytes/workgroup (compile time only)
; SGPRBlocks: 0
; VGPRBlocks: 0
; NumSGPRsForWavesPerEU: 1
; NumVGPRsForWavesPerEU: 1
; Occupancy: 16
; WaveLimiterHint : 0
; COMPUTE_PGM_RSRC2:SCRATCH_EN: 0
; COMPUTE_PGM_RSRC2:USER_SGPR: 6
; COMPUTE_PGM_RSRC2:TRAP_HANDLER: 0
; COMPUTE_PGM_RSRC2:TGID_X_EN: 1
; COMPUTE_PGM_RSRC2:TGID_Y_EN: 0
; COMPUTE_PGM_RSRC2:TGID_Z_EN: 0
; COMPUTE_PGM_RSRC2:TIDIG_COMP_CNT: 0
	.section	.text._ZN7rocprim17ROCPRIM_400000_NS6detail17trampoline_kernelINS0_14default_configENS1_22reduce_config_selectorIN6thrust23THRUST_200600_302600_NS5tupleIblNS6_9null_typeES8_S8_S8_S8_S8_S8_S8_EEEEZNS1_11reduce_implILb1ES3_PS9_SC_S9_NS6_11hip_rocprim9__find_if7functorIS9_EEEE10hipError_tPvRmT1_T2_T3_mT4_P12ihipStream_tbEUlT_E0_NS1_11comp_targetILNS1_3genE5ELNS1_11target_archE942ELNS1_3gpuE9ELNS1_3repE0EEENS1_30default_config_static_selectorELNS0_4arch9wavefront6targetE0EEEvSK_,"axG",@progbits,_ZN7rocprim17ROCPRIM_400000_NS6detail17trampoline_kernelINS0_14default_configENS1_22reduce_config_selectorIN6thrust23THRUST_200600_302600_NS5tupleIblNS6_9null_typeES8_S8_S8_S8_S8_S8_S8_EEEEZNS1_11reduce_implILb1ES3_PS9_SC_S9_NS6_11hip_rocprim9__find_if7functorIS9_EEEE10hipError_tPvRmT1_T2_T3_mT4_P12ihipStream_tbEUlT_E0_NS1_11comp_targetILNS1_3genE5ELNS1_11target_archE942ELNS1_3gpuE9ELNS1_3repE0EEENS1_30default_config_static_selectorELNS0_4arch9wavefront6targetE0EEEvSK_,comdat
	.protected	_ZN7rocprim17ROCPRIM_400000_NS6detail17trampoline_kernelINS0_14default_configENS1_22reduce_config_selectorIN6thrust23THRUST_200600_302600_NS5tupleIblNS6_9null_typeES8_S8_S8_S8_S8_S8_S8_EEEEZNS1_11reduce_implILb1ES3_PS9_SC_S9_NS6_11hip_rocprim9__find_if7functorIS9_EEEE10hipError_tPvRmT1_T2_T3_mT4_P12ihipStream_tbEUlT_E0_NS1_11comp_targetILNS1_3genE5ELNS1_11target_archE942ELNS1_3gpuE9ELNS1_3repE0EEENS1_30default_config_static_selectorELNS0_4arch9wavefront6targetE0EEEvSK_ ; -- Begin function _ZN7rocprim17ROCPRIM_400000_NS6detail17trampoline_kernelINS0_14default_configENS1_22reduce_config_selectorIN6thrust23THRUST_200600_302600_NS5tupleIblNS6_9null_typeES8_S8_S8_S8_S8_S8_S8_EEEEZNS1_11reduce_implILb1ES3_PS9_SC_S9_NS6_11hip_rocprim9__find_if7functorIS9_EEEE10hipError_tPvRmT1_T2_T3_mT4_P12ihipStream_tbEUlT_E0_NS1_11comp_targetILNS1_3genE5ELNS1_11target_archE942ELNS1_3gpuE9ELNS1_3repE0EEENS1_30default_config_static_selectorELNS0_4arch9wavefront6targetE0EEEvSK_
	.globl	_ZN7rocprim17ROCPRIM_400000_NS6detail17trampoline_kernelINS0_14default_configENS1_22reduce_config_selectorIN6thrust23THRUST_200600_302600_NS5tupleIblNS6_9null_typeES8_S8_S8_S8_S8_S8_S8_EEEEZNS1_11reduce_implILb1ES3_PS9_SC_S9_NS6_11hip_rocprim9__find_if7functorIS9_EEEE10hipError_tPvRmT1_T2_T3_mT4_P12ihipStream_tbEUlT_E0_NS1_11comp_targetILNS1_3genE5ELNS1_11target_archE942ELNS1_3gpuE9ELNS1_3repE0EEENS1_30default_config_static_selectorELNS0_4arch9wavefront6targetE0EEEvSK_
	.p2align	8
	.type	_ZN7rocprim17ROCPRIM_400000_NS6detail17trampoline_kernelINS0_14default_configENS1_22reduce_config_selectorIN6thrust23THRUST_200600_302600_NS5tupleIblNS6_9null_typeES8_S8_S8_S8_S8_S8_S8_EEEEZNS1_11reduce_implILb1ES3_PS9_SC_S9_NS6_11hip_rocprim9__find_if7functorIS9_EEEE10hipError_tPvRmT1_T2_T3_mT4_P12ihipStream_tbEUlT_E0_NS1_11comp_targetILNS1_3genE5ELNS1_11target_archE942ELNS1_3gpuE9ELNS1_3repE0EEENS1_30default_config_static_selectorELNS0_4arch9wavefront6targetE0EEEvSK_,@function
_ZN7rocprim17ROCPRIM_400000_NS6detail17trampoline_kernelINS0_14default_configENS1_22reduce_config_selectorIN6thrust23THRUST_200600_302600_NS5tupleIblNS6_9null_typeES8_S8_S8_S8_S8_S8_S8_EEEEZNS1_11reduce_implILb1ES3_PS9_SC_S9_NS6_11hip_rocprim9__find_if7functorIS9_EEEE10hipError_tPvRmT1_T2_T3_mT4_P12ihipStream_tbEUlT_E0_NS1_11comp_targetILNS1_3genE5ELNS1_11target_archE942ELNS1_3gpuE9ELNS1_3repE0EEENS1_30default_config_static_selectorELNS0_4arch9wavefront6targetE0EEEvSK_: ; @_ZN7rocprim17ROCPRIM_400000_NS6detail17trampoline_kernelINS0_14default_configENS1_22reduce_config_selectorIN6thrust23THRUST_200600_302600_NS5tupleIblNS6_9null_typeES8_S8_S8_S8_S8_S8_S8_EEEEZNS1_11reduce_implILb1ES3_PS9_SC_S9_NS6_11hip_rocprim9__find_if7functorIS9_EEEE10hipError_tPvRmT1_T2_T3_mT4_P12ihipStream_tbEUlT_E0_NS1_11comp_targetILNS1_3genE5ELNS1_11target_archE942ELNS1_3gpuE9ELNS1_3repE0EEENS1_30default_config_static_selectorELNS0_4arch9wavefront6targetE0EEEvSK_
; %bb.0:
	.section	.rodata,"a",@progbits
	.p2align	6, 0x0
	.amdhsa_kernel _ZN7rocprim17ROCPRIM_400000_NS6detail17trampoline_kernelINS0_14default_configENS1_22reduce_config_selectorIN6thrust23THRUST_200600_302600_NS5tupleIblNS6_9null_typeES8_S8_S8_S8_S8_S8_S8_EEEEZNS1_11reduce_implILb1ES3_PS9_SC_S9_NS6_11hip_rocprim9__find_if7functorIS9_EEEE10hipError_tPvRmT1_T2_T3_mT4_P12ihipStream_tbEUlT_E0_NS1_11comp_targetILNS1_3genE5ELNS1_11target_archE942ELNS1_3gpuE9ELNS1_3repE0EEENS1_30default_config_static_selectorELNS0_4arch9wavefront6targetE0EEEvSK_
		.amdhsa_group_segment_fixed_size 0
		.amdhsa_private_segment_fixed_size 0
		.amdhsa_kernarg_size 72
		.amdhsa_user_sgpr_count 6
		.amdhsa_user_sgpr_private_segment_buffer 1
		.amdhsa_user_sgpr_dispatch_ptr 0
		.amdhsa_user_sgpr_queue_ptr 0
		.amdhsa_user_sgpr_kernarg_segment_ptr 1
		.amdhsa_user_sgpr_dispatch_id 0
		.amdhsa_user_sgpr_flat_scratch_init 0
		.amdhsa_user_sgpr_private_segment_size 0
		.amdhsa_wavefront_size32 1
		.amdhsa_uses_dynamic_stack 0
		.amdhsa_system_sgpr_private_segment_wavefront_offset 0
		.amdhsa_system_sgpr_workgroup_id_x 1
		.amdhsa_system_sgpr_workgroup_id_y 0
		.amdhsa_system_sgpr_workgroup_id_z 0
		.amdhsa_system_sgpr_workgroup_info 0
		.amdhsa_system_vgpr_workitem_id 0
		.amdhsa_next_free_vgpr 1
		.amdhsa_next_free_sgpr 1
		.amdhsa_reserve_vcc 0
		.amdhsa_reserve_flat_scratch 0
		.amdhsa_float_round_mode_32 0
		.amdhsa_float_round_mode_16_64 0
		.amdhsa_float_denorm_mode_32 3
		.amdhsa_float_denorm_mode_16_64 3
		.amdhsa_dx10_clamp 1
		.amdhsa_ieee_mode 1
		.amdhsa_fp16_overflow 0
		.amdhsa_workgroup_processor_mode 1
		.amdhsa_memory_ordered 1
		.amdhsa_forward_progress 1
		.amdhsa_shared_vgpr_count 0
		.amdhsa_exception_fp_ieee_invalid_op 0
		.amdhsa_exception_fp_denorm_src 0
		.amdhsa_exception_fp_ieee_div_zero 0
		.amdhsa_exception_fp_ieee_overflow 0
		.amdhsa_exception_fp_ieee_underflow 0
		.amdhsa_exception_fp_ieee_inexact 0
		.amdhsa_exception_int_div_zero 0
	.end_amdhsa_kernel
	.section	.text._ZN7rocprim17ROCPRIM_400000_NS6detail17trampoline_kernelINS0_14default_configENS1_22reduce_config_selectorIN6thrust23THRUST_200600_302600_NS5tupleIblNS6_9null_typeES8_S8_S8_S8_S8_S8_S8_EEEEZNS1_11reduce_implILb1ES3_PS9_SC_S9_NS6_11hip_rocprim9__find_if7functorIS9_EEEE10hipError_tPvRmT1_T2_T3_mT4_P12ihipStream_tbEUlT_E0_NS1_11comp_targetILNS1_3genE5ELNS1_11target_archE942ELNS1_3gpuE9ELNS1_3repE0EEENS1_30default_config_static_selectorELNS0_4arch9wavefront6targetE0EEEvSK_,"axG",@progbits,_ZN7rocprim17ROCPRIM_400000_NS6detail17trampoline_kernelINS0_14default_configENS1_22reduce_config_selectorIN6thrust23THRUST_200600_302600_NS5tupleIblNS6_9null_typeES8_S8_S8_S8_S8_S8_S8_EEEEZNS1_11reduce_implILb1ES3_PS9_SC_S9_NS6_11hip_rocprim9__find_if7functorIS9_EEEE10hipError_tPvRmT1_T2_T3_mT4_P12ihipStream_tbEUlT_E0_NS1_11comp_targetILNS1_3genE5ELNS1_11target_archE942ELNS1_3gpuE9ELNS1_3repE0EEENS1_30default_config_static_selectorELNS0_4arch9wavefront6targetE0EEEvSK_,comdat
.Lfunc_end451:
	.size	_ZN7rocprim17ROCPRIM_400000_NS6detail17trampoline_kernelINS0_14default_configENS1_22reduce_config_selectorIN6thrust23THRUST_200600_302600_NS5tupleIblNS6_9null_typeES8_S8_S8_S8_S8_S8_S8_EEEEZNS1_11reduce_implILb1ES3_PS9_SC_S9_NS6_11hip_rocprim9__find_if7functorIS9_EEEE10hipError_tPvRmT1_T2_T3_mT4_P12ihipStream_tbEUlT_E0_NS1_11comp_targetILNS1_3genE5ELNS1_11target_archE942ELNS1_3gpuE9ELNS1_3repE0EEENS1_30default_config_static_selectorELNS0_4arch9wavefront6targetE0EEEvSK_, .Lfunc_end451-_ZN7rocprim17ROCPRIM_400000_NS6detail17trampoline_kernelINS0_14default_configENS1_22reduce_config_selectorIN6thrust23THRUST_200600_302600_NS5tupleIblNS6_9null_typeES8_S8_S8_S8_S8_S8_S8_EEEEZNS1_11reduce_implILb1ES3_PS9_SC_S9_NS6_11hip_rocprim9__find_if7functorIS9_EEEE10hipError_tPvRmT1_T2_T3_mT4_P12ihipStream_tbEUlT_E0_NS1_11comp_targetILNS1_3genE5ELNS1_11target_archE942ELNS1_3gpuE9ELNS1_3repE0EEENS1_30default_config_static_selectorELNS0_4arch9wavefront6targetE0EEEvSK_
                                        ; -- End function
	.set _ZN7rocprim17ROCPRIM_400000_NS6detail17trampoline_kernelINS0_14default_configENS1_22reduce_config_selectorIN6thrust23THRUST_200600_302600_NS5tupleIblNS6_9null_typeES8_S8_S8_S8_S8_S8_S8_EEEEZNS1_11reduce_implILb1ES3_PS9_SC_S9_NS6_11hip_rocprim9__find_if7functorIS9_EEEE10hipError_tPvRmT1_T2_T3_mT4_P12ihipStream_tbEUlT_E0_NS1_11comp_targetILNS1_3genE5ELNS1_11target_archE942ELNS1_3gpuE9ELNS1_3repE0EEENS1_30default_config_static_selectorELNS0_4arch9wavefront6targetE0EEEvSK_.num_vgpr, 0
	.set _ZN7rocprim17ROCPRIM_400000_NS6detail17trampoline_kernelINS0_14default_configENS1_22reduce_config_selectorIN6thrust23THRUST_200600_302600_NS5tupleIblNS6_9null_typeES8_S8_S8_S8_S8_S8_S8_EEEEZNS1_11reduce_implILb1ES3_PS9_SC_S9_NS6_11hip_rocprim9__find_if7functorIS9_EEEE10hipError_tPvRmT1_T2_T3_mT4_P12ihipStream_tbEUlT_E0_NS1_11comp_targetILNS1_3genE5ELNS1_11target_archE942ELNS1_3gpuE9ELNS1_3repE0EEENS1_30default_config_static_selectorELNS0_4arch9wavefront6targetE0EEEvSK_.num_agpr, 0
	.set _ZN7rocprim17ROCPRIM_400000_NS6detail17trampoline_kernelINS0_14default_configENS1_22reduce_config_selectorIN6thrust23THRUST_200600_302600_NS5tupleIblNS6_9null_typeES8_S8_S8_S8_S8_S8_S8_EEEEZNS1_11reduce_implILb1ES3_PS9_SC_S9_NS6_11hip_rocprim9__find_if7functorIS9_EEEE10hipError_tPvRmT1_T2_T3_mT4_P12ihipStream_tbEUlT_E0_NS1_11comp_targetILNS1_3genE5ELNS1_11target_archE942ELNS1_3gpuE9ELNS1_3repE0EEENS1_30default_config_static_selectorELNS0_4arch9wavefront6targetE0EEEvSK_.numbered_sgpr, 0
	.set _ZN7rocprim17ROCPRIM_400000_NS6detail17trampoline_kernelINS0_14default_configENS1_22reduce_config_selectorIN6thrust23THRUST_200600_302600_NS5tupleIblNS6_9null_typeES8_S8_S8_S8_S8_S8_S8_EEEEZNS1_11reduce_implILb1ES3_PS9_SC_S9_NS6_11hip_rocprim9__find_if7functorIS9_EEEE10hipError_tPvRmT1_T2_T3_mT4_P12ihipStream_tbEUlT_E0_NS1_11comp_targetILNS1_3genE5ELNS1_11target_archE942ELNS1_3gpuE9ELNS1_3repE0EEENS1_30default_config_static_selectorELNS0_4arch9wavefront6targetE0EEEvSK_.num_named_barrier, 0
	.set _ZN7rocprim17ROCPRIM_400000_NS6detail17trampoline_kernelINS0_14default_configENS1_22reduce_config_selectorIN6thrust23THRUST_200600_302600_NS5tupleIblNS6_9null_typeES8_S8_S8_S8_S8_S8_S8_EEEEZNS1_11reduce_implILb1ES3_PS9_SC_S9_NS6_11hip_rocprim9__find_if7functorIS9_EEEE10hipError_tPvRmT1_T2_T3_mT4_P12ihipStream_tbEUlT_E0_NS1_11comp_targetILNS1_3genE5ELNS1_11target_archE942ELNS1_3gpuE9ELNS1_3repE0EEENS1_30default_config_static_selectorELNS0_4arch9wavefront6targetE0EEEvSK_.private_seg_size, 0
	.set _ZN7rocprim17ROCPRIM_400000_NS6detail17trampoline_kernelINS0_14default_configENS1_22reduce_config_selectorIN6thrust23THRUST_200600_302600_NS5tupleIblNS6_9null_typeES8_S8_S8_S8_S8_S8_S8_EEEEZNS1_11reduce_implILb1ES3_PS9_SC_S9_NS6_11hip_rocprim9__find_if7functorIS9_EEEE10hipError_tPvRmT1_T2_T3_mT4_P12ihipStream_tbEUlT_E0_NS1_11comp_targetILNS1_3genE5ELNS1_11target_archE942ELNS1_3gpuE9ELNS1_3repE0EEENS1_30default_config_static_selectorELNS0_4arch9wavefront6targetE0EEEvSK_.uses_vcc, 0
	.set _ZN7rocprim17ROCPRIM_400000_NS6detail17trampoline_kernelINS0_14default_configENS1_22reduce_config_selectorIN6thrust23THRUST_200600_302600_NS5tupleIblNS6_9null_typeES8_S8_S8_S8_S8_S8_S8_EEEEZNS1_11reduce_implILb1ES3_PS9_SC_S9_NS6_11hip_rocprim9__find_if7functorIS9_EEEE10hipError_tPvRmT1_T2_T3_mT4_P12ihipStream_tbEUlT_E0_NS1_11comp_targetILNS1_3genE5ELNS1_11target_archE942ELNS1_3gpuE9ELNS1_3repE0EEENS1_30default_config_static_selectorELNS0_4arch9wavefront6targetE0EEEvSK_.uses_flat_scratch, 0
	.set _ZN7rocprim17ROCPRIM_400000_NS6detail17trampoline_kernelINS0_14default_configENS1_22reduce_config_selectorIN6thrust23THRUST_200600_302600_NS5tupleIblNS6_9null_typeES8_S8_S8_S8_S8_S8_S8_EEEEZNS1_11reduce_implILb1ES3_PS9_SC_S9_NS6_11hip_rocprim9__find_if7functorIS9_EEEE10hipError_tPvRmT1_T2_T3_mT4_P12ihipStream_tbEUlT_E0_NS1_11comp_targetILNS1_3genE5ELNS1_11target_archE942ELNS1_3gpuE9ELNS1_3repE0EEENS1_30default_config_static_selectorELNS0_4arch9wavefront6targetE0EEEvSK_.has_dyn_sized_stack, 0
	.set _ZN7rocprim17ROCPRIM_400000_NS6detail17trampoline_kernelINS0_14default_configENS1_22reduce_config_selectorIN6thrust23THRUST_200600_302600_NS5tupleIblNS6_9null_typeES8_S8_S8_S8_S8_S8_S8_EEEEZNS1_11reduce_implILb1ES3_PS9_SC_S9_NS6_11hip_rocprim9__find_if7functorIS9_EEEE10hipError_tPvRmT1_T2_T3_mT4_P12ihipStream_tbEUlT_E0_NS1_11comp_targetILNS1_3genE5ELNS1_11target_archE942ELNS1_3gpuE9ELNS1_3repE0EEENS1_30default_config_static_selectorELNS0_4arch9wavefront6targetE0EEEvSK_.has_recursion, 0
	.set _ZN7rocprim17ROCPRIM_400000_NS6detail17trampoline_kernelINS0_14default_configENS1_22reduce_config_selectorIN6thrust23THRUST_200600_302600_NS5tupleIblNS6_9null_typeES8_S8_S8_S8_S8_S8_S8_EEEEZNS1_11reduce_implILb1ES3_PS9_SC_S9_NS6_11hip_rocprim9__find_if7functorIS9_EEEE10hipError_tPvRmT1_T2_T3_mT4_P12ihipStream_tbEUlT_E0_NS1_11comp_targetILNS1_3genE5ELNS1_11target_archE942ELNS1_3gpuE9ELNS1_3repE0EEENS1_30default_config_static_selectorELNS0_4arch9wavefront6targetE0EEEvSK_.has_indirect_call, 0
	.section	.AMDGPU.csdata,"",@progbits
; Kernel info:
; codeLenInByte = 0
; TotalNumSgprs: 0
; NumVgprs: 0
; ScratchSize: 0
; MemoryBound: 0
; FloatMode: 240
; IeeeMode: 1
; LDSByteSize: 0 bytes/workgroup (compile time only)
; SGPRBlocks: 0
; VGPRBlocks: 0
; NumSGPRsForWavesPerEU: 1
; NumVGPRsForWavesPerEU: 1
; Occupancy: 16
; WaveLimiterHint : 0
; COMPUTE_PGM_RSRC2:SCRATCH_EN: 0
; COMPUTE_PGM_RSRC2:USER_SGPR: 6
; COMPUTE_PGM_RSRC2:TRAP_HANDLER: 0
; COMPUTE_PGM_RSRC2:TGID_X_EN: 1
; COMPUTE_PGM_RSRC2:TGID_Y_EN: 0
; COMPUTE_PGM_RSRC2:TGID_Z_EN: 0
; COMPUTE_PGM_RSRC2:TIDIG_COMP_CNT: 0
	.section	.text._ZN7rocprim17ROCPRIM_400000_NS6detail17trampoline_kernelINS0_14default_configENS1_22reduce_config_selectorIN6thrust23THRUST_200600_302600_NS5tupleIblNS6_9null_typeES8_S8_S8_S8_S8_S8_S8_EEEEZNS1_11reduce_implILb1ES3_PS9_SC_S9_NS6_11hip_rocprim9__find_if7functorIS9_EEEE10hipError_tPvRmT1_T2_T3_mT4_P12ihipStream_tbEUlT_E0_NS1_11comp_targetILNS1_3genE4ELNS1_11target_archE910ELNS1_3gpuE8ELNS1_3repE0EEENS1_30default_config_static_selectorELNS0_4arch9wavefront6targetE0EEEvSK_,"axG",@progbits,_ZN7rocprim17ROCPRIM_400000_NS6detail17trampoline_kernelINS0_14default_configENS1_22reduce_config_selectorIN6thrust23THRUST_200600_302600_NS5tupleIblNS6_9null_typeES8_S8_S8_S8_S8_S8_S8_EEEEZNS1_11reduce_implILb1ES3_PS9_SC_S9_NS6_11hip_rocprim9__find_if7functorIS9_EEEE10hipError_tPvRmT1_T2_T3_mT4_P12ihipStream_tbEUlT_E0_NS1_11comp_targetILNS1_3genE4ELNS1_11target_archE910ELNS1_3gpuE8ELNS1_3repE0EEENS1_30default_config_static_selectorELNS0_4arch9wavefront6targetE0EEEvSK_,comdat
	.protected	_ZN7rocprim17ROCPRIM_400000_NS6detail17trampoline_kernelINS0_14default_configENS1_22reduce_config_selectorIN6thrust23THRUST_200600_302600_NS5tupleIblNS6_9null_typeES8_S8_S8_S8_S8_S8_S8_EEEEZNS1_11reduce_implILb1ES3_PS9_SC_S9_NS6_11hip_rocprim9__find_if7functorIS9_EEEE10hipError_tPvRmT1_T2_T3_mT4_P12ihipStream_tbEUlT_E0_NS1_11comp_targetILNS1_3genE4ELNS1_11target_archE910ELNS1_3gpuE8ELNS1_3repE0EEENS1_30default_config_static_selectorELNS0_4arch9wavefront6targetE0EEEvSK_ ; -- Begin function _ZN7rocprim17ROCPRIM_400000_NS6detail17trampoline_kernelINS0_14default_configENS1_22reduce_config_selectorIN6thrust23THRUST_200600_302600_NS5tupleIblNS6_9null_typeES8_S8_S8_S8_S8_S8_S8_EEEEZNS1_11reduce_implILb1ES3_PS9_SC_S9_NS6_11hip_rocprim9__find_if7functorIS9_EEEE10hipError_tPvRmT1_T2_T3_mT4_P12ihipStream_tbEUlT_E0_NS1_11comp_targetILNS1_3genE4ELNS1_11target_archE910ELNS1_3gpuE8ELNS1_3repE0EEENS1_30default_config_static_selectorELNS0_4arch9wavefront6targetE0EEEvSK_
	.globl	_ZN7rocprim17ROCPRIM_400000_NS6detail17trampoline_kernelINS0_14default_configENS1_22reduce_config_selectorIN6thrust23THRUST_200600_302600_NS5tupleIblNS6_9null_typeES8_S8_S8_S8_S8_S8_S8_EEEEZNS1_11reduce_implILb1ES3_PS9_SC_S9_NS6_11hip_rocprim9__find_if7functorIS9_EEEE10hipError_tPvRmT1_T2_T3_mT4_P12ihipStream_tbEUlT_E0_NS1_11comp_targetILNS1_3genE4ELNS1_11target_archE910ELNS1_3gpuE8ELNS1_3repE0EEENS1_30default_config_static_selectorELNS0_4arch9wavefront6targetE0EEEvSK_
	.p2align	8
	.type	_ZN7rocprim17ROCPRIM_400000_NS6detail17trampoline_kernelINS0_14default_configENS1_22reduce_config_selectorIN6thrust23THRUST_200600_302600_NS5tupleIblNS6_9null_typeES8_S8_S8_S8_S8_S8_S8_EEEEZNS1_11reduce_implILb1ES3_PS9_SC_S9_NS6_11hip_rocprim9__find_if7functorIS9_EEEE10hipError_tPvRmT1_T2_T3_mT4_P12ihipStream_tbEUlT_E0_NS1_11comp_targetILNS1_3genE4ELNS1_11target_archE910ELNS1_3gpuE8ELNS1_3repE0EEENS1_30default_config_static_selectorELNS0_4arch9wavefront6targetE0EEEvSK_,@function
_ZN7rocprim17ROCPRIM_400000_NS6detail17trampoline_kernelINS0_14default_configENS1_22reduce_config_selectorIN6thrust23THRUST_200600_302600_NS5tupleIblNS6_9null_typeES8_S8_S8_S8_S8_S8_S8_EEEEZNS1_11reduce_implILb1ES3_PS9_SC_S9_NS6_11hip_rocprim9__find_if7functorIS9_EEEE10hipError_tPvRmT1_T2_T3_mT4_P12ihipStream_tbEUlT_E0_NS1_11comp_targetILNS1_3genE4ELNS1_11target_archE910ELNS1_3gpuE8ELNS1_3repE0EEENS1_30default_config_static_selectorELNS0_4arch9wavefront6targetE0EEEvSK_: ; @_ZN7rocprim17ROCPRIM_400000_NS6detail17trampoline_kernelINS0_14default_configENS1_22reduce_config_selectorIN6thrust23THRUST_200600_302600_NS5tupleIblNS6_9null_typeES8_S8_S8_S8_S8_S8_S8_EEEEZNS1_11reduce_implILb1ES3_PS9_SC_S9_NS6_11hip_rocprim9__find_if7functorIS9_EEEE10hipError_tPvRmT1_T2_T3_mT4_P12ihipStream_tbEUlT_E0_NS1_11comp_targetILNS1_3genE4ELNS1_11target_archE910ELNS1_3gpuE8ELNS1_3repE0EEENS1_30default_config_static_selectorELNS0_4arch9wavefront6targetE0EEEvSK_
; %bb.0:
	.section	.rodata,"a",@progbits
	.p2align	6, 0x0
	.amdhsa_kernel _ZN7rocprim17ROCPRIM_400000_NS6detail17trampoline_kernelINS0_14default_configENS1_22reduce_config_selectorIN6thrust23THRUST_200600_302600_NS5tupleIblNS6_9null_typeES8_S8_S8_S8_S8_S8_S8_EEEEZNS1_11reduce_implILb1ES3_PS9_SC_S9_NS6_11hip_rocprim9__find_if7functorIS9_EEEE10hipError_tPvRmT1_T2_T3_mT4_P12ihipStream_tbEUlT_E0_NS1_11comp_targetILNS1_3genE4ELNS1_11target_archE910ELNS1_3gpuE8ELNS1_3repE0EEENS1_30default_config_static_selectorELNS0_4arch9wavefront6targetE0EEEvSK_
		.amdhsa_group_segment_fixed_size 0
		.amdhsa_private_segment_fixed_size 0
		.amdhsa_kernarg_size 72
		.amdhsa_user_sgpr_count 6
		.amdhsa_user_sgpr_private_segment_buffer 1
		.amdhsa_user_sgpr_dispatch_ptr 0
		.amdhsa_user_sgpr_queue_ptr 0
		.amdhsa_user_sgpr_kernarg_segment_ptr 1
		.amdhsa_user_sgpr_dispatch_id 0
		.amdhsa_user_sgpr_flat_scratch_init 0
		.amdhsa_user_sgpr_private_segment_size 0
		.amdhsa_wavefront_size32 1
		.amdhsa_uses_dynamic_stack 0
		.amdhsa_system_sgpr_private_segment_wavefront_offset 0
		.amdhsa_system_sgpr_workgroup_id_x 1
		.amdhsa_system_sgpr_workgroup_id_y 0
		.amdhsa_system_sgpr_workgroup_id_z 0
		.amdhsa_system_sgpr_workgroup_info 0
		.amdhsa_system_vgpr_workitem_id 0
		.amdhsa_next_free_vgpr 1
		.amdhsa_next_free_sgpr 1
		.amdhsa_reserve_vcc 0
		.amdhsa_reserve_flat_scratch 0
		.amdhsa_float_round_mode_32 0
		.amdhsa_float_round_mode_16_64 0
		.amdhsa_float_denorm_mode_32 3
		.amdhsa_float_denorm_mode_16_64 3
		.amdhsa_dx10_clamp 1
		.amdhsa_ieee_mode 1
		.amdhsa_fp16_overflow 0
		.amdhsa_workgroup_processor_mode 1
		.amdhsa_memory_ordered 1
		.amdhsa_forward_progress 1
		.amdhsa_shared_vgpr_count 0
		.amdhsa_exception_fp_ieee_invalid_op 0
		.amdhsa_exception_fp_denorm_src 0
		.amdhsa_exception_fp_ieee_div_zero 0
		.amdhsa_exception_fp_ieee_overflow 0
		.amdhsa_exception_fp_ieee_underflow 0
		.amdhsa_exception_fp_ieee_inexact 0
		.amdhsa_exception_int_div_zero 0
	.end_amdhsa_kernel
	.section	.text._ZN7rocprim17ROCPRIM_400000_NS6detail17trampoline_kernelINS0_14default_configENS1_22reduce_config_selectorIN6thrust23THRUST_200600_302600_NS5tupleIblNS6_9null_typeES8_S8_S8_S8_S8_S8_S8_EEEEZNS1_11reduce_implILb1ES3_PS9_SC_S9_NS6_11hip_rocprim9__find_if7functorIS9_EEEE10hipError_tPvRmT1_T2_T3_mT4_P12ihipStream_tbEUlT_E0_NS1_11comp_targetILNS1_3genE4ELNS1_11target_archE910ELNS1_3gpuE8ELNS1_3repE0EEENS1_30default_config_static_selectorELNS0_4arch9wavefront6targetE0EEEvSK_,"axG",@progbits,_ZN7rocprim17ROCPRIM_400000_NS6detail17trampoline_kernelINS0_14default_configENS1_22reduce_config_selectorIN6thrust23THRUST_200600_302600_NS5tupleIblNS6_9null_typeES8_S8_S8_S8_S8_S8_S8_EEEEZNS1_11reduce_implILb1ES3_PS9_SC_S9_NS6_11hip_rocprim9__find_if7functorIS9_EEEE10hipError_tPvRmT1_T2_T3_mT4_P12ihipStream_tbEUlT_E0_NS1_11comp_targetILNS1_3genE4ELNS1_11target_archE910ELNS1_3gpuE8ELNS1_3repE0EEENS1_30default_config_static_selectorELNS0_4arch9wavefront6targetE0EEEvSK_,comdat
.Lfunc_end452:
	.size	_ZN7rocprim17ROCPRIM_400000_NS6detail17trampoline_kernelINS0_14default_configENS1_22reduce_config_selectorIN6thrust23THRUST_200600_302600_NS5tupleIblNS6_9null_typeES8_S8_S8_S8_S8_S8_S8_EEEEZNS1_11reduce_implILb1ES3_PS9_SC_S9_NS6_11hip_rocprim9__find_if7functorIS9_EEEE10hipError_tPvRmT1_T2_T3_mT4_P12ihipStream_tbEUlT_E0_NS1_11comp_targetILNS1_3genE4ELNS1_11target_archE910ELNS1_3gpuE8ELNS1_3repE0EEENS1_30default_config_static_selectorELNS0_4arch9wavefront6targetE0EEEvSK_, .Lfunc_end452-_ZN7rocprim17ROCPRIM_400000_NS6detail17trampoline_kernelINS0_14default_configENS1_22reduce_config_selectorIN6thrust23THRUST_200600_302600_NS5tupleIblNS6_9null_typeES8_S8_S8_S8_S8_S8_S8_EEEEZNS1_11reduce_implILb1ES3_PS9_SC_S9_NS6_11hip_rocprim9__find_if7functorIS9_EEEE10hipError_tPvRmT1_T2_T3_mT4_P12ihipStream_tbEUlT_E0_NS1_11comp_targetILNS1_3genE4ELNS1_11target_archE910ELNS1_3gpuE8ELNS1_3repE0EEENS1_30default_config_static_selectorELNS0_4arch9wavefront6targetE0EEEvSK_
                                        ; -- End function
	.set _ZN7rocprim17ROCPRIM_400000_NS6detail17trampoline_kernelINS0_14default_configENS1_22reduce_config_selectorIN6thrust23THRUST_200600_302600_NS5tupleIblNS6_9null_typeES8_S8_S8_S8_S8_S8_S8_EEEEZNS1_11reduce_implILb1ES3_PS9_SC_S9_NS6_11hip_rocprim9__find_if7functorIS9_EEEE10hipError_tPvRmT1_T2_T3_mT4_P12ihipStream_tbEUlT_E0_NS1_11comp_targetILNS1_3genE4ELNS1_11target_archE910ELNS1_3gpuE8ELNS1_3repE0EEENS1_30default_config_static_selectorELNS0_4arch9wavefront6targetE0EEEvSK_.num_vgpr, 0
	.set _ZN7rocprim17ROCPRIM_400000_NS6detail17trampoline_kernelINS0_14default_configENS1_22reduce_config_selectorIN6thrust23THRUST_200600_302600_NS5tupleIblNS6_9null_typeES8_S8_S8_S8_S8_S8_S8_EEEEZNS1_11reduce_implILb1ES3_PS9_SC_S9_NS6_11hip_rocprim9__find_if7functorIS9_EEEE10hipError_tPvRmT1_T2_T3_mT4_P12ihipStream_tbEUlT_E0_NS1_11comp_targetILNS1_3genE4ELNS1_11target_archE910ELNS1_3gpuE8ELNS1_3repE0EEENS1_30default_config_static_selectorELNS0_4arch9wavefront6targetE0EEEvSK_.num_agpr, 0
	.set _ZN7rocprim17ROCPRIM_400000_NS6detail17trampoline_kernelINS0_14default_configENS1_22reduce_config_selectorIN6thrust23THRUST_200600_302600_NS5tupleIblNS6_9null_typeES8_S8_S8_S8_S8_S8_S8_EEEEZNS1_11reduce_implILb1ES3_PS9_SC_S9_NS6_11hip_rocprim9__find_if7functorIS9_EEEE10hipError_tPvRmT1_T2_T3_mT4_P12ihipStream_tbEUlT_E0_NS1_11comp_targetILNS1_3genE4ELNS1_11target_archE910ELNS1_3gpuE8ELNS1_3repE0EEENS1_30default_config_static_selectorELNS0_4arch9wavefront6targetE0EEEvSK_.numbered_sgpr, 0
	.set _ZN7rocprim17ROCPRIM_400000_NS6detail17trampoline_kernelINS0_14default_configENS1_22reduce_config_selectorIN6thrust23THRUST_200600_302600_NS5tupleIblNS6_9null_typeES8_S8_S8_S8_S8_S8_S8_EEEEZNS1_11reduce_implILb1ES3_PS9_SC_S9_NS6_11hip_rocprim9__find_if7functorIS9_EEEE10hipError_tPvRmT1_T2_T3_mT4_P12ihipStream_tbEUlT_E0_NS1_11comp_targetILNS1_3genE4ELNS1_11target_archE910ELNS1_3gpuE8ELNS1_3repE0EEENS1_30default_config_static_selectorELNS0_4arch9wavefront6targetE0EEEvSK_.num_named_barrier, 0
	.set _ZN7rocprim17ROCPRIM_400000_NS6detail17trampoline_kernelINS0_14default_configENS1_22reduce_config_selectorIN6thrust23THRUST_200600_302600_NS5tupleIblNS6_9null_typeES8_S8_S8_S8_S8_S8_S8_EEEEZNS1_11reduce_implILb1ES3_PS9_SC_S9_NS6_11hip_rocprim9__find_if7functorIS9_EEEE10hipError_tPvRmT1_T2_T3_mT4_P12ihipStream_tbEUlT_E0_NS1_11comp_targetILNS1_3genE4ELNS1_11target_archE910ELNS1_3gpuE8ELNS1_3repE0EEENS1_30default_config_static_selectorELNS0_4arch9wavefront6targetE0EEEvSK_.private_seg_size, 0
	.set _ZN7rocprim17ROCPRIM_400000_NS6detail17trampoline_kernelINS0_14default_configENS1_22reduce_config_selectorIN6thrust23THRUST_200600_302600_NS5tupleIblNS6_9null_typeES8_S8_S8_S8_S8_S8_S8_EEEEZNS1_11reduce_implILb1ES3_PS9_SC_S9_NS6_11hip_rocprim9__find_if7functorIS9_EEEE10hipError_tPvRmT1_T2_T3_mT4_P12ihipStream_tbEUlT_E0_NS1_11comp_targetILNS1_3genE4ELNS1_11target_archE910ELNS1_3gpuE8ELNS1_3repE0EEENS1_30default_config_static_selectorELNS0_4arch9wavefront6targetE0EEEvSK_.uses_vcc, 0
	.set _ZN7rocprim17ROCPRIM_400000_NS6detail17trampoline_kernelINS0_14default_configENS1_22reduce_config_selectorIN6thrust23THRUST_200600_302600_NS5tupleIblNS6_9null_typeES8_S8_S8_S8_S8_S8_S8_EEEEZNS1_11reduce_implILb1ES3_PS9_SC_S9_NS6_11hip_rocprim9__find_if7functorIS9_EEEE10hipError_tPvRmT1_T2_T3_mT4_P12ihipStream_tbEUlT_E0_NS1_11comp_targetILNS1_3genE4ELNS1_11target_archE910ELNS1_3gpuE8ELNS1_3repE0EEENS1_30default_config_static_selectorELNS0_4arch9wavefront6targetE0EEEvSK_.uses_flat_scratch, 0
	.set _ZN7rocprim17ROCPRIM_400000_NS6detail17trampoline_kernelINS0_14default_configENS1_22reduce_config_selectorIN6thrust23THRUST_200600_302600_NS5tupleIblNS6_9null_typeES8_S8_S8_S8_S8_S8_S8_EEEEZNS1_11reduce_implILb1ES3_PS9_SC_S9_NS6_11hip_rocprim9__find_if7functorIS9_EEEE10hipError_tPvRmT1_T2_T3_mT4_P12ihipStream_tbEUlT_E0_NS1_11comp_targetILNS1_3genE4ELNS1_11target_archE910ELNS1_3gpuE8ELNS1_3repE0EEENS1_30default_config_static_selectorELNS0_4arch9wavefront6targetE0EEEvSK_.has_dyn_sized_stack, 0
	.set _ZN7rocprim17ROCPRIM_400000_NS6detail17trampoline_kernelINS0_14default_configENS1_22reduce_config_selectorIN6thrust23THRUST_200600_302600_NS5tupleIblNS6_9null_typeES8_S8_S8_S8_S8_S8_S8_EEEEZNS1_11reduce_implILb1ES3_PS9_SC_S9_NS6_11hip_rocprim9__find_if7functorIS9_EEEE10hipError_tPvRmT1_T2_T3_mT4_P12ihipStream_tbEUlT_E0_NS1_11comp_targetILNS1_3genE4ELNS1_11target_archE910ELNS1_3gpuE8ELNS1_3repE0EEENS1_30default_config_static_selectorELNS0_4arch9wavefront6targetE0EEEvSK_.has_recursion, 0
	.set _ZN7rocprim17ROCPRIM_400000_NS6detail17trampoline_kernelINS0_14default_configENS1_22reduce_config_selectorIN6thrust23THRUST_200600_302600_NS5tupleIblNS6_9null_typeES8_S8_S8_S8_S8_S8_S8_EEEEZNS1_11reduce_implILb1ES3_PS9_SC_S9_NS6_11hip_rocprim9__find_if7functorIS9_EEEE10hipError_tPvRmT1_T2_T3_mT4_P12ihipStream_tbEUlT_E0_NS1_11comp_targetILNS1_3genE4ELNS1_11target_archE910ELNS1_3gpuE8ELNS1_3repE0EEENS1_30default_config_static_selectorELNS0_4arch9wavefront6targetE0EEEvSK_.has_indirect_call, 0
	.section	.AMDGPU.csdata,"",@progbits
; Kernel info:
; codeLenInByte = 0
; TotalNumSgprs: 0
; NumVgprs: 0
; ScratchSize: 0
; MemoryBound: 0
; FloatMode: 240
; IeeeMode: 1
; LDSByteSize: 0 bytes/workgroup (compile time only)
; SGPRBlocks: 0
; VGPRBlocks: 0
; NumSGPRsForWavesPerEU: 1
; NumVGPRsForWavesPerEU: 1
; Occupancy: 16
; WaveLimiterHint : 0
; COMPUTE_PGM_RSRC2:SCRATCH_EN: 0
; COMPUTE_PGM_RSRC2:USER_SGPR: 6
; COMPUTE_PGM_RSRC2:TRAP_HANDLER: 0
; COMPUTE_PGM_RSRC2:TGID_X_EN: 1
; COMPUTE_PGM_RSRC2:TGID_Y_EN: 0
; COMPUTE_PGM_RSRC2:TGID_Z_EN: 0
; COMPUTE_PGM_RSRC2:TIDIG_COMP_CNT: 0
	.section	.text._ZN7rocprim17ROCPRIM_400000_NS6detail17trampoline_kernelINS0_14default_configENS1_22reduce_config_selectorIN6thrust23THRUST_200600_302600_NS5tupleIblNS6_9null_typeES8_S8_S8_S8_S8_S8_S8_EEEEZNS1_11reduce_implILb1ES3_PS9_SC_S9_NS6_11hip_rocprim9__find_if7functorIS9_EEEE10hipError_tPvRmT1_T2_T3_mT4_P12ihipStream_tbEUlT_E0_NS1_11comp_targetILNS1_3genE3ELNS1_11target_archE908ELNS1_3gpuE7ELNS1_3repE0EEENS1_30default_config_static_selectorELNS0_4arch9wavefront6targetE0EEEvSK_,"axG",@progbits,_ZN7rocprim17ROCPRIM_400000_NS6detail17trampoline_kernelINS0_14default_configENS1_22reduce_config_selectorIN6thrust23THRUST_200600_302600_NS5tupleIblNS6_9null_typeES8_S8_S8_S8_S8_S8_S8_EEEEZNS1_11reduce_implILb1ES3_PS9_SC_S9_NS6_11hip_rocprim9__find_if7functorIS9_EEEE10hipError_tPvRmT1_T2_T3_mT4_P12ihipStream_tbEUlT_E0_NS1_11comp_targetILNS1_3genE3ELNS1_11target_archE908ELNS1_3gpuE7ELNS1_3repE0EEENS1_30default_config_static_selectorELNS0_4arch9wavefront6targetE0EEEvSK_,comdat
	.protected	_ZN7rocprim17ROCPRIM_400000_NS6detail17trampoline_kernelINS0_14default_configENS1_22reduce_config_selectorIN6thrust23THRUST_200600_302600_NS5tupleIblNS6_9null_typeES8_S8_S8_S8_S8_S8_S8_EEEEZNS1_11reduce_implILb1ES3_PS9_SC_S9_NS6_11hip_rocprim9__find_if7functorIS9_EEEE10hipError_tPvRmT1_T2_T3_mT4_P12ihipStream_tbEUlT_E0_NS1_11comp_targetILNS1_3genE3ELNS1_11target_archE908ELNS1_3gpuE7ELNS1_3repE0EEENS1_30default_config_static_selectorELNS0_4arch9wavefront6targetE0EEEvSK_ ; -- Begin function _ZN7rocprim17ROCPRIM_400000_NS6detail17trampoline_kernelINS0_14default_configENS1_22reduce_config_selectorIN6thrust23THRUST_200600_302600_NS5tupleIblNS6_9null_typeES8_S8_S8_S8_S8_S8_S8_EEEEZNS1_11reduce_implILb1ES3_PS9_SC_S9_NS6_11hip_rocprim9__find_if7functorIS9_EEEE10hipError_tPvRmT1_T2_T3_mT4_P12ihipStream_tbEUlT_E0_NS1_11comp_targetILNS1_3genE3ELNS1_11target_archE908ELNS1_3gpuE7ELNS1_3repE0EEENS1_30default_config_static_selectorELNS0_4arch9wavefront6targetE0EEEvSK_
	.globl	_ZN7rocprim17ROCPRIM_400000_NS6detail17trampoline_kernelINS0_14default_configENS1_22reduce_config_selectorIN6thrust23THRUST_200600_302600_NS5tupleIblNS6_9null_typeES8_S8_S8_S8_S8_S8_S8_EEEEZNS1_11reduce_implILb1ES3_PS9_SC_S9_NS6_11hip_rocprim9__find_if7functorIS9_EEEE10hipError_tPvRmT1_T2_T3_mT4_P12ihipStream_tbEUlT_E0_NS1_11comp_targetILNS1_3genE3ELNS1_11target_archE908ELNS1_3gpuE7ELNS1_3repE0EEENS1_30default_config_static_selectorELNS0_4arch9wavefront6targetE0EEEvSK_
	.p2align	8
	.type	_ZN7rocprim17ROCPRIM_400000_NS6detail17trampoline_kernelINS0_14default_configENS1_22reduce_config_selectorIN6thrust23THRUST_200600_302600_NS5tupleIblNS6_9null_typeES8_S8_S8_S8_S8_S8_S8_EEEEZNS1_11reduce_implILb1ES3_PS9_SC_S9_NS6_11hip_rocprim9__find_if7functorIS9_EEEE10hipError_tPvRmT1_T2_T3_mT4_P12ihipStream_tbEUlT_E0_NS1_11comp_targetILNS1_3genE3ELNS1_11target_archE908ELNS1_3gpuE7ELNS1_3repE0EEENS1_30default_config_static_selectorELNS0_4arch9wavefront6targetE0EEEvSK_,@function
_ZN7rocprim17ROCPRIM_400000_NS6detail17trampoline_kernelINS0_14default_configENS1_22reduce_config_selectorIN6thrust23THRUST_200600_302600_NS5tupleIblNS6_9null_typeES8_S8_S8_S8_S8_S8_S8_EEEEZNS1_11reduce_implILb1ES3_PS9_SC_S9_NS6_11hip_rocprim9__find_if7functorIS9_EEEE10hipError_tPvRmT1_T2_T3_mT4_P12ihipStream_tbEUlT_E0_NS1_11comp_targetILNS1_3genE3ELNS1_11target_archE908ELNS1_3gpuE7ELNS1_3repE0EEENS1_30default_config_static_selectorELNS0_4arch9wavefront6targetE0EEEvSK_: ; @_ZN7rocprim17ROCPRIM_400000_NS6detail17trampoline_kernelINS0_14default_configENS1_22reduce_config_selectorIN6thrust23THRUST_200600_302600_NS5tupleIblNS6_9null_typeES8_S8_S8_S8_S8_S8_S8_EEEEZNS1_11reduce_implILb1ES3_PS9_SC_S9_NS6_11hip_rocprim9__find_if7functorIS9_EEEE10hipError_tPvRmT1_T2_T3_mT4_P12ihipStream_tbEUlT_E0_NS1_11comp_targetILNS1_3genE3ELNS1_11target_archE908ELNS1_3gpuE7ELNS1_3repE0EEENS1_30default_config_static_selectorELNS0_4arch9wavefront6targetE0EEEvSK_
; %bb.0:
	.section	.rodata,"a",@progbits
	.p2align	6, 0x0
	.amdhsa_kernel _ZN7rocprim17ROCPRIM_400000_NS6detail17trampoline_kernelINS0_14default_configENS1_22reduce_config_selectorIN6thrust23THRUST_200600_302600_NS5tupleIblNS6_9null_typeES8_S8_S8_S8_S8_S8_S8_EEEEZNS1_11reduce_implILb1ES3_PS9_SC_S9_NS6_11hip_rocprim9__find_if7functorIS9_EEEE10hipError_tPvRmT1_T2_T3_mT4_P12ihipStream_tbEUlT_E0_NS1_11comp_targetILNS1_3genE3ELNS1_11target_archE908ELNS1_3gpuE7ELNS1_3repE0EEENS1_30default_config_static_selectorELNS0_4arch9wavefront6targetE0EEEvSK_
		.amdhsa_group_segment_fixed_size 0
		.amdhsa_private_segment_fixed_size 0
		.amdhsa_kernarg_size 72
		.amdhsa_user_sgpr_count 6
		.amdhsa_user_sgpr_private_segment_buffer 1
		.amdhsa_user_sgpr_dispatch_ptr 0
		.amdhsa_user_sgpr_queue_ptr 0
		.amdhsa_user_sgpr_kernarg_segment_ptr 1
		.amdhsa_user_sgpr_dispatch_id 0
		.amdhsa_user_sgpr_flat_scratch_init 0
		.amdhsa_user_sgpr_private_segment_size 0
		.amdhsa_wavefront_size32 1
		.amdhsa_uses_dynamic_stack 0
		.amdhsa_system_sgpr_private_segment_wavefront_offset 0
		.amdhsa_system_sgpr_workgroup_id_x 1
		.amdhsa_system_sgpr_workgroup_id_y 0
		.amdhsa_system_sgpr_workgroup_id_z 0
		.amdhsa_system_sgpr_workgroup_info 0
		.amdhsa_system_vgpr_workitem_id 0
		.amdhsa_next_free_vgpr 1
		.amdhsa_next_free_sgpr 1
		.amdhsa_reserve_vcc 0
		.amdhsa_reserve_flat_scratch 0
		.amdhsa_float_round_mode_32 0
		.amdhsa_float_round_mode_16_64 0
		.amdhsa_float_denorm_mode_32 3
		.amdhsa_float_denorm_mode_16_64 3
		.amdhsa_dx10_clamp 1
		.amdhsa_ieee_mode 1
		.amdhsa_fp16_overflow 0
		.amdhsa_workgroup_processor_mode 1
		.amdhsa_memory_ordered 1
		.amdhsa_forward_progress 1
		.amdhsa_shared_vgpr_count 0
		.amdhsa_exception_fp_ieee_invalid_op 0
		.amdhsa_exception_fp_denorm_src 0
		.amdhsa_exception_fp_ieee_div_zero 0
		.amdhsa_exception_fp_ieee_overflow 0
		.amdhsa_exception_fp_ieee_underflow 0
		.amdhsa_exception_fp_ieee_inexact 0
		.amdhsa_exception_int_div_zero 0
	.end_amdhsa_kernel
	.section	.text._ZN7rocprim17ROCPRIM_400000_NS6detail17trampoline_kernelINS0_14default_configENS1_22reduce_config_selectorIN6thrust23THRUST_200600_302600_NS5tupleIblNS6_9null_typeES8_S8_S8_S8_S8_S8_S8_EEEEZNS1_11reduce_implILb1ES3_PS9_SC_S9_NS6_11hip_rocprim9__find_if7functorIS9_EEEE10hipError_tPvRmT1_T2_T3_mT4_P12ihipStream_tbEUlT_E0_NS1_11comp_targetILNS1_3genE3ELNS1_11target_archE908ELNS1_3gpuE7ELNS1_3repE0EEENS1_30default_config_static_selectorELNS0_4arch9wavefront6targetE0EEEvSK_,"axG",@progbits,_ZN7rocprim17ROCPRIM_400000_NS6detail17trampoline_kernelINS0_14default_configENS1_22reduce_config_selectorIN6thrust23THRUST_200600_302600_NS5tupleIblNS6_9null_typeES8_S8_S8_S8_S8_S8_S8_EEEEZNS1_11reduce_implILb1ES3_PS9_SC_S9_NS6_11hip_rocprim9__find_if7functorIS9_EEEE10hipError_tPvRmT1_T2_T3_mT4_P12ihipStream_tbEUlT_E0_NS1_11comp_targetILNS1_3genE3ELNS1_11target_archE908ELNS1_3gpuE7ELNS1_3repE0EEENS1_30default_config_static_selectorELNS0_4arch9wavefront6targetE0EEEvSK_,comdat
.Lfunc_end453:
	.size	_ZN7rocprim17ROCPRIM_400000_NS6detail17trampoline_kernelINS0_14default_configENS1_22reduce_config_selectorIN6thrust23THRUST_200600_302600_NS5tupleIblNS6_9null_typeES8_S8_S8_S8_S8_S8_S8_EEEEZNS1_11reduce_implILb1ES3_PS9_SC_S9_NS6_11hip_rocprim9__find_if7functorIS9_EEEE10hipError_tPvRmT1_T2_T3_mT4_P12ihipStream_tbEUlT_E0_NS1_11comp_targetILNS1_3genE3ELNS1_11target_archE908ELNS1_3gpuE7ELNS1_3repE0EEENS1_30default_config_static_selectorELNS0_4arch9wavefront6targetE0EEEvSK_, .Lfunc_end453-_ZN7rocprim17ROCPRIM_400000_NS6detail17trampoline_kernelINS0_14default_configENS1_22reduce_config_selectorIN6thrust23THRUST_200600_302600_NS5tupleIblNS6_9null_typeES8_S8_S8_S8_S8_S8_S8_EEEEZNS1_11reduce_implILb1ES3_PS9_SC_S9_NS6_11hip_rocprim9__find_if7functorIS9_EEEE10hipError_tPvRmT1_T2_T3_mT4_P12ihipStream_tbEUlT_E0_NS1_11comp_targetILNS1_3genE3ELNS1_11target_archE908ELNS1_3gpuE7ELNS1_3repE0EEENS1_30default_config_static_selectorELNS0_4arch9wavefront6targetE0EEEvSK_
                                        ; -- End function
	.set _ZN7rocprim17ROCPRIM_400000_NS6detail17trampoline_kernelINS0_14default_configENS1_22reduce_config_selectorIN6thrust23THRUST_200600_302600_NS5tupleIblNS6_9null_typeES8_S8_S8_S8_S8_S8_S8_EEEEZNS1_11reduce_implILb1ES3_PS9_SC_S9_NS6_11hip_rocprim9__find_if7functorIS9_EEEE10hipError_tPvRmT1_T2_T3_mT4_P12ihipStream_tbEUlT_E0_NS1_11comp_targetILNS1_3genE3ELNS1_11target_archE908ELNS1_3gpuE7ELNS1_3repE0EEENS1_30default_config_static_selectorELNS0_4arch9wavefront6targetE0EEEvSK_.num_vgpr, 0
	.set _ZN7rocprim17ROCPRIM_400000_NS6detail17trampoline_kernelINS0_14default_configENS1_22reduce_config_selectorIN6thrust23THRUST_200600_302600_NS5tupleIblNS6_9null_typeES8_S8_S8_S8_S8_S8_S8_EEEEZNS1_11reduce_implILb1ES3_PS9_SC_S9_NS6_11hip_rocprim9__find_if7functorIS9_EEEE10hipError_tPvRmT1_T2_T3_mT4_P12ihipStream_tbEUlT_E0_NS1_11comp_targetILNS1_3genE3ELNS1_11target_archE908ELNS1_3gpuE7ELNS1_3repE0EEENS1_30default_config_static_selectorELNS0_4arch9wavefront6targetE0EEEvSK_.num_agpr, 0
	.set _ZN7rocprim17ROCPRIM_400000_NS6detail17trampoline_kernelINS0_14default_configENS1_22reduce_config_selectorIN6thrust23THRUST_200600_302600_NS5tupleIblNS6_9null_typeES8_S8_S8_S8_S8_S8_S8_EEEEZNS1_11reduce_implILb1ES3_PS9_SC_S9_NS6_11hip_rocprim9__find_if7functorIS9_EEEE10hipError_tPvRmT1_T2_T3_mT4_P12ihipStream_tbEUlT_E0_NS1_11comp_targetILNS1_3genE3ELNS1_11target_archE908ELNS1_3gpuE7ELNS1_3repE0EEENS1_30default_config_static_selectorELNS0_4arch9wavefront6targetE0EEEvSK_.numbered_sgpr, 0
	.set _ZN7rocprim17ROCPRIM_400000_NS6detail17trampoline_kernelINS0_14default_configENS1_22reduce_config_selectorIN6thrust23THRUST_200600_302600_NS5tupleIblNS6_9null_typeES8_S8_S8_S8_S8_S8_S8_EEEEZNS1_11reduce_implILb1ES3_PS9_SC_S9_NS6_11hip_rocprim9__find_if7functorIS9_EEEE10hipError_tPvRmT1_T2_T3_mT4_P12ihipStream_tbEUlT_E0_NS1_11comp_targetILNS1_3genE3ELNS1_11target_archE908ELNS1_3gpuE7ELNS1_3repE0EEENS1_30default_config_static_selectorELNS0_4arch9wavefront6targetE0EEEvSK_.num_named_barrier, 0
	.set _ZN7rocprim17ROCPRIM_400000_NS6detail17trampoline_kernelINS0_14default_configENS1_22reduce_config_selectorIN6thrust23THRUST_200600_302600_NS5tupleIblNS6_9null_typeES8_S8_S8_S8_S8_S8_S8_EEEEZNS1_11reduce_implILb1ES3_PS9_SC_S9_NS6_11hip_rocprim9__find_if7functorIS9_EEEE10hipError_tPvRmT1_T2_T3_mT4_P12ihipStream_tbEUlT_E0_NS1_11comp_targetILNS1_3genE3ELNS1_11target_archE908ELNS1_3gpuE7ELNS1_3repE0EEENS1_30default_config_static_selectorELNS0_4arch9wavefront6targetE0EEEvSK_.private_seg_size, 0
	.set _ZN7rocprim17ROCPRIM_400000_NS6detail17trampoline_kernelINS0_14default_configENS1_22reduce_config_selectorIN6thrust23THRUST_200600_302600_NS5tupleIblNS6_9null_typeES8_S8_S8_S8_S8_S8_S8_EEEEZNS1_11reduce_implILb1ES3_PS9_SC_S9_NS6_11hip_rocprim9__find_if7functorIS9_EEEE10hipError_tPvRmT1_T2_T3_mT4_P12ihipStream_tbEUlT_E0_NS1_11comp_targetILNS1_3genE3ELNS1_11target_archE908ELNS1_3gpuE7ELNS1_3repE0EEENS1_30default_config_static_selectorELNS0_4arch9wavefront6targetE0EEEvSK_.uses_vcc, 0
	.set _ZN7rocprim17ROCPRIM_400000_NS6detail17trampoline_kernelINS0_14default_configENS1_22reduce_config_selectorIN6thrust23THRUST_200600_302600_NS5tupleIblNS6_9null_typeES8_S8_S8_S8_S8_S8_S8_EEEEZNS1_11reduce_implILb1ES3_PS9_SC_S9_NS6_11hip_rocprim9__find_if7functorIS9_EEEE10hipError_tPvRmT1_T2_T3_mT4_P12ihipStream_tbEUlT_E0_NS1_11comp_targetILNS1_3genE3ELNS1_11target_archE908ELNS1_3gpuE7ELNS1_3repE0EEENS1_30default_config_static_selectorELNS0_4arch9wavefront6targetE0EEEvSK_.uses_flat_scratch, 0
	.set _ZN7rocprim17ROCPRIM_400000_NS6detail17trampoline_kernelINS0_14default_configENS1_22reduce_config_selectorIN6thrust23THRUST_200600_302600_NS5tupleIblNS6_9null_typeES8_S8_S8_S8_S8_S8_S8_EEEEZNS1_11reduce_implILb1ES3_PS9_SC_S9_NS6_11hip_rocprim9__find_if7functorIS9_EEEE10hipError_tPvRmT1_T2_T3_mT4_P12ihipStream_tbEUlT_E0_NS1_11comp_targetILNS1_3genE3ELNS1_11target_archE908ELNS1_3gpuE7ELNS1_3repE0EEENS1_30default_config_static_selectorELNS0_4arch9wavefront6targetE0EEEvSK_.has_dyn_sized_stack, 0
	.set _ZN7rocprim17ROCPRIM_400000_NS6detail17trampoline_kernelINS0_14default_configENS1_22reduce_config_selectorIN6thrust23THRUST_200600_302600_NS5tupleIblNS6_9null_typeES8_S8_S8_S8_S8_S8_S8_EEEEZNS1_11reduce_implILb1ES3_PS9_SC_S9_NS6_11hip_rocprim9__find_if7functorIS9_EEEE10hipError_tPvRmT1_T2_T3_mT4_P12ihipStream_tbEUlT_E0_NS1_11comp_targetILNS1_3genE3ELNS1_11target_archE908ELNS1_3gpuE7ELNS1_3repE0EEENS1_30default_config_static_selectorELNS0_4arch9wavefront6targetE0EEEvSK_.has_recursion, 0
	.set _ZN7rocprim17ROCPRIM_400000_NS6detail17trampoline_kernelINS0_14default_configENS1_22reduce_config_selectorIN6thrust23THRUST_200600_302600_NS5tupleIblNS6_9null_typeES8_S8_S8_S8_S8_S8_S8_EEEEZNS1_11reduce_implILb1ES3_PS9_SC_S9_NS6_11hip_rocprim9__find_if7functorIS9_EEEE10hipError_tPvRmT1_T2_T3_mT4_P12ihipStream_tbEUlT_E0_NS1_11comp_targetILNS1_3genE3ELNS1_11target_archE908ELNS1_3gpuE7ELNS1_3repE0EEENS1_30default_config_static_selectorELNS0_4arch9wavefront6targetE0EEEvSK_.has_indirect_call, 0
	.section	.AMDGPU.csdata,"",@progbits
; Kernel info:
; codeLenInByte = 0
; TotalNumSgprs: 0
; NumVgprs: 0
; ScratchSize: 0
; MemoryBound: 0
; FloatMode: 240
; IeeeMode: 1
; LDSByteSize: 0 bytes/workgroup (compile time only)
; SGPRBlocks: 0
; VGPRBlocks: 0
; NumSGPRsForWavesPerEU: 1
; NumVGPRsForWavesPerEU: 1
; Occupancy: 16
; WaveLimiterHint : 0
; COMPUTE_PGM_RSRC2:SCRATCH_EN: 0
; COMPUTE_PGM_RSRC2:USER_SGPR: 6
; COMPUTE_PGM_RSRC2:TRAP_HANDLER: 0
; COMPUTE_PGM_RSRC2:TGID_X_EN: 1
; COMPUTE_PGM_RSRC2:TGID_Y_EN: 0
; COMPUTE_PGM_RSRC2:TGID_Z_EN: 0
; COMPUTE_PGM_RSRC2:TIDIG_COMP_CNT: 0
	.section	.text._ZN7rocprim17ROCPRIM_400000_NS6detail17trampoline_kernelINS0_14default_configENS1_22reduce_config_selectorIN6thrust23THRUST_200600_302600_NS5tupleIblNS6_9null_typeES8_S8_S8_S8_S8_S8_S8_EEEEZNS1_11reduce_implILb1ES3_PS9_SC_S9_NS6_11hip_rocprim9__find_if7functorIS9_EEEE10hipError_tPvRmT1_T2_T3_mT4_P12ihipStream_tbEUlT_E0_NS1_11comp_targetILNS1_3genE2ELNS1_11target_archE906ELNS1_3gpuE6ELNS1_3repE0EEENS1_30default_config_static_selectorELNS0_4arch9wavefront6targetE0EEEvSK_,"axG",@progbits,_ZN7rocprim17ROCPRIM_400000_NS6detail17trampoline_kernelINS0_14default_configENS1_22reduce_config_selectorIN6thrust23THRUST_200600_302600_NS5tupleIblNS6_9null_typeES8_S8_S8_S8_S8_S8_S8_EEEEZNS1_11reduce_implILb1ES3_PS9_SC_S9_NS6_11hip_rocprim9__find_if7functorIS9_EEEE10hipError_tPvRmT1_T2_T3_mT4_P12ihipStream_tbEUlT_E0_NS1_11comp_targetILNS1_3genE2ELNS1_11target_archE906ELNS1_3gpuE6ELNS1_3repE0EEENS1_30default_config_static_selectorELNS0_4arch9wavefront6targetE0EEEvSK_,comdat
	.protected	_ZN7rocprim17ROCPRIM_400000_NS6detail17trampoline_kernelINS0_14default_configENS1_22reduce_config_selectorIN6thrust23THRUST_200600_302600_NS5tupleIblNS6_9null_typeES8_S8_S8_S8_S8_S8_S8_EEEEZNS1_11reduce_implILb1ES3_PS9_SC_S9_NS6_11hip_rocprim9__find_if7functorIS9_EEEE10hipError_tPvRmT1_T2_T3_mT4_P12ihipStream_tbEUlT_E0_NS1_11comp_targetILNS1_3genE2ELNS1_11target_archE906ELNS1_3gpuE6ELNS1_3repE0EEENS1_30default_config_static_selectorELNS0_4arch9wavefront6targetE0EEEvSK_ ; -- Begin function _ZN7rocprim17ROCPRIM_400000_NS6detail17trampoline_kernelINS0_14default_configENS1_22reduce_config_selectorIN6thrust23THRUST_200600_302600_NS5tupleIblNS6_9null_typeES8_S8_S8_S8_S8_S8_S8_EEEEZNS1_11reduce_implILb1ES3_PS9_SC_S9_NS6_11hip_rocprim9__find_if7functorIS9_EEEE10hipError_tPvRmT1_T2_T3_mT4_P12ihipStream_tbEUlT_E0_NS1_11comp_targetILNS1_3genE2ELNS1_11target_archE906ELNS1_3gpuE6ELNS1_3repE0EEENS1_30default_config_static_selectorELNS0_4arch9wavefront6targetE0EEEvSK_
	.globl	_ZN7rocprim17ROCPRIM_400000_NS6detail17trampoline_kernelINS0_14default_configENS1_22reduce_config_selectorIN6thrust23THRUST_200600_302600_NS5tupleIblNS6_9null_typeES8_S8_S8_S8_S8_S8_S8_EEEEZNS1_11reduce_implILb1ES3_PS9_SC_S9_NS6_11hip_rocprim9__find_if7functorIS9_EEEE10hipError_tPvRmT1_T2_T3_mT4_P12ihipStream_tbEUlT_E0_NS1_11comp_targetILNS1_3genE2ELNS1_11target_archE906ELNS1_3gpuE6ELNS1_3repE0EEENS1_30default_config_static_selectorELNS0_4arch9wavefront6targetE0EEEvSK_
	.p2align	8
	.type	_ZN7rocprim17ROCPRIM_400000_NS6detail17trampoline_kernelINS0_14default_configENS1_22reduce_config_selectorIN6thrust23THRUST_200600_302600_NS5tupleIblNS6_9null_typeES8_S8_S8_S8_S8_S8_S8_EEEEZNS1_11reduce_implILb1ES3_PS9_SC_S9_NS6_11hip_rocprim9__find_if7functorIS9_EEEE10hipError_tPvRmT1_T2_T3_mT4_P12ihipStream_tbEUlT_E0_NS1_11comp_targetILNS1_3genE2ELNS1_11target_archE906ELNS1_3gpuE6ELNS1_3repE0EEENS1_30default_config_static_selectorELNS0_4arch9wavefront6targetE0EEEvSK_,@function
_ZN7rocprim17ROCPRIM_400000_NS6detail17trampoline_kernelINS0_14default_configENS1_22reduce_config_selectorIN6thrust23THRUST_200600_302600_NS5tupleIblNS6_9null_typeES8_S8_S8_S8_S8_S8_S8_EEEEZNS1_11reduce_implILb1ES3_PS9_SC_S9_NS6_11hip_rocprim9__find_if7functorIS9_EEEE10hipError_tPvRmT1_T2_T3_mT4_P12ihipStream_tbEUlT_E0_NS1_11comp_targetILNS1_3genE2ELNS1_11target_archE906ELNS1_3gpuE6ELNS1_3repE0EEENS1_30default_config_static_selectorELNS0_4arch9wavefront6targetE0EEEvSK_: ; @_ZN7rocprim17ROCPRIM_400000_NS6detail17trampoline_kernelINS0_14default_configENS1_22reduce_config_selectorIN6thrust23THRUST_200600_302600_NS5tupleIblNS6_9null_typeES8_S8_S8_S8_S8_S8_S8_EEEEZNS1_11reduce_implILb1ES3_PS9_SC_S9_NS6_11hip_rocprim9__find_if7functorIS9_EEEE10hipError_tPvRmT1_T2_T3_mT4_P12ihipStream_tbEUlT_E0_NS1_11comp_targetILNS1_3genE2ELNS1_11target_archE906ELNS1_3gpuE6ELNS1_3repE0EEENS1_30default_config_static_selectorELNS0_4arch9wavefront6targetE0EEEvSK_
; %bb.0:
	.section	.rodata,"a",@progbits
	.p2align	6, 0x0
	.amdhsa_kernel _ZN7rocprim17ROCPRIM_400000_NS6detail17trampoline_kernelINS0_14default_configENS1_22reduce_config_selectorIN6thrust23THRUST_200600_302600_NS5tupleIblNS6_9null_typeES8_S8_S8_S8_S8_S8_S8_EEEEZNS1_11reduce_implILb1ES3_PS9_SC_S9_NS6_11hip_rocprim9__find_if7functorIS9_EEEE10hipError_tPvRmT1_T2_T3_mT4_P12ihipStream_tbEUlT_E0_NS1_11comp_targetILNS1_3genE2ELNS1_11target_archE906ELNS1_3gpuE6ELNS1_3repE0EEENS1_30default_config_static_selectorELNS0_4arch9wavefront6targetE0EEEvSK_
		.amdhsa_group_segment_fixed_size 0
		.amdhsa_private_segment_fixed_size 0
		.amdhsa_kernarg_size 72
		.amdhsa_user_sgpr_count 6
		.amdhsa_user_sgpr_private_segment_buffer 1
		.amdhsa_user_sgpr_dispatch_ptr 0
		.amdhsa_user_sgpr_queue_ptr 0
		.amdhsa_user_sgpr_kernarg_segment_ptr 1
		.amdhsa_user_sgpr_dispatch_id 0
		.amdhsa_user_sgpr_flat_scratch_init 0
		.amdhsa_user_sgpr_private_segment_size 0
		.amdhsa_wavefront_size32 1
		.amdhsa_uses_dynamic_stack 0
		.amdhsa_system_sgpr_private_segment_wavefront_offset 0
		.amdhsa_system_sgpr_workgroup_id_x 1
		.amdhsa_system_sgpr_workgroup_id_y 0
		.amdhsa_system_sgpr_workgroup_id_z 0
		.amdhsa_system_sgpr_workgroup_info 0
		.amdhsa_system_vgpr_workitem_id 0
		.amdhsa_next_free_vgpr 1
		.amdhsa_next_free_sgpr 1
		.amdhsa_reserve_vcc 0
		.amdhsa_reserve_flat_scratch 0
		.amdhsa_float_round_mode_32 0
		.amdhsa_float_round_mode_16_64 0
		.amdhsa_float_denorm_mode_32 3
		.amdhsa_float_denorm_mode_16_64 3
		.amdhsa_dx10_clamp 1
		.amdhsa_ieee_mode 1
		.amdhsa_fp16_overflow 0
		.amdhsa_workgroup_processor_mode 1
		.amdhsa_memory_ordered 1
		.amdhsa_forward_progress 1
		.amdhsa_shared_vgpr_count 0
		.amdhsa_exception_fp_ieee_invalid_op 0
		.amdhsa_exception_fp_denorm_src 0
		.amdhsa_exception_fp_ieee_div_zero 0
		.amdhsa_exception_fp_ieee_overflow 0
		.amdhsa_exception_fp_ieee_underflow 0
		.amdhsa_exception_fp_ieee_inexact 0
		.amdhsa_exception_int_div_zero 0
	.end_amdhsa_kernel
	.section	.text._ZN7rocprim17ROCPRIM_400000_NS6detail17trampoline_kernelINS0_14default_configENS1_22reduce_config_selectorIN6thrust23THRUST_200600_302600_NS5tupleIblNS6_9null_typeES8_S8_S8_S8_S8_S8_S8_EEEEZNS1_11reduce_implILb1ES3_PS9_SC_S9_NS6_11hip_rocprim9__find_if7functorIS9_EEEE10hipError_tPvRmT1_T2_T3_mT4_P12ihipStream_tbEUlT_E0_NS1_11comp_targetILNS1_3genE2ELNS1_11target_archE906ELNS1_3gpuE6ELNS1_3repE0EEENS1_30default_config_static_selectorELNS0_4arch9wavefront6targetE0EEEvSK_,"axG",@progbits,_ZN7rocprim17ROCPRIM_400000_NS6detail17trampoline_kernelINS0_14default_configENS1_22reduce_config_selectorIN6thrust23THRUST_200600_302600_NS5tupleIblNS6_9null_typeES8_S8_S8_S8_S8_S8_S8_EEEEZNS1_11reduce_implILb1ES3_PS9_SC_S9_NS6_11hip_rocprim9__find_if7functorIS9_EEEE10hipError_tPvRmT1_T2_T3_mT4_P12ihipStream_tbEUlT_E0_NS1_11comp_targetILNS1_3genE2ELNS1_11target_archE906ELNS1_3gpuE6ELNS1_3repE0EEENS1_30default_config_static_selectorELNS0_4arch9wavefront6targetE0EEEvSK_,comdat
.Lfunc_end454:
	.size	_ZN7rocprim17ROCPRIM_400000_NS6detail17trampoline_kernelINS0_14default_configENS1_22reduce_config_selectorIN6thrust23THRUST_200600_302600_NS5tupleIblNS6_9null_typeES8_S8_S8_S8_S8_S8_S8_EEEEZNS1_11reduce_implILb1ES3_PS9_SC_S9_NS6_11hip_rocprim9__find_if7functorIS9_EEEE10hipError_tPvRmT1_T2_T3_mT4_P12ihipStream_tbEUlT_E0_NS1_11comp_targetILNS1_3genE2ELNS1_11target_archE906ELNS1_3gpuE6ELNS1_3repE0EEENS1_30default_config_static_selectorELNS0_4arch9wavefront6targetE0EEEvSK_, .Lfunc_end454-_ZN7rocprim17ROCPRIM_400000_NS6detail17trampoline_kernelINS0_14default_configENS1_22reduce_config_selectorIN6thrust23THRUST_200600_302600_NS5tupleIblNS6_9null_typeES8_S8_S8_S8_S8_S8_S8_EEEEZNS1_11reduce_implILb1ES3_PS9_SC_S9_NS6_11hip_rocprim9__find_if7functorIS9_EEEE10hipError_tPvRmT1_T2_T3_mT4_P12ihipStream_tbEUlT_E0_NS1_11comp_targetILNS1_3genE2ELNS1_11target_archE906ELNS1_3gpuE6ELNS1_3repE0EEENS1_30default_config_static_selectorELNS0_4arch9wavefront6targetE0EEEvSK_
                                        ; -- End function
	.set _ZN7rocprim17ROCPRIM_400000_NS6detail17trampoline_kernelINS0_14default_configENS1_22reduce_config_selectorIN6thrust23THRUST_200600_302600_NS5tupleIblNS6_9null_typeES8_S8_S8_S8_S8_S8_S8_EEEEZNS1_11reduce_implILb1ES3_PS9_SC_S9_NS6_11hip_rocprim9__find_if7functorIS9_EEEE10hipError_tPvRmT1_T2_T3_mT4_P12ihipStream_tbEUlT_E0_NS1_11comp_targetILNS1_3genE2ELNS1_11target_archE906ELNS1_3gpuE6ELNS1_3repE0EEENS1_30default_config_static_selectorELNS0_4arch9wavefront6targetE0EEEvSK_.num_vgpr, 0
	.set _ZN7rocprim17ROCPRIM_400000_NS6detail17trampoline_kernelINS0_14default_configENS1_22reduce_config_selectorIN6thrust23THRUST_200600_302600_NS5tupleIblNS6_9null_typeES8_S8_S8_S8_S8_S8_S8_EEEEZNS1_11reduce_implILb1ES3_PS9_SC_S9_NS6_11hip_rocprim9__find_if7functorIS9_EEEE10hipError_tPvRmT1_T2_T3_mT4_P12ihipStream_tbEUlT_E0_NS1_11comp_targetILNS1_3genE2ELNS1_11target_archE906ELNS1_3gpuE6ELNS1_3repE0EEENS1_30default_config_static_selectorELNS0_4arch9wavefront6targetE0EEEvSK_.num_agpr, 0
	.set _ZN7rocprim17ROCPRIM_400000_NS6detail17trampoline_kernelINS0_14default_configENS1_22reduce_config_selectorIN6thrust23THRUST_200600_302600_NS5tupleIblNS6_9null_typeES8_S8_S8_S8_S8_S8_S8_EEEEZNS1_11reduce_implILb1ES3_PS9_SC_S9_NS6_11hip_rocprim9__find_if7functorIS9_EEEE10hipError_tPvRmT1_T2_T3_mT4_P12ihipStream_tbEUlT_E0_NS1_11comp_targetILNS1_3genE2ELNS1_11target_archE906ELNS1_3gpuE6ELNS1_3repE0EEENS1_30default_config_static_selectorELNS0_4arch9wavefront6targetE0EEEvSK_.numbered_sgpr, 0
	.set _ZN7rocprim17ROCPRIM_400000_NS6detail17trampoline_kernelINS0_14default_configENS1_22reduce_config_selectorIN6thrust23THRUST_200600_302600_NS5tupleIblNS6_9null_typeES8_S8_S8_S8_S8_S8_S8_EEEEZNS1_11reduce_implILb1ES3_PS9_SC_S9_NS6_11hip_rocprim9__find_if7functorIS9_EEEE10hipError_tPvRmT1_T2_T3_mT4_P12ihipStream_tbEUlT_E0_NS1_11comp_targetILNS1_3genE2ELNS1_11target_archE906ELNS1_3gpuE6ELNS1_3repE0EEENS1_30default_config_static_selectorELNS0_4arch9wavefront6targetE0EEEvSK_.num_named_barrier, 0
	.set _ZN7rocprim17ROCPRIM_400000_NS6detail17trampoline_kernelINS0_14default_configENS1_22reduce_config_selectorIN6thrust23THRUST_200600_302600_NS5tupleIblNS6_9null_typeES8_S8_S8_S8_S8_S8_S8_EEEEZNS1_11reduce_implILb1ES3_PS9_SC_S9_NS6_11hip_rocprim9__find_if7functorIS9_EEEE10hipError_tPvRmT1_T2_T3_mT4_P12ihipStream_tbEUlT_E0_NS1_11comp_targetILNS1_3genE2ELNS1_11target_archE906ELNS1_3gpuE6ELNS1_3repE0EEENS1_30default_config_static_selectorELNS0_4arch9wavefront6targetE0EEEvSK_.private_seg_size, 0
	.set _ZN7rocprim17ROCPRIM_400000_NS6detail17trampoline_kernelINS0_14default_configENS1_22reduce_config_selectorIN6thrust23THRUST_200600_302600_NS5tupleIblNS6_9null_typeES8_S8_S8_S8_S8_S8_S8_EEEEZNS1_11reduce_implILb1ES3_PS9_SC_S9_NS6_11hip_rocprim9__find_if7functorIS9_EEEE10hipError_tPvRmT1_T2_T3_mT4_P12ihipStream_tbEUlT_E0_NS1_11comp_targetILNS1_3genE2ELNS1_11target_archE906ELNS1_3gpuE6ELNS1_3repE0EEENS1_30default_config_static_selectorELNS0_4arch9wavefront6targetE0EEEvSK_.uses_vcc, 0
	.set _ZN7rocprim17ROCPRIM_400000_NS6detail17trampoline_kernelINS0_14default_configENS1_22reduce_config_selectorIN6thrust23THRUST_200600_302600_NS5tupleIblNS6_9null_typeES8_S8_S8_S8_S8_S8_S8_EEEEZNS1_11reduce_implILb1ES3_PS9_SC_S9_NS6_11hip_rocprim9__find_if7functorIS9_EEEE10hipError_tPvRmT1_T2_T3_mT4_P12ihipStream_tbEUlT_E0_NS1_11comp_targetILNS1_3genE2ELNS1_11target_archE906ELNS1_3gpuE6ELNS1_3repE0EEENS1_30default_config_static_selectorELNS0_4arch9wavefront6targetE0EEEvSK_.uses_flat_scratch, 0
	.set _ZN7rocprim17ROCPRIM_400000_NS6detail17trampoline_kernelINS0_14default_configENS1_22reduce_config_selectorIN6thrust23THRUST_200600_302600_NS5tupleIblNS6_9null_typeES8_S8_S8_S8_S8_S8_S8_EEEEZNS1_11reduce_implILb1ES3_PS9_SC_S9_NS6_11hip_rocprim9__find_if7functorIS9_EEEE10hipError_tPvRmT1_T2_T3_mT4_P12ihipStream_tbEUlT_E0_NS1_11comp_targetILNS1_3genE2ELNS1_11target_archE906ELNS1_3gpuE6ELNS1_3repE0EEENS1_30default_config_static_selectorELNS0_4arch9wavefront6targetE0EEEvSK_.has_dyn_sized_stack, 0
	.set _ZN7rocprim17ROCPRIM_400000_NS6detail17trampoline_kernelINS0_14default_configENS1_22reduce_config_selectorIN6thrust23THRUST_200600_302600_NS5tupleIblNS6_9null_typeES8_S8_S8_S8_S8_S8_S8_EEEEZNS1_11reduce_implILb1ES3_PS9_SC_S9_NS6_11hip_rocprim9__find_if7functorIS9_EEEE10hipError_tPvRmT1_T2_T3_mT4_P12ihipStream_tbEUlT_E0_NS1_11comp_targetILNS1_3genE2ELNS1_11target_archE906ELNS1_3gpuE6ELNS1_3repE0EEENS1_30default_config_static_selectorELNS0_4arch9wavefront6targetE0EEEvSK_.has_recursion, 0
	.set _ZN7rocprim17ROCPRIM_400000_NS6detail17trampoline_kernelINS0_14default_configENS1_22reduce_config_selectorIN6thrust23THRUST_200600_302600_NS5tupleIblNS6_9null_typeES8_S8_S8_S8_S8_S8_S8_EEEEZNS1_11reduce_implILb1ES3_PS9_SC_S9_NS6_11hip_rocprim9__find_if7functorIS9_EEEE10hipError_tPvRmT1_T2_T3_mT4_P12ihipStream_tbEUlT_E0_NS1_11comp_targetILNS1_3genE2ELNS1_11target_archE906ELNS1_3gpuE6ELNS1_3repE0EEENS1_30default_config_static_selectorELNS0_4arch9wavefront6targetE0EEEvSK_.has_indirect_call, 0
	.section	.AMDGPU.csdata,"",@progbits
; Kernel info:
; codeLenInByte = 0
; TotalNumSgprs: 0
; NumVgprs: 0
; ScratchSize: 0
; MemoryBound: 0
; FloatMode: 240
; IeeeMode: 1
; LDSByteSize: 0 bytes/workgroup (compile time only)
; SGPRBlocks: 0
; VGPRBlocks: 0
; NumSGPRsForWavesPerEU: 1
; NumVGPRsForWavesPerEU: 1
; Occupancy: 16
; WaveLimiterHint : 0
; COMPUTE_PGM_RSRC2:SCRATCH_EN: 0
; COMPUTE_PGM_RSRC2:USER_SGPR: 6
; COMPUTE_PGM_RSRC2:TRAP_HANDLER: 0
; COMPUTE_PGM_RSRC2:TGID_X_EN: 1
; COMPUTE_PGM_RSRC2:TGID_Y_EN: 0
; COMPUTE_PGM_RSRC2:TGID_Z_EN: 0
; COMPUTE_PGM_RSRC2:TIDIG_COMP_CNT: 0
	.section	.text._ZN7rocprim17ROCPRIM_400000_NS6detail17trampoline_kernelINS0_14default_configENS1_22reduce_config_selectorIN6thrust23THRUST_200600_302600_NS5tupleIblNS6_9null_typeES8_S8_S8_S8_S8_S8_S8_EEEEZNS1_11reduce_implILb1ES3_PS9_SC_S9_NS6_11hip_rocprim9__find_if7functorIS9_EEEE10hipError_tPvRmT1_T2_T3_mT4_P12ihipStream_tbEUlT_E0_NS1_11comp_targetILNS1_3genE10ELNS1_11target_archE1201ELNS1_3gpuE5ELNS1_3repE0EEENS1_30default_config_static_selectorELNS0_4arch9wavefront6targetE0EEEvSK_,"axG",@progbits,_ZN7rocprim17ROCPRIM_400000_NS6detail17trampoline_kernelINS0_14default_configENS1_22reduce_config_selectorIN6thrust23THRUST_200600_302600_NS5tupleIblNS6_9null_typeES8_S8_S8_S8_S8_S8_S8_EEEEZNS1_11reduce_implILb1ES3_PS9_SC_S9_NS6_11hip_rocprim9__find_if7functorIS9_EEEE10hipError_tPvRmT1_T2_T3_mT4_P12ihipStream_tbEUlT_E0_NS1_11comp_targetILNS1_3genE10ELNS1_11target_archE1201ELNS1_3gpuE5ELNS1_3repE0EEENS1_30default_config_static_selectorELNS0_4arch9wavefront6targetE0EEEvSK_,comdat
	.protected	_ZN7rocprim17ROCPRIM_400000_NS6detail17trampoline_kernelINS0_14default_configENS1_22reduce_config_selectorIN6thrust23THRUST_200600_302600_NS5tupleIblNS6_9null_typeES8_S8_S8_S8_S8_S8_S8_EEEEZNS1_11reduce_implILb1ES3_PS9_SC_S9_NS6_11hip_rocprim9__find_if7functorIS9_EEEE10hipError_tPvRmT1_T2_T3_mT4_P12ihipStream_tbEUlT_E0_NS1_11comp_targetILNS1_3genE10ELNS1_11target_archE1201ELNS1_3gpuE5ELNS1_3repE0EEENS1_30default_config_static_selectorELNS0_4arch9wavefront6targetE0EEEvSK_ ; -- Begin function _ZN7rocprim17ROCPRIM_400000_NS6detail17trampoline_kernelINS0_14default_configENS1_22reduce_config_selectorIN6thrust23THRUST_200600_302600_NS5tupleIblNS6_9null_typeES8_S8_S8_S8_S8_S8_S8_EEEEZNS1_11reduce_implILb1ES3_PS9_SC_S9_NS6_11hip_rocprim9__find_if7functorIS9_EEEE10hipError_tPvRmT1_T2_T3_mT4_P12ihipStream_tbEUlT_E0_NS1_11comp_targetILNS1_3genE10ELNS1_11target_archE1201ELNS1_3gpuE5ELNS1_3repE0EEENS1_30default_config_static_selectorELNS0_4arch9wavefront6targetE0EEEvSK_
	.globl	_ZN7rocprim17ROCPRIM_400000_NS6detail17trampoline_kernelINS0_14default_configENS1_22reduce_config_selectorIN6thrust23THRUST_200600_302600_NS5tupleIblNS6_9null_typeES8_S8_S8_S8_S8_S8_S8_EEEEZNS1_11reduce_implILb1ES3_PS9_SC_S9_NS6_11hip_rocprim9__find_if7functorIS9_EEEE10hipError_tPvRmT1_T2_T3_mT4_P12ihipStream_tbEUlT_E0_NS1_11comp_targetILNS1_3genE10ELNS1_11target_archE1201ELNS1_3gpuE5ELNS1_3repE0EEENS1_30default_config_static_selectorELNS0_4arch9wavefront6targetE0EEEvSK_
	.p2align	8
	.type	_ZN7rocprim17ROCPRIM_400000_NS6detail17trampoline_kernelINS0_14default_configENS1_22reduce_config_selectorIN6thrust23THRUST_200600_302600_NS5tupleIblNS6_9null_typeES8_S8_S8_S8_S8_S8_S8_EEEEZNS1_11reduce_implILb1ES3_PS9_SC_S9_NS6_11hip_rocprim9__find_if7functorIS9_EEEE10hipError_tPvRmT1_T2_T3_mT4_P12ihipStream_tbEUlT_E0_NS1_11comp_targetILNS1_3genE10ELNS1_11target_archE1201ELNS1_3gpuE5ELNS1_3repE0EEENS1_30default_config_static_selectorELNS0_4arch9wavefront6targetE0EEEvSK_,@function
_ZN7rocprim17ROCPRIM_400000_NS6detail17trampoline_kernelINS0_14default_configENS1_22reduce_config_selectorIN6thrust23THRUST_200600_302600_NS5tupleIblNS6_9null_typeES8_S8_S8_S8_S8_S8_S8_EEEEZNS1_11reduce_implILb1ES3_PS9_SC_S9_NS6_11hip_rocprim9__find_if7functorIS9_EEEE10hipError_tPvRmT1_T2_T3_mT4_P12ihipStream_tbEUlT_E0_NS1_11comp_targetILNS1_3genE10ELNS1_11target_archE1201ELNS1_3gpuE5ELNS1_3repE0EEENS1_30default_config_static_selectorELNS0_4arch9wavefront6targetE0EEEvSK_: ; @_ZN7rocprim17ROCPRIM_400000_NS6detail17trampoline_kernelINS0_14default_configENS1_22reduce_config_selectorIN6thrust23THRUST_200600_302600_NS5tupleIblNS6_9null_typeES8_S8_S8_S8_S8_S8_S8_EEEEZNS1_11reduce_implILb1ES3_PS9_SC_S9_NS6_11hip_rocprim9__find_if7functorIS9_EEEE10hipError_tPvRmT1_T2_T3_mT4_P12ihipStream_tbEUlT_E0_NS1_11comp_targetILNS1_3genE10ELNS1_11target_archE1201ELNS1_3gpuE5ELNS1_3repE0EEENS1_30default_config_static_selectorELNS0_4arch9wavefront6targetE0EEEvSK_
; %bb.0:
	.section	.rodata,"a",@progbits
	.p2align	6, 0x0
	.amdhsa_kernel _ZN7rocprim17ROCPRIM_400000_NS6detail17trampoline_kernelINS0_14default_configENS1_22reduce_config_selectorIN6thrust23THRUST_200600_302600_NS5tupleIblNS6_9null_typeES8_S8_S8_S8_S8_S8_S8_EEEEZNS1_11reduce_implILb1ES3_PS9_SC_S9_NS6_11hip_rocprim9__find_if7functorIS9_EEEE10hipError_tPvRmT1_T2_T3_mT4_P12ihipStream_tbEUlT_E0_NS1_11comp_targetILNS1_3genE10ELNS1_11target_archE1201ELNS1_3gpuE5ELNS1_3repE0EEENS1_30default_config_static_selectorELNS0_4arch9wavefront6targetE0EEEvSK_
		.amdhsa_group_segment_fixed_size 0
		.amdhsa_private_segment_fixed_size 0
		.amdhsa_kernarg_size 72
		.amdhsa_user_sgpr_count 6
		.amdhsa_user_sgpr_private_segment_buffer 1
		.amdhsa_user_sgpr_dispatch_ptr 0
		.amdhsa_user_sgpr_queue_ptr 0
		.amdhsa_user_sgpr_kernarg_segment_ptr 1
		.amdhsa_user_sgpr_dispatch_id 0
		.amdhsa_user_sgpr_flat_scratch_init 0
		.amdhsa_user_sgpr_private_segment_size 0
		.amdhsa_wavefront_size32 1
		.amdhsa_uses_dynamic_stack 0
		.amdhsa_system_sgpr_private_segment_wavefront_offset 0
		.amdhsa_system_sgpr_workgroup_id_x 1
		.amdhsa_system_sgpr_workgroup_id_y 0
		.amdhsa_system_sgpr_workgroup_id_z 0
		.amdhsa_system_sgpr_workgroup_info 0
		.amdhsa_system_vgpr_workitem_id 0
		.amdhsa_next_free_vgpr 1
		.amdhsa_next_free_sgpr 1
		.amdhsa_reserve_vcc 0
		.amdhsa_reserve_flat_scratch 0
		.amdhsa_float_round_mode_32 0
		.amdhsa_float_round_mode_16_64 0
		.amdhsa_float_denorm_mode_32 3
		.amdhsa_float_denorm_mode_16_64 3
		.amdhsa_dx10_clamp 1
		.amdhsa_ieee_mode 1
		.amdhsa_fp16_overflow 0
		.amdhsa_workgroup_processor_mode 1
		.amdhsa_memory_ordered 1
		.amdhsa_forward_progress 1
		.amdhsa_shared_vgpr_count 0
		.amdhsa_exception_fp_ieee_invalid_op 0
		.amdhsa_exception_fp_denorm_src 0
		.amdhsa_exception_fp_ieee_div_zero 0
		.amdhsa_exception_fp_ieee_overflow 0
		.amdhsa_exception_fp_ieee_underflow 0
		.amdhsa_exception_fp_ieee_inexact 0
		.amdhsa_exception_int_div_zero 0
	.end_amdhsa_kernel
	.section	.text._ZN7rocprim17ROCPRIM_400000_NS6detail17trampoline_kernelINS0_14default_configENS1_22reduce_config_selectorIN6thrust23THRUST_200600_302600_NS5tupleIblNS6_9null_typeES8_S8_S8_S8_S8_S8_S8_EEEEZNS1_11reduce_implILb1ES3_PS9_SC_S9_NS6_11hip_rocprim9__find_if7functorIS9_EEEE10hipError_tPvRmT1_T2_T3_mT4_P12ihipStream_tbEUlT_E0_NS1_11comp_targetILNS1_3genE10ELNS1_11target_archE1201ELNS1_3gpuE5ELNS1_3repE0EEENS1_30default_config_static_selectorELNS0_4arch9wavefront6targetE0EEEvSK_,"axG",@progbits,_ZN7rocprim17ROCPRIM_400000_NS6detail17trampoline_kernelINS0_14default_configENS1_22reduce_config_selectorIN6thrust23THRUST_200600_302600_NS5tupleIblNS6_9null_typeES8_S8_S8_S8_S8_S8_S8_EEEEZNS1_11reduce_implILb1ES3_PS9_SC_S9_NS6_11hip_rocprim9__find_if7functorIS9_EEEE10hipError_tPvRmT1_T2_T3_mT4_P12ihipStream_tbEUlT_E0_NS1_11comp_targetILNS1_3genE10ELNS1_11target_archE1201ELNS1_3gpuE5ELNS1_3repE0EEENS1_30default_config_static_selectorELNS0_4arch9wavefront6targetE0EEEvSK_,comdat
.Lfunc_end455:
	.size	_ZN7rocprim17ROCPRIM_400000_NS6detail17trampoline_kernelINS0_14default_configENS1_22reduce_config_selectorIN6thrust23THRUST_200600_302600_NS5tupleIblNS6_9null_typeES8_S8_S8_S8_S8_S8_S8_EEEEZNS1_11reduce_implILb1ES3_PS9_SC_S9_NS6_11hip_rocprim9__find_if7functorIS9_EEEE10hipError_tPvRmT1_T2_T3_mT4_P12ihipStream_tbEUlT_E0_NS1_11comp_targetILNS1_3genE10ELNS1_11target_archE1201ELNS1_3gpuE5ELNS1_3repE0EEENS1_30default_config_static_selectorELNS0_4arch9wavefront6targetE0EEEvSK_, .Lfunc_end455-_ZN7rocprim17ROCPRIM_400000_NS6detail17trampoline_kernelINS0_14default_configENS1_22reduce_config_selectorIN6thrust23THRUST_200600_302600_NS5tupleIblNS6_9null_typeES8_S8_S8_S8_S8_S8_S8_EEEEZNS1_11reduce_implILb1ES3_PS9_SC_S9_NS6_11hip_rocprim9__find_if7functorIS9_EEEE10hipError_tPvRmT1_T2_T3_mT4_P12ihipStream_tbEUlT_E0_NS1_11comp_targetILNS1_3genE10ELNS1_11target_archE1201ELNS1_3gpuE5ELNS1_3repE0EEENS1_30default_config_static_selectorELNS0_4arch9wavefront6targetE0EEEvSK_
                                        ; -- End function
	.set _ZN7rocprim17ROCPRIM_400000_NS6detail17trampoline_kernelINS0_14default_configENS1_22reduce_config_selectorIN6thrust23THRUST_200600_302600_NS5tupleIblNS6_9null_typeES8_S8_S8_S8_S8_S8_S8_EEEEZNS1_11reduce_implILb1ES3_PS9_SC_S9_NS6_11hip_rocprim9__find_if7functorIS9_EEEE10hipError_tPvRmT1_T2_T3_mT4_P12ihipStream_tbEUlT_E0_NS1_11comp_targetILNS1_3genE10ELNS1_11target_archE1201ELNS1_3gpuE5ELNS1_3repE0EEENS1_30default_config_static_selectorELNS0_4arch9wavefront6targetE0EEEvSK_.num_vgpr, 0
	.set _ZN7rocprim17ROCPRIM_400000_NS6detail17trampoline_kernelINS0_14default_configENS1_22reduce_config_selectorIN6thrust23THRUST_200600_302600_NS5tupleIblNS6_9null_typeES8_S8_S8_S8_S8_S8_S8_EEEEZNS1_11reduce_implILb1ES3_PS9_SC_S9_NS6_11hip_rocprim9__find_if7functorIS9_EEEE10hipError_tPvRmT1_T2_T3_mT4_P12ihipStream_tbEUlT_E0_NS1_11comp_targetILNS1_3genE10ELNS1_11target_archE1201ELNS1_3gpuE5ELNS1_3repE0EEENS1_30default_config_static_selectorELNS0_4arch9wavefront6targetE0EEEvSK_.num_agpr, 0
	.set _ZN7rocprim17ROCPRIM_400000_NS6detail17trampoline_kernelINS0_14default_configENS1_22reduce_config_selectorIN6thrust23THRUST_200600_302600_NS5tupleIblNS6_9null_typeES8_S8_S8_S8_S8_S8_S8_EEEEZNS1_11reduce_implILb1ES3_PS9_SC_S9_NS6_11hip_rocprim9__find_if7functorIS9_EEEE10hipError_tPvRmT1_T2_T3_mT4_P12ihipStream_tbEUlT_E0_NS1_11comp_targetILNS1_3genE10ELNS1_11target_archE1201ELNS1_3gpuE5ELNS1_3repE0EEENS1_30default_config_static_selectorELNS0_4arch9wavefront6targetE0EEEvSK_.numbered_sgpr, 0
	.set _ZN7rocprim17ROCPRIM_400000_NS6detail17trampoline_kernelINS0_14default_configENS1_22reduce_config_selectorIN6thrust23THRUST_200600_302600_NS5tupleIblNS6_9null_typeES8_S8_S8_S8_S8_S8_S8_EEEEZNS1_11reduce_implILb1ES3_PS9_SC_S9_NS6_11hip_rocprim9__find_if7functorIS9_EEEE10hipError_tPvRmT1_T2_T3_mT4_P12ihipStream_tbEUlT_E0_NS1_11comp_targetILNS1_3genE10ELNS1_11target_archE1201ELNS1_3gpuE5ELNS1_3repE0EEENS1_30default_config_static_selectorELNS0_4arch9wavefront6targetE0EEEvSK_.num_named_barrier, 0
	.set _ZN7rocprim17ROCPRIM_400000_NS6detail17trampoline_kernelINS0_14default_configENS1_22reduce_config_selectorIN6thrust23THRUST_200600_302600_NS5tupleIblNS6_9null_typeES8_S8_S8_S8_S8_S8_S8_EEEEZNS1_11reduce_implILb1ES3_PS9_SC_S9_NS6_11hip_rocprim9__find_if7functorIS9_EEEE10hipError_tPvRmT1_T2_T3_mT4_P12ihipStream_tbEUlT_E0_NS1_11comp_targetILNS1_3genE10ELNS1_11target_archE1201ELNS1_3gpuE5ELNS1_3repE0EEENS1_30default_config_static_selectorELNS0_4arch9wavefront6targetE0EEEvSK_.private_seg_size, 0
	.set _ZN7rocprim17ROCPRIM_400000_NS6detail17trampoline_kernelINS0_14default_configENS1_22reduce_config_selectorIN6thrust23THRUST_200600_302600_NS5tupleIblNS6_9null_typeES8_S8_S8_S8_S8_S8_S8_EEEEZNS1_11reduce_implILb1ES3_PS9_SC_S9_NS6_11hip_rocprim9__find_if7functorIS9_EEEE10hipError_tPvRmT1_T2_T3_mT4_P12ihipStream_tbEUlT_E0_NS1_11comp_targetILNS1_3genE10ELNS1_11target_archE1201ELNS1_3gpuE5ELNS1_3repE0EEENS1_30default_config_static_selectorELNS0_4arch9wavefront6targetE0EEEvSK_.uses_vcc, 0
	.set _ZN7rocprim17ROCPRIM_400000_NS6detail17trampoline_kernelINS0_14default_configENS1_22reduce_config_selectorIN6thrust23THRUST_200600_302600_NS5tupleIblNS6_9null_typeES8_S8_S8_S8_S8_S8_S8_EEEEZNS1_11reduce_implILb1ES3_PS9_SC_S9_NS6_11hip_rocprim9__find_if7functorIS9_EEEE10hipError_tPvRmT1_T2_T3_mT4_P12ihipStream_tbEUlT_E0_NS1_11comp_targetILNS1_3genE10ELNS1_11target_archE1201ELNS1_3gpuE5ELNS1_3repE0EEENS1_30default_config_static_selectorELNS0_4arch9wavefront6targetE0EEEvSK_.uses_flat_scratch, 0
	.set _ZN7rocprim17ROCPRIM_400000_NS6detail17trampoline_kernelINS0_14default_configENS1_22reduce_config_selectorIN6thrust23THRUST_200600_302600_NS5tupleIblNS6_9null_typeES8_S8_S8_S8_S8_S8_S8_EEEEZNS1_11reduce_implILb1ES3_PS9_SC_S9_NS6_11hip_rocprim9__find_if7functorIS9_EEEE10hipError_tPvRmT1_T2_T3_mT4_P12ihipStream_tbEUlT_E0_NS1_11comp_targetILNS1_3genE10ELNS1_11target_archE1201ELNS1_3gpuE5ELNS1_3repE0EEENS1_30default_config_static_selectorELNS0_4arch9wavefront6targetE0EEEvSK_.has_dyn_sized_stack, 0
	.set _ZN7rocprim17ROCPRIM_400000_NS6detail17trampoline_kernelINS0_14default_configENS1_22reduce_config_selectorIN6thrust23THRUST_200600_302600_NS5tupleIblNS6_9null_typeES8_S8_S8_S8_S8_S8_S8_EEEEZNS1_11reduce_implILb1ES3_PS9_SC_S9_NS6_11hip_rocprim9__find_if7functorIS9_EEEE10hipError_tPvRmT1_T2_T3_mT4_P12ihipStream_tbEUlT_E0_NS1_11comp_targetILNS1_3genE10ELNS1_11target_archE1201ELNS1_3gpuE5ELNS1_3repE0EEENS1_30default_config_static_selectorELNS0_4arch9wavefront6targetE0EEEvSK_.has_recursion, 0
	.set _ZN7rocprim17ROCPRIM_400000_NS6detail17trampoline_kernelINS0_14default_configENS1_22reduce_config_selectorIN6thrust23THRUST_200600_302600_NS5tupleIblNS6_9null_typeES8_S8_S8_S8_S8_S8_S8_EEEEZNS1_11reduce_implILb1ES3_PS9_SC_S9_NS6_11hip_rocprim9__find_if7functorIS9_EEEE10hipError_tPvRmT1_T2_T3_mT4_P12ihipStream_tbEUlT_E0_NS1_11comp_targetILNS1_3genE10ELNS1_11target_archE1201ELNS1_3gpuE5ELNS1_3repE0EEENS1_30default_config_static_selectorELNS0_4arch9wavefront6targetE0EEEvSK_.has_indirect_call, 0
	.section	.AMDGPU.csdata,"",@progbits
; Kernel info:
; codeLenInByte = 0
; TotalNumSgprs: 0
; NumVgprs: 0
; ScratchSize: 0
; MemoryBound: 0
; FloatMode: 240
; IeeeMode: 1
; LDSByteSize: 0 bytes/workgroup (compile time only)
; SGPRBlocks: 0
; VGPRBlocks: 0
; NumSGPRsForWavesPerEU: 1
; NumVGPRsForWavesPerEU: 1
; Occupancy: 16
; WaveLimiterHint : 0
; COMPUTE_PGM_RSRC2:SCRATCH_EN: 0
; COMPUTE_PGM_RSRC2:USER_SGPR: 6
; COMPUTE_PGM_RSRC2:TRAP_HANDLER: 0
; COMPUTE_PGM_RSRC2:TGID_X_EN: 1
; COMPUTE_PGM_RSRC2:TGID_Y_EN: 0
; COMPUTE_PGM_RSRC2:TGID_Z_EN: 0
; COMPUTE_PGM_RSRC2:TIDIG_COMP_CNT: 0
	.section	.text._ZN7rocprim17ROCPRIM_400000_NS6detail17trampoline_kernelINS0_14default_configENS1_22reduce_config_selectorIN6thrust23THRUST_200600_302600_NS5tupleIblNS6_9null_typeES8_S8_S8_S8_S8_S8_S8_EEEEZNS1_11reduce_implILb1ES3_PS9_SC_S9_NS6_11hip_rocprim9__find_if7functorIS9_EEEE10hipError_tPvRmT1_T2_T3_mT4_P12ihipStream_tbEUlT_E0_NS1_11comp_targetILNS1_3genE10ELNS1_11target_archE1200ELNS1_3gpuE4ELNS1_3repE0EEENS1_30default_config_static_selectorELNS0_4arch9wavefront6targetE0EEEvSK_,"axG",@progbits,_ZN7rocprim17ROCPRIM_400000_NS6detail17trampoline_kernelINS0_14default_configENS1_22reduce_config_selectorIN6thrust23THRUST_200600_302600_NS5tupleIblNS6_9null_typeES8_S8_S8_S8_S8_S8_S8_EEEEZNS1_11reduce_implILb1ES3_PS9_SC_S9_NS6_11hip_rocprim9__find_if7functorIS9_EEEE10hipError_tPvRmT1_T2_T3_mT4_P12ihipStream_tbEUlT_E0_NS1_11comp_targetILNS1_3genE10ELNS1_11target_archE1200ELNS1_3gpuE4ELNS1_3repE0EEENS1_30default_config_static_selectorELNS0_4arch9wavefront6targetE0EEEvSK_,comdat
	.protected	_ZN7rocprim17ROCPRIM_400000_NS6detail17trampoline_kernelINS0_14default_configENS1_22reduce_config_selectorIN6thrust23THRUST_200600_302600_NS5tupleIblNS6_9null_typeES8_S8_S8_S8_S8_S8_S8_EEEEZNS1_11reduce_implILb1ES3_PS9_SC_S9_NS6_11hip_rocprim9__find_if7functorIS9_EEEE10hipError_tPvRmT1_T2_T3_mT4_P12ihipStream_tbEUlT_E0_NS1_11comp_targetILNS1_3genE10ELNS1_11target_archE1200ELNS1_3gpuE4ELNS1_3repE0EEENS1_30default_config_static_selectorELNS0_4arch9wavefront6targetE0EEEvSK_ ; -- Begin function _ZN7rocprim17ROCPRIM_400000_NS6detail17trampoline_kernelINS0_14default_configENS1_22reduce_config_selectorIN6thrust23THRUST_200600_302600_NS5tupleIblNS6_9null_typeES8_S8_S8_S8_S8_S8_S8_EEEEZNS1_11reduce_implILb1ES3_PS9_SC_S9_NS6_11hip_rocprim9__find_if7functorIS9_EEEE10hipError_tPvRmT1_T2_T3_mT4_P12ihipStream_tbEUlT_E0_NS1_11comp_targetILNS1_3genE10ELNS1_11target_archE1200ELNS1_3gpuE4ELNS1_3repE0EEENS1_30default_config_static_selectorELNS0_4arch9wavefront6targetE0EEEvSK_
	.globl	_ZN7rocprim17ROCPRIM_400000_NS6detail17trampoline_kernelINS0_14default_configENS1_22reduce_config_selectorIN6thrust23THRUST_200600_302600_NS5tupleIblNS6_9null_typeES8_S8_S8_S8_S8_S8_S8_EEEEZNS1_11reduce_implILb1ES3_PS9_SC_S9_NS6_11hip_rocprim9__find_if7functorIS9_EEEE10hipError_tPvRmT1_T2_T3_mT4_P12ihipStream_tbEUlT_E0_NS1_11comp_targetILNS1_3genE10ELNS1_11target_archE1200ELNS1_3gpuE4ELNS1_3repE0EEENS1_30default_config_static_selectorELNS0_4arch9wavefront6targetE0EEEvSK_
	.p2align	8
	.type	_ZN7rocprim17ROCPRIM_400000_NS6detail17trampoline_kernelINS0_14default_configENS1_22reduce_config_selectorIN6thrust23THRUST_200600_302600_NS5tupleIblNS6_9null_typeES8_S8_S8_S8_S8_S8_S8_EEEEZNS1_11reduce_implILb1ES3_PS9_SC_S9_NS6_11hip_rocprim9__find_if7functorIS9_EEEE10hipError_tPvRmT1_T2_T3_mT4_P12ihipStream_tbEUlT_E0_NS1_11comp_targetILNS1_3genE10ELNS1_11target_archE1200ELNS1_3gpuE4ELNS1_3repE0EEENS1_30default_config_static_selectorELNS0_4arch9wavefront6targetE0EEEvSK_,@function
_ZN7rocprim17ROCPRIM_400000_NS6detail17trampoline_kernelINS0_14default_configENS1_22reduce_config_selectorIN6thrust23THRUST_200600_302600_NS5tupleIblNS6_9null_typeES8_S8_S8_S8_S8_S8_S8_EEEEZNS1_11reduce_implILb1ES3_PS9_SC_S9_NS6_11hip_rocprim9__find_if7functorIS9_EEEE10hipError_tPvRmT1_T2_T3_mT4_P12ihipStream_tbEUlT_E0_NS1_11comp_targetILNS1_3genE10ELNS1_11target_archE1200ELNS1_3gpuE4ELNS1_3repE0EEENS1_30default_config_static_selectorELNS0_4arch9wavefront6targetE0EEEvSK_: ; @_ZN7rocprim17ROCPRIM_400000_NS6detail17trampoline_kernelINS0_14default_configENS1_22reduce_config_selectorIN6thrust23THRUST_200600_302600_NS5tupleIblNS6_9null_typeES8_S8_S8_S8_S8_S8_S8_EEEEZNS1_11reduce_implILb1ES3_PS9_SC_S9_NS6_11hip_rocprim9__find_if7functorIS9_EEEE10hipError_tPvRmT1_T2_T3_mT4_P12ihipStream_tbEUlT_E0_NS1_11comp_targetILNS1_3genE10ELNS1_11target_archE1200ELNS1_3gpuE4ELNS1_3repE0EEENS1_30default_config_static_selectorELNS0_4arch9wavefront6targetE0EEEvSK_
; %bb.0:
	.section	.rodata,"a",@progbits
	.p2align	6, 0x0
	.amdhsa_kernel _ZN7rocprim17ROCPRIM_400000_NS6detail17trampoline_kernelINS0_14default_configENS1_22reduce_config_selectorIN6thrust23THRUST_200600_302600_NS5tupleIblNS6_9null_typeES8_S8_S8_S8_S8_S8_S8_EEEEZNS1_11reduce_implILb1ES3_PS9_SC_S9_NS6_11hip_rocprim9__find_if7functorIS9_EEEE10hipError_tPvRmT1_T2_T3_mT4_P12ihipStream_tbEUlT_E0_NS1_11comp_targetILNS1_3genE10ELNS1_11target_archE1200ELNS1_3gpuE4ELNS1_3repE0EEENS1_30default_config_static_selectorELNS0_4arch9wavefront6targetE0EEEvSK_
		.amdhsa_group_segment_fixed_size 0
		.amdhsa_private_segment_fixed_size 0
		.amdhsa_kernarg_size 72
		.amdhsa_user_sgpr_count 6
		.amdhsa_user_sgpr_private_segment_buffer 1
		.amdhsa_user_sgpr_dispatch_ptr 0
		.amdhsa_user_sgpr_queue_ptr 0
		.amdhsa_user_sgpr_kernarg_segment_ptr 1
		.amdhsa_user_sgpr_dispatch_id 0
		.amdhsa_user_sgpr_flat_scratch_init 0
		.amdhsa_user_sgpr_private_segment_size 0
		.amdhsa_wavefront_size32 1
		.amdhsa_uses_dynamic_stack 0
		.amdhsa_system_sgpr_private_segment_wavefront_offset 0
		.amdhsa_system_sgpr_workgroup_id_x 1
		.amdhsa_system_sgpr_workgroup_id_y 0
		.amdhsa_system_sgpr_workgroup_id_z 0
		.amdhsa_system_sgpr_workgroup_info 0
		.amdhsa_system_vgpr_workitem_id 0
		.amdhsa_next_free_vgpr 1
		.amdhsa_next_free_sgpr 1
		.amdhsa_reserve_vcc 0
		.amdhsa_reserve_flat_scratch 0
		.amdhsa_float_round_mode_32 0
		.amdhsa_float_round_mode_16_64 0
		.amdhsa_float_denorm_mode_32 3
		.amdhsa_float_denorm_mode_16_64 3
		.amdhsa_dx10_clamp 1
		.amdhsa_ieee_mode 1
		.amdhsa_fp16_overflow 0
		.amdhsa_workgroup_processor_mode 1
		.amdhsa_memory_ordered 1
		.amdhsa_forward_progress 1
		.amdhsa_shared_vgpr_count 0
		.amdhsa_exception_fp_ieee_invalid_op 0
		.amdhsa_exception_fp_denorm_src 0
		.amdhsa_exception_fp_ieee_div_zero 0
		.amdhsa_exception_fp_ieee_overflow 0
		.amdhsa_exception_fp_ieee_underflow 0
		.amdhsa_exception_fp_ieee_inexact 0
		.amdhsa_exception_int_div_zero 0
	.end_amdhsa_kernel
	.section	.text._ZN7rocprim17ROCPRIM_400000_NS6detail17trampoline_kernelINS0_14default_configENS1_22reduce_config_selectorIN6thrust23THRUST_200600_302600_NS5tupleIblNS6_9null_typeES8_S8_S8_S8_S8_S8_S8_EEEEZNS1_11reduce_implILb1ES3_PS9_SC_S9_NS6_11hip_rocprim9__find_if7functorIS9_EEEE10hipError_tPvRmT1_T2_T3_mT4_P12ihipStream_tbEUlT_E0_NS1_11comp_targetILNS1_3genE10ELNS1_11target_archE1200ELNS1_3gpuE4ELNS1_3repE0EEENS1_30default_config_static_selectorELNS0_4arch9wavefront6targetE0EEEvSK_,"axG",@progbits,_ZN7rocprim17ROCPRIM_400000_NS6detail17trampoline_kernelINS0_14default_configENS1_22reduce_config_selectorIN6thrust23THRUST_200600_302600_NS5tupleIblNS6_9null_typeES8_S8_S8_S8_S8_S8_S8_EEEEZNS1_11reduce_implILb1ES3_PS9_SC_S9_NS6_11hip_rocprim9__find_if7functorIS9_EEEE10hipError_tPvRmT1_T2_T3_mT4_P12ihipStream_tbEUlT_E0_NS1_11comp_targetILNS1_3genE10ELNS1_11target_archE1200ELNS1_3gpuE4ELNS1_3repE0EEENS1_30default_config_static_selectorELNS0_4arch9wavefront6targetE0EEEvSK_,comdat
.Lfunc_end456:
	.size	_ZN7rocprim17ROCPRIM_400000_NS6detail17trampoline_kernelINS0_14default_configENS1_22reduce_config_selectorIN6thrust23THRUST_200600_302600_NS5tupleIblNS6_9null_typeES8_S8_S8_S8_S8_S8_S8_EEEEZNS1_11reduce_implILb1ES3_PS9_SC_S9_NS6_11hip_rocprim9__find_if7functorIS9_EEEE10hipError_tPvRmT1_T2_T3_mT4_P12ihipStream_tbEUlT_E0_NS1_11comp_targetILNS1_3genE10ELNS1_11target_archE1200ELNS1_3gpuE4ELNS1_3repE0EEENS1_30default_config_static_selectorELNS0_4arch9wavefront6targetE0EEEvSK_, .Lfunc_end456-_ZN7rocprim17ROCPRIM_400000_NS6detail17trampoline_kernelINS0_14default_configENS1_22reduce_config_selectorIN6thrust23THRUST_200600_302600_NS5tupleIblNS6_9null_typeES8_S8_S8_S8_S8_S8_S8_EEEEZNS1_11reduce_implILb1ES3_PS9_SC_S9_NS6_11hip_rocprim9__find_if7functorIS9_EEEE10hipError_tPvRmT1_T2_T3_mT4_P12ihipStream_tbEUlT_E0_NS1_11comp_targetILNS1_3genE10ELNS1_11target_archE1200ELNS1_3gpuE4ELNS1_3repE0EEENS1_30default_config_static_selectorELNS0_4arch9wavefront6targetE0EEEvSK_
                                        ; -- End function
	.set _ZN7rocprim17ROCPRIM_400000_NS6detail17trampoline_kernelINS0_14default_configENS1_22reduce_config_selectorIN6thrust23THRUST_200600_302600_NS5tupleIblNS6_9null_typeES8_S8_S8_S8_S8_S8_S8_EEEEZNS1_11reduce_implILb1ES3_PS9_SC_S9_NS6_11hip_rocprim9__find_if7functorIS9_EEEE10hipError_tPvRmT1_T2_T3_mT4_P12ihipStream_tbEUlT_E0_NS1_11comp_targetILNS1_3genE10ELNS1_11target_archE1200ELNS1_3gpuE4ELNS1_3repE0EEENS1_30default_config_static_selectorELNS0_4arch9wavefront6targetE0EEEvSK_.num_vgpr, 0
	.set _ZN7rocprim17ROCPRIM_400000_NS6detail17trampoline_kernelINS0_14default_configENS1_22reduce_config_selectorIN6thrust23THRUST_200600_302600_NS5tupleIblNS6_9null_typeES8_S8_S8_S8_S8_S8_S8_EEEEZNS1_11reduce_implILb1ES3_PS9_SC_S9_NS6_11hip_rocprim9__find_if7functorIS9_EEEE10hipError_tPvRmT1_T2_T3_mT4_P12ihipStream_tbEUlT_E0_NS1_11comp_targetILNS1_3genE10ELNS1_11target_archE1200ELNS1_3gpuE4ELNS1_3repE0EEENS1_30default_config_static_selectorELNS0_4arch9wavefront6targetE0EEEvSK_.num_agpr, 0
	.set _ZN7rocprim17ROCPRIM_400000_NS6detail17trampoline_kernelINS0_14default_configENS1_22reduce_config_selectorIN6thrust23THRUST_200600_302600_NS5tupleIblNS6_9null_typeES8_S8_S8_S8_S8_S8_S8_EEEEZNS1_11reduce_implILb1ES3_PS9_SC_S9_NS6_11hip_rocprim9__find_if7functorIS9_EEEE10hipError_tPvRmT1_T2_T3_mT4_P12ihipStream_tbEUlT_E0_NS1_11comp_targetILNS1_3genE10ELNS1_11target_archE1200ELNS1_3gpuE4ELNS1_3repE0EEENS1_30default_config_static_selectorELNS0_4arch9wavefront6targetE0EEEvSK_.numbered_sgpr, 0
	.set _ZN7rocprim17ROCPRIM_400000_NS6detail17trampoline_kernelINS0_14default_configENS1_22reduce_config_selectorIN6thrust23THRUST_200600_302600_NS5tupleIblNS6_9null_typeES8_S8_S8_S8_S8_S8_S8_EEEEZNS1_11reduce_implILb1ES3_PS9_SC_S9_NS6_11hip_rocprim9__find_if7functorIS9_EEEE10hipError_tPvRmT1_T2_T3_mT4_P12ihipStream_tbEUlT_E0_NS1_11comp_targetILNS1_3genE10ELNS1_11target_archE1200ELNS1_3gpuE4ELNS1_3repE0EEENS1_30default_config_static_selectorELNS0_4arch9wavefront6targetE0EEEvSK_.num_named_barrier, 0
	.set _ZN7rocprim17ROCPRIM_400000_NS6detail17trampoline_kernelINS0_14default_configENS1_22reduce_config_selectorIN6thrust23THRUST_200600_302600_NS5tupleIblNS6_9null_typeES8_S8_S8_S8_S8_S8_S8_EEEEZNS1_11reduce_implILb1ES3_PS9_SC_S9_NS6_11hip_rocprim9__find_if7functorIS9_EEEE10hipError_tPvRmT1_T2_T3_mT4_P12ihipStream_tbEUlT_E0_NS1_11comp_targetILNS1_3genE10ELNS1_11target_archE1200ELNS1_3gpuE4ELNS1_3repE0EEENS1_30default_config_static_selectorELNS0_4arch9wavefront6targetE0EEEvSK_.private_seg_size, 0
	.set _ZN7rocprim17ROCPRIM_400000_NS6detail17trampoline_kernelINS0_14default_configENS1_22reduce_config_selectorIN6thrust23THRUST_200600_302600_NS5tupleIblNS6_9null_typeES8_S8_S8_S8_S8_S8_S8_EEEEZNS1_11reduce_implILb1ES3_PS9_SC_S9_NS6_11hip_rocprim9__find_if7functorIS9_EEEE10hipError_tPvRmT1_T2_T3_mT4_P12ihipStream_tbEUlT_E0_NS1_11comp_targetILNS1_3genE10ELNS1_11target_archE1200ELNS1_3gpuE4ELNS1_3repE0EEENS1_30default_config_static_selectorELNS0_4arch9wavefront6targetE0EEEvSK_.uses_vcc, 0
	.set _ZN7rocprim17ROCPRIM_400000_NS6detail17trampoline_kernelINS0_14default_configENS1_22reduce_config_selectorIN6thrust23THRUST_200600_302600_NS5tupleIblNS6_9null_typeES8_S8_S8_S8_S8_S8_S8_EEEEZNS1_11reduce_implILb1ES3_PS9_SC_S9_NS6_11hip_rocprim9__find_if7functorIS9_EEEE10hipError_tPvRmT1_T2_T3_mT4_P12ihipStream_tbEUlT_E0_NS1_11comp_targetILNS1_3genE10ELNS1_11target_archE1200ELNS1_3gpuE4ELNS1_3repE0EEENS1_30default_config_static_selectorELNS0_4arch9wavefront6targetE0EEEvSK_.uses_flat_scratch, 0
	.set _ZN7rocprim17ROCPRIM_400000_NS6detail17trampoline_kernelINS0_14default_configENS1_22reduce_config_selectorIN6thrust23THRUST_200600_302600_NS5tupleIblNS6_9null_typeES8_S8_S8_S8_S8_S8_S8_EEEEZNS1_11reduce_implILb1ES3_PS9_SC_S9_NS6_11hip_rocprim9__find_if7functorIS9_EEEE10hipError_tPvRmT1_T2_T3_mT4_P12ihipStream_tbEUlT_E0_NS1_11comp_targetILNS1_3genE10ELNS1_11target_archE1200ELNS1_3gpuE4ELNS1_3repE0EEENS1_30default_config_static_selectorELNS0_4arch9wavefront6targetE0EEEvSK_.has_dyn_sized_stack, 0
	.set _ZN7rocprim17ROCPRIM_400000_NS6detail17trampoline_kernelINS0_14default_configENS1_22reduce_config_selectorIN6thrust23THRUST_200600_302600_NS5tupleIblNS6_9null_typeES8_S8_S8_S8_S8_S8_S8_EEEEZNS1_11reduce_implILb1ES3_PS9_SC_S9_NS6_11hip_rocprim9__find_if7functorIS9_EEEE10hipError_tPvRmT1_T2_T3_mT4_P12ihipStream_tbEUlT_E0_NS1_11comp_targetILNS1_3genE10ELNS1_11target_archE1200ELNS1_3gpuE4ELNS1_3repE0EEENS1_30default_config_static_selectorELNS0_4arch9wavefront6targetE0EEEvSK_.has_recursion, 0
	.set _ZN7rocprim17ROCPRIM_400000_NS6detail17trampoline_kernelINS0_14default_configENS1_22reduce_config_selectorIN6thrust23THRUST_200600_302600_NS5tupleIblNS6_9null_typeES8_S8_S8_S8_S8_S8_S8_EEEEZNS1_11reduce_implILb1ES3_PS9_SC_S9_NS6_11hip_rocprim9__find_if7functorIS9_EEEE10hipError_tPvRmT1_T2_T3_mT4_P12ihipStream_tbEUlT_E0_NS1_11comp_targetILNS1_3genE10ELNS1_11target_archE1200ELNS1_3gpuE4ELNS1_3repE0EEENS1_30default_config_static_selectorELNS0_4arch9wavefront6targetE0EEEvSK_.has_indirect_call, 0
	.section	.AMDGPU.csdata,"",@progbits
; Kernel info:
; codeLenInByte = 0
; TotalNumSgprs: 0
; NumVgprs: 0
; ScratchSize: 0
; MemoryBound: 0
; FloatMode: 240
; IeeeMode: 1
; LDSByteSize: 0 bytes/workgroup (compile time only)
; SGPRBlocks: 0
; VGPRBlocks: 0
; NumSGPRsForWavesPerEU: 1
; NumVGPRsForWavesPerEU: 1
; Occupancy: 16
; WaveLimiterHint : 0
; COMPUTE_PGM_RSRC2:SCRATCH_EN: 0
; COMPUTE_PGM_RSRC2:USER_SGPR: 6
; COMPUTE_PGM_RSRC2:TRAP_HANDLER: 0
; COMPUTE_PGM_RSRC2:TGID_X_EN: 1
; COMPUTE_PGM_RSRC2:TGID_Y_EN: 0
; COMPUTE_PGM_RSRC2:TGID_Z_EN: 0
; COMPUTE_PGM_RSRC2:TIDIG_COMP_CNT: 0
	.section	.text._ZN7rocprim17ROCPRIM_400000_NS6detail17trampoline_kernelINS0_14default_configENS1_22reduce_config_selectorIN6thrust23THRUST_200600_302600_NS5tupleIblNS6_9null_typeES8_S8_S8_S8_S8_S8_S8_EEEEZNS1_11reduce_implILb1ES3_PS9_SC_S9_NS6_11hip_rocprim9__find_if7functorIS9_EEEE10hipError_tPvRmT1_T2_T3_mT4_P12ihipStream_tbEUlT_E0_NS1_11comp_targetILNS1_3genE9ELNS1_11target_archE1100ELNS1_3gpuE3ELNS1_3repE0EEENS1_30default_config_static_selectorELNS0_4arch9wavefront6targetE0EEEvSK_,"axG",@progbits,_ZN7rocprim17ROCPRIM_400000_NS6detail17trampoline_kernelINS0_14default_configENS1_22reduce_config_selectorIN6thrust23THRUST_200600_302600_NS5tupleIblNS6_9null_typeES8_S8_S8_S8_S8_S8_S8_EEEEZNS1_11reduce_implILb1ES3_PS9_SC_S9_NS6_11hip_rocprim9__find_if7functorIS9_EEEE10hipError_tPvRmT1_T2_T3_mT4_P12ihipStream_tbEUlT_E0_NS1_11comp_targetILNS1_3genE9ELNS1_11target_archE1100ELNS1_3gpuE3ELNS1_3repE0EEENS1_30default_config_static_selectorELNS0_4arch9wavefront6targetE0EEEvSK_,comdat
	.protected	_ZN7rocprim17ROCPRIM_400000_NS6detail17trampoline_kernelINS0_14default_configENS1_22reduce_config_selectorIN6thrust23THRUST_200600_302600_NS5tupleIblNS6_9null_typeES8_S8_S8_S8_S8_S8_S8_EEEEZNS1_11reduce_implILb1ES3_PS9_SC_S9_NS6_11hip_rocprim9__find_if7functorIS9_EEEE10hipError_tPvRmT1_T2_T3_mT4_P12ihipStream_tbEUlT_E0_NS1_11comp_targetILNS1_3genE9ELNS1_11target_archE1100ELNS1_3gpuE3ELNS1_3repE0EEENS1_30default_config_static_selectorELNS0_4arch9wavefront6targetE0EEEvSK_ ; -- Begin function _ZN7rocprim17ROCPRIM_400000_NS6detail17trampoline_kernelINS0_14default_configENS1_22reduce_config_selectorIN6thrust23THRUST_200600_302600_NS5tupleIblNS6_9null_typeES8_S8_S8_S8_S8_S8_S8_EEEEZNS1_11reduce_implILb1ES3_PS9_SC_S9_NS6_11hip_rocprim9__find_if7functorIS9_EEEE10hipError_tPvRmT1_T2_T3_mT4_P12ihipStream_tbEUlT_E0_NS1_11comp_targetILNS1_3genE9ELNS1_11target_archE1100ELNS1_3gpuE3ELNS1_3repE0EEENS1_30default_config_static_selectorELNS0_4arch9wavefront6targetE0EEEvSK_
	.globl	_ZN7rocprim17ROCPRIM_400000_NS6detail17trampoline_kernelINS0_14default_configENS1_22reduce_config_selectorIN6thrust23THRUST_200600_302600_NS5tupleIblNS6_9null_typeES8_S8_S8_S8_S8_S8_S8_EEEEZNS1_11reduce_implILb1ES3_PS9_SC_S9_NS6_11hip_rocprim9__find_if7functorIS9_EEEE10hipError_tPvRmT1_T2_T3_mT4_P12ihipStream_tbEUlT_E0_NS1_11comp_targetILNS1_3genE9ELNS1_11target_archE1100ELNS1_3gpuE3ELNS1_3repE0EEENS1_30default_config_static_selectorELNS0_4arch9wavefront6targetE0EEEvSK_
	.p2align	8
	.type	_ZN7rocprim17ROCPRIM_400000_NS6detail17trampoline_kernelINS0_14default_configENS1_22reduce_config_selectorIN6thrust23THRUST_200600_302600_NS5tupleIblNS6_9null_typeES8_S8_S8_S8_S8_S8_S8_EEEEZNS1_11reduce_implILb1ES3_PS9_SC_S9_NS6_11hip_rocprim9__find_if7functorIS9_EEEE10hipError_tPvRmT1_T2_T3_mT4_P12ihipStream_tbEUlT_E0_NS1_11comp_targetILNS1_3genE9ELNS1_11target_archE1100ELNS1_3gpuE3ELNS1_3repE0EEENS1_30default_config_static_selectorELNS0_4arch9wavefront6targetE0EEEvSK_,@function
_ZN7rocprim17ROCPRIM_400000_NS6detail17trampoline_kernelINS0_14default_configENS1_22reduce_config_selectorIN6thrust23THRUST_200600_302600_NS5tupleIblNS6_9null_typeES8_S8_S8_S8_S8_S8_S8_EEEEZNS1_11reduce_implILb1ES3_PS9_SC_S9_NS6_11hip_rocprim9__find_if7functorIS9_EEEE10hipError_tPvRmT1_T2_T3_mT4_P12ihipStream_tbEUlT_E0_NS1_11comp_targetILNS1_3genE9ELNS1_11target_archE1100ELNS1_3gpuE3ELNS1_3repE0EEENS1_30default_config_static_selectorELNS0_4arch9wavefront6targetE0EEEvSK_: ; @_ZN7rocprim17ROCPRIM_400000_NS6detail17trampoline_kernelINS0_14default_configENS1_22reduce_config_selectorIN6thrust23THRUST_200600_302600_NS5tupleIblNS6_9null_typeES8_S8_S8_S8_S8_S8_S8_EEEEZNS1_11reduce_implILb1ES3_PS9_SC_S9_NS6_11hip_rocprim9__find_if7functorIS9_EEEE10hipError_tPvRmT1_T2_T3_mT4_P12ihipStream_tbEUlT_E0_NS1_11comp_targetILNS1_3genE9ELNS1_11target_archE1100ELNS1_3gpuE3ELNS1_3repE0EEENS1_30default_config_static_selectorELNS0_4arch9wavefront6targetE0EEEvSK_
; %bb.0:
	.section	.rodata,"a",@progbits
	.p2align	6, 0x0
	.amdhsa_kernel _ZN7rocprim17ROCPRIM_400000_NS6detail17trampoline_kernelINS0_14default_configENS1_22reduce_config_selectorIN6thrust23THRUST_200600_302600_NS5tupleIblNS6_9null_typeES8_S8_S8_S8_S8_S8_S8_EEEEZNS1_11reduce_implILb1ES3_PS9_SC_S9_NS6_11hip_rocprim9__find_if7functorIS9_EEEE10hipError_tPvRmT1_T2_T3_mT4_P12ihipStream_tbEUlT_E0_NS1_11comp_targetILNS1_3genE9ELNS1_11target_archE1100ELNS1_3gpuE3ELNS1_3repE0EEENS1_30default_config_static_selectorELNS0_4arch9wavefront6targetE0EEEvSK_
		.amdhsa_group_segment_fixed_size 0
		.amdhsa_private_segment_fixed_size 0
		.amdhsa_kernarg_size 72
		.amdhsa_user_sgpr_count 6
		.amdhsa_user_sgpr_private_segment_buffer 1
		.amdhsa_user_sgpr_dispatch_ptr 0
		.amdhsa_user_sgpr_queue_ptr 0
		.amdhsa_user_sgpr_kernarg_segment_ptr 1
		.amdhsa_user_sgpr_dispatch_id 0
		.amdhsa_user_sgpr_flat_scratch_init 0
		.amdhsa_user_sgpr_private_segment_size 0
		.amdhsa_wavefront_size32 1
		.amdhsa_uses_dynamic_stack 0
		.amdhsa_system_sgpr_private_segment_wavefront_offset 0
		.amdhsa_system_sgpr_workgroup_id_x 1
		.amdhsa_system_sgpr_workgroup_id_y 0
		.amdhsa_system_sgpr_workgroup_id_z 0
		.amdhsa_system_sgpr_workgroup_info 0
		.amdhsa_system_vgpr_workitem_id 0
		.amdhsa_next_free_vgpr 1
		.amdhsa_next_free_sgpr 1
		.amdhsa_reserve_vcc 0
		.amdhsa_reserve_flat_scratch 0
		.amdhsa_float_round_mode_32 0
		.amdhsa_float_round_mode_16_64 0
		.amdhsa_float_denorm_mode_32 3
		.amdhsa_float_denorm_mode_16_64 3
		.amdhsa_dx10_clamp 1
		.amdhsa_ieee_mode 1
		.amdhsa_fp16_overflow 0
		.amdhsa_workgroup_processor_mode 1
		.amdhsa_memory_ordered 1
		.amdhsa_forward_progress 1
		.amdhsa_shared_vgpr_count 0
		.amdhsa_exception_fp_ieee_invalid_op 0
		.amdhsa_exception_fp_denorm_src 0
		.amdhsa_exception_fp_ieee_div_zero 0
		.amdhsa_exception_fp_ieee_overflow 0
		.amdhsa_exception_fp_ieee_underflow 0
		.amdhsa_exception_fp_ieee_inexact 0
		.amdhsa_exception_int_div_zero 0
	.end_amdhsa_kernel
	.section	.text._ZN7rocprim17ROCPRIM_400000_NS6detail17trampoline_kernelINS0_14default_configENS1_22reduce_config_selectorIN6thrust23THRUST_200600_302600_NS5tupleIblNS6_9null_typeES8_S8_S8_S8_S8_S8_S8_EEEEZNS1_11reduce_implILb1ES3_PS9_SC_S9_NS6_11hip_rocprim9__find_if7functorIS9_EEEE10hipError_tPvRmT1_T2_T3_mT4_P12ihipStream_tbEUlT_E0_NS1_11comp_targetILNS1_3genE9ELNS1_11target_archE1100ELNS1_3gpuE3ELNS1_3repE0EEENS1_30default_config_static_selectorELNS0_4arch9wavefront6targetE0EEEvSK_,"axG",@progbits,_ZN7rocprim17ROCPRIM_400000_NS6detail17trampoline_kernelINS0_14default_configENS1_22reduce_config_selectorIN6thrust23THRUST_200600_302600_NS5tupleIblNS6_9null_typeES8_S8_S8_S8_S8_S8_S8_EEEEZNS1_11reduce_implILb1ES3_PS9_SC_S9_NS6_11hip_rocprim9__find_if7functorIS9_EEEE10hipError_tPvRmT1_T2_T3_mT4_P12ihipStream_tbEUlT_E0_NS1_11comp_targetILNS1_3genE9ELNS1_11target_archE1100ELNS1_3gpuE3ELNS1_3repE0EEENS1_30default_config_static_selectorELNS0_4arch9wavefront6targetE0EEEvSK_,comdat
.Lfunc_end457:
	.size	_ZN7rocprim17ROCPRIM_400000_NS6detail17trampoline_kernelINS0_14default_configENS1_22reduce_config_selectorIN6thrust23THRUST_200600_302600_NS5tupleIblNS6_9null_typeES8_S8_S8_S8_S8_S8_S8_EEEEZNS1_11reduce_implILb1ES3_PS9_SC_S9_NS6_11hip_rocprim9__find_if7functorIS9_EEEE10hipError_tPvRmT1_T2_T3_mT4_P12ihipStream_tbEUlT_E0_NS1_11comp_targetILNS1_3genE9ELNS1_11target_archE1100ELNS1_3gpuE3ELNS1_3repE0EEENS1_30default_config_static_selectorELNS0_4arch9wavefront6targetE0EEEvSK_, .Lfunc_end457-_ZN7rocprim17ROCPRIM_400000_NS6detail17trampoline_kernelINS0_14default_configENS1_22reduce_config_selectorIN6thrust23THRUST_200600_302600_NS5tupleIblNS6_9null_typeES8_S8_S8_S8_S8_S8_S8_EEEEZNS1_11reduce_implILb1ES3_PS9_SC_S9_NS6_11hip_rocprim9__find_if7functorIS9_EEEE10hipError_tPvRmT1_T2_T3_mT4_P12ihipStream_tbEUlT_E0_NS1_11comp_targetILNS1_3genE9ELNS1_11target_archE1100ELNS1_3gpuE3ELNS1_3repE0EEENS1_30default_config_static_selectorELNS0_4arch9wavefront6targetE0EEEvSK_
                                        ; -- End function
	.set _ZN7rocprim17ROCPRIM_400000_NS6detail17trampoline_kernelINS0_14default_configENS1_22reduce_config_selectorIN6thrust23THRUST_200600_302600_NS5tupleIblNS6_9null_typeES8_S8_S8_S8_S8_S8_S8_EEEEZNS1_11reduce_implILb1ES3_PS9_SC_S9_NS6_11hip_rocprim9__find_if7functorIS9_EEEE10hipError_tPvRmT1_T2_T3_mT4_P12ihipStream_tbEUlT_E0_NS1_11comp_targetILNS1_3genE9ELNS1_11target_archE1100ELNS1_3gpuE3ELNS1_3repE0EEENS1_30default_config_static_selectorELNS0_4arch9wavefront6targetE0EEEvSK_.num_vgpr, 0
	.set _ZN7rocprim17ROCPRIM_400000_NS6detail17trampoline_kernelINS0_14default_configENS1_22reduce_config_selectorIN6thrust23THRUST_200600_302600_NS5tupleIblNS6_9null_typeES8_S8_S8_S8_S8_S8_S8_EEEEZNS1_11reduce_implILb1ES3_PS9_SC_S9_NS6_11hip_rocprim9__find_if7functorIS9_EEEE10hipError_tPvRmT1_T2_T3_mT4_P12ihipStream_tbEUlT_E0_NS1_11comp_targetILNS1_3genE9ELNS1_11target_archE1100ELNS1_3gpuE3ELNS1_3repE0EEENS1_30default_config_static_selectorELNS0_4arch9wavefront6targetE0EEEvSK_.num_agpr, 0
	.set _ZN7rocprim17ROCPRIM_400000_NS6detail17trampoline_kernelINS0_14default_configENS1_22reduce_config_selectorIN6thrust23THRUST_200600_302600_NS5tupleIblNS6_9null_typeES8_S8_S8_S8_S8_S8_S8_EEEEZNS1_11reduce_implILb1ES3_PS9_SC_S9_NS6_11hip_rocprim9__find_if7functorIS9_EEEE10hipError_tPvRmT1_T2_T3_mT4_P12ihipStream_tbEUlT_E0_NS1_11comp_targetILNS1_3genE9ELNS1_11target_archE1100ELNS1_3gpuE3ELNS1_3repE0EEENS1_30default_config_static_selectorELNS0_4arch9wavefront6targetE0EEEvSK_.numbered_sgpr, 0
	.set _ZN7rocprim17ROCPRIM_400000_NS6detail17trampoline_kernelINS0_14default_configENS1_22reduce_config_selectorIN6thrust23THRUST_200600_302600_NS5tupleIblNS6_9null_typeES8_S8_S8_S8_S8_S8_S8_EEEEZNS1_11reduce_implILb1ES3_PS9_SC_S9_NS6_11hip_rocprim9__find_if7functorIS9_EEEE10hipError_tPvRmT1_T2_T3_mT4_P12ihipStream_tbEUlT_E0_NS1_11comp_targetILNS1_3genE9ELNS1_11target_archE1100ELNS1_3gpuE3ELNS1_3repE0EEENS1_30default_config_static_selectorELNS0_4arch9wavefront6targetE0EEEvSK_.num_named_barrier, 0
	.set _ZN7rocprim17ROCPRIM_400000_NS6detail17trampoline_kernelINS0_14default_configENS1_22reduce_config_selectorIN6thrust23THRUST_200600_302600_NS5tupleIblNS6_9null_typeES8_S8_S8_S8_S8_S8_S8_EEEEZNS1_11reduce_implILb1ES3_PS9_SC_S9_NS6_11hip_rocprim9__find_if7functorIS9_EEEE10hipError_tPvRmT1_T2_T3_mT4_P12ihipStream_tbEUlT_E0_NS1_11comp_targetILNS1_3genE9ELNS1_11target_archE1100ELNS1_3gpuE3ELNS1_3repE0EEENS1_30default_config_static_selectorELNS0_4arch9wavefront6targetE0EEEvSK_.private_seg_size, 0
	.set _ZN7rocprim17ROCPRIM_400000_NS6detail17trampoline_kernelINS0_14default_configENS1_22reduce_config_selectorIN6thrust23THRUST_200600_302600_NS5tupleIblNS6_9null_typeES8_S8_S8_S8_S8_S8_S8_EEEEZNS1_11reduce_implILb1ES3_PS9_SC_S9_NS6_11hip_rocprim9__find_if7functorIS9_EEEE10hipError_tPvRmT1_T2_T3_mT4_P12ihipStream_tbEUlT_E0_NS1_11comp_targetILNS1_3genE9ELNS1_11target_archE1100ELNS1_3gpuE3ELNS1_3repE0EEENS1_30default_config_static_selectorELNS0_4arch9wavefront6targetE0EEEvSK_.uses_vcc, 0
	.set _ZN7rocprim17ROCPRIM_400000_NS6detail17trampoline_kernelINS0_14default_configENS1_22reduce_config_selectorIN6thrust23THRUST_200600_302600_NS5tupleIblNS6_9null_typeES8_S8_S8_S8_S8_S8_S8_EEEEZNS1_11reduce_implILb1ES3_PS9_SC_S9_NS6_11hip_rocprim9__find_if7functorIS9_EEEE10hipError_tPvRmT1_T2_T3_mT4_P12ihipStream_tbEUlT_E0_NS1_11comp_targetILNS1_3genE9ELNS1_11target_archE1100ELNS1_3gpuE3ELNS1_3repE0EEENS1_30default_config_static_selectorELNS0_4arch9wavefront6targetE0EEEvSK_.uses_flat_scratch, 0
	.set _ZN7rocprim17ROCPRIM_400000_NS6detail17trampoline_kernelINS0_14default_configENS1_22reduce_config_selectorIN6thrust23THRUST_200600_302600_NS5tupleIblNS6_9null_typeES8_S8_S8_S8_S8_S8_S8_EEEEZNS1_11reduce_implILb1ES3_PS9_SC_S9_NS6_11hip_rocprim9__find_if7functorIS9_EEEE10hipError_tPvRmT1_T2_T3_mT4_P12ihipStream_tbEUlT_E0_NS1_11comp_targetILNS1_3genE9ELNS1_11target_archE1100ELNS1_3gpuE3ELNS1_3repE0EEENS1_30default_config_static_selectorELNS0_4arch9wavefront6targetE0EEEvSK_.has_dyn_sized_stack, 0
	.set _ZN7rocprim17ROCPRIM_400000_NS6detail17trampoline_kernelINS0_14default_configENS1_22reduce_config_selectorIN6thrust23THRUST_200600_302600_NS5tupleIblNS6_9null_typeES8_S8_S8_S8_S8_S8_S8_EEEEZNS1_11reduce_implILb1ES3_PS9_SC_S9_NS6_11hip_rocprim9__find_if7functorIS9_EEEE10hipError_tPvRmT1_T2_T3_mT4_P12ihipStream_tbEUlT_E0_NS1_11comp_targetILNS1_3genE9ELNS1_11target_archE1100ELNS1_3gpuE3ELNS1_3repE0EEENS1_30default_config_static_selectorELNS0_4arch9wavefront6targetE0EEEvSK_.has_recursion, 0
	.set _ZN7rocprim17ROCPRIM_400000_NS6detail17trampoline_kernelINS0_14default_configENS1_22reduce_config_selectorIN6thrust23THRUST_200600_302600_NS5tupleIblNS6_9null_typeES8_S8_S8_S8_S8_S8_S8_EEEEZNS1_11reduce_implILb1ES3_PS9_SC_S9_NS6_11hip_rocprim9__find_if7functorIS9_EEEE10hipError_tPvRmT1_T2_T3_mT4_P12ihipStream_tbEUlT_E0_NS1_11comp_targetILNS1_3genE9ELNS1_11target_archE1100ELNS1_3gpuE3ELNS1_3repE0EEENS1_30default_config_static_selectorELNS0_4arch9wavefront6targetE0EEEvSK_.has_indirect_call, 0
	.section	.AMDGPU.csdata,"",@progbits
; Kernel info:
; codeLenInByte = 0
; TotalNumSgprs: 0
; NumVgprs: 0
; ScratchSize: 0
; MemoryBound: 0
; FloatMode: 240
; IeeeMode: 1
; LDSByteSize: 0 bytes/workgroup (compile time only)
; SGPRBlocks: 0
; VGPRBlocks: 0
; NumSGPRsForWavesPerEU: 1
; NumVGPRsForWavesPerEU: 1
; Occupancy: 16
; WaveLimiterHint : 0
; COMPUTE_PGM_RSRC2:SCRATCH_EN: 0
; COMPUTE_PGM_RSRC2:USER_SGPR: 6
; COMPUTE_PGM_RSRC2:TRAP_HANDLER: 0
; COMPUTE_PGM_RSRC2:TGID_X_EN: 1
; COMPUTE_PGM_RSRC2:TGID_Y_EN: 0
; COMPUTE_PGM_RSRC2:TGID_Z_EN: 0
; COMPUTE_PGM_RSRC2:TIDIG_COMP_CNT: 0
	.section	.text._ZN7rocprim17ROCPRIM_400000_NS6detail17trampoline_kernelINS0_14default_configENS1_22reduce_config_selectorIN6thrust23THRUST_200600_302600_NS5tupleIblNS6_9null_typeES8_S8_S8_S8_S8_S8_S8_EEEEZNS1_11reduce_implILb1ES3_PS9_SC_S9_NS6_11hip_rocprim9__find_if7functorIS9_EEEE10hipError_tPvRmT1_T2_T3_mT4_P12ihipStream_tbEUlT_E0_NS1_11comp_targetILNS1_3genE8ELNS1_11target_archE1030ELNS1_3gpuE2ELNS1_3repE0EEENS1_30default_config_static_selectorELNS0_4arch9wavefront6targetE0EEEvSK_,"axG",@progbits,_ZN7rocprim17ROCPRIM_400000_NS6detail17trampoline_kernelINS0_14default_configENS1_22reduce_config_selectorIN6thrust23THRUST_200600_302600_NS5tupleIblNS6_9null_typeES8_S8_S8_S8_S8_S8_S8_EEEEZNS1_11reduce_implILb1ES3_PS9_SC_S9_NS6_11hip_rocprim9__find_if7functorIS9_EEEE10hipError_tPvRmT1_T2_T3_mT4_P12ihipStream_tbEUlT_E0_NS1_11comp_targetILNS1_3genE8ELNS1_11target_archE1030ELNS1_3gpuE2ELNS1_3repE0EEENS1_30default_config_static_selectorELNS0_4arch9wavefront6targetE0EEEvSK_,comdat
	.protected	_ZN7rocprim17ROCPRIM_400000_NS6detail17trampoline_kernelINS0_14default_configENS1_22reduce_config_selectorIN6thrust23THRUST_200600_302600_NS5tupleIblNS6_9null_typeES8_S8_S8_S8_S8_S8_S8_EEEEZNS1_11reduce_implILb1ES3_PS9_SC_S9_NS6_11hip_rocprim9__find_if7functorIS9_EEEE10hipError_tPvRmT1_T2_T3_mT4_P12ihipStream_tbEUlT_E0_NS1_11comp_targetILNS1_3genE8ELNS1_11target_archE1030ELNS1_3gpuE2ELNS1_3repE0EEENS1_30default_config_static_selectorELNS0_4arch9wavefront6targetE0EEEvSK_ ; -- Begin function _ZN7rocprim17ROCPRIM_400000_NS6detail17trampoline_kernelINS0_14default_configENS1_22reduce_config_selectorIN6thrust23THRUST_200600_302600_NS5tupleIblNS6_9null_typeES8_S8_S8_S8_S8_S8_S8_EEEEZNS1_11reduce_implILb1ES3_PS9_SC_S9_NS6_11hip_rocprim9__find_if7functorIS9_EEEE10hipError_tPvRmT1_T2_T3_mT4_P12ihipStream_tbEUlT_E0_NS1_11comp_targetILNS1_3genE8ELNS1_11target_archE1030ELNS1_3gpuE2ELNS1_3repE0EEENS1_30default_config_static_selectorELNS0_4arch9wavefront6targetE0EEEvSK_
	.globl	_ZN7rocprim17ROCPRIM_400000_NS6detail17trampoline_kernelINS0_14default_configENS1_22reduce_config_selectorIN6thrust23THRUST_200600_302600_NS5tupleIblNS6_9null_typeES8_S8_S8_S8_S8_S8_S8_EEEEZNS1_11reduce_implILb1ES3_PS9_SC_S9_NS6_11hip_rocprim9__find_if7functorIS9_EEEE10hipError_tPvRmT1_T2_T3_mT4_P12ihipStream_tbEUlT_E0_NS1_11comp_targetILNS1_3genE8ELNS1_11target_archE1030ELNS1_3gpuE2ELNS1_3repE0EEENS1_30default_config_static_selectorELNS0_4arch9wavefront6targetE0EEEvSK_
	.p2align	8
	.type	_ZN7rocprim17ROCPRIM_400000_NS6detail17trampoline_kernelINS0_14default_configENS1_22reduce_config_selectorIN6thrust23THRUST_200600_302600_NS5tupleIblNS6_9null_typeES8_S8_S8_S8_S8_S8_S8_EEEEZNS1_11reduce_implILb1ES3_PS9_SC_S9_NS6_11hip_rocprim9__find_if7functorIS9_EEEE10hipError_tPvRmT1_T2_T3_mT4_P12ihipStream_tbEUlT_E0_NS1_11comp_targetILNS1_3genE8ELNS1_11target_archE1030ELNS1_3gpuE2ELNS1_3repE0EEENS1_30default_config_static_selectorELNS0_4arch9wavefront6targetE0EEEvSK_,@function
_ZN7rocprim17ROCPRIM_400000_NS6detail17trampoline_kernelINS0_14default_configENS1_22reduce_config_selectorIN6thrust23THRUST_200600_302600_NS5tupleIblNS6_9null_typeES8_S8_S8_S8_S8_S8_S8_EEEEZNS1_11reduce_implILb1ES3_PS9_SC_S9_NS6_11hip_rocprim9__find_if7functorIS9_EEEE10hipError_tPvRmT1_T2_T3_mT4_P12ihipStream_tbEUlT_E0_NS1_11comp_targetILNS1_3genE8ELNS1_11target_archE1030ELNS1_3gpuE2ELNS1_3repE0EEENS1_30default_config_static_selectorELNS0_4arch9wavefront6targetE0EEEvSK_: ; @_ZN7rocprim17ROCPRIM_400000_NS6detail17trampoline_kernelINS0_14default_configENS1_22reduce_config_selectorIN6thrust23THRUST_200600_302600_NS5tupleIblNS6_9null_typeES8_S8_S8_S8_S8_S8_S8_EEEEZNS1_11reduce_implILb1ES3_PS9_SC_S9_NS6_11hip_rocprim9__find_if7functorIS9_EEEE10hipError_tPvRmT1_T2_T3_mT4_P12ihipStream_tbEUlT_E0_NS1_11comp_targetILNS1_3genE8ELNS1_11target_archE1030ELNS1_3gpuE2ELNS1_3repE0EEENS1_30default_config_static_selectorELNS0_4arch9wavefront6targetE0EEEvSK_
; %bb.0:
	s_clause 0x1
	s_load_dwordx8 s[8:15], s[4:5], 0x0
	s_load_dwordx4 s[16:19], s[4:5], 0x20
	v_mbcnt_lo_u32_b32 v7, -1, 0
	s_waitcnt lgkmcnt(0)
	s_lshl_b64 s[0:1], s[10:11], 4
	s_mov_b32 s11, 0
	s_add_u32 s2, s8, s0
	s_addc_u32 s3, s9, s1
	s_lshl_b32 s10, s6, 9
	s_lshr_b64 s[8:9], s[12:13], 9
	s_lshl_b64 s[0:1], s[10:11], 4
	s_mov_b32 s7, s11
	s_add_u32 s2, s2, s0
	s_addc_u32 s3, s3, s1
	s_cmp_lg_u64 s[8:9], s[6:7]
	s_cbranch_scc0 .LBB458_18
; %bb.1:
	v_lshlrev_b32_e32 v3, 4, v0
	v_add_co_u32 v1, s0, s2, v3
	v_add_co_ci_u32_e64 v2, null, s3, 0, s0
	v_add_co_u32 v1, vcc_lo, 0x1000, v1
	v_add_co_ci_u32_e64 v2, null, 0, v2, vcc_lo
	s_clause 0x3
	global_load_ubyte v5, v[1:2], off
	global_load_ubyte v6, v3, s[2:3]
	global_load_dwordx2 v[3:4], v3, s[2:3] offset:8
	global_load_dwordx2 v[1:2], v[1:2], off offset:8
	s_waitcnt vmcnt(3)
	v_and_b32_e32 v8, 1, v5
	s_waitcnt vmcnt(2)
	v_and_b32_e32 v6, 1, v6
	s_waitcnt vmcnt(0)
	v_cmp_lt_i64_e32 vcc_lo, v[1:2], v[3:4]
	v_cmp_eq_u32_e64 s0, 1, v8
	v_cmp_eq_u32_e64 s1, 1, v6
	s_and_b32 vcc_lo, s0, vcc_lo
	v_cndmask_b32_e64 v5, v5, 1, s1
	v_cndmask_b32_e32 v3, v3, v1, vcc_lo
	v_cndmask_b32_e32 v4, v4, v2, vcc_lo
	v_and_b32_e32 v5, 1, v5
	v_cndmask_b32_e64 v1, v1, v3, s1
	v_cndmask_b32_e64 v2, v2, v4, s1
	v_mov_b32_dpp v6, v5 quad_perm:[1,0,3,2] row_mask:0xf bank_mask:0xf
	v_mov_b32_dpp v3, v1 quad_perm:[1,0,3,2] row_mask:0xf bank_mask:0xf
	;; [unrolled: 1-line block ×3, first 2 shown]
	v_cmp_eq_u32_e64 s0, 1, v5
	v_and_b32_e32 v6, 1, v6
	v_cmp_lt_i64_e32 vcc_lo, v[1:2], v[3:4]
	s_and_b32 vcc_lo, s0, vcc_lo
	v_cndmask_b32_e32 v3, v3, v1, vcc_lo
	v_cndmask_b32_e32 v4, v4, v2, vcc_lo
	v_cmp_eq_u32_e32 vcc_lo, 1, v6
	v_cndmask_b32_e32 v2, v2, v4, vcc_lo
	v_cndmask_b32_e32 v1, v1, v3, vcc_lo
	v_cndmask_b32_e64 v5, v5, 1, vcc_lo
	v_mov_b32_dpp v4, v2 quad_perm:[2,3,0,1] row_mask:0xf bank_mask:0xf
	v_mov_b32_dpp v3, v1 quad_perm:[2,3,0,1] row_mask:0xf bank_mask:0xf
	v_and_b32_e32 v8, 1, v5
	v_mov_b32_dpp v6, v5 quad_perm:[2,3,0,1] row_mask:0xf bank_mask:0xf
	v_cmp_lt_i64_e32 vcc_lo, v[1:2], v[3:4]
	v_cmp_eq_u32_e64 s0, 1, v8
	v_and_b32_e32 v6, 1, v6
	s_and_b32 vcc_lo, s0, vcc_lo
	v_cmp_eq_u32_e64 s1, 1, v6
	v_cndmask_b32_e32 v3, v3, v1, vcc_lo
	v_cndmask_b32_e32 v4, v4, v2, vcc_lo
	v_cndmask_b32_e64 v5, v5, 1, s1
	v_cndmask_b32_e64 v1, v1, v3, s1
	v_cndmask_b32_e64 v2, v2, v4, s1
	v_and_b32_e32 v8, 1, v5
	v_mov_b32_dpp v3, v1 row_ror:4 row_mask:0xf bank_mask:0xf
	v_mov_b32_dpp v4, v2 row_ror:4 row_mask:0xf bank_mask:0xf
	;; [unrolled: 1-line block ×3, first 2 shown]
	v_cmp_eq_u32_e64 s0, 1, v8
	v_cmp_lt_i64_e32 vcc_lo, v[1:2], v[3:4]
	v_and_b32_e32 v6, 1, v6
	s_and_b32 vcc_lo, s0, vcc_lo
	v_cmp_eq_u32_e64 s1, 1, v6
	v_cndmask_b32_e32 v3, v3, v1, vcc_lo
	v_cndmask_b32_e32 v4, v4, v2, vcc_lo
	v_cndmask_b32_e64 v5, v5, 1, s1
	v_cndmask_b32_e64 v1, v1, v3, s1
	;; [unrolled: 1-line block ×3, first 2 shown]
	v_and_b32_e32 v8, 1, v5
	v_mov_b32_dpp v3, v1 row_ror:8 row_mask:0xf bank_mask:0xf
	v_mov_b32_dpp v4, v2 row_ror:8 row_mask:0xf bank_mask:0xf
	;; [unrolled: 1-line block ×3, first 2 shown]
	v_cmp_eq_u32_e64 s0, 1, v8
	v_cmp_lt_i64_e32 vcc_lo, v[1:2], v[3:4]
	v_and_b32_e32 v6, 1, v6
	s_and_b32 vcc_lo, s0, vcc_lo
	v_cmp_eq_u32_e64 s1, 1, v6
	v_cndmask_b32_e32 v3, v3, v1, vcc_lo
	v_cndmask_b32_e32 v4, v4, v2, vcc_lo
	v_cndmask_b32_e64 v5, v5, 1, s1
	v_cndmask_b32_e64 v1, v1, v3, s1
	;; [unrolled: 1-line block ×3, first 2 shown]
	ds_swizzle_b32 v6, v5 offset:swizzle(BROADCAST,32,15)
	ds_swizzle_b32 v3, v1 offset:swizzle(BROADCAST,32,15)
	;; [unrolled: 1-line block ×3, first 2 shown]
	v_and_b32_e32 v8, 1, v5
	v_cmp_eq_u32_e64 s0, 1, v8
	s_waitcnt lgkmcnt(2)
	v_and_b32_e32 v6, 1, v6
	s_waitcnt lgkmcnt(0)
	v_cmp_lt_i64_e32 vcc_lo, v[1:2], v[3:4]
	v_cmp_eq_u32_e64 s1, 1, v6
	v_mov_b32_e32 v6, 0
	s_and_b32 vcc_lo, s0, vcc_lo
	s_mov_b32 s0, exec_lo
	v_cndmask_b32_e32 v3, v3, v1, vcc_lo
	v_cndmask_b32_e32 v4, v4, v2, vcc_lo
	v_cndmask_b32_e64 v5, v5, 1, s1
	v_cndmask_b32_e64 v1, v1, v3, s1
	;; [unrolled: 1-line block ×3, first 2 shown]
	ds_bpermute_b32 v8, v6, v5 offset:124
	ds_bpermute_b32 v1, v6, v1 offset:124
	ds_bpermute_b32 v2, v6, v2 offset:124
	v_cmpx_eq_u32_e32 0, v7
	s_cbranch_execz .LBB458_3
; %bb.2:
	v_lshrrev_b32_e32 v3, 1, v0
	v_and_b32_e32 v3, 0x70, v3
	s_waitcnt lgkmcnt(2)
	ds_write_b8 v3, v8
	s_waitcnt lgkmcnt(1)
	ds_write_b64 v3, v[1:2] offset:8
.LBB458_3:
	s_or_b32 exec_lo, exec_lo, s0
	s_mov_b32 s0, exec_lo
	s_waitcnt lgkmcnt(0)
	s_barrier
	buffer_gl0_inv
	v_cmpx_gt_u32_e32 32, v0
	s_cbranch_execz .LBB458_17
; %bb.4:
	v_and_b32_e32 v8, 7, v7
	v_lshlrev_b32_e32 v1, 4, v8
	v_cmp_ne_u32_e32 vcc_lo, 7, v8
	ds_read_u8 v10, v1
	ds_read_b64 v[3:4], v1 offset:8
	v_add_co_ci_u32_e64 v2, null, 0, v7, vcc_lo
	v_lshlrev_b32_e32 v2, 2, v2
	s_waitcnt lgkmcnt(1)
	v_and_b32_e32 v1, 0xff, v10
	s_waitcnt lgkmcnt(0)
	ds_bpermute_b32 v5, v2, v3
	ds_bpermute_b32 v6, v2, v4
	;; [unrolled: 1-line block ×3, first 2 shown]
	s_waitcnt lgkmcnt(0)
	v_and_b32_e32 v1, v10, v11
	v_and_b32_e32 v1, 1, v1
	v_cmp_eq_u32_e32 vcc_lo, 1, v1
                                        ; implicit-def: $vgpr1_vgpr2
	s_and_saveexec_b32 s1, vcc_lo
	s_xor_b32 s1, exec_lo, s1
; %bb.5:
	v_cmp_lt_i64_e32 vcc_lo, v[5:6], v[3:4]
                                        ; implicit-def: $vgpr10
                                        ; implicit-def: $vgpr11
	v_cndmask_b32_e32 v2, v4, v6, vcc_lo
	v_cndmask_b32_e32 v1, v3, v5, vcc_lo
                                        ; implicit-def: $vgpr5_vgpr6
                                        ; implicit-def: $vgpr3_vgpr4
; %bb.6:
	s_or_saveexec_b32 s1, s1
	v_mov_b32_e32 v9, 1
	s_xor_b32 exec_lo, exec_lo, s1
; %bb.7:
	v_and_b32_e32 v1, 1, v10
	v_and_b32_e32 v9, 0xff, v11
	v_cmp_eq_u32_e32 vcc_lo, 1, v1
	v_cndmask_b32_e32 v2, v6, v4, vcc_lo
	v_cndmask_b32_e32 v1, v5, v3, vcc_lo
	v_cndmask_b32_e64 v9, v9, 1, vcc_lo
; %bb.8:
	s_or_b32 exec_lo, exec_lo, s1
	v_cmp_gt_u32_e32 vcc_lo, 6, v8
	v_cndmask_b32_e64 v3, 0, 2, vcc_lo
	v_add_lshl_u32 v3, v3, v7, 2
	ds_bpermute_b32 v8, v3, v9
	ds_bpermute_b32 v5, v3, v1
	ds_bpermute_b32 v6, v3, v2
	s_waitcnt lgkmcnt(2)
	v_and_b32_e32 v3, v9, v8
	v_and_b32_e32 v3, 1, v3
	v_cmp_eq_u32_e32 vcc_lo, 1, v3
                                        ; implicit-def: $vgpr3_vgpr4
	s_and_saveexec_b32 s1, vcc_lo
	s_xor_b32 s1, exec_lo, s1
	s_cbranch_execz .LBB458_10
; %bb.9:
	s_waitcnt lgkmcnt(0)
	v_cmp_lt_i64_e32 vcc_lo, v[5:6], v[1:2]
                                        ; implicit-def: $vgpr9
                                        ; implicit-def: $vgpr8
	v_cndmask_b32_e32 v4, v2, v6, vcc_lo
	v_cndmask_b32_e32 v3, v1, v5, vcc_lo
                                        ; implicit-def: $vgpr5_vgpr6
                                        ; implicit-def: $vgpr1_vgpr2
.LBB458_10:
	s_or_saveexec_b32 s1, s1
	v_lshlrev_b32_e32 v11, 2, v7
	v_mov_b32_e32 v10, 1
	s_xor_b32 exec_lo, exec_lo, s1
	s_cbranch_execz .LBB458_12
; %bb.11:
	v_and_b32_e32 v3, 1, v9
	v_and_b32_e32 v8, 0xff, v8
	v_cmp_eq_u32_e32 vcc_lo, 1, v3
	s_waitcnt lgkmcnt(0)
	v_cndmask_b32_e32 v4, v6, v2, vcc_lo
	v_cndmask_b32_e32 v3, v5, v1, vcc_lo
	v_cndmask_b32_e64 v10, v8, 1, vcc_lo
.LBB458_12:
	s_or_b32 exec_lo, exec_lo, s1
	v_or_b32_e32 v1, 16, v11
	ds_bpermute_b32 v9, v1, v10
	s_waitcnt lgkmcnt(2)
	ds_bpermute_b32 v5, v1, v3
	s_waitcnt lgkmcnt(2)
	ds_bpermute_b32 v6, v1, v4
	s_waitcnt lgkmcnt(2)
	v_and_b32_e32 v1, v10, v9
	v_and_b32_e32 v1, 1, v1
	v_cmp_eq_u32_e32 vcc_lo, 1, v1
                                        ; implicit-def: $vgpr1_vgpr2
	s_and_saveexec_b32 s1, vcc_lo
	s_xor_b32 s1, exec_lo, s1
	s_cbranch_execz .LBB458_14
; %bb.13:
	s_waitcnt lgkmcnt(0)
	v_cmp_lt_i64_e32 vcc_lo, v[5:6], v[3:4]
                                        ; implicit-def: $vgpr10
                                        ; implicit-def: $vgpr9
	v_cndmask_b32_e32 v2, v4, v6, vcc_lo
	v_cndmask_b32_e32 v1, v3, v5, vcc_lo
                                        ; implicit-def: $vgpr5_vgpr6
                                        ; implicit-def: $vgpr3_vgpr4
.LBB458_14:
	s_or_saveexec_b32 s1, s1
	v_mov_b32_e32 v8, 1
	s_xor_b32 exec_lo, exec_lo, s1
	s_cbranch_execz .LBB458_16
; %bb.15:
	v_and_b32_e32 v1, 1, v10
	v_cmp_eq_u32_e32 vcc_lo, 1, v1
	s_waitcnt lgkmcnt(0)
	v_cndmask_b32_e32 v2, v6, v4, vcc_lo
	v_cndmask_b32_e32 v1, v5, v3, vcc_lo
	v_cndmask_b32_e64 v8, v9, 1, vcc_lo
.LBB458_16:
	s_or_b32 exec_lo, exec_lo, s1
.LBB458_17:
	s_or_b32 exec_lo, exec_lo, s0
	s_load_dwordx2 s[8:9], s[4:5], 0x38
	s_branch .LBB458_76
.LBB458_18:
                                        ; implicit-def: $vgpr1_vgpr2
                                        ; implicit-def: $vgpr8
	s_load_dwordx2 s[8:9], s[4:5], 0x38
	s_cbranch_execz .LBB458_76
; %bb.19:
	v_mov_b32_e32 v3, 0
	v_mov_b32_e32 v1, 0
	s_waitcnt lgkmcnt(0)
	v_mov_b32_e32 v5, 0
	v_mov_b32_e32 v4, 0
	;; [unrolled: 1-line block ×4, first 2 shown]
	s_sub_i32 s10, s12, s10
	s_mov_b32 s0, exec_lo
	v_cmpx_gt_u32_e64 s10, v0
	s_cbranch_execz .LBB458_21
; %bb.20:
	v_lshlrev_b32_e32 v1, 4, v0
	s_clause 0x1
	global_load_ubyte v6, v1, s[2:3]
	global_load_dwordx2 v[1:2], v1, s[2:3] offset:8
.LBB458_21:
	s_or_b32 exec_lo, exec_lo, s0
	v_or_b32_e32 v8, 0x100, v0
	v_cmp_gt_u32_e32 vcc_lo, s10, v8
	s_and_saveexec_b32 s0, vcc_lo
	s_cbranch_execz .LBB458_23
; %bb.22:
	v_lshlrev_b32_e32 v3, 4, v8
	s_clause 0x1
	global_load_ubyte v5, v3, s[2:3]
	global_load_dwordx2 v[3:4], v3, s[2:3] offset:8
.LBB458_23:
	s_or_b32 exec_lo, exec_lo, s0
	s_waitcnt vmcnt(1)
	v_and_b32_e32 v8, 1, v5
	s_waitcnt vmcnt(0)
	v_cmp_lt_i64_e64 s0, v[3:4], v[1:2]
	v_and_b32_e32 v9, 1, v6
	v_and_b32_e32 v5, 0xff, v5
	;; [unrolled: 1-line block ×3, first 2 shown]
	v_cmp_eq_u32_e64 s1, 1, v8
	v_cmp_eq_u32_e64 s2, 1, v9
	s_and_b32 s0, s1, s0
	s_mov_b32 s1, exec_lo
	v_cndmask_b32_e64 v8, v2, v4, s0
	v_cndmask_b32_e64 v9, v1, v3, s0
	v_cmp_ne_u32_e64 s0, 31, v7
	v_cndmask_b32_e64 v5, v5, 1, s2
	v_cndmask_b32_e64 v4, v4, v8, s2
	;; [unrolled: 1-line block ×3, first 2 shown]
	v_add_co_ci_u32_e64 v10, null, 0, v7, s0
	v_cndmask_b32_e32 v8, v6, v5, vcc_lo
	v_cndmask_b32_e32 v2, v2, v4, vcc_lo
	;; [unrolled: 1-line block ×3, first 2 shown]
	v_lshlrev_b32_e32 v9, 2, v10
	v_and_b32_e32 v5, 0xe0, v0
	s_min_u32 s0, s10, 0x100
	ds_bpermute_b32 v6, v9, v8
	ds_bpermute_b32 v3, v9, v1
	;; [unrolled: 1-line block ×3, first 2 shown]
	v_sub_nc_u32_e64 v5, s0, v5 clamp
	v_add_nc_u32_e32 v9, 1, v7
	v_cmpx_lt_u32_e64 v9, v5
	s_cbranch_execz .LBB458_29
; %bb.24:
	s_waitcnt lgkmcnt(2)
	v_and_b32_e32 v9, v8, v6
	s_mov_b32 s2, exec_lo
	v_cmpx_ne_u32_e32 0, v9
	s_xor_b32 s2, exec_lo, s2
	s_cbranch_execz .LBB458_26
; %bb.25:
	s_waitcnt lgkmcnt(0)
	v_cmp_lt_i64_e32 vcc_lo, v[3:4], v[1:2]
                                        ; implicit-def: $vgpr8
                                        ; implicit-def: $vgpr6
	v_cndmask_b32_e32 v2, v2, v4, vcc_lo
	v_cndmask_b32_e32 v1, v1, v3, vcc_lo
                                        ; implicit-def: $vgpr3_vgpr4
.LBB458_26:
	s_or_saveexec_b32 s2, s2
	v_mov_b32_e32 v9, 1
	s_xor_b32 exec_lo, exec_lo, s2
	s_cbranch_execz .LBB458_28
; %bb.27:
	v_and_b32_e32 v8, 1, v8
	v_and_b32_e32 v6, 0xff, v6
	v_cmp_eq_u32_e32 vcc_lo, 1, v8
	s_waitcnt lgkmcnt(0)
	v_cndmask_b32_e32 v2, v4, v2, vcc_lo
	v_cndmask_b32_e32 v1, v3, v1, vcc_lo
	v_cndmask_b32_e64 v9, v6, 1, vcc_lo
.LBB458_28:
	s_or_b32 exec_lo, exec_lo, s2
	v_mov_b32_e32 v8, v9
.LBB458_29:
	s_or_b32 exec_lo, exec_lo, s1
	v_cmp_gt_u32_e32 vcc_lo, 30, v7
	v_add_nc_u32_e32 v9, 2, v7
	s_mov_b32 s1, exec_lo
	s_waitcnt lgkmcnt(1)
	v_cndmask_b32_e64 v3, 0, 2, vcc_lo
	s_waitcnt lgkmcnt(0)
	v_add_lshl_u32 v4, v3, v7, 2
	ds_bpermute_b32 v6, v4, v8
	ds_bpermute_b32 v3, v4, v1
	ds_bpermute_b32 v4, v4, v2
	v_cmpx_lt_u32_e64 v9, v5
	s_cbranch_execz .LBB458_35
; %bb.30:
	s_waitcnt lgkmcnt(2)
	v_and_b32_e32 v9, v8, v6
	s_mov_b32 s2, exec_lo
	v_and_b32_e32 v9, 1, v9
	v_cmpx_eq_u32_e32 1, v9
	s_xor_b32 s2, exec_lo, s2
	s_cbranch_execz .LBB458_32
; %bb.31:
	s_waitcnt lgkmcnt(0)
	v_cmp_lt_i64_e32 vcc_lo, v[3:4], v[1:2]
                                        ; implicit-def: $vgpr8
                                        ; implicit-def: $vgpr6
	v_cndmask_b32_e32 v2, v2, v4, vcc_lo
	v_cndmask_b32_e32 v1, v1, v3, vcc_lo
                                        ; implicit-def: $vgpr3_vgpr4
.LBB458_32:
	s_or_saveexec_b32 s2, s2
	v_mov_b32_e32 v9, 1
	s_xor_b32 exec_lo, exec_lo, s2
	s_cbranch_execz .LBB458_34
; %bb.33:
	v_and_b32_e32 v8, 1, v8
	v_and_b32_e32 v6, 0xff, v6
	v_cmp_eq_u32_e32 vcc_lo, 1, v8
	s_waitcnt lgkmcnt(0)
	v_cndmask_b32_e32 v2, v4, v2, vcc_lo
	v_cndmask_b32_e32 v1, v3, v1, vcc_lo
	v_cndmask_b32_e64 v9, v6, 1, vcc_lo
.LBB458_34:
	s_or_b32 exec_lo, exec_lo, s2
	v_mov_b32_e32 v8, v9
.LBB458_35:
	s_or_b32 exec_lo, exec_lo, s1
	v_cmp_gt_u32_e32 vcc_lo, 28, v7
	v_add_nc_u32_e32 v9, 4, v7
	s_mov_b32 s1, exec_lo
	s_waitcnt lgkmcnt(1)
	v_cndmask_b32_e64 v3, 0, 4, vcc_lo
	s_waitcnt lgkmcnt(0)
	v_add_lshl_u32 v4, v3, v7, 2
	ds_bpermute_b32 v6, v4, v8
	ds_bpermute_b32 v3, v4, v1
	ds_bpermute_b32 v4, v4, v2
	v_cmpx_lt_u32_e64 v9, v5
	s_cbranch_execz .LBB458_41
; %bb.36:
	s_waitcnt lgkmcnt(2)
	v_and_b32_e32 v9, v8, v6
	s_mov_b32 s2, exec_lo
	v_and_b32_e32 v9, 1, v9
	v_cmpx_eq_u32_e32 1, v9
	s_xor_b32 s2, exec_lo, s2
	s_cbranch_execz .LBB458_38
; %bb.37:
	s_waitcnt lgkmcnt(0)
	v_cmp_lt_i64_e32 vcc_lo, v[3:4], v[1:2]
                                        ; implicit-def: $vgpr8
                                        ; implicit-def: $vgpr6
	v_cndmask_b32_e32 v2, v2, v4, vcc_lo
	v_cndmask_b32_e32 v1, v1, v3, vcc_lo
                                        ; implicit-def: $vgpr3_vgpr4
.LBB458_38:
	s_or_saveexec_b32 s2, s2
	v_mov_b32_e32 v9, 1
	s_xor_b32 exec_lo, exec_lo, s2
	s_cbranch_execz .LBB458_40
; %bb.39:
	v_and_b32_e32 v8, 1, v8
	v_and_b32_e32 v6, 0xff, v6
	v_cmp_eq_u32_e32 vcc_lo, 1, v8
	s_waitcnt lgkmcnt(0)
	v_cndmask_b32_e32 v2, v4, v2, vcc_lo
	v_cndmask_b32_e32 v1, v3, v1, vcc_lo
	v_cndmask_b32_e64 v9, v6, 1, vcc_lo
.LBB458_40:
	s_or_b32 exec_lo, exec_lo, s2
	v_mov_b32_e32 v8, v9
.LBB458_41:
	;; [unrolled: 46-line block ×3, first 2 shown]
	s_or_b32 exec_lo, exec_lo, s1
	s_waitcnt lgkmcnt(2)
	v_lshlrev_b32_e32 v6, 2, v7
	v_add_nc_u32_e32 v10, 16, v7
	s_waitcnt lgkmcnt(0)
	v_or_b32_e32 v4, 64, v6
	v_cmp_lt_u32_e32 vcc_lo, v10, v5
	v_mov_b32_e32 v5, v8
	ds_bpermute_b32 v9, v4, v8
	ds_bpermute_b32 v3, v4, v1
	;; [unrolled: 1-line block ×3, first 2 shown]
	s_and_saveexec_b32 s1, vcc_lo
	s_cbranch_execz .LBB458_53
; %bb.48:
	s_waitcnt lgkmcnt(2)
	v_and_b32_e32 v5, v8, v9
	s_mov_b32 s2, exec_lo
	v_and_b32_e32 v5, 1, v5
	v_cmpx_eq_u32_e32 1, v5
	s_xor_b32 s2, exec_lo, s2
	s_cbranch_execz .LBB458_50
; %bb.49:
	s_waitcnt lgkmcnt(0)
	v_cmp_lt_i64_e32 vcc_lo, v[3:4], v[1:2]
                                        ; implicit-def: $vgpr8
                                        ; implicit-def: $vgpr9
	v_cndmask_b32_e32 v2, v2, v4, vcc_lo
	v_cndmask_b32_e32 v1, v1, v3, vcc_lo
                                        ; implicit-def: $vgpr3_vgpr4
.LBB458_50:
	s_or_saveexec_b32 s2, s2
	v_mov_b32_e32 v5, 1
	s_xor_b32 exec_lo, exec_lo, s2
	s_cbranch_execz .LBB458_52
; %bb.51:
	v_and_b32_e32 v5, 1, v8
	v_cmp_eq_u32_e32 vcc_lo, 1, v5
	v_cndmask_b32_e64 v5, v9, 1, vcc_lo
	s_waitcnt lgkmcnt(0)
	v_cndmask_b32_e32 v2, v4, v2, vcc_lo
	v_cndmask_b32_e32 v1, v3, v1, vcc_lo
.LBB458_52:
	s_or_b32 exec_lo, exec_lo, s2
	v_and_b32_e32 v8, 0xff, v5
.LBB458_53:
	s_or_b32 exec_lo, exec_lo, s1
	s_mov_b32 s1, exec_lo
	v_cmpx_eq_u32_e32 0, v7
	s_cbranch_execz .LBB458_55
; %bb.54:
	s_waitcnt lgkmcnt(1)
	v_lshrrev_b32_e32 v3, 1, v0
	v_and_b32_e32 v3, 0x70, v3
	ds_write_b8 v3, v5 offset:128
	ds_write_b64 v3, v[1:2] offset:136
.LBB458_55:
	s_or_b32 exec_lo, exec_lo, s1
	s_mov_b32 s1, exec_lo
	s_waitcnt lgkmcnt(0)
	s_barrier
	buffer_gl0_inv
	v_cmpx_gt_u32_e32 8, v0
	s_cbranch_execz .LBB458_75
; %bb.56:
	v_lshlrev_b32_e32 v1, 4, v7
	v_and_b32_e32 v5, 7, v7
	s_add_i32 s0, s0, 31
	s_mov_b32 s2, exec_lo
	s_lshr_b32 s0, s0, 5
	ds_read_u8 v9, v1 offset:128
	ds_read_b64 v[1:2], v1 offset:136
	v_cmp_ne_u32_e32 vcc_lo, 7, v5
	v_add_nc_u32_e32 v11, 1, v5
	v_add_co_ci_u32_e64 v3, null, 0, v7, vcc_lo
	v_lshlrev_b32_e32 v4, 2, v3
	s_waitcnt lgkmcnt(1)
	v_and_b32_e32 v8, 0xff, v9
	s_waitcnt lgkmcnt(0)
	ds_bpermute_b32 v3, v4, v1
	ds_bpermute_b32 v10, v4, v8
	ds_bpermute_b32 v4, v4, v2
	v_cmpx_gt_u32_e64 s0, v11
	s_cbranch_execz .LBB458_62
; %bb.57:
	s_waitcnt lgkmcnt(1)
	v_and_b32_e32 v8, v8, v10
	s_mov_b32 s3, exec_lo
	v_and_b32_e32 v8, 1, v8
	v_cmpx_eq_u32_e32 1, v8
	s_xor_b32 s3, exec_lo, s3
	s_cbranch_execz .LBB458_59
; %bb.58:
	s_waitcnt lgkmcnt(0)
	v_cmp_lt_i64_e32 vcc_lo, v[3:4], v[1:2]
                                        ; implicit-def: $vgpr9
                                        ; implicit-def: $vgpr10
	v_cndmask_b32_e32 v2, v2, v4, vcc_lo
	v_cndmask_b32_e32 v1, v1, v3, vcc_lo
                                        ; implicit-def: $vgpr3_vgpr4
.LBB458_59:
	s_or_saveexec_b32 s3, s3
	v_mov_b32_e32 v8, 1
	s_xor_b32 exec_lo, exec_lo, s3
	s_cbranch_execz .LBB458_61
; %bb.60:
	v_and_b32_e32 v8, 1, v9
	v_cmp_eq_u32_e32 vcc_lo, 1, v8
	v_and_b32_e32 v8, 0xff, v10
	s_waitcnt lgkmcnt(0)
	v_cndmask_b32_e32 v2, v4, v2, vcc_lo
	v_cndmask_b32_e32 v1, v3, v1, vcc_lo
	v_cndmask_b32_e64 v8, v8, 1, vcc_lo
.LBB458_61:
	s_or_b32 exec_lo, exec_lo, s3
.LBB458_62:
	s_or_b32 exec_lo, exec_lo, s2
	v_cmp_gt_u32_e32 vcc_lo, 6, v5
	v_add_nc_u32_e32 v9, 2, v5
	s_mov_b32 s2, exec_lo
	s_waitcnt lgkmcnt(2)
	v_cndmask_b32_e64 v3, 0, 2, vcc_lo
	s_waitcnt lgkmcnt(0)
	v_add_lshl_u32 v4, v3, v7, 2
	ds_bpermute_b32 v7, v4, v8
	ds_bpermute_b32 v3, v4, v1
	;; [unrolled: 1-line block ×3, first 2 shown]
	v_cmpx_gt_u32_e64 s0, v9
	s_cbranch_execz .LBB458_68
; %bb.63:
	s_waitcnt lgkmcnt(2)
	v_and_b32_e32 v9, v8, v7
	s_mov_b32 s3, exec_lo
	v_and_b32_e32 v9, 1, v9
	v_cmpx_eq_u32_e32 1, v9
	s_xor_b32 s3, exec_lo, s3
	s_cbranch_execz .LBB458_65
; %bb.64:
	s_waitcnt lgkmcnt(0)
	v_cmp_lt_i64_e32 vcc_lo, v[3:4], v[1:2]
                                        ; implicit-def: $vgpr8
                                        ; implicit-def: $vgpr7
	v_cndmask_b32_e32 v2, v2, v4, vcc_lo
	v_cndmask_b32_e32 v1, v1, v3, vcc_lo
                                        ; implicit-def: $vgpr3_vgpr4
.LBB458_65:
	s_or_saveexec_b32 s3, s3
	v_mov_b32_e32 v9, 1
	s_xor_b32 exec_lo, exec_lo, s3
	s_cbranch_execz .LBB458_67
; %bb.66:
	v_and_b32_e32 v8, 1, v8
	v_and_b32_e32 v7, 0xff, v7
	v_cmp_eq_u32_e32 vcc_lo, 1, v8
	s_waitcnt lgkmcnt(0)
	v_cndmask_b32_e32 v2, v4, v2, vcc_lo
	v_cndmask_b32_e32 v1, v3, v1, vcc_lo
	v_cndmask_b32_e64 v9, v7, 1, vcc_lo
.LBB458_67:
	s_or_b32 exec_lo, exec_lo, s3
	v_mov_b32_e32 v8, v9
.LBB458_68:
	s_or_b32 exec_lo, exec_lo, s2
	s_waitcnt lgkmcnt(0)
	v_or_b32_e32 v4, 16, v6
	v_add_nc_u32_e32 v5, 4, v5
	ds_bpermute_b32 v6, v4, v8
	ds_bpermute_b32 v3, v4, v1
	;; [unrolled: 1-line block ×3, first 2 shown]
	v_cmp_gt_u32_e32 vcc_lo, s0, v5
	s_and_saveexec_b32 s0, vcc_lo
	s_cbranch_execz .LBB458_74
; %bb.69:
	s_waitcnt lgkmcnt(2)
	v_and_b32_e32 v5, v8, v6
	s_mov_b32 s2, exec_lo
	v_and_b32_e32 v5, 1, v5
	v_cmpx_eq_u32_e32 1, v5
	s_xor_b32 s2, exec_lo, s2
	s_cbranch_execz .LBB458_71
; %bb.70:
	s_waitcnt lgkmcnt(0)
	v_cmp_lt_i64_e32 vcc_lo, v[3:4], v[1:2]
                                        ; implicit-def: $vgpr8
                                        ; implicit-def: $vgpr6
	v_cndmask_b32_e32 v2, v2, v4, vcc_lo
	v_cndmask_b32_e32 v1, v1, v3, vcc_lo
                                        ; implicit-def: $vgpr3_vgpr4
.LBB458_71:
	s_or_saveexec_b32 s2, s2
	v_mov_b32_e32 v5, 1
	s_xor_b32 exec_lo, exec_lo, s2
	s_cbranch_execz .LBB458_73
; %bb.72:
	v_and_b32_e32 v5, 1, v8
	v_cmp_eq_u32_e32 vcc_lo, 1, v5
	s_waitcnt lgkmcnt(0)
	v_cndmask_b32_e32 v2, v4, v2, vcc_lo
	v_cndmask_b32_e32 v1, v3, v1, vcc_lo
	v_cndmask_b32_e64 v5, v6, 1, vcc_lo
.LBB458_73:
	s_or_b32 exec_lo, exec_lo, s2
	v_mov_b32_e32 v8, v5
.LBB458_74:
	s_or_b32 exec_lo, exec_lo, s0
.LBB458_75:
	s_or_b32 exec_lo, exec_lo, s1
.LBB458_76:
	s_load_dword s0, s[4:5], 0x30
	s_mov_b32 s1, exec_lo
	v_cmpx_eq_u32_e32 0, v0
	s_cbranch_execz .LBB458_78
; %bb.77:
	s_mul_i32 s1, s18, s17
	s_mul_hi_u32 s2, s18, s16
	s_mul_i32 s3, s19, s16
	s_add_i32 s1, s2, s1
	s_mul_i32 s2, s18, s16
	s_add_i32 s3, s1, s3
	v_mov_b32_e32 v0, 0
	s_lshl_b64 s[2:3], s[2:3], 4
	s_add_u32 s1, s14, s2
	s_addc_u32 s4, s15, s3
	s_cmp_eq_u64 s[12:13], 0
	s_cselect_b32 s5, -1, 0
	s_lshl_b64 s[2:3], s[6:7], 4
	s_waitcnt lgkmcnt(0)
	v_cndmask_b32_e64 v3, v8, s0, s5
	v_cndmask_b32_e64 v2, v2, s9, s5
	;; [unrolled: 1-line block ×3, first 2 shown]
	s_add_u32 s0, s1, s2
	s_addc_u32 s1, s4, s3
	global_store_byte v0, v3, s[0:1]
	global_store_dwordx2 v0, v[1:2], s[0:1] offset:8
.LBB458_78:
	s_endpgm
	.section	.rodata,"a",@progbits
	.p2align	6, 0x0
	.amdhsa_kernel _ZN7rocprim17ROCPRIM_400000_NS6detail17trampoline_kernelINS0_14default_configENS1_22reduce_config_selectorIN6thrust23THRUST_200600_302600_NS5tupleIblNS6_9null_typeES8_S8_S8_S8_S8_S8_S8_EEEEZNS1_11reduce_implILb1ES3_PS9_SC_S9_NS6_11hip_rocprim9__find_if7functorIS9_EEEE10hipError_tPvRmT1_T2_T3_mT4_P12ihipStream_tbEUlT_E0_NS1_11comp_targetILNS1_3genE8ELNS1_11target_archE1030ELNS1_3gpuE2ELNS1_3repE0EEENS1_30default_config_static_selectorELNS0_4arch9wavefront6targetE0EEEvSK_
		.amdhsa_group_segment_fixed_size 256
		.amdhsa_private_segment_fixed_size 0
		.amdhsa_kernarg_size 72
		.amdhsa_user_sgpr_count 6
		.amdhsa_user_sgpr_private_segment_buffer 1
		.amdhsa_user_sgpr_dispatch_ptr 0
		.amdhsa_user_sgpr_queue_ptr 0
		.amdhsa_user_sgpr_kernarg_segment_ptr 1
		.amdhsa_user_sgpr_dispatch_id 0
		.amdhsa_user_sgpr_flat_scratch_init 0
		.amdhsa_user_sgpr_private_segment_size 0
		.amdhsa_wavefront_size32 1
		.amdhsa_uses_dynamic_stack 0
		.amdhsa_system_sgpr_private_segment_wavefront_offset 0
		.amdhsa_system_sgpr_workgroup_id_x 1
		.amdhsa_system_sgpr_workgroup_id_y 0
		.amdhsa_system_sgpr_workgroup_id_z 0
		.amdhsa_system_sgpr_workgroup_info 0
		.amdhsa_system_vgpr_workitem_id 0
		.amdhsa_next_free_vgpr 12
		.amdhsa_next_free_sgpr 20
		.amdhsa_reserve_vcc 1
		.amdhsa_reserve_flat_scratch 0
		.amdhsa_float_round_mode_32 0
		.amdhsa_float_round_mode_16_64 0
		.amdhsa_float_denorm_mode_32 3
		.amdhsa_float_denorm_mode_16_64 3
		.amdhsa_dx10_clamp 1
		.amdhsa_ieee_mode 1
		.amdhsa_fp16_overflow 0
		.amdhsa_workgroup_processor_mode 1
		.amdhsa_memory_ordered 1
		.amdhsa_forward_progress 1
		.amdhsa_shared_vgpr_count 0
		.amdhsa_exception_fp_ieee_invalid_op 0
		.amdhsa_exception_fp_denorm_src 0
		.amdhsa_exception_fp_ieee_div_zero 0
		.amdhsa_exception_fp_ieee_overflow 0
		.amdhsa_exception_fp_ieee_underflow 0
		.amdhsa_exception_fp_ieee_inexact 0
		.amdhsa_exception_int_div_zero 0
	.end_amdhsa_kernel
	.section	.text._ZN7rocprim17ROCPRIM_400000_NS6detail17trampoline_kernelINS0_14default_configENS1_22reduce_config_selectorIN6thrust23THRUST_200600_302600_NS5tupleIblNS6_9null_typeES8_S8_S8_S8_S8_S8_S8_EEEEZNS1_11reduce_implILb1ES3_PS9_SC_S9_NS6_11hip_rocprim9__find_if7functorIS9_EEEE10hipError_tPvRmT1_T2_T3_mT4_P12ihipStream_tbEUlT_E0_NS1_11comp_targetILNS1_3genE8ELNS1_11target_archE1030ELNS1_3gpuE2ELNS1_3repE0EEENS1_30default_config_static_selectorELNS0_4arch9wavefront6targetE0EEEvSK_,"axG",@progbits,_ZN7rocprim17ROCPRIM_400000_NS6detail17trampoline_kernelINS0_14default_configENS1_22reduce_config_selectorIN6thrust23THRUST_200600_302600_NS5tupleIblNS6_9null_typeES8_S8_S8_S8_S8_S8_S8_EEEEZNS1_11reduce_implILb1ES3_PS9_SC_S9_NS6_11hip_rocprim9__find_if7functorIS9_EEEE10hipError_tPvRmT1_T2_T3_mT4_P12ihipStream_tbEUlT_E0_NS1_11comp_targetILNS1_3genE8ELNS1_11target_archE1030ELNS1_3gpuE2ELNS1_3repE0EEENS1_30default_config_static_selectorELNS0_4arch9wavefront6targetE0EEEvSK_,comdat
.Lfunc_end458:
	.size	_ZN7rocprim17ROCPRIM_400000_NS6detail17trampoline_kernelINS0_14default_configENS1_22reduce_config_selectorIN6thrust23THRUST_200600_302600_NS5tupleIblNS6_9null_typeES8_S8_S8_S8_S8_S8_S8_EEEEZNS1_11reduce_implILb1ES3_PS9_SC_S9_NS6_11hip_rocprim9__find_if7functorIS9_EEEE10hipError_tPvRmT1_T2_T3_mT4_P12ihipStream_tbEUlT_E0_NS1_11comp_targetILNS1_3genE8ELNS1_11target_archE1030ELNS1_3gpuE2ELNS1_3repE0EEENS1_30default_config_static_selectorELNS0_4arch9wavefront6targetE0EEEvSK_, .Lfunc_end458-_ZN7rocprim17ROCPRIM_400000_NS6detail17trampoline_kernelINS0_14default_configENS1_22reduce_config_selectorIN6thrust23THRUST_200600_302600_NS5tupleIblNS6_9null_typeES8_S8_S8_S8_S8_S8_S8_EEEEZNS1_11reduce_implILb1ES3_PS9_SC_S9_NS6_11hip_rocprim9__find_if7functorIS9_EEEE10hipError_tPvRmT1_T2_T3_mT4_P12ihipStream_tbEUlT_E0_NS1_11comp_targetILNS1_3genE8ELNS1_11target_archE1030ELNS1_3gpuE2ELNS1_3repE0EEENS1_30default_config_static_selectorELNS0_4arch9wavefront6targetE0EEEvSK_
                                        ; -- End function
	.set _ZN7rocprim17ROCPRIM_400000_NS6detail17trampoline_kernelINS0_14default_configENS1_22reduce_config_selectorIN6thrust23THRUST_200600_302600_NS5tupleIblNS6_9null_typeES8_S8_S8_S8_S8_S8_S8_EEEEZNS1_11reduce_implILb1ES3_PS9_SC_S9_NS6_11hip_rocprim9__find_if7functorIS9_EEEE10hipError_tPvRmT1_T2_T3_mT4_P12ihipStream_tbEUlT_E0_NS1_11comp_targetILNS1_3genE8ELNS1_11target_archE1030ELNS1_3gpuE2ELNS1_3repE0EEENS1_30default_config_static_selectorELNS0_4arch9wavefront6targetE0EEEvSK_.num_vgpr, 12
	.set _ZN7rocprim17ROCPRIM_400000_NS6detail17trampoline_kernelINS0_14default_configENS1_22reduce_config_selectorIN6thrust23THRUST_200600_302600_NS5tupleIblNS6_9null_typeES8_S8_S8_S8_S8_S8_S8_EEEEZNS1_11reduce_implILb1ES3_PS9_SC_S9_NS6_11hip_rocprim9__find_if7functorIS9_EEEE10hipError_tPvRmT1_T2_T3_mT4_P12ihipStream_tbEUlT_E0_NS1_11comp_targetILNS1_3genE8ELNS1_11target_archE1030ELNS1_3gpuE2ELNS1_3repE0EEENS1_30default_config_static_selectorELNS0_4arch9wavefront6targetE0EEEvSK_.num_agpr, 0
	.set _ZN7rocprim17ROCPRIM_400000_NS6detail17trampoline_kernelINS0_14default_configENS1_22reduce_config_selectorIN6thrust23THRUST_200600_302600_NS5tupleIblNS6_9null_typeES8_S8_S8_S8_S8_S8_S8_EEEEZNS1_11reduce_implILb1ES3_PS9_SC_S9_NS6_11hip_rocprim9__find_if7functorIS9_EEEE10hipError_tPvRmT1_T2_T3_mT4_P12ihipStream_tbEUlT_E0_NS1_11comp_targetILNS1_3genE8ELNS1_11target_archE1030ELNS1_3gpuE2ELNS1_3repE0EEENS1_30default_config_static_selectorELNS0_4arch9wavefront6targetE0EEEvSK_.numbered_sgpr, 20
	.set _ZN7rocprim17ROCPRIM_400000_NS6detail17trampoline_kernelINS0_14default_configENS1_22reduce_config_selectorIN6thrust23THRUST_200600_302600_NS5tupleIblNS6_9null_typeES8_S8_S8_S8_S8_S8_S8_EEEEZNS1_11reduce_implILb1ES3_PS9_SC_S9_NS6_11hip_rocprim9__find_if7functorIS9_EEEE10hipError_tPvRmT1_T2_T3_mT4_P12ihipStream_tbEUlT_E0_NS1_11comp_targetILNS1_3genE8ELNS1_11target_archE1030ELNS1_3gpuE2ELNS1_3repE0EEENS1_30default_config_static_selectorELNS0_4arch9wavefront6targetE0EEEvSK_.num_named_barrier, 0
	.set _ZN7rocprim17ROCPRIM_400000_NS6detail17trampoline_kernelINS0_14default_configENS1_22reduce_config_selectorIN6thrust23THRUST_200600_302600_NS5tupleIblNS6_9null_typeES8_S8_S8_S8_S8_S8_S8_EEEEZNS1_11reduce_implILb1ES3_PS9_SC_S9_NS6_11hip_rocprim9__find_if7functorIS9_EEEE10hipError_tPvRmT1_T2_T3_mT4_P12ihipStream_tbEUlT_E0_NS1_11comp_targetILNS1_3genE8ELNS1_11target_archE1030ELNS1_3gpuE2ELNS1_3repE0EEENS1_30default_config_static_selectorELNS0_4arch9wavefront6targetE0EEEvSK_.private_seg_size, 0
	.set _ZN7rocprim17ROCPRIM_400000_NS6detail17trampoline_kernelINS0_14default_configENS1_22reduce_config_selectorIN6thrust23THRUST_200600_302600_NS5tupleIblNS6_9null_typeES8_S8_S8_S8_S8_S8_S8_EEEEZNS1_11reduce_implILb1ES3_PS9_SC_S9_NS6_11hip_rocprim9__find_if7functorIS9_EEEE10hipError_tPvRmT1_T2_T3_mT4_P12ihipStream_tbEUlT_E0_NS1_11comp_targetILNS1_3genE8ELNS1_11target_archE1030ELNS1_3gpuE2ELNS1_3repE0EEENS1_30default_config_static_selectorELNS0_4arch9wavefront6targetE0EEEvSK_.uses_vcc, 1
	.set _ZN7rocprim17ROCPRIM_400000_NS6detail17trampoline_kernelINS0_14default_configENS1_22reduce_config_selectorIN6thrust23THRUST_200600_302600_NS5tupleIblNS6_9null_typeES8_S8_S8_S8_S8_S8_S8_EEEEZNS1_11reduce_implILb1ES3_PS9_SC_S9_NS6_11hip_rocprim9__find_if7functorIS9_EEEE10hipError_tPvRmT1_T2_T3_mT4_P12ihipStream_tbEUlT_E0_NS1_11comp_targetILNS1_3genE8ELNS1_11target_archE1030ELNS1_3gpuE2ELNS1_3repE0EEENS1_30default_config_static_selectorELNS0_4arch9wavefront6targetE0EEEvSK_.uses_flat_scratch, 0
	.set _ZN7rocprim17ROCPRIM_400000_NS6detail17trampoline_kernelINS0_14default_configENS1_22reduce_config_selectorIN6thrust23THRUST_200600_302600_NS5tupleIblNS6_9null_typeES8_S8_S8_S8_S8_S8_S8_EEEEZNS1_11reduce_implILb1ES3_PS9_SC_S9_NS6_11hip_rocprim9__find_if7functorIS9_EEEE10hipError_tPvRmT1_T2_T3_mT4_P12ihipStream_tbEUlT_E0_NS1_11comp_targetILNS1_3genE8ELNS1_11target_archE1030ELNS1_3gpuE2ELNS1_3repE0EEENS1_30default_config_static_selectorELNS0_4arch9wavefront6targetE0EEEvSK_.has_dyn_sized_stack, 0
	.set _ZN7rocprim17ROCPRIM_400000_NS6detail17trampoline_kernelINS0_14default_configENS1_22reduce_config_selectorIN6thrust23THRUST_200600_302600_NS5tupleIblNS6_9null_typeES8_S8_S8_S8_S8_S8_S8_EEEEZNS1_11reduce_implILb1ES3_PS9_SC_S9_NS6_11hip_rocprim9__find_if7functorIS9_EEEE10hipError_tPvRmT1_T2_T3_mT4_P12ihipStream_tbEUlT_E0_NS1_11comp_targetILNS1_3genE8ELNS1_11target_archE1030ELNS1_3gpuE2ELNS1_3repE0EEENS1_30default_config_static_selectorELNS0_4arch9wavefront6targetE0EEEvSK_.has_recursion, 0
	.set _ZN7rocprim17ROCPRIM_400000_NS6detail17trampoline_kernelINS0_14default_configENS1_22reduce_config_selectorIN6thrust23THRUST_200600_302600_NS5tupleIblNS6_9null_typeES8_S8_S8_S8_S8_S8_S8_EEEEZNS1_11reduce_implILb1ES3_PS9_SC_S9_NS6_11hip_rocprim9__find_if7functorIS9_EEEE10hipError_tPvRmT1_T2_T3_mT4_P12ihipStream_tbEUlT_E0_NS1_11comp_targetILNS1_3genE8ELNS1_11target_archE1030ELNS1_3gpuE2ELNS1_3repE0EEENS1_30default_config_static_selectorELNS0_4arch9wavefront6targetE0EEEvSK_.has_indirect_call, 0
	.section	.AMDGPU.csdata,"",@progbits
; Kernel info:
; codeLenInByte = 3124
; TotalNumSgprs: 22
; NumVgprs: 12
; ScratchSize: 0
; MemoryBound: 0
; FloatMode: 240
; IeeeMode: 1
; LDSByteSize: 256 bytes/workgroup (compile time only)
; SGPRBlocks: 0
; VGPRBlocks: 1
; NumSGPRsForWavesPerEU: 22
; NumVGPRsForWavesPerEU: 12
; Occupancy: 16
; WaveLimiterHint : 1
; COMPUTE_PGM_RSRC2:SCRATCH_EN: 0
; COMPUTE_PGM_RSRC2:USER_SGPR: 6
; COMPUTE_PGM_RSRC2:TRAP_HANDLER: 0
; COMPUTE_PGM_RSRC2:TGID_X_EN: 1
; COMPUTE_PGM_RSRC2:TGID_Y_EN: 0
; COMPUTE_PGM_RSRC2:TGID_Z_EN: 0
; COMPUTE_PGM_RSRC2:TIDIG_COMP_CNT: 0
	.section	.text._ZN7rocprim17ROCPRIM_400000_NS6detail17trampoline_kernelINS0_14default_configENS1_22reduce_config_selectorIN6thrust23THRUST_200600_302600_NS5tupleIblNS6_9null_typeES8_S8_S8_S8_S8_S8_S8_EEEEZNS1_11reduce_implILb1ES3_PS9_SC_S9_NS6_11hip_rocprim9__find_if7functorIS9_EEEE10hipError_tPvRmT1_T2_T3_mT4_P12ihipStream_tbEUlT_E1_NS1_11comp_targetILNS1_3genE0ELNS1_11target_archE4294967295ELNS1_3gpuE0ELNS1_3repE0EEENS1_30default_config_static_selectorELNS0_4arch9wavefront6targetE0EEEvSK_,"axG",@progbits,_ZN7rocprim17ROCPRIM_400000_NS6detail17trampoline_kernelINS0_14default_configENS1_22reduce_config_selectorIN6thrust23THRUST_200600_302600_NS5tupleIblNS6_9null_typeES8_S8_S8_S8_S8_S8_S8_EEEEZNS1_11reduce_implILb1ES3_PS9_SC_S9_NS6_11hip_rocprim9__find_if7functorIS9_EEEE10hipError_tPvRmT1_T2_T3_mT4_P12ihipStream_tbEUlT_E1_NS1_11comp_targetILNS1_3genE0ELNS1_11target_archE4294967295ELNS1_3gpuE0ELNS1_3repE0EEENS1_30default_config_static_selectorELNS0_4arch9wavefront6targetE0EEEvSK_,comdat
	.protected	_ZN7rocprim17ROCPRIM_400000_NS6detail17trampoline_kernelINS0_14default_configENS1_22reduce_config_selectorIN6thrust23THRUST_200600_302600_NS5tupleIblNS6_9null_typeES8_S8_S8_S8_S8_S8_S8_EEEEZNS1_11reduce_implILb1ES3_PS9_SC_S9_NS6_11hip_rocprim9__find_if7functorIS9_EEEE10hipError_tPvRmT1_T2_T3_mT4_P12ihipStream_tbEUlT_E1_NS1_11comp_targetILNS1_3genE0ELNS1_11target_archE4294967295ELNS1_3gpuE0ELNS1_3repE0EEENS1_30default_config_static_selectorELNS0_4arch9wavefront6targetE0EEEvSK_ ; -- Begin function _ZN7rocprim17ROCPRIM_400000_NS6detail17trampoline_kernelINS0_14default_configENS1_22reduce_config_selectorIN6thrust23THRUST_200600_302600_NS5tupleIblNS6_9null_typeES8_S8_S8_S8_S8_S8_S8_EEEEZNS1_11reduce_implILb1ES3_PS9_SC_S9_NS6_11hip_rocprim9__find_if7functorIS9_EEEE10hipError_tPvRmT1_T2_T3_mT4_P12ihipStream_tbEUlT_E1_NS1_11comp_targetILNS1_3genE0ELNS1_11target_archE4294967295ELNS1_3gpuE0ELNS1_3repE0EEENS1_30default_config_static_selectorELNS0_4arch9wavefront6targetE0EEEvSK_
	.globl	_ZN7rocprim17ROCPRIM_400000_NS6detail17trampoline_kernelINS0_14default_configENS1_22reduce_config_selectorIN6thrust23THRUST_200600_302600_NS5tupleIblNS6_9null_typeES8_S8_S8_S8_S8_S8_S8_EEEEZNS1_11reduce_implILb1ES3_PS9_SC_S9_NS6_11hip_rocprim9__find_if7functorIS9_EEEE10hipError_tPvRmT1_T2_T3_mT4_P12ihipStream_tbEUlT_E1_NS1_11comp_targetILNS1_3genE0ELNS1_11target_archE4294967295ELNS1_3gpuE0ELNS1_3repE0EEENS1_30default_config_static_selectorELNS0_4arch9wavefront6targetE0EEEvSK_
	.p2align	8
	.type	_ZN7rocprim17ROCPRIM_400000_NS6detail17trampoline_kernelINS0_14default_configENS1_22reduce_config_selectorIN6thrust23THRUST_200600_302600_NS5tupleIblNS6_9null_typeES8_S8_S8_S8_S8_S8_S8_EEEEZNS1_11reduce_implILb1ES3_PS9_SC_S9_NS6_11hip_rocprim9__find_if7functorIS9_EEEE10hipError_tPvRmT1_T2_T3_mT4_P12ihipStream_tbEUlT_E1_NS1_11comp_targetILNS1_3genE0ELNS1_11target_archE4294967295ELNS1_3gpuE0ELNS1_3repE0EEENS1_30default_config_static_selectorELNS0_4arch9wavefront6targetE0EEEvSK_,@function
_ZN7rocprim17ROCPRIM_400000_NS6detail17trampoline_kernelINS0_14default_configENS1_22reduce_config_selectorIN6thrust23THRUST_200600_302600_NS5tupleIblNS6_9null_typeES8_S8_S8_S8_S8_S8_S8_EEEEZNS1_11reduce_implILb1ES3_PS9_SC_S9_NS6_11hip_rocprim9__find_if7functorIS9_EEEE10hipError_tPvRmT1_T2_T3_mT4_P12ihipStream_tbEUlT_E1_NS1_11comp_targetILNS1_3genE0ELNS1_11target_archE4294967295ELNS1_3gpuE0ELNS1_3repE0EEENS1_30default_config_static_selectorELNS0_4arch9wavefront6targetE0EEEvSK_: ; @_ZN7rocprim17ROCPRIM_400000_NS6detail17trampoline_kernelINS0_14default_configENS1_22reduce_config_selectorIN6thrust23THRUST_200600_302600_NS5tupleIblNS6_9null_typeES8_S8_S8_S8_S8_S8_S8_EEEEZNS1_11reduce_implILb1ES3_PS9_SC_S9_NS6_11hip_rocprim9__find_if7functorIS9_EEEE10hipError_tPvRmT1_T2_T3_mT4_P12ihipStream_tbEUlT_E1_NS1_11comp_targetILNS1_3genE0ELNS1_11target_archE4294967295ELNS1_3gpuE0ELNS1_3repE0EEENS1_30default_config_static_selectorELNS0_4arch9wavefront6targetE0EEEvSK_
; %bb.0:
	.section	.rodata,"a",@progbits
	.p2align	6, 0x0
	.amdhsa_kernel _ZN7rocprim17ROCPRIM_400000_NS6detail17trampoline_kernelINS0_14default_configENS1_22reduce_config_selectorIN6thrust23THRUST_200600_302600_NS5tupleIblNS6_9null_typeES8_S8_S8_S8_S8_S8_S8_EEEEZNS1_11reduce_implILb1ES3_PS9_SC_S9_NS6_11hip_rocprim9__find_if7functorIS9_EEEE10hipError_tPvRmT1_T2_T3_mT4_P12ihipStream_tbEUlT_E1_NS1_11comp_targetILNS1_3genE0ELNS1_11target_archE4294967295ELNS1_3gpuE0ELNS1_3repE0EEENS1_30default_config_static_selectorELNS0_4arch9wavefront6targetE0EEEvSK_
		.amdhsa_group_segment_fixed_size 0
		.amdhsa_private_segment_fixed_size 0
		.amdhsa_kernarg_size 56
		.amdhsa_user_sgpr_count 6
		.amdhsa_user_sgpr_private_segment_buffer 1
		.amdhsa_user_sgpr_dispatch_ptr 0
		.amdhsa_user_sgpr_queue_ptr 0
		.amdhsa_user_sgpr_kernarg_segment_ptr 1
		.amdhsa_user_sgpr_dispatch_id 0
		.amdhsa_user_sgpr_flat_scratch_init 0
		.amdhsa_user_sgpr_private_segment_size 0
		.amdhsa_wavefront_size32 1
		.amdhsa_uses_dynamic_stack 0
		.amdhsa_system_sgpr_private_segment_wavefront_offset 0
		.amdhsa_system_sgpr_workgroup_id_x 1
		.amdhsa_system_sgpr_workgroup_id_y 0
		.amdhsa_system_sgpr_workgroup_id_z 0
		.amdhsa_system_sgpr_workgroup_info 0
		.amdhsa_system_vgpr_workitem_id 0
		.amdhsa_next_free_vgpr 1
		.amdhsa_next_free_sgpr 1
		.amdhsa_reserve_vcc 0
		.amdhsa_reserve_flat_scratch 0
		.amdhsa_float_round_mode_32 0
		.amdhsa_float_round_mode_16_64 0
		.amdhsa_float_denorm_mode_32 3
		.amdhsa_float_denorm_mode_16_64 3
		.amdhsa_dx10_clamp 1
		.amdhsa_ieee_mode 1
		.amdhsa_fp16_overflow 0
		.amdhsa_workgroup_processor_mode 1
		.amdhsa_memory_ordered 1
		.amdhsa_forward_progress 1
		.amdhsa_shared_vgpr_count 0
		.amdhsa_exception_fp_ieee_invalid_op 0
		.amdhsa_exception_fp_denorm_src 0
		.amdhsa_exception_fp_ieee_div_zero 0
		.amdhsa_exception_fp_ieee_overflow 0
		.amdhsa_exception_fp_ieee_underflow 0
		.amdhsa_exception_fp_ieee_inexact 0
		.amdhsa_exception_int_div_zero 0
	.end_amdhsa_kernel
	.section	.text._ZN7rocprim17ROCPRIM_400000_NS6detail17trampoline_kernelINS0_14default_configENS1_22reduce_config_selectorIN6thrust23THRUST_200600_302600_NS5tupleIblNS6_9null_typeES8_S8_S8_S8_S8_S8_S8_EEEEZNS1_11reduce_implILb1ES3_PS9_SC_S9_NS6_11hip_rocprim9__find_if7functorIS9_EEEE10hipError_tPvRmT1_T2_T3_mT4_P12ihipStream_tbEUlT_E1_NS1_11comp_targetILNS1_3genE0ELNS1_11target_archE4294967295ELNS1_3gpuE0ELNS1_3repE0EEENS1_30default_config_static_selectorELNS0_4arch9wavefront6targetE0EEEvSK_,"axG",@progbits,_ZN7rocprim17ROCPRIM_400000_NS6detail17trampoline_kernelINS0_14default_configENS1_22reduce_config_selectorIN6thrust23THRUST_200600_302600_NS5tupleIblNS6_9null_typeES8_S8_S8_S8_S8_S8_S8_EEEEZNS1_11reduce_implILb1ES3_PS9_SC_S9_NS6_11hip_rocprim9__find_if7functorIS9_EEEE10hipError_tPvRmT1_T2_T3_mT4_P12ihipStream_tbEUlT_E1_NS1_11comp_targetILNS1_3genE0ELNS1_11target_archE4294967295ELNS1_3gpuE0ELNS1_3repE0EEENS1_30default_config_static_selectorELNS0_4arch9wavefront6targetE0EEEvSK_,comdat
.Lfunc_end459:
	.size	_ZN7rocprim17ROCPRIM_400000_NS6detail17trampoline_kernelINS0_14default_configENS1_22reduce_config_selectorIN6thrust23THRUST_200600_302600_NS5tupleIblNS6_9null_typeES8_S8_S8_S8_S8_S8_S8_EEEEZNS1_11reduce_implILb1ES3_PS9_SC_S9_NS6_11hip_rocprim9__find_if7functorIS9_EEEE10hipError_tPvRmT1_T2_T3_mT4_P12ihipStream_tbEUlT_E1_NS1_11comp_targetILNS1_3genE0ELNS1_11target_archE4294967295ELNS1_3gpuE0ELNS1_3repE0EEENS1_30default_config_static_selectorELNS0_4arch9wavefront6targetE0EEEvSK_, .Lfunc_end459-_ZN7rocprim17ROCPRIM_400000_NS6detail17trampoline_kernelINS0_14default_configENS1_22reduce_config_selectorIN6thrust23THRUST_200600_302600_NS5tupleIblNS6_9null_typeES8_S8_S8_S8_S8_S8_S8_EEEEZNS1_11reduce_implILb1ES3_PS9_SC_S9_NS6_11hip_rocprim9__find_if7functorIS9_EEEE10hipError_tPvRmT1_T2_T3_mT4_P12ihipStream_tbEUlT_E1_NS1_11comp_targetILNS1_3genE0ELNS1_11target_archE4294967295ELNS1_3gpuE0ELNS1_3repE0EEENS1_30default_config_static_selectorELNS0_4arch9wavefront6targetE0EEEvSK_
                                        ; -- End function
	.set _ZN7rocprim17ROCPRIM_400000_NS6detail17trampoline_kernelINS0_14default_configENS1_22reduce_config_selectorIN6thrust23THRUST_200600_302600_NS5tupleIblNS6_9null_typeES8_S8_S8_S8_S8_S8_S8_EEEEZNS1_11reduce_implILb1ES3_PS9_SC_S9_NS6_11hip_rocprim9__find_if7functorIS9_EEEE10hipError_tPvRmT1_T2_T3_mT4_P12ihipStream_tbEUlT_E1_NS1_11comp_targetILNS1_3genE0ELNS1_11target_archE4294967295ELNS1_3gpuE0ELNS1_3repE0EEENS1_30default_config_static_selectorELNS0_4arch9wavefront6targetE0EEEvSK_.num_vgpr, 0
	.set _ZN7rocprim17ROCPRIM_400000_NS6detail17trampoline_kernelINS0_14default_configENS1_22reduce_config_selectorIN6thrust23THRUST_200600_302600_NS5tupleIblNS6_9null_typeES8_S8_S8_S8_S8_S8_S8_EEEEZNS1_11reduce_implILb1ES3_PS9_SC_S9_NS6_11hip_rocprim9__find_if7functorIS9_EEEE10hipError_tPvRmT1_T2_T3_mT4_P12ihipStream_tbEUlT_E1_NS1_11comp_targetILNS1_3genE0ELNS1_11target_archE4294967295ELNS1_3gpuE0ELNS1_3repE0EEENS1_30default_config_static_selectorELNS0_4arch9wavefront6targetE0EEEvSK_.num_agpr, 0
	.set _ZN7rocprim17ROCPRIM_400000_NS6detail17trampoline_kernelINS0_14default_configENS1_22reduce_config_selectorIN6thrust23THRUST_200600_302600_NS5tupleIblNS6_9null_typeES8_S8_S8_S8_S8_S8_S8_EEEEZNS1_11reduce_implILb1ES3_PS9_SC_S9_NS6_11hip_rocprim9__find_if7functorIS9_EEEE10hipError_tPvRmT1_T2_T3_mT4_P12ihipStream_tbEUlT_E1_NS1_11comp_targetILNS1_3genE0ELNS1_11target_archE4294967295ELNS1_3gpuE0ELNS1_3repE0EEENS1_30default_config_static_selectorELNS0_4arch9wavefront6targetE0EEEvSK_.numbered_sgpr, 0
	.set _ZN7rocprim17ROCPRIM_400000_NS6detail17trampoline_kernelINS0_14default_configENS1_22reduce_config_selectorIN6thrust23THRUST_200600_302600_NS5tupleIblNS6_9null_typeES8_S8_S8_S8_S8_S8_S8_EEEEZNS1_11reduce_implILb1ES3_PS9_SC_S9_NS6_11hip_rocprim9__find_if7functorIS9_EEEE10hipError_tPvRmT1_T2_T3_mT4_P12ihipStream_tbEUlT_E1_NS1_11comp_targetILNS1_3genE0ELNS1_11target_archE4294967295ELNS1_3gpuE0ELNS1_3repE0EEENS1_30default_config_static_selectorELNS0_4arch9wavefront6targetE0EEEvSK_.num_named_barrier, 0
	.set _ZN7rocprim17ROCPRIM_400000_NS6detail17trampoline_kernelINS0_14default_configENS1_22reduce_config_selectorIN6thrust23THRUST_200600_302600_NS5tupleIblNS6_9null_typeES8_S8_S8_S8_S8_S8_S8_EEEEZNS1_11reduce_implILb1ES3_PS9_SC_S9_NS6_11hip_rocprim9__find_if7functorIS9_EEEE10hipError_tPvRmT1_T2_T3_mT4_P12ihipStream_tbEUlT_E1_NS1_11comp_targetILNS1_3genE0ELNS1_11target_archE4294967295ELNS1_3gpuE0ELNS1_3repE0EEENS1_30default_config_static_selectorELNS0_4arch9wavefront6targetE0EEEvSK_.private_seg_size, 0
	.set _ZN7rocprim17ROCPRIM_400000_NS6detail17trampoline_kernelINS0_14default_configENS1_22reduce_config_selectorIN6thrust23THRUST_200600_302600_NS5tupleIblNS6_9null_typeES8_S8_S8_S8_S8_S8_S8_EEEEZNS1_11reduce_implILb1ES3_PS9_SC_S9_NS6_11hip_rocprim9__find_if7functorIS9_EEEE10hipError_tPvRmT1_T2_T3_mT4_P12ihipStream_tbEUlT_E1_NS1_11comp_targetILNS1_3genE0ELNS1_11target_archE4294967295ELNS1_3gpuE0ELNS1_3repE0EEENS1_30default_config_static_selectorELNS0_4arch9wavefront6targetE0EEEvSK_.uses_vcc, 0
	.set _ZN7rocprim17ROCPRIM_400000_NS6detail17trampoline_kernelINS0_14default_configENS1_22reduce_config_selectorIN6thrust23THRUST_200600_302600_NS5tupleIblNS6_9null_typeES8_S8_S8_S8_S8_S8_S8_EEEEZNS1_11reduce_implILb1ES3_PS9_SC_S9_NS6_11hip_rocprim9__find_if7functorIS9_EEEE10hipError_tPvRmT1_T2_T3_mT4_P12ihipStream_tbEUlT_E1_NS1_11comp_targetILNS1_3genE0ELNS1_11target_archE4294967295ELNS1_3gpuE0ELNS1_3repE0EEENS1_30default_config_static_selectorELNS0_4arch9wavefront6targetE0EEEvSK_.uses_flat_scratch, 0
	.set _ZN7rocprim17ROCPRIM_400000_NS6detail17trampoline_kernelINS0_14default_configENS1_22reduce_config_selectorIN6thrust23THRUST_200600_302600_NS5tupleIblNS6_9null_typeES8_S8_S8_S8_S8_S8_S8_EEEEZNS1_11reduce_implILb1ES3_PS9_SC_S9_NS6_11hip_rocprim9__find_if7functorIS9_EEEE10hipError_tPvRmT1_T2_T3_mT4_P12ihipStream_tbEUlT_E1_NS1_11comp_targetILNS1_3genE0ELNS1_11target_archE4294967295ELNS1_3gpuE0ELNS1_3repE0EEENS1_30default_config_static_selectorELNS0_4arch9wavefront6targetE0EEEvSK_.has_dyn_sized_stack, 0
	.set _ZN7rocprim17ROCPRIM_400000_NS6detail17trampoline_kernelINS0_14default_configENS1_22reduce_config_selectorIN6thrust23THRUST_200600_302600_NS5tupleIblNS6_9null_typeES8_S8_S8_S8_S8_S8_S8_EEEEZNS1_11reduce_implILb1ES3_PS9_SC_S9_NS6_11hip_rocprim9__find_if7functorIS9_EEEE10hipError_tPvRmT1_T2_T3_mT4_P12ihipStream_tbEUlT_E1_NS1_11comp_targetILNS1_3genE0ELNS1_11target_archE4294967295ELNS1_3gpuE0ELNS1_3repE0EEENS1_30default_config_static_selectorELNS0_4arch9wavefront6targetE0EEEvSK_.has_recursion, 0
	.set _ZN7rocprim17ROCPRIM_400000_NS6detail17trampoline_kernelINS0_14default_configENS1_22reduce_config_selectorIN6thrust23THRUST_200600_302600_NS5tupleIblNS6_9null_typeES8_S8_S8_S8_S8_S8_S8_EEEEZNS1_11reduce_implILb1ES3_PS9_SC_S9_NS6_11hip_rocprim9__find_if7functorIS9_EEEE10hipError_tPvRmT1_T2_T3_mT4_P12ihipStream_tbEUlT_E1_NS1_11comp_targetILNS1_3genE0ELNS1_11target_archE4294967295ELNS1_3gpuE0ELNS1_3repE0EEENS1_30default_config_static_selectorELNS0_4arch9wavefront6targetE0EEEvSK_.has_indirect_call, 0
	.section	.AMDGPU.csdata,"",@progbits
; Kernel info:
; codeLenInByte = 0
; TotalNumSgprs: 0
; NumVgprs: 0
; ScratchSize: 0
; MemoryBound: 0
; FloatMode: 240
; IeeeMode: 1
; LDSByteSize: 0 bytes/workgroup (compile time only)
; SGPRBlocks: 0
; VGPRBlocks: 0
; NumSGPRsForWavesPerEU: 1
; NumVGPRsForWavesPerEU: 1
; Occupancy: 16
; WaveLimiterHint : 0
; COMPUTE_PGM_RSRC2:SCRATCH_EN: 0
; COMPUTE_PGM_RSRC2:USER_SGPR: 6
; COMPUTE_PGM_RSRC2:TRAP_HANDLER: 0
; COMPUTE_PGM_RSRC2:TGID_X_EN: 1
; COMPUTE_PGM_RSRC2:TGID_Y_EN: 0
; COMPUTE_PGM_RSRC2:TGID_Z_EN: 0
; COMPUTE_PGM_RSRC2:TIDIG_COMP_CNT: 0
	.section	.text._ZN7rocprim17ROCPRIM_400000_NS6detail17trampoline_kernelINS0_14default_configENS1_22reduce_config_selectorIN6thrust23THRUST_200600_302600_NS5tupleIblNS6_9null_typeES8_S8_S8_S8_S8_S8_S8_EEEEZNS1_11reduce_implILb1ES3_PS9_SC_S9_NS6_11hip_rocprim9__find_if7functorIS9_EEEE10hipError_tPvRmT1_T2_T3_mT4_P12ihipStream_tbEUlT_E1_NS1_11comp_targetILNS1_3genE5ELNS1_11target_archE942ELNS1_3gpuE9ELNS1_3repE0EEENS1_30default_config_static_selectorELNS0_4arch9wavefront6targetE0EEEvSK_,"axG",@progbits,_ZN7rocprim17ROCPRIM_400000_NS6detail17trampoline_kernelINS0_14default_configENS1_22reduce_config_selectorIN6thrust23THRUST_200600_302600_NS5tupleIblNS6_9null_typeES8_S8_S8_S8_S8_S8_S8_EEEEZNS1_11reduce_implILb1ES3_PS9_SC_S9_NS6_11hip_rocprim9__find_if7functorIS9_EEEE10hipError_tPvRmT1_T2_T3_mT4_P12ihipStream_tbEUlT_E1_NS1_11comp_targetILNS1_3genE5ELNS1_11target_archE942ELNS1_3gpuE9ELNS1_3repE0EEENS1_30default_config_static_selectorELNS0_4arch9wavefront6targetE0EEEvSK_,comdat
	.protected	_ZN7rocprim17ROCPRIM_400000_NS6detail17trampoline_kernelINS0_14default_configENS1_22reduce_config_selectorIN6thrust23THRUST_200600_302600_NS5tupleIblNS6_9null_typeES8_S8_S8_S8_S8_S8_S8_EEEEZNS1_11reduce_implILb1ES3_PS9_SC_S9_NS6_11hip_rocprim9__find_if7functorIS9_EEEE10hipError_tPvRmT1_T2_T3_mT4_P12ihipStream_tbEUlT_E1_NS1_11comp_targetILNS1_3genE5ELNS1_11target_archE942ELNS1_3gpuE9ELNS1_3repE0EEENS1_30default_config_static_selectorELNS0_4arch9wavefront6targetE0EEEvSK_ ; -- Begin function _ZN7rocprim17ROCPRIM_400000_NS6detail17trampoline_kernelINS0_14default_configENS1_22reduce_config_selectorIN6thrust23THRUST_200600_302600_NS5tupleIblNS6_9null_typeES8_S8_S8_S8_S8_S8_S8_EEEEZNS1_11reduce_implILb1ES3_PS9_SC_S9_NS6_11hip_rocprim9__find_if7functorIS9_EEEE10hipError_tPvRmT1_T2_T3_mT4_P12ihipStream_tbEUlT_E1_NS1_11comp_targetILNS1_3genE5ELNS1_11target_archE942ELNS1_3gpuE9ELNS1_3repE0EEENS1_30default_config_static_selectorELNS0_4arch9wavefront6targetE0EEEvSK_
	.globl	_ZN7rocprim17ROCPRIM_400000_NS6detail17trampoline_kernelINS0_14default_configENS1_22reduce_config_selectorIN6thrust23THRUST_200600_302600_NS5tupleIblNS6_9null_typeES8_S8_S8_S8_S8_S8_S8_EEEEZNS1_11reduce_implILb1ES3_PS9_SC_S9_NS6_11hip_rocprim9__find_if7functorIS9_EEEE10hipError_tPvRmT1_T2_T3_mT4_P12ihipStream_tbEUlT_E1_NS1_11comp_targetILNS1_3genE5ELNS1_11target_archE942ELNS1_3gpuE9ELNS1_3repE0EEENS1_30default_config_static_selectorELNS0_4arch9wavefront6targetE0EEEvSK_
	.p2align	8
	.type	_ZN7rocprim17ROCPRIM_400000_NS6detail17trampoline_kernelINS0_14default_configENS1_22reduce_config_selectorIN6thrust23THRUST_200600_302600_NS5tupleIblNS6_9null_typeES8_S8_S8_S8_S8_S8_S8_EEEEZNS1_11reduce_implILb1ES3_PS9_SC_S9_NS6_11hip_rocprim9__find_if7functorIS9_EEEE10hipError_tPvRmT1_T2_T3_mT4_P12ihipStream_tbEUlT_E1_NS1_11comp_targetILNS1_3genE5ELNS1_11target_archE942ELNS1_3gpuE9ELNS1_3repE0EEENS1_30default_config_static_selectorELNS0_4arch9wavefront6targetE0EEEvSK_,@function
_ZN7rocprim17ROCPRIM_400000_NS6detail17trampoline_kernelINS0_14default_configENS1_22reduce_config_selectorIN6thrust23THRUST_200600_302600_NS5tupleIblNS6_9null_typeES8_S8_S8_S8_S8_S8_S8_EEEEZNS1_11reduce_implILb1ES3_PS9_SC_S9_NS6_11hip_rocprim9__find_if7functorIS9_EEEE10hipError_tPvRmT1_T2_T3_mT4_P12ihipStream_tbEUlT_E1_NS1_11comp_targetILNS1_3genE5ELNS1_11target_archE942ELNS1_3gpuE9ELNS1_3repE0EEENS1_30default_config_static_selectorELNS0_4arch9wavefront6targetE0EEEvSK_: ; @_ZN7rocprim17ROCPRIM_400000_NS6detail17trampoline_kernelINS0_14default_configENS1_22reduce_config_selectorIN6thrust23THRUST_200600_302600_NS5tupleIblNS6_9null_typeES8_S8_S8_S8_S8_S8_S8_EEEEZNS1_11reduce_implILb1ES3_PS9_SC_S9_NS6_11hip_rocprim9__find_if7functorIS9_EEEE10hipError_tPvRmT1_T2_T3_mT4_P12ihipStream_tbEUlT_E1_NS1_11comp_targetILNS1_3genE5ELNS1_11target_archE942ELNS1_3gpuE9ELNS1_3repE0EEENS1_30default_config_static_selectorELNS0_4arch9wavefront6targetE0EEEvSK_
; %bb.0:
	.section	.rodata,"a",@progbits
	.p2align	6, 0x0
	.amdhsa_kernel _ZN7rocprim17ROCPRIM_400000_NS6detail17trampoline_kernelINS0_14default_configENS1_22reduce_config_selectorIN6thrust23THRUST_200600_302600_NS5tupleIblNS6_9null_typeES8_S8_S8_S8_S8_S8_S8_EEEEZNS1_11reduce_implILb1ES3_PS9_SC_S9_NS6_11hip_rocprim9__find_if7functorIS9_EEEE10hipError_tPvRmT1_T2_T3_mT4_P12ihipStream_tbEUlT_E1_NS1_11comp_targetILNS1_3genE5ELNS1_11target_archE942ELNS1_3gpuE9ELNS1_3repE0EEENS1_30default_config_static_selectorELNS0_4arch9wavefront6targetE0EEEvSK_
		.amdhsa_group_segment_fixed_size 0
		.amdhsa_private_segment_fixed_size 0
		.amdhsa_kernarg_size 56
		.amdhsa_user_sgpr_count 6
		.amdhsa_user_sgpr_private_segment_buffer 1
		.amdhsa_user_sgpr_dispatch_ptr 0
		.amdhsa_user_sgpr_queue_ptr 0
		.amdhsa_user_sgpr_kernarg_segment_ptr 1
		.amdhsa_user_sgpr_dispatch_id 0
		.amdhsa_user_sgpr_flat_scratch_init 0
		.amdhsa_user_sgpr_private_segment_size 0
		.amdhsa_wavefront_size32 1
		.amdhsa_uses_dynamic_stack 0
		.amdhsa_system_sgpr_private_segment_wavefront_offset 0
		.amdhsa_system_sgpr_workgroup_id_x 1
		.amdhsa_system_sgpr_workgroup_id_y 0
		.amdhsa_system_sgpr_workgroup_id_z 0
		.amdhsa_system_sgpr_workgroup_info 0
		.amdhsa_system_vgpr_workitem_id 0
		.amdhsa_next_free_vgpr 1
		.amdhsa_next_free_sgpr 1
		.amdhsa_reserve_vcc 0
		.amdhsa_reserve_flat_scratch 0
		.amdhsa_float_round_mode_32 0
		.amdhsa_float_round_mode_16_64 0
		.amdhsa_float_denorm_mode_32 3
		.amdhsa_float_denorm_mode_16_64 3
		.amdhsa_dx10_clamp 1
		.amdhsa_ieee_mode 1
		.amdhsa_fp16_overflow 0
		.amdhsa_workgroup_processor_mode 1
		.amdhsa_memory_ordered 1
		.amdhsa_forward_progress 1
		.amdhsa_shared_vgpr_count 0
		.amdhsa_exception_fp_ieee_invalid_op 0
		.amdhsa_exception_fp_denorm_src 0
		.amdhsa_exception_fp_ieee_div_zero 0
		.amdhsa_exception_fp_ieee_overflow 0
		.amdhsa_exception_fp_ieee_underflow 0
		.amdhsa_exception_fp_ieee_inexact 0
		.amdhsa_exception_int_div_zero 0
	.end_amdhsa_kernel
	.section	.text._ZN7rocprim17ROCPRIM_400000_NS6detail17trampoline_kernelINS0_14default_configENS1_22reduce_config_selectorIN6thrust23THRUST_200600_302600_NS5tupleIblNS6_9null_typeES8_S8_S8_S8_S8_S8_S8_EEEEZNS1_11reduce_implILb1ES3_PS9_SC_S9_NS6_11hip_rocprim9__find_if7functorIS9_EEEE10hipError_tPvRmT1_T2_T3_mT4_P12ihipStream_tbEUlT_E1_NS1_11comp_targetILNS1_3genE5ELNS1_11target_archE942ELNS1_3gpuE9ELNS1_3repE0EEENS1_30default_config_static_selectorELNS0_4arch9wavefront6targetE0EEEvSK_,"axG",@progbits,_ZN7rocprim17ROCPRIM_400000_NS6detail17trampoline_kernelINS0_14default_configENS1_22reduce_config_selectorIN6thrust23THRUST_200600_302600_NS5tupleIblNS6_9null_typeES8_S8_S8_S8_S8_S8_S8_EEEEZNS1_11reduce_implILb1ES3_PS9_SC_S9_NS6_11hip_rocprim9__find_if7functorIS9_EEEE10hipError_tPvRmT1_T2_T3_mT4_P12ihipStream_tbEUlT_E1_NS1_11comp_targetILNS1_3genE5ELNS1_11target_archE942ELNS1_3gpuE9ELNS1_3repE0EEENS1_30default_config_static_selectorELNS0_4arch9wavefront6targetE0EEEvSK_,comdat
.Lfunc_end460:
	.size	_ZN7rocprim17ROCPRIM_400000_NS6detail17trampoline_kernelINS0_14default_configENS1_22reduce_config_selectorIN6thrust23THRUST_200600_302600_NS5tupleIblNS6_9null_typeES8_S8_S8_S8_S8_S8_S8_EEEEZNS1_11reduce_implILb1ES3_PS9_SC_S9_NS6_11hip_rocprim9__find_if7functorIS9_EEEE10hipError_tPvRmT1_T2_T3_mT4_P12ihipStream_tbEUlT_E1_NS1_11comp_targetILNS1_3genE5ELNS1_11target_archE942ELNS1_3gpuE9ELNS1_3repE0EEENS1_30default_config_static_selectorELNS0_4arch9wavefront6targetE0EEEvSK_, .Lfunc_end460-_ZN7rocprim17ROCPRIM_400000_NS6detail17trampoline_kernelINS0_14default_configENS1_22reduce_config_selectorIN6thrust23THRUST_200600_302600_NS5tupleIblNS6_9null_typeES8_S8_S8_S8_S8_S8_S8_EEEEZNS1_11reduce_implILb1ES3_PS9_SC_S9_NS6_11hip_rocprim9__find_if7functorIS9_EEEE10hipError_tPvRmT1_T2_T3_mT4_P12ihipStream_tbEUlT_E1_NS1_11comp_targetILNS1_3genE5ELNS1_11target_archE942ELNS1_3gpuE9ELNS1_3repE0EEENS1_30default_config_static_selectorELNS0_4arch9wavefront6targetE0EEEvSK_
                                        ; -- End function
	.set _ZN7rocprim17ROCPRIM_400000_NS6detail17trampoline_kernelINS0_14default_configENS1_22reduce_config_selectorIN6thrust23THRUST_200600_302600_NS5tupleIblNS6_9null_typeES8_S8_S8_S8_S8_S8_S8_EEEEZNS1_11reduce_implILb1ES3_PS9_SC_S9_NS6_11hip_rocprim9__find_if7functorIS9_EEEE10hipError_tPvRmT1_T2_T3_mT4_P12ihipStream_tbEUlT_E1_NS1_11comp_targetILNS1_3genE5ELNS1_11target_archE942ELNS1_3gpuE9ELNS1_3repE0EEENS1_30default_config_static_selectorELNS0_4arch9wavefront6targetE0EEEvSK_.num_vgpr, 0
	.set _ZN7rocprim17ROCPRIM_400000_NS6detail17trampoline_kernelINS0_14default_configENS1_22reduce_config_selectorIN6thrust23THRUST_200600_302600_NS5tupleIblNS6_9null_typeES8_S8_S8_S8_S8_S8_S8_EEEEZNS1_11reduce_implILb1ES3_PS9_SC_S9_NS6_11hip_rocprim9__find_if7functorIS9_EEEE10hipError_tPvRmT1_T2_T3_mT4_P12ihipStream_tbEUlT_E1_NS1_11comp_targetILNS1_3genE5ELNS1_11target_archE942ELNS1_3gpuE9ELNS1_3repE0EEENS1_30default_config_static_selectorELNS0_4arch9wavefront6targetE0EEEvSK_.num_agpr, 0
	.set _ZN7rocprim17ROCPRIM_400000_NS6detail17trampoline_kernelINS0_14default_configENS1_22reduce_config_selectorIN6thrust23THRUST_200600_302600_NS5tupleIblNS6_9null_typeES8_S8_S8_S8_S8_S8_S8_EEEEZNS1_11reduce_implILb1ES3_PS9_SC_S9_NS6_11hip_rocprim9__find_if7functorIS9_EEEE10hipError_tPvRmT1_T2_T3_mT4_P12ihipStream_tbEUlT_E1_NS1_11comp_targetILNS1_3genE5ELNS1_11target_archE942ELNS1_3gpuE9ELNS1_3repE0EEENS1_30default_config_static_selectorELNS0_4arch9wavefront6targetE0EEEvSK_.numbered_sgpr, 0
	.set _ZN7rocprim17ROCPRIM_400000_NS6detail17trampoline_kernelINS0_14default_configENS1_22reduce_config_selectorIN6thrust23THRUST_200600_302600_NS5tupleIblNS6_9null_typeES8_S8_S8_S8_S8_S8_S8_EEEEZNS1_11reduce_implILb1ES3_PS9_SC_S9_NS6_11hip_rocprim9__find_if7functorIS9_EEEE10hipError_tPvRmT1_T2_T3_mT4_P12ihipStream_tbEUlT_E1_NS1_11comp_targetILNS1_3genE5ELNS1_11target_archE942ELNS1_3gpuE9ELNS1_3repE0EEENS1_30default_config_static_selectorELNS0_4arch9wavefront6targetE0EEEvSK_.num_named_barrier, 0
	.set _ZN7rocprim17ROCPRIM_400000_NS6detail17trampoline_kernelINS0_14default_configENS1_22reduce_config_selectorIN6thrust23THRUST_200600_302600_NS5tupleIblNS6_9null_typeES8_S8_S8_S8_S8_S8_S8_EEEEZNS1_11reduce_implILb1ES3_PS9_SC_S9_NS6_11hip_rocprim9__find_if7functorIS9_EEEE10hipError_tPvRmT1_T2_T3_mT4_P12ihipStream_tbEUlT_E1_NS1_11comp_targetILNS1_3genE5ELNS1_11target_archE942ELNS1_3gpuE9ELNS1_3repE0EEENS1_30default_config_static_selectorELNS0_4arch9wavefront6targetE0EEEvSK_.private_seg_size, 0
	.set _ZN7rocprim17ROCPRIM_400000_NS6detail17trampoline_kernelINS0_14default_configENS1_22reduce_config_selectorIN6thrust23THRUST_200600_302600_NS5tupleIblNS6_9null_typeES8_S8_S8_S8_S8_S8_S8_EEEEZNS1_11reduce_implILb1ES3_PS9_SC_S9_NS6_11hip_rocprim9__find_if7functorIS9_EEEE10hipError_tPvRmT1_T2_T3_mT4_P12ihipStream_tbEUlT_E1_NS1_11comp_targetILNS1_3genE5ELNS1_11target_archE942ELNS1_3gpuE9ELNS1_3repE0EEENS1_30default_config_static_selectorELNS0_4arch9wavefront6targetE0EEEvSK_.uses_vcc, 0
	.set _ZN7rocprim17ROCPRIM_400000_NS6detail17trampoline_kernelINS0_14default_configENS1_22reduce_config_selectorIN6thrust23THRUST_200600_302600_NS5tupleIblNS6_9null_typeES8_S8_S8_S8_S8_S8_S8_EEEEZNS1_11reduce_implILb1ES3_PS9_SC_S9_NS6_11hip_rocprim9__find_if7functorIS9_EEEE10hipError_tPvRmT1_T2_T3_mT4_P12ihipStream_tbEUlT_E1_NS1_11comp_targetILNS1_3genE5ELNS1_11target_archE942ELNS1_3gpuE9ELNS1_3repE0EEENS1_30default_config_static_selectorELNS0_4arch9wavefront6targetE0EEEvSK_.uses_flat_scratch, 0
	.set _ZN7rocprim17ROCPRIM_400000_NS6detail17trampoline_kernelINS0_14default_configENS1_22reduce_config_selectorIN6thrust23THRUST_200600_302600_NS5tupleIblNS6_9null_typeES8_S8_S8_S8_S8_S8_S8_EEEEZNS1_11reduce_implILb1ES3_PS9_SC_S9_NS6_11hip_rocprim9__find_if7functorIS9_EEEE10hipError_tPvRmT1_T2_T3_mT4_P12ihipStream_tbEUlT_E1_NS1_11comp_targetILNS1_3genE5ELNS1_11target_archE942ELNS1_3gpuE9ELNS1_3repE0EEENS1_30default_config_static_selectorELNS0_4arch9wavefront6targetE0EEEvSK_.has_dyn_sized_stack, 0
	.set _ZN7rocprim17ROCPRIM_400000_NS6detail17trampoline_kernelINS0_14default_configENS1_22reduce_config_selectorIN6thrust23THRUST_200600_302600_NS5tupleIblNS6_9null_typeES8_S8_S8_S8_S8_S8_S8_EEEEZNS1_11reduce_implILb1ES3_PS9_SC_S9_NS6_11hip_rocprim9__find_if7functorIS9_EEEE10hipError_tPvRmT1_T2_T3_mT4_P12ihipStream_tbEUlT_E1_NS1_11comp_targetILNS1_3genE5ELNS1_11target_archE942ELNS1_3gpuE9ELNS1_3repE0EEENS1_30default_config_static_selectorELNS0_4arch9wavefront6targetE0EEEvSK_.has_recursion, 0
	.set _ZN7rocprim17ROCPRIM_400000_NS6detail17trampoline_kernelINS0_14default_configENS1_22reduce_config_selectorIN6thrust23THRUST_200600_302600_NS5tupleIblNS6_9null_typeES8_S8_S8_S8_S8_S8_S8_EEEEZNS1_11reduce_implILb1ES3_PS9_SC_S9_NS6_11hip_rocprim9__find_if7functorIS9_EEEE10hipError_tPvRmT1_T2_T3_mT4_P12ihipStream_tbEUlT_E1_NS1_11comp_targetILNS1_3genE5ELNS1_11target_archE942ELNS1_3gpuE9ELNS1_3repE0EEENS1_30default_config_static_selectorELNS0_4arch9wavefront6targetE0EEEvSK_.has_indirect_call, 0
	.section	.AMDGPU.csdata,"",@progbits
; Kernel info:
; codeLenInByte = 0
; TotalNumSgprs: 0
; NumVgprs: 0
; ScratchSize: 0
; MemoryBound: 0
; FloatMode: 240
; IeeeMode: 1
; LDSByteSize: 0 bytes/workgroup (compile time only)
; SGPRBlocks: 0
; VGPRBlocks: 0
; NumSGPRsForWavesPerEU: 1
; NumVGPRsForWavesPerEU: 1
; Occupancy: 16
; WaveLimiterHint : 0
; COMPUTE_PGM_RSRC2:SCRATCH_EN: 0
; COMPUTE_PGM_RSRC2:USER_SGPR: 6
; COMPUTE_PGM_RSRC2:TRAP_HANDLER: 0
; COMPUTE_PGM_RSRC2:TGID_X_EN: 1
; COMPUTE_PGM_RSRC2:TGID_Y_EN: 0
; COMPUTE_PGM_RSRC2:TGID_Z_EN: 0
; COMPUTE_PGM_RSRC2:TIDIG_COMP_CNT: 0
	.section	.text._ZN7rocprim17ROCPRIM_400000_NS6detail17trampoline_kernelINS0_14default_configENS1_22reduce_config_selectorIN6thrust23THRUST_200600_302600_NS5tupleIblNS6_9null_typeES8_S8_S8_S8_S8_S8_S8_EEEEZNS1_11reduce_implILb1ES3_PS9_SC_S9_NS6_11hip_rocprim9__find_if7functorIS9_EEEE10hipError_tPvRmT1_T2_T3_mT4_P12ihipStream_tbEUlT_E1_NS1_11comp_targetILNS1_3genE4ELNS1_11target_archE910ELNS1_3gpuE8ELNS1_3repE0EEENS1_30default_config_static_selectorELNS0_4arch9wavefront6targetE0EEEvSK_,"axG",@progbits,_ZN7rocprim17ROCPRIM_400000_NS6detail17trampoline_kernelINS0_14default_configENS1_22reduce_config_selectorIN6thrust23THRUST_200600_302600_NS5tupleIblNS6_9null_typeES8_S8_S8_S8_S8_S8_S8_EEEEZNS1_11reduce_implILb1ES3_PS9_SC_S9_NS6_11hip_rocprim9__find_if7functorIS9_EEEE10hipError_tPvRmT1_T2_T3_mT4_P12ihipStream_tbEUlT_E1_NS1_11comp_targetILNS1_3genE4ELNS1_11target_archE910ELNS1_3gpuE8ELNS1_3repE0EEENS1_30default_config_static_selectorELNS0_4arch9wavefront6targetE0EEEvSK_,comdat
	.protected	_ZN7rocprim17ROCPRIM_400000_NS6detail17trampoline_kernelINS0_14default_configENS1_22reduce_config_selectorIN6thrust23THRUST_200600_302600_NS5tupleIblNS6_9null_typeES8_S8_S8_S8_S8_S8_S8_EEEEZNS1_11reduce_implILb1ES3_PS9_SC_S9_NS6_11hip_rocprim9__find_if7functorIS9_EEEE10hipError_tPvRmT1_T2_T3_mT4_P12ihipStream_tbEUlT_E1_NS1_11comp_targetILNS1_3genE4ELNS1_11target_archE910ELNS1_3gpuE8ELNS1_3repE0EEENS1_30default_config_static_selectorELNS0_4arch9wavefront6targetE0EEEvSK_ ; -- Begin function _ZN7rocprim17ROCPRIM_400000_NS6detail17trampoline_kernelINS0_14default_configENS1_22reduce_config_selectorIN6thrust23THRUST_200600_302600_NS5tupleIblNS6_9null_typeES8_S8_S8_S8_S8_S8_S8_EEEEZNS1_11reduce_implILb1ES3_PS9_SC_S9_NS6_11hip_rocprim9__find_if7functorIS9_EEEE10hipError_tPvRmT1_T2_T3_mT4_P12ihipStream_tbEUlT_E1_NS1_11comp_targetILNS1_3genE4ELNS1_11target_archE910ELNS1_3gpuE8ELNS1_3repE0EEENS1_30default_config_static_selectorELNS0_4arch9wavefront6targetE0EEEvSK_
	.globl	_ZN7rocprim17ROCPRIM_400000_NS6detail17trampoline_kernelINS0_14default_configENS1_22reduce_config_selectorIN6thrust23THRUST_200600_302600_NS5tupleIblNS6_9null_typeES8_S8_S8_S8_S8_S8_S8_EEEEZNS1_11reduce_implILb1ES3_PS9_SC_S9_NS6_11hip_rocprim9__find_if7functorIS9_EEEE10hipError_tPvRmT1_T2_T3_mT4_P12ihipStream_tbEUlT_E1_NS1_11comp_targetILNS1_3genE4ELNS1_11target_archE910ELNS1_3gpuE8ELNS1_3repE0EEENS1_30default_config_static_selectorELNS0_4arch9wavefront6targetE0EEEvSK_
	.p2align	8
	.type	_ZN7rocprim17ROCPRIM_400000_NS6detail17trampoline_kernelINS0_14default_configENS1_22reduce_config_selectorIN6thrust23THRUST_200600_302600_NS5tupleIblNS6_9null_typeES8_S8_S8_S8_S8_S8_S8_EEEEZNS1_11reduce_implILb1ES3_PS9_SC_S9_NS6_11hip_rocprim9__find_if7functorIS9_EEEE10hipError_tPvRmT1_T2_T3_mT4_P12ihipStream_tbEUlT_E1_NS1_11comp_targetILNS1_3genE4ELNS1_11target_archE910ELNS1_3gpuE8ELNS1_3repE0EEENS1_30default_config_static_selectorELNS0_4arch9wavefront6targetE0EEEvSK_,@function
_ZN7rocprim17ROCPRIM_400000_NS6detail17trampoline_kernelINS0_14default_configENS1_22reduce_config_selectorIN6thrust23THRUST_200600_302600_NS5tupleIblNS6_9null_typeES8_S8_S8_S8_S8_S8_S8_EEEEZNS1_11reduce_implILb1ES3_PS9_SC_S9_NS6_11hip_rocprim9__find_if7functorIS9_EEEE10hipError_tPvRmT1_T2_T3_mT4_P12ihipStream_tbEUlT_E1_NS1_11comp_targetILNS1_3genE4ELNS1_11target_archE910ELNS1_3gpuE8ELNS1_3repE0EEENS1_30default_config_static_selectorELNS0_4arch9wavefront6targetE0EEEvSK_: ; @_ZN7rocprim17ROCPRIM_400000_NS6detail17trampoline_kernelINS0_14default_configENS1_22reduce_config_selectorIN6thrust23THRUST_200600_302600_NS5tupleIblNS6_9null_typeES8_S8_S8_S8_S8_S8_S8_EEEEZNS1_11reduce_implILb1ES3_PS9_SC_S9_NS6_11hip_rocprim9__find_if7functorIS9_EEEE10hipError_tPvRmT1_T2_T3_mT4_P12ihipStream_tbEUlT_E1_NS1_11comp_targetILNS1_3genE4ELNS1_11target_archE910ELNS1_3gpuE8ELNS1_3repE0EEENS1_30default_config_static_selectorELNS0_4arch9wavefront6targetE0EEEvSK_
; %bb.0:
	.section	.rodata,"a",@progbits
	.p2align	6, 0x0
	.amdhsa_kernel _ZN7rocprim17ROCPRIM_400000_NS6detail17trampoline_kernelINS0_14default_configENS1_22reduce_config_selectorIN6thrust23THRUST_200600_302600_NS5tupleIblNS6_9null_typeES8_S8_S8_S8_S8_S8_S8_EEEEZNS1_11reduce_implILb1ES3_PS9_SC_S9_NS6_11hip_rocprim9__find_if7functorIS9_EEEE10hipError_tPvRmT1_T2_T3_mT4_P12ihipStream_tbEUlT_E1_NS1_11comp_targetILNS1_3genE4ELNS1_11target_archE910ELNS1_3gpuE8ELNS1_3repE0EEENS1_30default_config_static_selectorELNS0_4arch9wavefront6targetE0EEEvSK_
		.amdhsa_group_segment_fixed_size 0
		.amdhsa_private_segment_fixed_size 0
		.amdhsa_kernarg_size 56
		.amdhsa_user_sgpr_count 6
		.amdhsa_user_sgpr_private_segment_buffer 1
		.amdhsa_user_sgpr_dispatch_ptr 0
		.amdhsa_user_sgpr_queue_ptr 0
		.amdhsa_user_sgpr_kernarg_segment_ptr 1
		.amdhsa_user_sgpr_dispatch_id 0
		.amdhsa_user_sgpr_flat_scratch_init 0
		.amdhsa_user_sgpr_private_segment_size 0
		.amdhsa_wavefront_size32 1
		.amdhsa_uses_dynamic_stack 0
		.amdhsa_system_sgpr_private_segment_wavefront_offset 0
		.amdhsa_system_sgpr_workgroup_id_x 1
		.amdhsa_system_sgpr_workgroup_id_y 0
		.amdhsa_system_sgpr_workgroup_id_z 0
		.amdhsa_system_sgpr_workgroup_info 0
		.amdhsa_system_vgpr_workitem_id 0
		.amdhsa_next_free_vgpr 1
		.amdhsa_next_free_sgpr 1
		.amdhsa_reserve_vcc 0
		.amdhsa_reserve_flat_scratch 0
		.amdhsa_float_round_mode_32 0
		.amdhsa_float_round_mode_16_64 0
		.amdhsa_float_denorm_mode_32 3
		.amdhsa_float_denorm_mode_16_64 3
		.amdhsa_dx10_clamp 1
		.amdhsa_ieee_mode 1
		.amdhsa_fp16_overflow 0
		.amdhsa_workgroup_processor_mode 1
		.amdhsa_memory_ordered 1
		.amdhsa_forward_progress 1
		.amdhsa_shared_vgpr_count 0
		.amdhsa_exception_fp_ieee_invalid_op 0
		.amdhsa_exception_fp_denorm_src 0
		.amdhsa_exception_fp_ieee_div_zero 0
		.amdhsa_exception_fp_ieee_overflow 0
		.amdhsa_exception_fp_ieee_underflow 0
		.amdhsa_exception_fp_ieee_inexact 0
		.amdhsa_exception_int_div_zero 0
	.end_amdhsa_kernel
	.section	.text._ZN7rocprim17ROCPRIM_400000_NS6detail17trampoline_kernelINS0_14default_configENS1_22reduce_config_selectorIN6thrust23THRUST_200600_302600_NS5tupleIblNS6_9null_typeES8_S8_S8_S8_S8_S8_S8_EEEEZNS1_11reduce_implILb1ES3_PS9_SC_S9_NS6_11hip_rocprim9__find_if7functorIS9_EEEE10hipError_tPvRmT1_T2_T3_mT4_P12ihipStream_tbEUlT_E1_NS1_11comp_targetILNS1_3genE4ELNS1_11target_archE910ELNS1_3gpuE8ELNS1_3repE0EEENS1_30default_config_static_selectorELNS0_4arch9wavefront6targetE0EEEvSK_,"axG",@progbits,_ZN7rocprim17ROCPRIM_400000_NS6detail17trampoline_kernelINS0_14default_configENS1_22reduce_config_selectorIN6thrust23THRUST_200600_302600_NS5tupleIblNS6_9null_typeES8_S8_S8_S8_S8_S8_S8_EEEEZNS1_11reduce_implILb1ES3_PS9_SC_S9_NS6_11hip_rocprim9__find_if7functorIS9_EEEE10hipError_tPvRmT1_T2_T3_mT4_P12ihipStream_tbEUlT_E1_NS1_11comp_targetILNS1_3genE4ELNS1_11target_archE910ELNS1_3gpuE8ELNS1_3repE0EEENS1_30default_config_static_selectorELNS0_4arch9wavefront6targetE0EEEvSK_,comdat
.Lfunc_end461:
	.size	_ZN7rocprim17ROCPRIM_400000_NS6detail17trampoline_kernelINS0_14default_configENS1_22reduce_config_selectorIN6thrust23THRUST_200600_302600_NS5tupleIblNS6_9null_typeES8_S8_S8_S8_S8_S8_S8_EEEEZNS1_11reduce_implILb1ES3_PS9_SC_S9_NS6_11hip_rocprim9__find_if7functorIS9_EEEE10hipError_tPvRmT1_T2_T3_mT4_P12ihipStream_tbEUlT_E1_NS1_11comp_targetILNS1_3genE4ELNS1_11target_archE910ELNS1_3gpuE8ELNS1_3repE0EEENS1_30default_config_static_selectorELNS0_4arch9wavefront6targetE0EEEvSK_, .Lfunc_end461-_ZN7rocprim17ROCPRIM_400000_NS6detail17trampoline_kernelINS0_14default_configENS1_22reduce_config_selectorIN6thrust23THRUST_200600_302600_NS5tupleIblNS6_9null_typeES8_S8_S8_S8_S8_S8_S8_EEEEZNS1_11reduce_implILb1ES3_PS9_SC_S9_NS6_11hip_rocprim9__find_if7functorIS9_EEEE10hipError_tPvRmT1_T2_T3_mT4_P12ihipStream_tbEUlT_E1_NS1_11comp_targetILNS1_3genE4ELNS1_11target_archE910ELNS1_3gpuE8ELNS1_3repE0EEENS1_30default_config_static_selectorELNS0_4arch9wavefront6targetE0EEEvSK_
                                        ; -- End function
	.set _ZN7rocprim17ROCPRIM_400000_NS6detail17trampoline_kernelINS0_14default_configENS1_22reduce_config_selectorIN6thrust23THRUST_200600_302600_NS5tupleIblNS6_9null_typeES8_S8_S8_S8_S8_S8_S8_EEEEZNS1_11reduce_implILb1ES3_PS9_SC_S9_NS6_11hip_rocprim9__find_if7functorIS9_EEEE10hipError_tPvRmT1_T2_T3_mT4_P12ihipStream_tbEUlT_E1_NS1_11comp_targetILNS1_3genE4ELNS1_11target_archE910ELNS1_3gpuE8ELNS1_3repE0EEENS1_30default_config_static_selectorELNS0_4arch9wavefront6targetE0EEEvSK_.num_vgpr, 0
	.set _ZN7rocprim17ROCPRIM_400000_NS6detail17trampoline_kernelINS0_14default_configENS1_22reduce_config_selectorIN6thrust23THRUST_200600_302600_NS5tupleIblNS6_9null_typeES8_S8_S8_S8_S8_S8_S8_EEEEZNS1_11reduce_implILb1ES3_PS9_SC_S9_NS6_11hip_rocprim9__find_if7functorIS9_EEEE10hipError_tPvRmT1_T2_T3_mT4_P12ihipStream_tbEUlT_E1_NS1_11comp_targetILNS1_3genE4ELNS1_11target_archE910ELNS1_3gpuE8ELNS1_3repE0EEENS1_30default_config_static_selectorELNS0_4arch9wavefront6targetE0EEEvSK_.num_agpr, 0
	.set _ZN7rocprim17ROCPRIM_400000_NS6detail17trampoline_kernelINS0_14default_configENS1_22reduce_config_selectorIN6thrust23THRUST_200600_302600_NS5tupleIblNS6_9null_typeES8_S8_S8_S8_S8_S8_S8_EEEEZNS1_11reduce_implILb1ES3_PS9_SC_S9_NS6_11hip_rocprim9__find_if7functorIS9_EEEE10hipError_tPvRmT1_T2_T3_mT4_P12ihipStream_tbEUlT_E1_NS1_11comp_targetILNS1_3genE4ELNS1_11target_archE910ELNS1_3gpuE8ELNS1_3repE0EEENS1_30default_config_static_selectorELNS0_4arch9wavefront6targetE0EEEvSK_.numbered_sgpr, 0
	.set _ZN7rocprim17ROCPRIM_400000_NS6detail17trampoline_kernelINS0_14default_configENS1_22reduce_config_selectorIN6thrust23THRUST_200600_302600_NS5tupleIblNS6_9null_typeES8_S8_S8_S8_S8_S8_S8_EEEEZNS1_11reduce_implILb1ES3_PS9_SC_S9_NS6_11hip_rocprim9__find_if7functorIS9_EEEE10hipError_tPvRmT1_T2_T3_mT4_P12ihipStream_tbEUlT_E1_NS1_11comp_targetILNS1_3genE4ELNS1_11target_archE910ELNS1_3gpuE8ELNS1_3repE0EEENS1_30default_config_static_selectorELNS0_4arch9wavefront6targetE0EEEvSK_.num_named_barrier, 0
	.set _ZN7rocprim17ROCPRIM_400000_NS6detail17trampoline_kernelINS0_14default_configENS1_22reduce_config_selectorIN6thrust23THRUST_200600_302600_NS5tupleIblNS6_9null_typeES8_S8_S8_S8_S8_S8_S8_EEEEZNS1_11reduce_implILb1ES3_PS9_SC_S9_NS6_11hip_rocprim9__find_if7functorIS9_EEEE10hipError_tPvRmT1_T2_T3_mT4_P12ihipStream_tbEUlT_E1_NS1_11comp_targetILNS1_3genE4ELNS1_11target_archE910ELNS1_3gpuE8ELNS1_3repE0EEENS1_30default_config_static_selectorELNS0_4arch9wavefront6targetE0EEEvSK_.private_seg_size, 0
	.set _ZN7rocprim17ROCPRIM_400000_NS6detail17trampoline_kernelINS0_14default_configENS1_22reduce_config_selectorIN6thrust23THRUST_200600_302600_NS5tupleIblNS6_9null_typeES8_S8_S8_S8_S8_S8_S8_EEEEZNS1_11reduce_implILb1ES3_PS9_SC_S9_NS6_11hip_rocprim9__find_if7functorIS9_EEEE10hipError_tPvRmT1_T2_T3_mT4_P12ihipStream_tbEUlT_E1_NS1_11comp_targetILNS1_3genE4ELNS1_11target_archE910ELNS1_3gpuE8ELNS1_3repE0EEENS1_30default_config_static_selectorELNS0_4arch9wavefront6targetE0EEEvSK_.uses_vcc, 0
	.set _ZN7rocprim17ROCPRIM_400000_NS6detail17trampoline_kernelINS0_14default_configENS1_22reduce_config_selectorIN6thrust23THRUST_200600_302600_NS5tupleIblNS6_9null_typeES8_S8_S8_S8_S8_S8_S8_EEEEZNS1_11reduce_implILb1ES3_PS9_SC_S9_NS6_11hip_rocprim9__find_if7functorIS9_EEEE10hipError_tPvRmT1_T2_T3_mT4_P12ihipStream_tbEUlT_E1_NS1_11comp_targetILNS1_3genE4ELNS1_11target_archE910ELNS1_3gpuE8ELNS1_3repE0EEENS1_30default_config_static_selectorELNS0_4arch9wavefront6targetE0EEEvSK_.uses_flat_scratch, 0
	.set _ZN7rocprim17ROCPRIM_400000_NS6detail17trampoline_kernelINS0_14default_configENS1_22reduce_config_selectorIN6thrust23THRUST_200600_302600_NS5tupleIblNS6_9null_typeES8_S8_S8_S8_S8_S8_S8_EEEEZNS1_11reduce_implILb1ES3_PS9_SC_S9_NS6_11hip_rocprim9__find_if7functorIS9_EEEE10hipError_tPvRmT1_T2_T3_mT4_P12ihipStream_tbEUlT_E1_NS1_11comp_targetILNS1_3genE4ELNS1_11target_archE910ELNS1_3gpuE8ELNS1_3repE0EEENS1_30default_config_static_selectorELNS0_4arch9wavefront6targetE0EEEvSK_.has_dyn_sized_stack, 0
	.set _ZN7rocprim17ROCPRIM_400000_NS6detail17trampoline_kernelINS0_14default_configENS1_22reduce_config_selectorIN6thrust23THRUST_200600_302600_NS5tupleIblNS6_9null_typeES8_S8_S8_S8_S8_S8_S8_EEEEZNS1_11reduce_implILb1ES3_PS9_SC_S9_NS6_11hip_rocprim9__find_if7functorIS9_EEEE10hipError_tPvRmT1_T2_T3_mT4_P12ihipStream_tbEUlT_E1_NS1_11comp_targetILNS1_3genE4ELNS1_11target_archE910ELNS1_3gpuE8ELNS1_3repE0EEENS1_30default_config_static_selectorELNS0_4arch9wavefront6targetE0EEEvSK_.has_recursion, 0
	.set _ZN7rocprim17ROCPRIM_400000_NS6detail17trampoline_kernelINS0_14default_configENS1_22reduce_config_selectorIN6thrust23THRUST_200600_302600_NS5tupleIblNS6_9null_typeES8_S8_S8_S8_S8_S8_S8_EEEEZNS1_11reduce_implILb1ES3_PS9_SC_S9_NS6_11hip_rocprim9__find_if7functorIS9_EEEE10hipError_tPvRmT1_T2_T3_mT4_P12ihipStream_tbEUlT_E1_NS1_11comp_targetILNS1_3genE4ELNS1_11target_archE910ELNS1_3gpuE8ELNS1_3repE0EEENS1_30default_config_static_selectorELNS0_4arch9wavefront6targetE0EEEvSK_.has_indirect_call, 0
	.section	.AMDGPU.csdata,"",@progbits
; Kernel info:
; codeLenInByte = 0
; TotalNumSgprs: 0
; NumVgprs: 0
; ScratchSize: 0
; MemoryBound: 0
; FloatMode: 240
; IeeeMode: 1
; LDSByteSize: 0 bytes/workgroup (compile time only)
; SGPRBlocks: 0
; VGPRBlocks: 0
; NumSGPRsForWavesPerEU: 1
; NumVGPRsForWavesPerEU: 1
; Occupancy: 16
; WaveLimiterHint : 0
; COMPUTE_PGM_RSRC2:SCRATCH_EN: 0
; COMPUTE_PGM_RSRC2:USER_SGPR: 6
; COMPUTE_PGM_RSRC2:TRAP_HANDLER: 0
; COMPUTE_PGM_RSRC2:TGID_X_EN: 1
; COMPUTE_PGM_RSRC2:TGID_Y_EN: 0
; COMPUTE_PGM_RSRC2:TGID_Z_EN: 0
; COMPUTE_PGM_RSRC2:TIDIG_COMP_CNT: 0
	.section	.text._ZN7rocprim17ROCPRIM_400000_NS6detail17trampoline_kernelINS0_14default_configENS1_22reduce_config_selectorIN6thrust23THRUST_200600_302600_NS5tupleIblNS6_9null_typeES8_S8_S8_S8_S8_S8_S8_EEEEZNS1_11reduce_implILb1ES3_PS9_SC_S9_NS6_11hip_rocprim9__find_if7functorIS9_EEEE10hipError_tPvRmT1_T2_T3_mT4_P12ihipStream_tbEUlT_E1_NS1_11comp_targetILNS1_3genE3ELNS1_11target_archE908ELNS1_3gpuE7ELNS1_3repE0EEENS1_30default_config_static_selectorELNS0_4arch9wavefront6targetE0EEEvSK_,"axG",@progbits,_ZN7rocprim17ROCPRIM_400000_NS6detail17trampoline_kernelINS0_14default_configENS1_22reduce_config_selectorIN6thrust23THRUST_200600_302600_NS5tupleIblNS6_9null_typeES8_S8_S8_S8_S8_S8_S8_EEEEZNS1_11reduce_implILb1ES3_PS9_SC_S9_NS6_11hip_rocprim9__find_if7functorIS9_EEEE10hipError_tPvRmT1_T2_T3_mT4_P12ihipStream_tbEUlT_E1_NS1_11comp_targetILNS1_3genE3ELNS1_11target_archE908ELNS1_3gpuE7ELNS1_3repE0EEENS1_30default_config_static_selectorELNS0_4arch9wavefront6targetE0EEEvSK_,comdat
	.protected	_ZN7rocprim17ROCPRIM_400000_NS6detail17trampoline_kernelINS0_14default_configENS1_22reduce_config_selectorIN6thrust23THRUST_200600_302600_NS5tupleIblNS6_9null_typeES8_S8_S8_S8_S8_S8_S8_EEEEZNS1_11reduce_implILb1ES3_PS9_SC_S9_NS6_11hip_rocprim9__find_if7functorIS9_EEEE10hipError_tPvRmT1_T2_T3_mT4_P12ihipStream_tbEUlT_E1_NS1_11comp_targetILNS1_3genE3ELNS1_11target_archE908ELNS1_3gpuE7ELNS1_3repE0EEENS1_30default_config_static_selectorELNS0_4arch9wavefront6targetE0EEEvSK_ ; -- Begin function _ZN7rocprim17ROCPRIM_400000_NS6detail17trampoline_kernelINS0_14default_configENS1_22reduce_config_selectorIN6thrust23THRUST_200600_302600_NS5tupleIblNS6_9null_typeES8_S8_S8_S8_S8_S8_S8_EEEEZNS1_11reduce_implILb1ES3_PS9_SC_S9_NS6_11hip_rocprim9__find_if7functorIS9_EEEE10hipError_tPvRmT1_T2_T3_mT4_P12ihipStream_tbEUlT_E1_NS1_11comp_targetILNS1_3genE3ELNS1_11target_archE908ELNS1_3gpuE7ELNS1_3repE0EEENS1_30default_config_static_selectorELNS0_4arch9wavefront6targetE0EEEvSK_
	.globl	_ZN7rocprim17ROCPRIM_400000_NS6detail17trampoline_kernelINS0_14default_configENS1_22reduce_config_selectorIN6thrust23THRUST_200600_302600_NS5tupleIblNS6_9null_typeES8_S8_S8_S8_S8_S8_S8_EEEEZNS1_11reduce_implILb1ES3_PS9_SC_S9_NS6_11hip_rocprim9__find_if7functorIS9_EEEE10hipError_tPvRmT1_T2_T3_mT4_P12ihipStream_tbEUlT_E1_NS1_11comp_targetILNS1_3genE3ELNS1_11target_archE908ELNS1_3gpuE7ELNS1_3repE0EEENS1_30default_config_static_selectorELNS0_4arch9wavefront6targetE0EEEvSK_
	.p2align	8
	.type	_ZN7rocprim17ROCPRIM_400000_NS6detail17trampoline_kernelINS0_14default_configENS1_22reduce_config_selectorIN6thrust23THRUST_200600_302600_NS5tupleIblNS6_9null_typeES8_S8_S8_S8_S8_S8_S8_EEEEZNS1_11reduce_implILb1ES3_PS9_SC_S9_NS6_11hip_rocprim9__find_if7functorIS9_EEEE10hipError_tPvRmT1_T2_T3_mT4_P12ihipStream_tbEUlT_E1_NS1_11comp_targetILNS1_3genE3ELNS1_11target_archE908ELNS1_3gpuE7ELNS1_3repE0EEENS1_30default_config_static_selectorELNS0_4arch9wavefront6targetE0EEEvSK_,@function
_ZN7rocprim17ROCPRIM_400000_NS6detail17trampoline_kernelINS0_14default_configENS1_22reduce_config_selectorIN6thrust23THRUST_200600_302600_NS5tupleIblNS6_9null_typeES8_S8_S8_S8_S8_S8_S8_EEEEZNS1_11reduce_implILb1ES3_PS9_SC_S9_NS6_11hip_rocprim9__find_if7functorIS9_EEEE10hipError_tPvRmT1_T2_T3_mT4_P12ihipStream_tbEUlT_E1_NS1_11comp_targetILNS1_3genE3ELNS1_11target_archE908ELNS1_3gpuE7ELNS1_3repE0EEENS1_30default_config_static_selectorELNS0_4arch9wavefront6targetE0EEEvSK_: ; @_ZN7rocprim17ROCPRIM_400000_NS6detail17trampoline_kernelINS0_14default_configENS1_22reduce_config_selectorIN6thrust23THRUST_200600_302600_NS5tupleIblNS6_9null_typeES8_S8_S8_S8_S8_S8_S8_EEEEZNS1_11reduce_implILb1ES3_PS9_SC_S9_NS6_11hip_rocprim9__find_if7functorIS9_EEEE10hipError_tPvRmT1_T2_T3_mT4_P12ihipStream_tbEUlT_E1_NS1_11comp_targetILNS1_3genE3ELNS1_11target_archE908ELNS1_3gpuE7ELNS1_3repE0EEENS1_30default_config_static_selectorELNS0_4arch9wavefront6targetE0EEEvSK_
; %bb.0:
	.section	.rodata,"a",@progbits
	.p2align	6, 0x0
	.amdhsa_kernel _ZN7rocprim17ROCPRIM_400000_NS6detail17trampoline_kernelINS0_14default_configENS1_22reduce_config_selectorIN6thrust23THRUST_200600_302600_NS5tupleIblNS6_9null_typeES8_S8_S8_S8_S8_S8_S8_EEEEZNS1_11reduce_implILb1ES3_PS9_SC_S9_NS6_11hip_rocprim9__find_if7functorIS9_EEEE10hipError_tPvRmT1_T2_T3_mT4_P12ihipStream_tbEUlT_E1_NS1_11comp_targetILNS1_3genE3ELNS1_11target_archE908ELNS1_3gpuE7ELNS1_3repE0EEENS1_30default_config_static_selectorELNS0_4arch9wavefront6targetE0EEEvSK_
		.amdhsa_group_segment_fixed_size 0
		.amdhsa_private_segment_fixed_size 0
		.amdhsa_kernarg_size 56
		.amdhsa_user_sgpr_count 6
		.amdhsa_user_sgpr_private_segment_buffer 1
		.amdhsa_user_sgpr_dispatch_ptr 0
		.amdhsa_user_sgpr_queue_ptr 0
		.amdhsa_user_sgpr_kernarg_segment_ptr 1
		.amdhsa_user_sgpr_dispatch_id 0
		.amdhsa_user_sgpr_flat_scratch_init 0
		.amdhsa_user_sgpr_private_segment_size 0
		.amdhsa_wavefront_size32 1
		.amdhsa_uses_dynamic_stack 0
		.amdhsa_system_sgpr_private_segment_wavefront_offset 0
		.amdhsa_system_sgpr_workgroup_id_x 1
		.amdhsa_system_sgpr_workgroup_id_y 0
		.amdhsa_system_sgpr_workgroup_id_z 0
		.amdhsa_system_sgpr_workgroup_info 0
		.amdhsa_system_vgpr_workitem_id 0
		.amdhsa_next_free_vgpr 1
		.amdhsa_next_free_sgpr 1
		.amdhsa_reserve_vcc 0
		.amdhsa_reserve_flat_scratch 0
		.amdhsa_float_round_mode_32 0
		.amdhsa_float_round_mode_16_64 0
		.amdhsa_float_denorm_mode_32 3
		.amdhsa_float_denorm_mode_16_64 3
		.amdhsa_dx10_clamp 1
		.amdhsa_ieee_mode 1
		.amdhsa_fp16_overflow 0
		.amdhsa_workgroup_processor_mode 1
		.amdhsa_memory_ordered 1
		.amdhsa_forward_progress 1
		.amdhsa_shared_vgpr_count 0
		.amdhsa_exception_fp_ieee_invalid_op 0
		.amdhsa_exception_fp_denorm_src 0
		.amdhsa_exception_fp_ieee_div_zero 0
		.amdhsa_exception_fp_ieee_overflow 0
		.amdhsa_exception_fp_ieee_underflow 0
		.amdhsa_exception_fp_ieee_inexact 0
		.amdhsa_exception_int_div_zero 0
	.end_amdhsa_kernel
	.section	.text._ZN7rocprim17ROCPRIM_400000_NS6detail17trampoline_kernelINS0_14default_configENS1_22reduce_config_selectorIN6thrust23THRUST_200600_302600_NS5tupleIblNS6_9null_typeES8_S8_S8_S8_S8_S8_S8_EEEEZNS1_11reduce_implILb1ES3_PS9_SC_S9_NS6_11hip_rocprim9__find_if7functorIS9_EEEE10hipError_tPvRmT1_T2_T3_mT4_P12ihipStream_tbEUlT_E1_NS1_11comp_targetILNS1_3genE3ELNS1_11target_archE908ELNS1_3gpuE7ELNS1_3repE0EEENS1_30default_config_static_selectorELNS0_4arch9wavefront6targetE0EEEvSK_,"axG",@progbits,_ZN7rocprim17ROCPRIM_400000_NS6detail17trampoline_kernelINS0_14default_configENS1_22reduce_config_selectorIN6thrust23THRUST_200600_302600_NS5tupleIblNS6_9null_typeES8_S8_S8_S8_S8_S8_S8_EEEEZNS1_11reduce_implILb1ES3_PS9_SC_S9_NS6_11hip_rocprim9__find_if7functorIS9_EEEE10hipError_tPvRmT1_T2_T3_mT4_P12ihipStream_tbEUlT_E1_NS1_11comp_targetILNS1_3genE3ELNS1_11target_archE908ELNS1_3gpuE7ELNS1_3repE0EEENS1_30default_config_static_selectorELNS0_4arch9wavefront6targetE0EEEvSK_,comdat
.Lfunc_end462:
	.size	_ZN7rocprim17ROCPRIM_400000_NS6detail17trampoline_kernelINS0_14default_configENS1_22reduce_config_selectorIN6thrust23THRUST_200600_302600_NS5tupleIblNS6_9null_typeES8_S8_S8_S8_S8_S8_S8_EEEEZNS1_11reduce_implILb1ES3_PS9_SC_S9_NS6_11hip_rocprim9__find_if7functorIS9_EEEE10hipError_tPvRmT1_T2_T3_mT4_P12ihipStream_tbEUlT_E1_NS1_11comp_targetILNS1_3genE3ELNS1_11target_archE908ELNS1_3gpuE7ELNS1_3repE0EEENS1_30default_config_static_selectorELNS0_4arch9wavefront6targetE0EEEvSK_, .Lfunc_end462-_ZN7rocprim17ROCPRIM_400000_NS6detail17trampoline_kernelINS0_14default_configENS1_22reduce_config_selectorIN6thrust23THRUST_200600_302600_NS5tupleIblNS6_9null_typeES8_S8_S8_S8_S8_S8_S8_EEEEZNS1_11reduce_implILb1ES3_PS9_SC_S9_NS6_11hip_rocprim9__find_if7functorIS9_EEEE10hipError_tPvRmT1_T2_T3_mT4_P12ihipStream_tbEUlT_E1_NS1_11comp_targetILNS1_3genE3ELNS1_11target_archE908ELNS1_3gpuE7ELNS1_3repE0EEENS1_30default_config_static_selectorELNS0_4arch9wavefront6targetE0EEEvSK_
                                        ; -- End function
	.set _ZN7rocprim17ROCPRIM_400000_NS6detail17trampoline_kernelINS0_14default_configENS1_22reduce_config_selectorIN6thrust23THRUST_200600_302600_NS5tupleIblNS6_9null_typeES8_S8_S8_S8_S8_S8_S8_EEEEZNS1_11reduce_implILb1ES3_PS9_SC_S9_NS6_11hip_rocprim9__find_if7functorIS9_EEEE10hipError_tPvRmT1_T2_T3_mT4_P12ihipStream_tbEUlT_E1_NS1_11comp_targetILNS1_3genE3ELNS1_11target_archE908ELNS1_3gpuE7ELNS1_3repE0EEENS1_30default_config_static_selectorELNS0_4arch9wavefront6targetE0EEEvSK_.num_vgpr, 0
	.set _ZN7rocprim17ROCPRIM_400000_NS6detail17trampoline_kernelINS0_14default_configENS1_22reduce_config_selectorIN6thrust23THRUST_200600_302600_NS5tupleIblNS6_9null_typeES8_S8_S8_S8_S8_S8_S8_EEEEZNS1_11reduce_implILb1ES3_PS9_SC_S9_NS6_11hip_rocprim9__find_if7functorIS9_EEEE10hipError_tPvRmT1_T2_T3_mT4_P12ihipStream_tbEUlT_E1_NS1_11comp_targetILNS1_3genE3ELNS1_11target_archE908ELNS1_3gpuE7ELNS1_3repE0EEENS1_30default_config_static_selectorELNS0_4arch9wavefront6targetE0EEEvSK_.num_agpr, 0
	.set _ZN7rocprim17ROCPRIM_400000_NS6detail17trampoline_kernelINS0_14default_configENS1_22reduce_config_selectorIN6thrust23THRUST_200600_302600_NS5tupleIblNS6_9null_typeES8_S8_S8_S8_S8_S8_S8_EEEEZNS1_11reduce_implILb1ES3_PS9_SC_S9_NS6_11hip_rocprim9__find_if7functorIS9_EEEE10hipError_tPvRmT1_T2_T3_mT4_P12ihipStream_tbEUlT_E1_NS1_11comp_targetILNS1_3genE3ELNS1_11target_archE908ELNS1_3gpuE7ELNS1_3repE0EEENS1_30default_config_static_selectorELNS0_4arch9wavefront6targetE0EEEvSK_.numbered_sgpr, 0
	.set _ZN7rocprim17ROCPRIM_400000_NS6detail17trampoline_kernelINS0_14default_configENS1_22reduce_config_selectorIN6thrust23THRUST_200600_302600_NS5tupleIblNS6_9null_typeES8_S8_S8_S8_S8_S8_S8_EEEEZNS1_11reduce_implILb1ES3_PS9_SC_S9_NS6_11hip_rocprim9__find_if7functorIS9_EEEE10hipError_tPvRmT1_T2_T3_mT4_P12ihipStream_tbEUlT_E1_NS1_11comp_targetILNS1_3genE3ELNS1_11target_archE908ELNS1_3gpuE7ELNS1_3repE0EEENS1_30default_config_static_selectorELNS0_4arch9wavefront6targetE0EEEvSK_.num_named_barrier, 0
	.set _ZN7rocprim17ROCPRIM_400000_NS6detail17trampoline_kernelINS0_14default_configENS1_22reduce_config_selectorIN6thrust23THRUST_200600_302600_NS5tupleIblNS6_9null_typeES8_S8_S8_S8_S8_S8_S8_EEEEZNS1_11reduce_implILb1ES3_PS9_SC_S9_NS6_11hip_rocprim9__find_if7functorIS9_EEEE10hipError_tPvRmT1_T2_T3_mT4_P12ihipStream_tbEUlT_E1_NS1_11comp_targetILNS1_3genE3ELNS1_11target_archE908ELNS1_3gpuE7ELNS1_3repE0EEENS1_30default_config_static_selectorELNS0_4arch9wavefront6targetE0EEEvSK_.private_seg_size, 0
	.set _ZN7rocprim17ROCPRIM_400000_NS6detail17trampoline_kernelINS0_14default_configENS1_22reduce_config_selectorIN6thrust23THRUST_200600_302600_NS5tupleIblNS6_9null_typeES8_S8_S8_S8_S8_S8_S8_EEEEZNS1_11reduce_implILb1ES3_PS9_SC_S9_NS6_11hip_rocprim9__find_if7functorIS9_EEEE10hipError_tPvRmT1_T2_T3_mT4_P12ihipStream_tbEUlT_E1_NS1_11comp_targetILNS1_3genE3ELNS1_11target_archE908ELNS1_3gpuE7ELNS1_3repE0EEENS1_30default_config_static_selectorELNS0_4arch9wavefront6targetE0EEEvSK_.uses_vcc, 0
	.set _ZN7rocprim17ROCPRIM_400000_NS6detail17trampoline_kernelINS0_14default_configENS1_22reduce_config_selectorIN6thrust23THRUST_200600_302600_NS5tupleIblNS6_9null_typeES8_S8_S8_S8_S8_S8_S8_EEEEZNS1_11reduce_implILb1ES3_PS9_SC_S9_NS6_11hip_rocprim9__find_if7functorIS9_EEEE10hipError_tPvRmT1_T2_T3_mT4_P12ihipStream_tbEUlT_E1_NS1_11comp_targetILNS1_3genE3ELNS1_11target_archE908ELNS1_3gpuE7ELNS1_3repE0EEENS1_30default_config_static_selectorELNS0_4arch9wavefront6targetE0EEEvSK_.uses_flat_scratch, 0
	.set _ZN7rocprim17ROCPRIM_400000_NS6detail17trampoline_kernelINS0_14default_configENS1_22reduce_config_selectorIN6thrust23THRUST_200600_302600_NS5tupleIblNS6_9null_typeES8_S8_S8_S8_S8_S8_S8_EEEEZNS1_11reduce_implILb1ES3_PS9_SC_S9_NS6_11hip_rocprim9__find_if7functorIS9_EEEE10hipError_tPvRmT1_T2_T3_mT4_P12ihipStream_tbEUlT_E1_NS1_11comp_targetILNS1_3genE3ELNS1_11target_archE908ELNS1_3gpuE7ELNS1_3repE0EEENS1_30default_config_static_selectorELNS0_4arch9wavefront6targetE0EEEvSK_.has_dyn_sized_stack, 0
	.set _ZN7rocprim17ROCPRIM_400000_NS6detail17trampoline_kernelINS0_14default_configENS1_22reduce_config_selectorIN6thrust23THRUST_200600_302600_NS5tupleIblNS6_9null_typeES8_S8_S8_S8_S8_S8_S8_EEEEZNS1_11reduce_implILb1ES3_PS9_SC_S9_NS6_11hip_rocprim9__find_if7functorIS9_EEEE10hipError_tPvRmT1_T2_T3_mT4_P12ihipStream_tbEUlT_E1_NS1_11comp_targetILNS1_3genE3ELNS1_11target_archE908ELNS1_3gpuE7ELNS1_3repE0EEENS1_30default_config_static_selectorELNS0_4arch9wavefront6targetE0EEEvSK_.has_recursion, 0
	.set _ZN7rocprim17ROCPRIM_400000_NS6detail17trampoline_kernelINS0_14default_configENS1_22reduce_config_selectorIN6thrust23THRUST_200600_302600_NS5tupleIblNS6_9null_typeES8_S8_S8_S8_S8_S8_S8_EEEEZNS1_11reduce_implILb1ES3_PS9_SC_S9_NS6_11hip_rocprim9__find_if7functorIS9_EEEE10hipError_tPvRmT1_T2_T3_mT4_P12ihipStream_tbEUlT_E1_NS1_11comp_targetILNS1_3genE3ELNS1_11target_archE908ELNS1_3gpuE7ELNS1_3repE0EEENS1_30default_config_static_selectorELNS0_4arch9wavefront6targetE0EEEvSK_.has_indirect_call, 0
	.section	.AMDGPU.csdata,"",@progbits
; Kernel info:
; codeLenInByte = 0
; TotalNumSgprs: 0
; NumVgprs: 0
; ScratchSize: 0
; MemoryBound: 0
; FloatMode: 240
; IeeeMode: 1
; LDSByteSize: 0 bytes/workgroup (compile time only)
; SGPRBlocks: 0
; VGPRBlocks: 0
; NumSGPRsForWavesPerEU: 1
; NumVGPRsForWavesPerEU: 1
; Occupancy: 16
; WaveLimiterHint : 0
; COMPUTE_PGM_RSRC2:SCRATCH_EN: 0
; COMPUTE_PGM_RSRC2:USER_SGPR: 6
; COMPUTE_PGM_RSRC2:TRAP_HANDLER: 0
; COMPUTE_PGM_RSRC2:TGID_X_EN: 1
; COMPUTE_PGM_RSRC2:TGID_Y_EN: 0
; COMPUTE_PGM_RSRC2:TGID_Z_EN: 0
; COMPUTE_PGM_RSRC2:TIDIG_COMP_CNT: 0
	.section	.text._ZN7rocprim17ROCPRIM_400000_NS6detail17trampoline_kernelINS0_14default_configENS1_22reduce_config_selectorIN6thrust23THRUST_200600_302600_NS5tupleIblNS6_9null_typeES8_S8_S8_S8_S8_S8_S8_EEEEZNS1_11reduce_implILb1ES3_PS9_SC_S9_NS6_11hip_rocprim9__find_if7functorIS9_EEEE10hipError_tPvRmT1_T2_T3_mT4_P12ihipStream_tbEUlT_E1_NS1_11comp_targetILNS1_3genE2ELNS1_11target_archE906ELNS1_3gpuE6ELNS1_3repE0EEENS1_30default_config_static_selectorELNS0_4arch9wavefront6targetE0EEEvSK_,"axG",@progbits,_ZN7rocprim17ROCPRIM_400000_NS6detail17trampoline_kernelINS0_14default_configENS1_22reduce_config_selectorIN6thrust23THRUST_200600_302600_NS5tupleIblNS6_9null_typeES8_S8_S8_S8_S8_S8_S8_EEEEZNS1_11reduce_implILb1ES3_PS9_SC_S9_NS6_11hip_rocprim9__find_if7functorIS9_EEEE10hipError_tPvRmT1_T2_T3_mT4_P12ihipStream_tbEUlT_E1_NS1_11comp_targetILNS1_3genE2ELNS1_11target_archE906ELNS1_3gpuE6ELNS1_3repE0EEENS1_30default_config_static_selectorELNS0_4arch9wavefront6targetE0EEEvSK_,comdat
	.protected	_ZN7rocprim17ROCPRIM_400000_NS6detail17trampoline_kernelINS0_14default_configENS1_22reduce_config_selectorIN6thrust23THRUST_200600_302600_NS5tupleIblNS6_9null_typeES8_S8_S8_S8_S8_S8_S8_EEEEZNS1_11reduce_implILb1ES3_PS9_SC_S9_NS6_11hip_rocprim9__find_if7functorIS9_EEEE10hipError_tPvRmT1_T2_T3_mT4_P12ihipStream_tbEUlT_E1_NS1_11comp_targetILNS1_3genE2ELNS1_11target_archE906ELNS1_3gpuE6ELNS1_3repE0EEENS1_30default_config_static_selectorELNS0_4arch9wavefront6targetE0EEEvSK_ ; -- Begin function _ZN7rocprim17ROCPRIM_400000_NS6detail17trampoline_kernelINS0_14default_configENS1_22reduce_config_selectorIN6thrust23THRUST_200600_302600_NS5tupleIblNS6_9null_typeES8_S8_S8_S8_S8_S8_S8_EEEEZNS1_11reduce_implILb1ES3_PS9_SC_S9_NS6_11hip_rocprim9__find_if7functorIS9_EEEE10hipError_tPvRmT1_T2_T3_mT4_P12ihipStream_tbEUlT_E1_NS1_11comp_targetILNS1_3genE2ELNS1_11target_archE906ELNS1_3gpuE6ELNS1_3repE0EEENS1_30default_config_static_selectorELNS0_4arch9wavefront6targetE0EEEvSK_
	.globl	_ZN7rocprim17ROCPRIM_400000_NS6detail17trampoline_kernelINS0_14default_configENS1_22reduce_config_selectorIN6thrust23THRUST_200600_302600_NS5tupleIblNS6_9null_typeES8_S8_S8_S8_S8_S8_S8_EEEEZNS1_11reduce_implILb1ES3_PS9_SC_S9_NS6_11hip_rocprim9__find_if7functorIS9_EEEE10hipError_tPvRmT1_T2_T3_mT4_P12ihipStream_tbEUlT_E1_NS1_11comp_targetILNS1_3genE2ELNS1_11target_archE906ELNS1_3gpuE6ELNS1_3repE0EEENS1_30default_config_static_selectorELNS0_4arch9wavefront6targetE0EEEvSK_
	.p2align	8
	.type	_ZN7rocprim17ROCPRIM_400000_NS6detail17trampoline_kernelINS0_14default_configENS1_22reduce_config_selectorIN6thrust23THRUST_200600_302600_NS5tupleIblNS6_9null_typeES8_S8_S8_S8_S8_S8_S8_EEEEZNS1_11reduce_implILb1ES3_PS9_SC_S9_NS6_11hip_rocprim9__find_if7functorIS9_EEEE10hipError_tPvRmT1_T2_T3_mT4_P12ihipStream_tbEUlT_E1_NS1_11comp_targetILNS1_3genE2ELNS1_11target_archE906ELNS1_3gpuE6ELNS1_3repE0EEENS1_30default_config_static_selectorELNS0_4arch9wavefront6targetE0EEEvSK_,@function
_ZN7rocprim17ROCPRIM_400000_NS6detail17trampoline_kernelINS0_14default_configENS1_22reduce_config_selectorIN6thrust23THRUST_200600_302600_NS5tupleIblNS6_9null_typeES8_S8_S8_S8_S8_S8_S8_EEEEZNS1_11reduce_implILb1ES3_PS9_SC_S9_NS6_11hip_rocprim9__find_if7functorIS9_EEEE10hipError_tPvRmT1_T2_T3_mT4_P12ihipStream_tbEUlT_E1_NS1_11comp_targetILNS1_3genE2ELNS1_11target_archE906ELNS1_3gpuE6ELNS1_3repE0EEENS1_30default_config_static_selectorELNS0_4arch9wavefront6targetE0EEEvSK_: ; @_ZN7rocprim17ROCPRIM_400000_NS6detail17trampoline_kernelINS0_14default_configENS1_22reduce_config_selectorIN6thrust23THRUST_200600_302600_NS5tupleIblNS6_9null_typeES8_S8_S8_S8_S8_S8_S8_EEEEZNS1_11reduce_implILb1ES3_PS9_SC_S9_NS6_11hip_rocprim9__find_if7functorIS9_EEEE10hipError_tPvRmT1_T2_T3_mT4_P12ihipStream_tbEUlT_E1_NS1_11comp_targetILNS1_3genE2ELNS1_11target_archE906ELNS1_3gpuE6ELNS1_3repE0EEENS1_30default_config_static_selectorELNS0_4arch9wavefront6targetE0EEEvSK_
; %bb.0:
	.section	.rodata,"a",@progbits
	.p2align	6, 0x0
	.amdhsa_kernel _ZN7rocprim17ROCPRIM_400000_NS6detail17trampoline_kernelINS0_14default_configENS1_22reduce_config_selectorIN6thrust23THRUST_200600_302600_NS5tupleIblNS6_9null_typeES8_S8_S8_S8_S8_S8_S8_EEEEZNS1_11reduce_implILb1ES3_PS9_SC_S9_NS6_11hip_rocprim9__find_if7functorIS9_EEEE10hipError_tPvRmT1_T2_T3_mT4_P12ihipStream_tbEUlT_E1_NS1_11comp_targetILNS1_3genE2ELNS1_11target_archE906ELNS1_3gpuE6ELNS1_3repE0EEENS1_30default_config_static_selectorELNS0_4arch9wavefront6targetE0EEEvSK_
		.amdhsa_group_segment_fixed_size 0
		.amdhsa_private_segment_fixed_size 0
		.amdhsa_kernarg_size 56
		.amdhsa_user_sgpr_count 6
		.amdhsa_user_sgpr_private_segment_buffer 1
		.amdhsa_user_sgpr_dispatch_ptr 0
		.amdhsa_user_sgpr_queue_ptr 0
		.amdhsa_user_sgpr_kernarg_segment_ptr 1
		.amdhsa_user_sgpr_dispatch_id 0
		.amdhsa_user_sgpr_flat_scratch_init 0
		.amdhsa_user_sgpr_private_segment_size 0
		.amdhsa_wavefront_size32 1
		.amdhsa_uses_dynamic_stack 0
		.amdhsa_system_sgpr_private_segment_wavefront_offset 0
		.amdhsa_system_sgpr_workgroup_id_x 1
		.amdhsa_system_sgpr_workgroup_id_y 0
		.amdhsa_system_sgpr_workgroup_id_z 0
		.amdhsa_system_sgpr_workgroup_info 0
		.amdhsa_system_vgpr_workitem_id 0
		.amdhsa_next_free_vgpr 1
		.amdhsa_next_free_sgpr 1
		.amdhsa_reserve_vcc 0
		.amdhsa_reserve_flat_scratch 0
		.amdhsa_float_round_mode_32 0
		.amdhsa_float_round_mode_16_64 0
		.amdhsa_float_denorm_mode_32 3
		.amdhsa_float_denorm_mode_16_64 3
		.amdhsa_dx10_clamp 1
		.amdhsa_ieee_mode 1
		.amdhsa_fp16_overflow 0
		.amdhsa_workgroup_processor_mode 1
		.amdhsa_memory_ordered 1
		.amdhsa_forward_progress 1
		.amdhsa_shared_vgpr_count 0
		.amdhsa_exception_fp_ieee_invalid_op 0
		.amdhsa_exception_fp_denorm_src 0
		.amdhsa_exception_fp_ieee_div_zero 0
		.amdhsa_exception_fp_ieee_overflow 0
		.amdhsa_exception_fp_ieee_underflow 0
		.amdhsa_exception_fp_ieee_inexact 0
		.amdhsa_exception_int_div_zero 0
	.end_amdhsa_kernel
	.section	.text._ZN7rocprim17ROCPRIM_400000_NS6detail17trampoline_kernelINS0_14default_configENS1_22reduce_config_selectorIN6thrust23THRUST_200600_302600_NS5tupleIblNS6_9null_typeES8_S8_S8_S8_S8_S8_S8_EEEEZNS1_11reduce_implILb1ES3_PS9_SC_S9_NS6_11hip_rocprim9__find_if7functorIS9_EEEE10hipError_tPvRmT1_T2_T3_mT4_P12ihipStream_tbEUlT_E1_NS1_11comp_targetILNS1_3genE2ELNS1_11target_archE906ELNS1_3gpuE6ELNS1_3repE0EEENS1_30default_config_static_selectorELNS0_4arch9wavefront6targetE0EEEvSK_,"axG",@progbits,_ZN7rocprim17ROCPRIM_400000_NS6detail17trampoline_kernelINS0_14default_configENS1_22reduce_config_selectorIN6thrust23THRUST_200600_302600_NS5tupleIblNS6_9null_typeES8_S8_S8_S8_S8_S8_S8_EEEEZNS1_11reduce_implILb1ES3_PS9_SC_S9_NS6_11hip_rocprim9__find_if7functorIS9_EEEE10hipError_tPvRmT1_T2_T3_mT4_P12ihipStream_tbEUlT_E1_NS1_11comp_targetILNS1_3genE2ELNS1_11target_archE906ELNS1_3gpuE6ELNS1_3repE0EEENS1_30default_config_static_selectorELNS0_4arch9wavefront6targetE0EEEvSK_,comdat
.Lfunc_end463:
	.size	_ZN7rocprim17ROCPRIM_400000_NS6detail17trampoline_kernelINS0_14default_configENS1_22reduce_config_selectorIN6thrust23THRUST_200600_302600_NS5tupleIblNS6_9null_typeES8_S8_S8_S8_S8_S8_S8_EEEEZNS1_11reduce_implILb1ES3_PS9_SC_S9_NS6_11hip_rocprim9__find_if7functorIS9_EEEE10hipError_tPvRmT1_T2_T3_mT4_P12ihipStream_tbEUlT_E1_NS1_11comp_targetILNS1_3genE2ELNS1_11target_archE906ELNS1_3gpuE6ELNS1_3repE0EEENS1_30default_config_static_selectorELNS0_4arch9wavefront6targetE0EEEvSK_, .Lfunc_end463-_ZN7rocprim17ROCPRIM_400000_NS6detail17trampoline_kernelINS0_14default_configENS1_22reduce_config_selectorIN6thrust23THRUST_200600_302600_NS5tupleIblNS6_9null_typeES8_S8_S8_S8_S8_S8_S8_EEEEZNS1_11reduce_implILb1ES3_PS9_SC_S9_NS6_11hip_rocprim9__find_if7functorIS9_EEEE10hipError_tPvRmT1_T2_T3_mT4_P12ihipStream_tbEUlT_E1_NS1_11comp_targetILNS1_3genE2ELNS1_11target_archE906ELNS1_3gpuE6ELNS1_3repE0EEENS1_30default_config_static_selectorELNS0_4arch9wavefront6targetE0EEEvSK_
                                        ; -- End function
	.set _ZN7rocprim17ROCPRIM_400000_NS6detail17trampoline_kernelINS0_14default_configENS1_22reduce_config_selectorIN6thrust23THRUST_200600_302600_NS5tupleIblNS6_9null_typeES8_S8_S8_S8_S8_S8_S8_EEEEZNS1_11reduce_implILb1ES3_PS9_SC_S9_NS6_11hip_rocprim9__find_if7functorIS9_EEEE10hipError_tPvRmT1_T2_T3_mT4_P12ihipStream_tbEUlT_E1_NS1_11comp_targetILNS1_3genE2ELNS1_11target_archE906ELNS1_3gpuE6ELNS1_3repE0EEENS1_30default_config_static_selectorELNS0_4arch9wavefront6targetE0EEEvSK_.num_vgpr, 0
	.set _ZN7rocprim17ROCPRIM_400000_NS6detail17trampoline_kernelINS0_14default_configENS1_22reduce_config_selectorIN6thrust23THRUST_200600_302600_NS5tupleIblNS6_9null_typeES8_S8_S8_S8_S8_S8_S8_EEEEZNS1_11reduce_implILb1ES3_PS9_SC_S9_NS6_11hip_rocprim9__find_if7functorIS9_EEEE10hipError_tPvRmT1_T2_T3_mT4_P12ihipStream_tbEUlT_E1_NS1_11comp_targetILNS1_3genE2ELNS1_11target_archE906ELNS1_3gpuE6ELNS1_3repE0EEENS1_30default_config_static_selectorELNS0_4arch9wavefront6targetE0EEEvSK_.num_agpr, 0
	.set _ZN7rocprim17ROCPRIM_400000_NS6detail17trampoline_kernelINS0_14default_configENS1_22reduce_config_selectorIN6thrust23THRUST_200600_302600_NS5tupleIblNS6_9null_typeES8_S8_S8_S8_S8_S8_S8_EEEEZNS1_11reduce_implILb1ES3_PS9_SC_S9_NS6_11hip_rocprim9__find_if7functorIS9_EEEE10hipError_tPvRmT1_T2_T3_mT4_P12ihipStream_tbEUlT_E1_NS1_11comp_targetILNS1_3genE2ELNS1_11target_archE906ELNS1_3gpuE6ELNS1_3repE0EEENS1_30default_config_static_selectorELNS0_4arch9wavefront6targetE0EEEvSK_.numbered_sgpr, 0
	.set _ZN7rocprim17ROCPRIM_400000_NS6detail17trampoline_kernelINS0_14default_configENS1_22reduce_config_selectorIN6thrust23THRUST_200600_302600_NS5tupleIblNS6_9null_typeES8_S8_S8_S8_S8_S8_S8_EEEEZNS1_11reduce_implILb1ES3_PS9_SC_S9_NS6_11hip_rocprim9__find_if7functorIS9_EEEE10hipError_tPvRmT1_T2_T3_mT4_P12ihipStream_tbEUlT_E1_NS1_11comp_targetILNS1_3genE2ELNS1_11target_archE906ELNS1_3gpuE6ELNS1_3repE0EEENS1_30default_config_static_selectorELNS0_4arch9wavefront6targetE0EEEvSK_.num_named_barrier, 0
	.set _ZN7rocprim17ROCPRIM_400000_NS6detail17trampoline_kernelINS0_14default_configENS1_22reduce_config_selectorIN6thrust23THRUST_200600_302600_NS5tupleIblNS6_9null_typeES8_S8_S8_S8_S8_S8_S8_EEEEZNS1_11reduce_implILb1ES3_PS9_SC_S9_NS6_11hip_rocprim9__find_if7functorIS9_EEEE10hipError_tPvRmT1_T2_T3_mT4_P12ihipStream_tbEUlT_E1_NS1_11comp_targetILNS1_3genE2ELNS1_11target_archE906ELNS1_3gpuE6ELNS1_3repE0EEENS1_30default_config_static_selectorELNS0_4arch9wavefront6targetE0EEEvSK_.private_seg_size, 0
	.set _ZN7rocprim17ROCPRIM_400000_NS6detail17trampoline_kernelINS0_14default_configENS1_22reduce_config_selectorIN6thrust23THRUST_200600_302600_NS5tupleIblNS6_9null_typeES8_S8_S8_S8_S8_S8_S8_EEEEZNS1_11reduce_implILb1ES3_PS9_SC_S9_NS6_11hip_rocprim9__find_if7functorIS9_EEEE10hipError_tPvRmT1_T2_T3_mT4_P12ihipStream_tbEUlT_E1_NS1_11comp_targetILNS1_3genE2ELNS1_11target_archE906ELNS1_3gpuE6ELNS1_3repE0EEENS1_30default_config_static_selectorELNS0_4arch9wavefront6targetE0EEEvSK_.uses_vcc, 0
	.set _ZN7rocprim17ROCPRIM_400000_NS6detail17trampoline_kernelINS0_14default_configENS1_22reduce_config_selectorIN6thrust23THRUST_200600_302600_NS5tupleIblNS6_9null_typeES8_S8_S8_S8_S8_S8_S8_EEEEZNS1_11reduce_implILb1ES3_PS9_SC_S9_NS6_11hip_rocprim9__find_if7functorIS9_EEEE10hipError_tPvRmT1_T2_T3_mT4_P12ihipStream_tbEUlT_E1_NS1_11comp_targetILNS1_3genE2ELNS1_11target_archE906ELNS1_3gpuE6ELNS1_3repE0EEENS1_30default_config_static_selectorELNS0_4arch9wavefront6targetE0EEEvSK_.uses_flat_scratch, 0
	.set _ZN7rocprim17ROCPRIM_400000_NS6detail17trampoline_kernelINS0_14default_configENS1_22reduce_config_selectorIN6thrust23THRUST_200600_302600_NS5tupleIblNS6_9null_typeES8_S8_S8_S8_S8_S8_S8_EEEEZNS1_11reduce_implILb1ES3_PS9_SC_S9_NS6_11hip_rocprim9__find_if7functorIS9_EEEE10hipError_tPvRmT1_T2_T3_mT4_P12ihipStream_tbEUlT_E1_NS1_11comp_targetILNS1_3genE2ELNS1_11target_archE906ELNS1_3gpuE6ELNS1_3repE0EEENS1_30default_config_static_selectorELNS0_4arch9wavefront6targetE0EEEvSK_.has_dyn_sized_stack, 0
	.set _ZN7rocprim17ROCPRIM_400000_NS6detail17trampoline_kernelINS0_14default_configENS1_22reduce_config_selectorIN6thrust23THRUST_200600_302600_NS5tupleIblNS6_9null_typeES8_S8_S8_S8_S8_S8_S8_EEEEZNS1_11reduce_implILb1ES3_PS9_SC_S9_NS6_11hip_rocprim9__find_if7functorIS9_EEEE10hipError_tPvRmT1_T2_T3_mT4_P12ihipStream_tbEUlT_E1_NS1_11comp_targetILNS1_3genE2ELNS1_11target_archE906ELNS1_3gpuE6ELNS1_3repE0EEENS1_30default_config_static_selectorELNS0_4arch9wavefront6targetE0EEEvSK_.has_recursion, 0
	.set _ZN7rocprim17ROCPRIM_400000_NS6detail17trampoline_kernelINS0_14default_configENS1_22reduce_config_selectorIN6thrust23THRUST_200600_302600_NS5tupleIblNS6_9null_typeES8_S8_S8_S8_S8_S8_S8_EEEEZNS1_11reduce_implILb1ES3_PS9_SC_S9_NS6_11hip_rocprim9__find_if7functorIS9_EEEE10hipError_tPvRmT1_T2_T3_mT4_P12ihipStream_tbEUlT_E1_NS1_11comp_targetILNS1_3genE2ELNS1_11target_archE906ELNS1_3gpuE6ELNS1_3repE0EEENS1_30default_config_static_selectorELNS0_4arch9wavefront6targetE0EEEvSK_.has_indirect_call, 0
	.section	.AMDGPU.csdata,"",@progbits
; Kernel info:
; codeLenInByte = 0
; TotalNumSgprs: 0
; NumVgprs: 0
; ScratchSize: 0
; MemoryBound: 0
; FloatMode: 240
; IeeeMode: 1
; LDSByteSize: 0 bytes/workgroup (compile time only)
; SGPRBlocks: 0
; VGPRBlocks: 0
; NumSGPRsForWavesPerEU: 1
; NumVGPRsForWavesPerEU: 1
; Occupancy: 16
; WaveLimiterHint : 0
; COMPUTE_PGM_RSRC2:SCRATCH_EN: 0
; COMPUTE_PGM_RSRC2:USER_SGPR: 6
; COMPUTE_PGM_RSRC2:TRAP_HANDLER: 0
; COMPUTE_PGM_RSRC2:TGID_X_EN: 1
; COMPUTE_PGM_RSRC2:TGID_Y_EN: 0
; COMPUTE_PGM_RSRC2:TGID_Z_EN: 0
; COMPUTE_PGM_RSRC2:TIDIG_COMP_CNT: 0
	.section	.text._ZN7rocprim17ROCPRIM_400000_NS6detail17trampoline_kernelINS0_14default_configENS1_22reduce_config_selectorIN6thrust23THRUST_200600_302600_NS5tupleIblNS6_9null_typeES8_S8_S8_S8_S8_S8_S8_EEEEZNS1_11reduce_implILb1ES3_PS9_SC_S9_NS6_11hip_rocprim9__find_if7functorIS9_EEEE10hipError_tPvRmT1_T2_T3_mT4_P12ihipStream_tbEUlT_E1_NS1_11comp_targetILNS1_3genE10ELNS1_11target_archE1201ELNS1_3gpuE5ELNS1_3repE0EEENS1_30default_config_static_selectorELNS0_4arch9wavefront6targetE0EEEvSK_,"axG",@progbits,_ZN7rocprim17ROCPRIM_400000_NS6detail17trampoline_kernelINS0_14default_configENS1_22reduce_config_selectorIN6thrust23THRUST_200600_302600_NS5tupleIblNS6_9null_typeES8_S8_S8_S8_S8_S8_S8_EEEEZNS1_11reduce_implILb1ES3_PS9_SC_S9_NS6_11hip_rocprim9__find_if7functorIS9_EEEE10hipError_tPvRmT1_T2_T3_mT4_P12ihipStream_tbEUlT_E1_NS1_11comp_targetILNS1_3genE10ELNS1_11target_archE1201ELNS1_3gpuE5ELNS1_3repE0EEENS1_30default_config_static_selectorELNS0_4arch9wavefront6targetE0EEEvSK_,comdat
	.protected	_ZN7rocprim17ROCPRIM_400000_NS6detail17trampoline_kernelINS0_14default_configENS1_22reduce_config_selectorIN6thrust23THRUST_200600_302600_NS5tupleIblNS6_9null_typeES8_S8_S8_S8_S8_S8_S8_EEEEZNS1_11reduce_implILb1ES3_PS9_SC_S9_NS6_11hip_rocprim9__find_if7functorIS9_EEEE10hipError_tPvRmT1_T2_T3_mT4_P12ihipStream_tbEUlT_E1_NS1_11comp_targetILNS1_3genE10ELNS1_11target_archE1201ELNS1_3gpuE5ELNS1_3repE0EEENS1_30default_config_static_selectorELNS0_4arch9wavefront6targetE0EEEvSK_ ; -- Begin function _ZN7rocprim17ROCPRIM_400000_NS6detail17trampoline_kernelINS0_14default_configENS1_22reduce_config_selectorIN6thrust23THRUST_200600_302600_NS5tupleIblNS6_9null_typeES8_S8_S8_S8_S8_S8_S8_EEEEZNS1_11reduce_implILb1ES3_PS9_SC_S9_NS6_11hip_rocprim9__find_if7functorIS9_EEEE10hipError_tPvRmT1_T2_T3_mT4_P12ihipStream_tbEUlT_E1_NS1_11comp_targetILNS1_3genE10ELNS1_11target_archE1201ELNS1_3gpuE5ELNS1_3repE0EEENS1_30default_config_static_selectorELNS0_4arch9wavefront6targetE0EEEvSK_
	.globl	_ZN7rocprim17ROCPRIM_400000_NS6detail17trampoline_kernelINS0_14default_configENS1_22reduce_config_selectorIN6thrust23THRUST_200600_302600_NS5tupleIblNS6_9null_typeES8_S8_S8_S8_S8_S8_S8_EEEEZNS1_11reduce_implILb1ES3_PS9_SC_S9_NS6_11hip_rocprim9__find_if7functorIS9_EEEE10hipError_tPvRmT1_T2_T3_mT4_P12ihipStream_tbEUlT_E1_NS1_11comp_targetILNS1_3genE10ELNS1_11target_archE1201ELNS1_3gpuE5ELNS1_3repE0EEENS1_30default_config_static_selectorELNS0_4arch9wavefront6targetE0EEEvSK_
	.p2align	8
	.type	_ZN7rocprim17ROCPRIM_400000_NS6detail17trampoline_kernelINS0_14default_configENS1_22reduce_config_selectorIN6thrust23THRUST_200600_302600_NS5tupleIblNS6_9null_typeES8_S8_S8_S8_S8_S8_S8_EEEEZNS1_11reduce_implILb1ES3_PS9_SC_S9_NS6_11hip_rocprim9__find_if7functorIS9_EEEE10hipError_tPvRmT1_T2_T3_mT4_P12ihipStream_tbEUlT_E1_NS1_11comp_targetILNS1_3genE10ELNS1_11target_archE1201ELNS1_3gpuE5ELNS1_3repE0EEENS1_30default_config_static_selectorELNS0_4arch9wavefront6targetE0EEEvSK_,@function
_ZN7rocprim17ROCPRIM_400000_NS6detail17trampoline_kernelINS0_14default_configENS1_22reduce_config_selectorIN6thrust23THRUST_200600_302600_NS5tupleIblNS6_9null_typeES8_S8_S8_S8_S8_S8_S8_EEEEZNS1_11reduce_implILb1ES3_PS9_SC_S9_NS6_11hip_rocprim9__find_if7functorIS9_EEEE10hipError_tPvRmT1_T2_T3_mT4_P12ihipStream_tbEUlT_E1_NS1_11comp_targetILNS1_3genE10ELNS1_11target_archE1201ELNS1_3gpuE5ELNS1_3repE0EEENS1_30default_config_static_selectorELNS0_4arch9wavefront6targetE0EEEvSK_: ; @_ZN7rocprim17ROCPRIM_400000_NS6detail17trampoline_kernelINS0_14default_configENS1_22reduce_config_selectorIN6thrust23THRUST_200600_302600_NS5tupleIblNS6_9null_typeES8_S8_S8_S8_S8_S8_S8_EEEEZNS1_11reduce_implILb1ES3_PS9_SC_S9_NS6_11hip_rocprim9__find_if7functorIS9_EEEE10hipError_tPvRmT1_T2_T3_mT4_P12ihipStream_tbEUlT_E1_NS1_11comp_targetILNS1_3genE10ELNS1_11target_archE1201ELNS1_3gpuE5ELNS1_3repE0EEENS1_30default_config_static_selectorELNS0_4arch9wavefront6targetE0EEEvSK_
; %bb.0:
	.section	.rodata,"a",@progbits
	.p2align	6, 0x0
	.amdhsa_kernel _ZN7rocprim17ROCPRIM_400000_NS6detail17trampoline_kernelINS0_14default_configENS1_22reduce_config_selectorIN6thrust23THRUST_200600_302600_NS5tupleIblNS6_9null_typeES8_S8_S8_S8_S8_S8_S8_EEEEZNS1_11reduce_implILb1ES3_PS9_SC_S9_NS6_11hip_rocprim9__find_if7functorIS9_EEEE10hipError_tPvRmT1_T2_T3_mT4_P12ihipStream_tbEUlT_E1_NS1_11comp_targetILNS1_3genE10ELNS1_11target_archE1201ELNS1_3gpuE5ELNS1_3repE0EEENS1_30default_config_static_selectorELNS0_4arch9wavefront6targetE0EEEvSK_
		.amdhsa_group_segment_fixed_size 0
		.amdhsa_private_segment_fixed_size 0
		.amdhsa_kernarg_size 56
		.amdhsa_user_sgpr_count 6
		.amdhsa_user_sgpr_private_segment_buffer 1
		.amdhsa_user_sgpr_dispatch_ptr 0
		.amdhsa_user_sgpr_queue_ptr 0
		.amdhsa_user_sgpr_kernarg_segment_ptr 1
		.amdhsa_user_sgpr_dispatch_id 0
		.amdhsa_user_sgpr_flat_scratch_init 0
		.amdhsa_user_sgpr_private_segment_size 0
		.amdhsa_wavefront_size32 1
		.amdhsa_uses_dynamic_stack 0
		.amdhsa_system_sgpr_private_segment_wavefront_offset 0
		.amdhsa_system_sgpr_workgroup_id_x 1
		.amdhsa_system_sgpr_workgroup_id_y 0
		.amdhsa_system_sgpr_workgroup_id_z 0
		.amdhsa_system_sgpr_workgroup_info 0
		.amdhsa_system_vgpr_workitem_id 0
		.amdhsa_next_free_vgpr 1
		.amdhsa_next_free_sgpr 1
		.amdhsa_reserve_vcc 0
		.amdhsa_reserve_flat_scratch 0
		.amdhsa_float_round_mode_32 0
		.amdhsa_float_round_mode_16_64 0
		.amdhsa_float_denorm_mode_32 3
		.amdhsa_float_denorm_mode_16_64 3
		.amdhsa_dx10_clamp 1
		.amdhsa_ieee_mode 1
		.amdhsa_fp16_overflow 0
		.amdhsa_workgroup_processor_mode 1
		.amdhsa_memory_ordered 1
		.amdhsa_forward_progress 1
		.amdhsa_shared_vgpr_count 0
		.amdhsa_exception_fp_ieee_invalid_op 0
		.amdhsa_exception_fp_denorm_src 0
		.amdhsa_exception_fp_ieee_div_zero 0
		.amdhsa_exception_fp_ieee_overflow 0
		.amdhsa_exception_fp_ieee_underflow 0
		.amdhsa_exception_fp_ieee_inexact 0
		.amdhsa_exception_int_div_zero 0
	.end_amdhsa_kernel
	.section	.text._ZN7rocprim17ROCPRIM_400000_NS6detail17trampoline_kernelINS0_14default_configENS1_22reduce_config_selectorIN6thrust23THRUST_200600_302600_NS5tupleIblNS6_9null_typeES8_S8_S8_S8_S8_S8_S8_EEEEZNS1_11reduce_implILb1ES3_PS9_SC_S9_NS6_11hip_rocprim9__find_if7functorIS9_EEEE10hipError_tPvRmT1_T2_T3_mT4_P12ihipStream_tbEUlT_E1_NS1_11comp_targetILNS1_3genE10ELNS1_11target_archE1201ELNS1_3gpuE5ELNS1_3repE0EEENS1_30default_config_static_selectorELNS0_4arch9wavefront6targetE0EEEvSK_,"axG",@progbits,_ZN7rocprim17ROCPRIM_400000_NS6detail17trampoline_kernelINS0_14default_configENS1_22reduce_config_selectorIN6thrust23THRUST_200600_302600_NS5tupleIblNS6_9null_typeES8_S8_S8_S8_S8_S8_S8_EEEEZNS1_11reduce_implILb1ES3_PS9_SC_S9_NS6_11hip_rocprim9__find_if7functorIS9_EEEE10hipError_tPvRmT1_T2_T3_mT4_P12ihipStream_tbEUlT_E1_NS1_11comp_targetILNS1_3genE10ELNS1_11target_archE1201ELNS1_3gpuE5ELNS1_3repE0EEENS1_30default_config_static_selectorELNS0_4arch9wavefront6targetE0EEEvSK_,comdat
.Lfunc_end464:
	.size	_ZN7rocprim17ROCPRIM_400000_NS6detail17trampoline_kernelINS0_14default_configENS1_22reduce_config_selectorIN6thrust23THRUST_200600_302600_NS5tupleIblNS6_9null_typeES8_S8_S8_S8_S8_S8_S8_EEEEZNS1_11reduce_implILb1ES3_PS9_SC_S9_NS6_11hip_rocprim9__find_if7functorIS9_EEEE10hipError_tPvRmT1_T2_T3_mT4_P12ihipStream_tbEUlT_E1_NS1_11comp_targetILNS1_3genE10ELNS1_11target_archE1201ELNS1_3gpuE5ELNS1_3repE0EEENS1_30default_config_static_selectorELNS0_4arch9wavefront6targetE0EEEvSK_, .Lfunc_end464-_ZN7rocprim17ROCPRIM_400000_NS6detail17trampoline_kernelINS0_14default_configENS1_22reduce_config_selectorIN6thrust23THRUST_200600_302600_NS5tupleIblNS6_9null_typeES8_S8_S8_S8_S8_S8_S8_EEEEZNS1_11reduce_implILb1ES3_PS9_SC_S9_NS6_11hip_rocprim9__find_if7functorIS9_EEEE10hipError_tPvRmT1_T2_T3_mT4_P12ihipStream_tbEUlT_E1_NS1_11comp_targetILNS1_3genE10ELNS1_11target_archE1201ELNS1_3gpuE5ELNS1_3repE0EEENS1_30default_config_static_selectorELNS0_4arch9wavefront6targetE0EEEvSK_
                                        ; -- End function
	.set _ZN7rocprim17ROCPRIM_400000_NS6detail17trampoline_kernelINS0_14default_configENS1_22reduce_config_selectorIN6thrust23THRUST_200600_302600_NS5tupleIblNS6_9null_typeES8_S8_S8_S8_S8_S8_S8_EEEEZNS1_11reduce_implILb1ES3_PS9_SC_S9_NS6_11hip_rocprim9__find_if7functorIS9_EEEE10hipError_tPvRmT1_T2_T3_mT4_P12ihipStream_tbEUlT_E1_NS1_11comp_targetILNS1_3genE10ELNS1_11target_archE1201ELNS1_3gpuE5ELNS1_3repE0EEENS1_30default_config_static_selectorELNS0_4arch9wavefront6targetE0EEEvSK_.num_vgpr, 0
	.set _ZN7rocprim17ROCPRIM_400000_NS6detail17trampoline_kernelINS0_14default_configENS1_22reduce_config_selectorIN6thrust23THRUST_200600_302600_NS5tupleIblNS6_9null_typeES8_S8_S8_S8_S8_S8_S8_EEEEZNS1_11reduce_implILb1ES3_PS9_SC_S9_NS6_11hip_rocprim9__find_if7functorIS9_EEEE10hipError_tPvRmT1_T2_T3_mT4_P12ihipStream_tbEUlT_E1_NS1_11comp_targetILNS1_3genE10ELNS1_11target_archE1201ELNS1_3gpuE5ELNS1_3repE0EEENS1_30default_config_static_selectorELNS0_4arch9wavefront6targetE0EEEvSK_.num_agpr, 0
	.set _ZN7rocprim17ROCPRIM_400000_NS6detail17trampoline_kernelINS0_14default_configENS1_22reduce_config_selectorIN6thrust23THRUST_200600_302600_NS5tupleIblNS6_9null_typeES8_S8_S8_S8_S8_S8_S8_EEEEZNS1_11reduce_implILb1ES3_PS9_SC_S9_NS6_11hip_rocprim9__find_if7functorIS9_EEEE10hipError_tPvRmT1_T2_T3_mT4_P12ihipStream_tbEUlT_E1_NS1_11comp_targetILNS1_3genE10ELNS1_11target_archE1201ELNS1_3gpuE5ELNS1_3repE0EEENS1_30default_config_static_selectorELNS0_4arch9wavefront6targetE0EEEvSK_.numbered_sgpr, 0
	.set _ZN7rocprim17ROCPRIM_400000_NS6detail17trampoline_kernelINS0_14default_configENS1_22reduce_config_selectorIN6thrust23THRUST_200600_302600_NS5tupleIblNS6_9null_typeES8_S8_S8_S8_S8_S8_S8_EEEEZNS1_11reduce_implILb1ES3_PS9_SC_S9_NS6_11hip_rocprim9__find_if7functorIS9_EEEE10hipError_tPvRmT1_T2_T3_mT4_P12ihipStream_tbEUlT_E1_NS1_11comp_targetILNS1_3genE10ELNS1_11target_archE1201ELNS1_3gpuE5ELNS1_3repE0EEENS1_30default_config_static_selectorELNS0_4arch9wavefront6targetE0EEEvSK_.num_named_barrier, 0
	.set _ZN7rocprim17ROCPRIM_400000_NS6detail17trampoline_kernelINS0_14default_configENS1_22reduce_config_selectorIN6thrust23THRUST_200600_302600_NS5tupleIblNS6_9null_typeES8_S8_S8_S8_S8_S8_S8_EEEEZNS1_11reduce_implILb1ES3_PS9_SC_S9_NS6_11hip_rocprim9__find_if7functorIS9_EEEE10hipError_tPvRmT1_T2_T3_mT4_P12ihipStream_tbEUlT_E1_NS1_11comp_targetILNS1_3genE10ELNS1_11target_archE1201ELNS1_3gpuE5ELNS1_3repE0EEENS1_30default_config_static_selectorELNS0_4arch9wavefront6targetE0EEEvSK_.private_seg_size, 0
	.set _ZN7rocprim17ROCPRIM_400000_NS6detail17trampoline_kernelINS0_14default_configENS1_22reduce_config_selectorIN6thrust23THRUST_200600_302600_NS5tupleIblNS6_9null_typeES8_S8_S8_S8_S8_S8_S8_EEEEZNS1_11reduce_implILb1ES3_PS9_SC_S9_NS6_11hip_rocprim9__find_if7functorIS9_EEEE10hipError_tPvRmT1_T2_T3_mT4_P12ihipStream_tbEUlT_E1_NS1_11comp_targetILNS1_3genE10ELNS1_11target_archE1201ELNS1_3gpuE5ELNS1_3repE0EEENS1_30default_config_static_selectorELNS0_4arch9wavefront6targetE0EEEvSK_.uses_vcc, 0
	.set _ZN7rocprim17ROCPRIM_400000_NS6detail17trampoline_kernelINS0_14default_configENS1_22reduce_config_selectorIN6thrust23THRUST_200600_302600_NS5tupleIblNS6_9null_typeES8_S8_S8_S8_S8_S8_S8_EEEEZNS1_11reduce_implILb1ES3_PS9_SC_S9_NS6_11hip_rocprim9__find_if7functorIS9_EEEE10hipError_tPvRmT1_T2_T3_mT4_P12ihipStream_tbEUlT_E1_NS1_11comp_targetILNS1_3genE10ELNS1_11target_archE1201ELNS1_3gpuE5ELNS1_3repE0EEENS1_30default_config_static_selectorELNS0_4arch9wavefront6targetE0EEEvSK_.uses_flat_scratch, 0
	.set _ZN7rocprim17ROCPRIM_400000_NS6detail17trampoline_kernelINS0_14default_configENS1_22reduce_config_selectorIN6thrust23THRUST_200600_302600_NS5tupleIblNS6_9null_typeES8_S8_S8_S8_S8_S8_S8_EEEEZNS1_11reduce_implILb1ES3_PS9_SC_S9_NS6_11hip_rocprim9__find_if7functorIS9_EEEE10hipError_tPvRmT1_T2_T3_mT4_P12ihipStream_tbEUlT_E1_NS1_11comp_targetILNS1_3genE10ELNS1_11target_archE1201ELNS1_3gpuE5ELNS1_3repE0EEENS1_30default_config_static_selectorELNS0_4arch9wavefront6targetE0EEEvSK_.has_dyn_sized_stack, 0
	.set _ZN7rocprim17ROCPRIM_400000_NS6detail17trampoline_kernelINS0_14default_configENS1_22reduce_config_selectorIN6thrust23THRUST_200600_302600_NS5tupleIblNS6_9null_typeES8_S8_S8_S8_S8_S8_S8_EEEEZNS1_11reduce_implILb1ES3_PS9_SC_S9_NS6_11hip_rocprim9__find_if7functorIS9_EEEE10hipError_tPvRmT1_T2_T3_mT4_P12ihipStream_tbEUlT_E1_NS1_11comp_targetILNS1_3genE10ELNS1_11target_archE1201ELNS1_3gpuE5ELNS1_3repE0EEENS1_30default_config_static_selectorELNS0_4arch9wavefront6targetE0EEEvSK_.has_recursion, 0
	.set _ZN7rocprim17ROCPRIM_400000_NS6detail17trampoline_kernelINS0_14default_configENS1_22reduce_config_selectorIN6thrust23THRUST_200600_302600_NS5tupleIblNS6_9null_typeES8_S8_S8_S8_S8_S8_S8_EEEEZNS1_11reduce_implILb1ES3_PS9_SC_S9_NS6_11hip_rocprim9__find_if7functorIS9_EEEE10hipError_tPvRmT1_T2_T3_mT4_P12ihipStream_tbEUlT_E1_NS1_11comp_targetILNS1_3genE10ELNS1_11target_archE1201ELNS1_3gpuE5ELNS1_3repE0EEENS1_30default_config_static_selectorELNS0_4arch9wavefront6targetE0EEEvSK_.has_indirect_call, 0
	.section	.AMDGPU.csdata,"",@progbits
; Kernel info:
; codeLenInByte = 0
; TotalNumSgprs: 0
; NumVgprs: 0
; ScratchSize: 0
; MemoryBound: 0
; FloatMode: 240
; IeeeMode: 1
; LDSByteSize: 0 bytes/workgroup (compile time only)
; SGPRBlocks: 0
; VGPRBlocks: 0
; NumSGPRsForWavesPerEU: 1
; NumVGPRsForWavesPerEU: 1
; Occupancy: 16
; WaveLimiterHint : 0
; COMPUTE_PGM_RSRC2:SCRATCH_EN: 0
; COMPUTE_PGM_RSRC2:USER_SGPR: 6
; COMPUTE_PGM_RSRC2:TRAP_HANDLER: 0
; COMPUTE_PGM_RSRC2:TGID_X_EN: 1
; COMPUTE_PGM_RSRC2:TGID_Y_EN: 0
; COMPUTE_PGM_RSRC2:TGID_Z_EN: 0
; COMPUTE_PGM_RSRC2:TIDIG_COMP_CNT: 0
	.section	.text._ZN7rocprim17ROCPRIM_400000_NS6detail17trampoline_kernelINS0_14default_configENS1_22reduce_config_selectorIN6thrust23THRUST_200600_302600_NS5tupleIblNS6_9null_typeES8_S8_S8_S8_S8_S8_S8_EEEEZNS1_11reduce_implILb1ES3_PS9_SC_S9_NS6_11hip_rocprim9__find_if7functorIS9_EEEE10hipError_tPvRmT1_T2_T3_mT4_P12ihipStream_tbEUlT_E1_NS1_11comp_targetILNS1_3genE10ELNS1_11target_archE1200ELNS1_3gpuE4ELNS1_3repE0EEENS1_30default_config_static_selectorELNS0_4arch9wavefront6targetE0EEEvSK_,"axG",@progbits,_ZN7rocprim17ROCPRIM_400000_NS6detail17trampoline_kernelINS0_14default_configENS1_22reduce_config_selectorIN6thrust23THRUST_200600_302600_NS5tupleIblNS6_9null_typeES8_S8_S8_S8_S8_S8_S8_EEEEZNS1_11reduce_implILb1ES3_PS9_SC_S9_NS6_11hip_rocprim9__find_if7functorIS9_EEEE10hipError_tPvRmT1_T2_T3_mT4_P12ihipStream_tbEUlT_E1_NS1_11comp_targetILNS1_3genE10ELNS1_11target_archE1200ELNS1_3gpuE4ELNS1_3repE0EEENS1_30default_config_static_selectorELNS0_4arch9wavefront6targetE0EEEvSK_,comdat
	.protected	_ZN7rocprim17ROCPRIM_400000_NS6detail17trampoline_kernelINS0_14default_configENS1_22reduce_config_selectorIN6thrust23THRUST_200600_302600_NS5tupleIblNS6_9null_typeES8_S8_S8_S8_S8_S8_S8_EEEEZNS1_11reduce_implILb1ES3_PS9_SC_S9_NS6_11hip_rocprim9__find_if7functorIS9_EEEE10hipError_tPvRmT1_T2_T3_mT4_P12ihipStream_tbEUlT_E1_NS1_11comp_targetILNS1_3genE10ELNS1_11target_archE1200ELNS1_3gpuE4ELNS1_3repE0EEENS1_30default_config_static_selectorELNS0_4arch9wavefront6targetE0EEEvSK_ ; -- Begin function _ZN7rocprim17ROCPRIM_400000_NS6detail17trampoline_kernelINS0_14default_configENS1_22reduce_config_selectorIN6thrust23THRUST_200600_302600_NS5tupleIblNS6_9null_typeES8_S8_S8_S8_S8_S8_S8_EEEEZNS1_11reduce_implILb1ES3_PS9_SC_S9_NS6_11hip_rocprim9__find_if7functorIS9_EEEE10hipError_tPvRmT1_T2_T3_mT4_P12ihipStream_tbEUlT_E1_NS1_11comp_targetILNS1_3genE10ELNS1_11target_archE1200ELNS1_3gpuE4ELNS1_3repE0EEENS1_30default_config_static_selectorELNS0_4arch9wavefront6targetE0EEEvSK_
	.globl	_ZN7rocprim17ROCPRIM_400000_NS6detail17trampoline_kernelINS0_14default_configENS1_22reduce_config_selectorIN6thrust23THRUST_200600_302600_NS5tupleIblNS6_9null_typeES8_S8_S8_S8_S8_S8_S8_EEEEZNS1_11reduce_implILb1ES3_PS9_SC_S9_NS6_11hip_rocprim9__find_if7functorIS9_EEEE10hipError_tPvRmT1_T2_T3_mT4_P12ihipStream_tbEUlT_E1_NS1_11comp_targetILNS1_3genE10ELNS1_11target_archE1200ELNS1_3gpuE4ELNS1_3repE0EEENS1_30default_config_static_selectorELNS0_4arch9wavefront6targetE0EEEvSK_
	.p2align	8
	.type	_ZN7rocprim17ROCPRIM_400000_NS6detail17trampoline_kernelINS0_14default_configENS1_22reduce_config_selectorIN6thrust23THRUST_200600_302600_NS5tupleIblNS6_9null_typeES8_S8_S8_S8_S8_S8_S8_EEEEZNS1_11reduce_implILb1ES3_PS9_SC_S9_NS6_11hip_rocprim9__find_if7functorIS9_EEEE10hipError_tPvRmT1_T2_T3_mT4_P12ihipStream_tbEUlT_E1_NS1_11comp_targetILNS1_3genE10ELNS1_11target_archE1200ELNS1_3gpuE4ELNS1_3repE0EEENS1_30default_config_static_selectorELNS0_4arch9wavefront6targetE0EEEvSK_,@function
_ZN7rocprim17ROCPRIM_400000_NS6detail17trampoline_kernelINS0_14default_configENS1_22reduce_config_selectorIN6thrust23THRUST_200600_302600_NS5tupleIblNS6_9null_typeES8_S8_S8_S8_S8_S8_S8_EEEEZNS1_11reduce_implILb1ES3_PS9_SC_S9_NS6_11hip_rocprim9__find_if7functorIS9_EEEE10hipError_tPvRmT1_T2_T3_mT4_P12ihipStream_tbEUlT_E1_NS1_11comp_targetILNS1_3genE10ELNS1_11target_archE1200ELNS1_3gpuE4ELNS1_3repE0EEENS1_30default_config_static_selectorELNS0_4arch9wavefront6targetE0EEEvSK_: ; @_ZN7rocprim17ROCPRIM_400000_NS6detail17trampoline_kernelINS0_14default_configENS1_22reduce_config_selectorIN6thrust23THRUST_200600_302600_NS5tupleIblNS6_9null_typeES8_S8_S8_S8_S8_S8_S8_EEEEZNS1_11reduce_implILb1ES3_PS9_SC_S9_NS6_11hip_rocprim9__find_if7functorIS9_EEEE10hipError_tPvRmT1_T2_T3_mT4_P12ihipStream_tbEUlT_E1_NS1_11comp_targetILNS1_3genE10ELNS1_11target_archE1200ELNS1_3gpuE4ELNS1_3repE0EEENS1_30default_config_static_selectorELNS0_4arch9wavefront6targetE0EEEvSK_
; %bb.0:
	.section	.rodata,"a",@progbits
	.p2align	6, 0x0
	.amdhsa_kernel _ZN7rocprim17ROCPRIM_400000_NS6detail17trampoline_kernelINS0_14default_configENS1_22reduce_config_selectorIN6thrust23THRUST_200600_302600_NS5tupleIblNS6_9null_typeES8_S8_S8_S8_S8_S8_S8_EEEEZNS1_11reduce_implILb1ES3_PS9_SC_S9_NS6_11hip_rocprim9__find_if7functorIS9_EEEE10hipError_tPvRmT1_T2_T3_mT4_P12ihipStream_tbEUlT_E1_NS1_11comp_targetILNS1_3genE10ELNS1_11target_archE1200ELNS1_3gpuE4ELNS1_3repE0EEENS1_30default_config_static_selectorELNS0_4arch9wavefront6targetE0EEEvSK_
		.amdhsa_group_segment_fixed_size 0
		.amdhsa_private_segment_fixed_size 0
		.amdhsa_kernarg_size 56
		.amdhsa_user_sgpr_count 6
		.amdhsa_user_sgpr_private_segment_buffer 1
		.amdhsa_user_sgpr_dispatch_ptr 0
		.amdhsa_user_sgpr_queue_ptr 0
		.amdhsa_user_sgpr_kernarg_segment_ptr 1
		.amdhsa_user_sgpr_dispatch_id 0
		.amdhsa_user_sgpr_flat_scratch_init 0
		.amdhsa_user_sgpr_private_segment_size 0
		.amdhsa_wavefront_size32 1
		.amdhsa_uses_dynamic_stack 0
		.amdhsa_system_sgpr_private_segment_wavefront_offset 0
		.amdhsa_system_sgpr_workgroup_id_x 1
		.amdhsa_system_sgpr_workgroup_id_y 0
		.amdhsa_system_sgpr_workgroup_id_z 0
		.amdhsa_system_sgpr_workgroup_info 0
		.amdhsa_system_vgpr_workitem_id 0
		.amdhsa_next_free_vgpr 1
		.amdhsa_next_free_sgpr 1
		.amdhsa_reserve_vcc 0
		.amdhsa_reserve_flat_scratch 0
		.amdhsa_float_round_mode_32 0
		.amdhsa_float_round_mode_16_64 0
		.amdhsa_float_denorm_mode_32 3
		.amdhsa_float_denorm_mode_16_64 3
		.amdhsa_dx10_clamp 1
		.amdhsa_ieee_mode 1
		.amdhsa_fp16_overflow 0
		.amdhsa_workgroup_processor_mode 1
		.amdhsa_memory_ordered 1
		.amdhsa_forward_progress 1
		.amdhsa_shared_vgpr_count 0
		.amdhsa_exception_fp_ieee_invalid_op 0
		.amdhsa_exception_fp_denorm_src 0
		.amdhsa_exception_fp_ieee_div_zero 0
		.amdhsa_exception_fp_ieee_overflow 0
		.amdhsa_exception_fp_ieee_underflow 0
		.amdhsa_exception_fp_ieee_inexact 0
		.amdhsa_exception_int_div_zero 0
	.end_amdhsa_kernel
	.section	.text._ZN7rocprim17ROCPRIM_400000_NS6detail17trampoline_kernelINS0_14default_configENS1_22reduce_config_selectorIN6thrust23THRUST_200600_302600_NS5tupleIblNS6_9null_typeES8_S8_S8_S8_S8_S8_S8_EEEEZNS1_11reduce_implILb1ES3_PS9_SC_S9_NS6_11hip_rocprim9__find_if7functorIS9_EEEE10hipError_tPvRmT1_T2_T3_mT4_P12ihipStream_tbEUlT_E1_NS1_11comp_targetILNS1_3genE10ELNS1_11target_archE1200ELNS1_3gpuE4ELNS1_3repE0EEENS1_30default_config_static_selectorELNS0_4arch9wavefront6targetE0EEEvSK_,"axG",@progbits,_ZN7rocprim17ROCPRIM_400000_NS6detail17trampoline_kernelINS0_14default_configENS1_22reduce_config_selectorIN6thrust23THRUST_200600_302600_NS5tupleIblNS6_9null_typeES8_S8_S8_S8_S8_S8_S8_EEEEZNS1_11reduce_implILb1ES3_PS9_SC_S9_NS6_11hip_rocprim9__find_if7functorIS9_EEEE10hipError_tPvRmT1_T2_T3_mT4_P12ihipStream_tbEUlT_E1_NS1_11comp_targetILNS1_3genE10ELNS1_11target_archE1200ELNS1_3gpuE4ELNS1_3repE0EEENS1_30default_config_static_selectorELNS0_4arch9wavefront6targetE0EEEvSK_,comdat
.Lfunc_end465:
	.size	_ZN7rocprim17ROCPRIM_400000_NS6detail17trampoline_kernelINS0_14default_configENS1_22reduce_config_selectorIN6thrust23THRUST_200600_302600_NS5tupleIblNS6_9null_typeES8_S8_S8_S8_S8_S8_S8_EEEEZNS1_11reduce_implILb1ES3_PS9_SC_S9_NS6_11hip_rocprim9__find_if7functorIS9_EEEE10hipError_tPvRmT1_T2_T3_mT4_P12ihipStream_tbEUlT_E1_NS1_11comp_targetILNS1_3genE10ELNS1_11target_archE1200ELNS1_3gpuE4ELNS1_3repE0EEENS1_30default_config_static_selectorELNS0_4arch9wavefront6targetE0EEEvSK_, .Lfunc_end465-_ZN7rocprim17ROCPRIM_400000_NS6detail17trampoline_kernelINS0_14default_configENS1_22reduce_config_selectorIN6thrust23THRUST_200600_302600_NS5tupleIblNS6_9null_typeES8_S8_S8_S8_S8_S8_S8_EEEEZNS1_11reduce_implILb1ES3_PS9_SC_S9_NS6_11hip_rocprim9__find_if7functorIS9_EEEE10hipError_tPvRmT1_T2_T3_mT4_P12ihipStream_tbEUlT_E1_NS1_11comp_targetILNS1_3genE10ELNS1_11target_archE1200ELNS1_3gpuE4ELNS1_3repE0EEENS1_30default_config_static_selectorELNS0_4arch9wavefront6targetE0EEEvSK_
                                        ; -- End function
	.set _ZN7rocprim17ROCPRIM_400000_NS6detail17trampoline_kernelINS0_14default_configENS1_22reduce_config_selectorIN6thrust23THRUST_200600_302600_NS5tupleIblNS6_9null_typeES8_S8_S8_S8_S8_S8_S8_EEEEZNS1_11reduce_implILb1ES3_PS9_SC_S9_NS6_11hip_rocprim9__find_if7functorIS9_EEEE10hipError_tPvRmT1_T2_T3_mT4_P12ihipStream_tbEUlT_E1_NS1_11comp_targetILNS1_3genE10ELNS1_11target_archE1200ELNS1_3gpuE4ELNS1_3repE0EEENS1_30default_config_static_selectorELNS0_4arch9wavefront6targetE0EEEvSK_.num_vgpr, 0
	.set _ZN7rocprim17ROCPRIM_400000_NS6detail17trampoline_kernelINS0_14default_configENS1_22reduce_config_selectorIN6thrust23THRUST_200600_302600_NS5tupleIblNS6_9null_typeES8_S8_S8_S8_S8_S8_S8_EEEEZNS1_11reduce_implILb1ES3_PS9_SC_S9_NS6_11hip_rocprim9__find_if7functorIS9_EEEE10hipError_tPvRmT1_T2_T3_mT4_P12ihipStream_tbEUlT_E1_NS1_11comp_targetILNS1_3genE10ELNS1_11target_archE1200ELNS1_3gpuE4ELNS1_3repE0EEENS1_30default_config_static_selectorELNS0_4arch9wavefront6targetE0EEEvSK_.num_agpr, 0
	.set _ZN7rocprim17ROCPRIM_400000_NS6detail17trampoline_kernelINS0_14default_configENS1_22reduce_config_selectorIN6thrust23THRUST_200600_302600_NS5tupleIblNS6_9null_typeES8_S8_S8_S8_S8_S8_S8_EEEEZNS1_11reduce_implILb1ES3_PS9_SC_S9_NS6_11hip_rocprim9__find_if7functorIS9_EEEE10hipError_tPvRmT1_T2_T3_mT4_P12ihipStream_tbEUlT_E1_NS1_11comp_targetILNS1_3genE10ELNS1_11target_archE1200ELNS1_3gpuE4ELNS1_3repE0EEENS1_30default_config_static_selectorELNS0_4arch9wavefront6targetE0EEEvSK_.numbered_sgpr, 0
	.set _ZN7rocprim17ROCPRIM_400000_NS6detail17trampoline_kernelINS0_14default_configENS1_22reduce_config_selectorIN6thrust23THRUST_200600_302600_NS5tupleIblNS6_9null_typeES8_S8_S8_S8_S8_S8_S8_EEEEZNS1_11reduce_implILb1ES3_PS9_SC_S9_NS6_11hip_rocprim9__find_if7functorIS9_EEEE10hipError_tPvRmT1_T2_T3_mT4_P12ihipStream_tbEUlT_E1_NS1_11comp_targetILNS1_3genE10ELNS1_11target_archE1200ELNS1_3gpuE4ELNS1_3repE0EEENS1_30default_config_static_selectorELNS0_4arch9wavefront6targetE0EEEvSK_.num_named_barrier, 0
	.set _ZN7rocprim17ROCPRIM_400000_NS6detail17trampoline_kernelINS0_14default_configENS1_22reduce_config_selectorIN6thrust23THRUST_200600_302600_NS5tupleIblNS6_9null_typeES8_S8_S8_S8_S8_S8_S8_EEEEZNS1_11reduce_implILb1ES3_PS9_SC_S9_NS6_11hip_rocprim9__find_if7functorIS9_EEEE10hipError_tPvRmT1_T2_T3_mT4_P12ihipStream_tbEUlT_E1_NS1_11comp_targetILNS1_3genE10ELNS1_11target_archE1200ELNS1_3gpuE4ELNS1_3repE0EEENS1_30default_config_static_selectorELNS0_4arch9wavefront6targetE0EEEvSK_.private_seg_size, 0
	.set _ZN7rocprim17ROCPRIM_400000_NS6detail17trampoline_kernelINS0_14default_configENS1_22reduce_config_selectorIN6thrust23THRUST_200600_302600_NS5tupleIblNS6_9null_typeES8_S8_S8_S8_S8_S8_S8_EEEEZNS1_11reduce_implILb1ES3_PS9_SC_S9_NS6_11hip_rocprim9__find_if7functorIS9_EEEE10hipError_tPvRmT1_T2_T3_mT4_P12ihipStream_tbEUlT_E1_NS1_11comp_targetILNS1_3genE10ELNS1_11target_archE1200ELNS1_3gpuE4ELNS1_3repE0EEENS1_30default_config_static_selectorELNS0_4arch9wavefront6targetE0EEEvSK_.uses_vcc, 0
	.set _ZN7rocprim17ROCPRIM_400000_NS6detail17trampoline_kernelINS0_14default_configENS1_22reduce_config_selectorIN6thrust23THRUST_200600_302600_NS5tupleIblNS6_9null_typeES8_S8_S8_S8_S8_S8_S8_EEEEZNS1_11reduce_implILb1ES3_PS9_SC_S9_NS6_11hip_rocprim9__find_if7functorIS9_EEEE10hipError_tPvRmT1_T2_T3_mT4_P12ihipStream_tbEUlT_E1_NS1_11comp_targetILNS1_3genE10ELNS1_11target_archE1200ELNS1_3gpuE4ELNS1_3repE0EEENS1_30default_config_static_selectorELNS0_4arch9wavefront6targetE0EEEvSK_.uses_flat_scratch, 0
	.set _ZN7rocprim17ROCPRIM_400000_NS6detail17trampoline_kernelINS0_14default_configENS1_22reduce_config_selectorIN6thrust23THRUST_200600_302600_NS5tupleIblNS6_9null_typeES8_S8_S8_S8_S8_S8_S8_EEEEZNS1_11reduce_implILb1ES3_PS9_SC_S9_NS6_11hip_rocprim9__find_if7functorIS9_EEEE10hipError_tPvRmT1_T2_T3_mT4_P12ihipStream_tbEUlT_E1_NS1_11comp_targetILNS1_3genE10ELNS1_11target_archE1200ELNS1_3gpuE4ELNS1_3repE0EEENS1_30default_config_static_selectorELNS0_4arch9wavefront6targetE0EEEvSK_.has_dyn_sized_stack, 0
	.set _ZN7rocprim17ROCPRIM_400000_NS6detail17trampoline_kernelINS0_14default_configENS1_22reduce_config_selectorIN6thrust23THRUST_200600_302600_NS5tupleIblNS6_9null_typeES8_S8_S8_S8_S8_S8_S8_EEEEZNS1_11reduce_implILb1ES3_PS9_SC_S9_NS6_11hip_rocprim9__find_if7functorIS9_EEEE10hipError_tPvRmT1_T2_T3_mT4_P12ihipStream_tbEUlT_E1_NS1_11comp_targetILNS1_3genE10ELNS1_11target_archE1200ELNS1_3gpuE4ELNS1_3repE0EEENS1_30default_config_static_selectorELNS0_4arch9wavefront6targetE0EEEvSK_.has_recursion, 0
	.set _ZN7rocprim17ROCPRIM_400000_NS6detail17trampoline_kernelINS0_14default_configENS1_22reduce_config_selectorIN6thrust23THRUST_200600_302600_NS5tupleIblNS6_9null_typeES8_S8_S8_S8_S8_S8_S8_EEEEZNS1_11reduce_implILb1ES3_PS9_SC_S9_NS6_11hip_rocprim9__find_if7functorIS9_EEEE10hipError_tPvRmT1_T2_T3_mT4_P12ihipStream_tbEUlT_E1_NS1_11comp_targetILNS1_3genE10ELNS1_11target_archE1200ELNS1_3gpuE4ELNS1_3repE0EEENS1_30default_config_static_selectorELNS0_4arch9wavefront6targetE0EEEvSK_.has_indirect_call, 0
	.section	.AMDGPU.csdata,"",@progbits
; Kernel info:
; codeLenInByte = 0
; TotalNumSgprs: 0
; NumVgprs: 0
; ScratchSize: 0
; MemoryBound: 0
; FloatMode: 240
; IeeeMode: 1
; LDSByteSize: 0 bytes/workgroup (compile time only)
; SGPRBlocks: 0
; VGPRBlocks: 0
; NumSGPRsForWavesPerEU: 1
; NumVGPRsForWavesPerEU: 1
; Occupancy: 16
; WaveLimiterHint : 0
; COMPUTE_PGM_RSRC2:SCRATCH_EN: 0
; COMPUTE_PGM_RSRC2:USER_SGPR: 6
; COMPUTE_PGM_RSRC2:TRAP_HANDLER: 0
; COMPUTE_PGM_RSRC2:TGID_X_EN: 1
; COMPUTE_PGM_RSRC2:TGID_Y_EN: 0
; COMPUTE_PGM_RSRC2:TGID_Z_EN: 0
; COMPUTE_PGM_RSRC2:TIDIG_COMP_CNT: 0
	.section	.text._ZN7rocprim17ROCPRIM_400000_NS6detail17trampoline_kernelINS0_14default_configENS1_22reduce_config_selectorIN6thrust23THRUST_200600_302600_NS5tupleIblNS6_9null_typeES8_S8_S8_S8_S8_S8_S8_EEEEZNS1_11reduce_implILb1ES3_PS9_SC_S9_NS6_11hip_rocprim9__find_if7functorIS9_EEEE10hipError_tPvRmT1_T2_T3_mT4_P12ihipStream_tbEUlT_E1_NS1_11comp_targetILNS1_3genE9ELNS1_11target_archE1100ELNS1_3gpuE3ELNS1_3repE0EEENS1_30default_config_static_selectorELNS0_4arch9wavefront6targetE0EEEvSK_,"axG",@progbits,_ZN7rocprim17ROCPRIM_400000_NS6detail17trampoline_kernelINS0_14default_configENS1_22reduce_config_selectorIN6thrust23THRUST_200600_302600_NS5tupleIblNS6_9null_typeES8_S8_S8_S8_S8_S8_S8_EEEEZNS1_11reduce_implILb1ES3_PS9_SC_S9_NS6_11hip_rocprim9__find_if7functorIS9_EEEE10hipError_tPvRmT1_T2_T3_mT4_P12ihipStream_tbEUlT_E1_NS1_11comp_targetILNS1_3genE9ELNS1_11target_archE1100ELNS1_3gpuE3ELNS1_3repE0EEENS1_30default_config_static_selectorELNS0_4arch9wavefront6targetE0EEEvSK_,comdat
	.protected	_ZN7rocprim17ROCPRIM_400000_NS6detail17trampoline_kernelINS0_14default_configENS1_22reduce_config_selectorIN6thrust23THRUST_200600_302600_NS5tupleIblNS6_9null_typeES8_S8_S8_S8_S8_S8_S8_EEEEZNS1_11reduce_implILb1ES3_PS9_SC_S9_NS6_11hip_rocprim9__find_if7functorIS9_EEEE10hipError_tPvRmT1_T2_T3_mT4_P12ihipStream_tbEUlT_E1_NS1_11comp_targetILNS1_3genE9ELNS1_11target_archE1100ELNS1_3gpuE3ELNS1_3repE0EEENS1_30default_config_static_selectorELNS0_4arch9wavefront6targetE0EEEvSK_ ; -- Begin function _ZN7rocprim17ROCPRIM_400000_NS6detail17trampoline_kernelINS0_14default_configENS1_22reduce_config_selectorIN6thrust23THRUST_200600_302600_NS5tupleIblNS6_9null_typeES8_S8_S8_S8_S8_S8_S8_EEEEZNS1_11reduce_implILb1ES3_PS9_SC_S9_NS6_11hip_rocprim9__find_if7functorIS9_EEEE10hipError_tPvRmT1_T2_T3_mT4_P12ihipStream_tbEUlT_E1_NS1_11comp_targetILNS1_3genE9ELNS1_11target_archE1100ELNS1_3gpuE3ELNS1_3repE0EEENS1_30default_config_static_selectorELNS0_4arch9wavefront6targetE0EEEvSK_
	.globl	_ZN7rocprim17ROCPRIM_400000_NS6detail17trampoline_kernelINS0_14default_configENS1_22reduce_config_selectorIN6thrust23THRUST_200600_302600_NS5tupleIblNS6_9null_typeES8_S8_S8_S8_S8_S8_S8_EEEEZNS1_11reduce_implILb1ES3_PS9_SC_S9_NS6_11hip_rocprim9__find_if7functorIS9_EEEE10hipError_tPvRmT1_T2_T3_mT4_P12ihipStream_tbEUlT_E1_NS1_11comp_targetILNS1_3genE9ELNS1_11target_archE1100ELNS1_3gpuE3ELNS1_3repE0EEENS1_30default_config_static_selectorELNS0_4arch9wavefront6targetE0EEEvSK_
	.p2align	8
	.type	_ZN7rocprim17ROCPRIM_400000_NS6detail17trampoline_kernelINS0_14default_configENS1_22reduce_config_selectorIN6thrust23THRUST_200600_302600_NS5tupleIblNS6_9null_typeES8_S8_S8_S8_S8_S8_S8_EEEEZNS1_11reduce_implILb1ES3_PS9_SC_S9_NS6_11hip_rocprim9__find_if7functorIS9_EEEE10hipError_tPvRmT1_T2_T3_mT4_P12ihipStream_tbEUlT_E1_NS1_11comp_targetILNS1_3genE9ELNS1_11target_archE1100ELNS1_3gpuE3ELNS1_3repE0EEENS1_30default_config_static_selectorELNS0_4arch9wavefront6targetE0EEEvSK_,@function
_ZN7rocprim17ROCPRIM_400000_NS6detail17trampoline_kernelINS0_14default_configENS1_22reduce_config_selectorIN6thrust23THRUST_200600_302600_NS5tupleIblNS6_9null_typeES8_S8_S8_S8_S8_S8_S8_EEEEZNS1_11reduce_implILb1ES3_PS9_SC_S9_NS6_11hip_rocprim9__find_if7functorIS9_EEEE10hipError_tPvRmT1_T2_T3_mT4_P12ihipStream_tbEUlT_E1_NS1_11comp_targetILNS1_3genE9ELNS1_11target_archE1100ELNS1_3gpuE3ELNS1_3repE0EEENS1_30default_config_static_selectorELNS0_4arch9wavefront6targetE0EEEvSK_: ; @_ZN7rocprim17ROCPRIM_400000_NS6detail17trampoline_kernelINS0_14default_configENS1_22reduce_config_selectorIN6thrust23THRUST_200600_302600_NS5tupleIblNS6_9null_typeES8_S8_S8_S8_S8_S8_S8_EEEEZNS1_11reduce_implILb1ES3_PS9_SC_S9_NS6_11hip_rocprim9__find_if7functorIS9_EEEE10hipError_tPvRmT1_T2_T3_mT4_P12ihipStream_tbEUlT_E1_NS1_11comp_targetILNS1_3genE9ELNS1_11target_archE1100ELNS1_3gpuE3ELNS1_3repE0EEENS1_30default_config_static_selectorELNS0_4arch9wavefront6targetE0EEEvSK_
; %bb.0:
	.section	.rodata,"a",@progbits
	.p2align	6, 0x0
	.amdhsa_kernel _ZN7rocprim17ROCPRIM_400000_NS6detail17trampoline_kernelINS0_14default_configENS1_22reduce_config_selectorIN6thrust23THRUST_200600_302600_NS5tupleIblNS6_9null_typeES8_S8_S8_S8_S8_S8_S8_EEEEZNS1_11reduce_implILb1ES3_PS9_SC_S9_NS6_11hip_rocprim9__find_if7functorIS9_EEEE10hipError_tPvRmT1_T2_T3_mT4_P12ihipStream_tbEUlT_E1_NS1_11comp_targetILNS1_3genE9ELNS1_11target_archE1100ELNS1_3gpuE3ELNS1_3repE0EEENS1_30default_config_static_selectorELNS0_4arch9wavefront6targetE0EEEvSK_
		.amdhsa_group_segment_fixed_size 0
		.amdhsa_private_segment_fixed_size 0
		.amdhsa_kernarg_size 56
		.amdhsa_user_sgpr_count 6
		.amdhsa_user_sgpr_private_segment_buffer 1
		.amdhsa_user_sgpr_dispatch_ptr 0
		.amdhsa_user_sgpr_queue_ptr 0
		.amdhsa_user_sgpr_kernarg_segment_ptr 1
		.amdhsa_user_sgpr_dispatch_id 0
		.amdhsa_user_sgpr_flat_scratch_init 0
		.amdhsa_user_sgpr_private_segment_size 0
		.amdhsa_wavefront_size32 1
		.amdhsa_uses_dynamic_stack 0
		.amdhsa_system_sgpr_private_segment_wavefront_offset 0
		.amdhsa_system_sgpr_workgroup_id_x 1
		.amdhsa_system_sgpr_workgroup_id_y 0
		.amdhsa_system_sgpr_workgroup_id_z 0
		.amdhsa_system_sgpr_workgroup_info 0
		.amdhsa_system_vgpr_workitem_id 0
		.amdhsa_next_free_vgpr 1
		.amdhsa_next_free_sgpr 1
		.amdhsa_reserve_vcc 0
		.amdhsa_reserve_flat_scratch 0
		.amdhsa_float_round_mode_32 0
		.amdhsa_float_round_mode_16_64 0
		.amdhsa_float_denorm_mode_32 3
		.amdhsa_float_denorm_mode_16_64 3
		.amdhsa_dx10_clamp 1
		.amdhsa_ieee_mode 1
		.amdhsa_fp16_overflow 0
		.amdhsa_workgroup_processor_mode 1
		.amdhsa_memory_ordered 1
		.amdhsa_forward_progress 1
		.amdhsa_shared_vgpr_count 0
		.amdhsa_exception_fp_ieee_invalid_op 0
		.amdhsa_exception_fp_denorm_src 0
		.amdhsa_exception_fp_ieee_div_zero 0
		.amdhsa_exception_fp_ieee_overflow 0
		.amdhsa_exception_fp_ieee_underflow 0
		.amdhsa_exception_fp_ieee_inexact 0
		.amdhsa_exception_int_div_zero 0
	.end_amdhsa_kernel
	.section	.text._ZN7rocprim17ROCPRIM_400000_NS6detail17trampoline_kernelINS0_14default_configENS1_22reduce_config_selectorIN6thrust23THRUST_200600_302600_NS5tupleIblNS6_9null_typeES8_S8_S8_S8_S8_S8_S8_EEEEZNS1_11reduce_implILb1ES3_PS9_SC_S9_NS6_11hip_rocprim9__find_if7functorIS9_EEEE10hipError_tPvRmT1_T2_T3_mT4_P12ihipStream_tbEUlT_E1_NS1_11comp_targetILNS1_3genE9ELNS1_11target_archE1100ELNS1_3gpuE3ELNS1_3repE0EEENS1_30default_config_static_selectorELNS0_4arch9wavefront6targetE0EEEvSK_,"axG",@progbits,_ZN7rocprim17ROCPRIM_400000_NS6detail17trampoline_kernelINS0_14default_configENS1_22reduce_config_selectorIN6thrust23THRUST_200600_302600_NS5tupleIblNS6_9null_typeES8_S8_S8_S8_S8_S8_S8_EEEEZNS1_11reduce_implILb1ES3_PS9_SC_S9_NS6_11hip_rocprim9__find_if7functorIS9_EEEE10hipError_tPvRmT1_T2_T3_mT4_P12ihipStream_tbEUlT_E1_NS1_11comp_targetILNS1_3genE9ELNS1_11target_archE1100ELNS1_3gpuE3ELNS1_3repE0EEENS1_30default_config_static_selectorELNS0_4arch9wavefront6targetE0EEEvSK_,comdat
.Lfunc_end466:
	.size	_ZN7rocprim17ROCPRIM_400000_NS6detail17trampoline_kernelINS0_14default_configENS1_22reduce_config_selectorIN6thrust23THRUST_200600_302600_NS5tupleIblNS6_9null_typeES8_S8_S8_S8_S8_S8_S8_EEEEZNS1_11reduce_implILb1ES3_PS9_SC_S9_NS6_11hip_rocprim9__find_if7functorIS9_EEEE10hipError_tPvRmT1_T2_T3_mT4_P12ihipStream_tbEUlT_E1_NS1_11comp_targetILNS1_3genE9ELNS1_11target_archE1100ELNS1_3gpuE3ELNS1_3repE0EEENS1_30default_config_static_selectorELNS0_4arch9wavefront6targetE0EEEvSK_, .Lfunc_end466-_ZN7rocprim17ROCPRIM_400000_NS6detail17trampoline_kernelINS0_14default_configENS1_22reduce_config_selectorIN6thrust23THRUST_200600_302600_NS5tupleIblNS6_9null_typeES8_S8_S8_S8_S8_S8_S8_EEEEZNS1_11reduce_implILb1ES3_PS9_SC_S9_NS6_11hip_rocprim9__find_if7functorIS9_EEEE10hipError_tPvRmT1_T2_T3_mT4_P12ihipStream_tbEUlT_E1_NS1_11comp_targetILNS1_3genE9ELNS1_11target_archE1100ELNS1_3gpuE3ELNS1_3repE0EEENS1_30default_config_static_selectorELNS0_4arch9wavefront6targetE0EEEvSK_
                                        ; -- End function
	.set _ZN7rocprim17ROCPRIM_400000_NS6detail17trampoline_kernelINS0_14default_configENS1_22reduce_config_selectorIN6thrust23THRUST_200600_302600_NS5tupleIblNS6_9null_typeES8_S8_S8_S8_S8_S8_S8_EEEEZNS1_11reduce_implILb1ES3_PS9_SC_S9_NS6_11hip_rocprim9__find_if7functorIS9_EEEE10hipError_tPvRmT1_T2_T3_mT4_P12ihipStream_tbEUlT_E1_NS1_11comp_targetILNS1_3genE9ELNS1_11target_archE1100ELNS1_3gpuE3ELNS1_3repE0EEENS1_30default_config_static_selectorELNS0_4arch9wavefront6targetE0EEEvSK_.num_vgpr, 0
	.set _ZN7rocprim17ROCPRIM_400000_NS6detail17trampoline_kernelINS0_14default_configENS1_22reduce_config_selectorIN6thrust23THRUST_200600_302600_NS5tupleIblNS6_9null_typeES8_S8_S8_S8_S8_S8_S8_EEEEZNS1_11reduce_implILb1ES3_PS9_SC_S9_NS6_11hip_rocprim9__find_if7functorIS9_EEEE10hipError_tPvRmT1_T2_T3_mT4_P12ihipStream_tbEUlT_E1_NS1_11comp_targetILNS1_3genE9ELNS1_11target_archE1100ELNS1_3gpuE3ELNS1_3repE0EEENS1_30default_config_static_selectorELNS0_4arch9wavefront6targetE0EEEvSK_.num_agpr, 0
	.set _ZN7rocprim17ROCPRIM_400000_NS6detail17trampoline_kernelINS0_14default_configENS1_22reduce_config_selectorIN6thrust23THRUST_200600_302600_NS5tupleIblNS6_9null_typeES8_S8_S8_S8_S8_S8_S8_EEEEZNS1_11reduce_implILb1ES3_PS9_SC_S9_NS6_11hip_rocprim9__find_if7functorIS9_EEEE10hipError_tPvRmT1_T2_T3_mT4_P12ihipStream_tbEUlT_E1_NS1_11comp_targetILNS1_3genE9ELNS1_11target_archE1100ELNS1_3gpuE3ELNS1_3repE0EEENS1_30default_config_static_selectorELNS0_4arch9wavefront6targetE0EEEvSK_.numbered_sgpr, 0
	.set _ZN7rocprim17ROCPRIM_400000_NS6detail17trampoline_kernelINS0_14default_configENS1_22reduce_config_selectorIN6thrust23THRUST_200600_302600_NS5tupleIblNS6_9null_typeES8_S8_S8_S8_S8_S8_S8_EEEEZNS1_11reduce_implILb1ES3_PS9_SC_S9_NS6_11hip_rocprim9__find_if7functorIS9_EEEE10hipError_tPvRmT1_T2_T3_mT4_P12ihipStream_tbEUlT_E1_NS1_11comp_targetILNS1_3genE9ELNS1_11target_archE1100ELNS1_3gpuE3ELNS1_3repE0EEENS1_30default_config_static_selectorELNS0_4arch9wavefront6targetE0EEEvSK_.num_named_barrier, 0
	.set _ZN7rocprim17ROCPRIM_400000_NS6detail17trampoline_kernelINS0_14default_configENS1_22reduce_config_selectorIN6thrust23THRUST_200600_302600_NS5tupleIblNS6_9null_typeES8_S8_S8_S8_S8_S8_S8_EEEEZNS1_11reduce_implILb1ES3_PS9_SC_S9_NS6_11hip_rocprim9__find_if7functorIS9_EEEE10hipError_tPvRmT1_T2_T3_mT4_P12ihipStream_tbEUlT_E1_NS1_11comp_targetILNS1_3genE9ELNS1_11target_archE1100ELNS1_3gpuE3ELNS1_3repE0EEENS1_30default_config_static_selectorELNS0_4arch9wavefront6targetE0EEEvSK_.private_seg_size, 0
	.set _ZN7rocprim17ROCPRIM_400000_NS6detail17trampoline_kernelINS0_14default_configENS1_22reduce_config_selectorIN6thrust23THRUST_200600_302600_NS5tupleIblNS6_9null_typeES8_S8_S8_S8_S8_S8_S8_EEEEZNS1_11reduce_implILb1ES3_PS9_SC_S9_NS6_11hip_rocprim9__find_if7functorIS9_EEEE10hipError_tPvRmT1_T2_T3_mT4_P12ihipStream_tbEUlT_E1_NS1_11comp_targetILNS1_3genE9ELNS1_11target_archE1100ELNS1_3gpuE3ELNS1_3repE0EEENS1_30default_config_static_selectorELNS0_4arch9wavefront6targetE0EEEvSK_.uses_vcc, 0
	.set _ZN7rocprim17ROCPRIM_400000_NS6detail17trampoline_kernelINS0_14default_configENS1_22reduce_config_selectorIN6thrust23THRUST_200600_302600_NS5tupleIblNS6_9null_typeES8_S8_S8_S8_S8_S8_S8_EEEEZNS1_11reduce_implILb1ES3_PS9_SC_S9_NS6_11hip_rocprim9__find_if7functorIS9_EEEE10hipError_tPvRmT1_T2_T3_mT4_P12ihipStream_tbEUlT_E1_NS1_11comp_targetILNS1_3genE9ELNS1_11target_archE1100ELNS1_3gpuE3ELNS1_3repE0EEENS1_30default_config_static_selectorELNS0_4arch9wavefront6targetE0EEEvSK_.uses_flat_scratch, 0
	.set _ZN7rocprim17ROCPRIM_400000_NS6detail17trampoline_kernelINS0_14default_configENS1_22reduce_config_selectorIN6thrust23THRUST_200600_302600_NS5tupleIblNS6_9null_typeES8_S8_S8_S8_S8_S8_S8_EEEEZNS1_11reduce_implILb1ES3_PS9_SC_S9_NS6_11hip_rocprim9__find_if7functorIS9_EEEE10hipError_tPvRmT1_T2_T3_mT4_P12ihipStream_tbEUlT_E1_NS1_11comp_targetILNS1_3genE9ELNS1_11target_archE1100ELNS1_3gpuE3ELNS1_3repE0EEENS1_30default_config_static_selectorELNS0_4arch9wavefront6targetE0EEEvSK_.has_dyn_sized_stack, 0
	.set _ZN7rocprim17ROCPRIM_400000_NS6detail17trampoline_kernelINS0_14default_configENS1_22reduce_config_selectorIN6thrust23THRUST_200600_302600_NS5tupleIblNS6_9null_typeES8_S8_S8_S8_S8_S8_S8_EEEEZNS1_11reduce_implILb1ES3_PS9_SC_S9_NS6_11hip_rocprim9__find_if7functorIS9_EEEE10hipError_tPvRmT1_T2_T3_mT4_P12ihipStream_tbEUlT_E1_NS1_11comp_targetILNS1_3genE9ELNS1_11target_archE1100ELNS1_3gpuE3ELNS1_3repE0EEENS1_30default_config_static_selectorELNS0_4arch9wavefront6targetE0EEEvSK_.has_recursion, 0
	.set _ZN7rocprim17ROCPRIM_400000_NS6detail17trampoline_kernelINS0_14default_configENS1_22reduce_config_selectorIN6thrust23THRUST_200600_302600_NS5tupleIblNS6_9null_typeES8_S8_S8_S8_S8_S8_S8_EEEEZNS1_11reduce_implILb1ES3_PS9_SC_S9_NS6_11hip_rocprim9__find_if7functorIS9_EEEE10hipError_tPvRmT1_T2_T3_mT4_P12ihipStream_tbEUlT_E1_NS1_11comp_targetILNS1_3genE9ELNS1_11target_archE1100ELNS1_3gpuE3ELNS1_3repE0EEENS1_30default_config_static_selectorELNS0_4arch9wavefront6targetE0EEEvSK_.has_indirect_call, 0
	.section	.AMDGPU.csdata,"",@progbits
; Kernel info:
; codeLenInByte = 0
; TotalNumSgprs: 0
; NumVgprs: 0
; ScratchSize: 0
; MemoryBound: 0
; FloatMode: 240
; IeeeMode: 1
; LDSByteSize: 0 bytes/workgroup (compile time only)
; SGPRBlocks: 0
; VGPRBlocks: 0
; NumSGPRsForWavesPerEU: 1
; NumVGPRsForWavesPerEU: 1
; Occupancy: 16
; WaveLimiterHint : 0
; COMPUTE_PGM_RSRC2:SCRATCH_EN: 0
; COMPUTE_PGM_RSRC2:USER_SGPR: 6
; COMPUTE_PGM_RSRC2:TRAP_HANDLER: 0
; COMPUTE_PGM_RSRC2:TGID_X_EN: 1
; COMPUTE_PGM_RSRC2:TGID_Y_EN: 0
; COMPUTE_PGM_RSRC2:TGID_Z_EN: 0
; COMPUTE_PGM_RSRC2:TIDIG_COMP_CNT: 0
	.section	.text._ZN7rocprim17ROCPRIM_400000_NS6detail17trampoline_kernelINS0_14default_configENS1_22reduce_config_selectorIN6thrust23THRUST_200600_302600_NS5tupleIblNS6_9null_typeES8_S8_S8_S8_S8_S8_S8_EEEEZNS1_11reduce_implILb1ES3_PS9_SC_S9_NS6_11hip_rocprim9__find_if7functorIS9_EEEE10hipError_tPvRmT1_T2_T3_mT4_P12ihipStream_tbEUlT_E1_NS1_11comp_targetILNS1_3genE8ELNS1_11target_archE1030ELNS1_3gpuE2ELNS1_3repE0EEENS1_30default_config_static_selectorELNS0_4arch9wavefront6targetE0EEEvSK_,"axG",@progbits,_ZN7rocprim17ROCPRIM_400000_NS6detail17trampoline_kernelINS0_14default_configENS1_22reduce_config_selectorIN6thrust23THRUST_200600_302600_NS5tupleIblNS6_9null_typeES8_S8_S8_S8_S8_S8_S8_EEEEZNS1_11reduce_implILb1ES3_PS9_SC_S9_NS6_11hip_rocprim9__find_if7functorIS9_EEEE10hipError_tPvRmT1_T2_T3_mT4_P12ihipStream_tbEUlT_E1_NS1_11comp_targetILNS1_3genE8ELNS1_11target_archE1030ELNS1_3gpuE2ELNS1_3repE0EEENS1_30default_config_static_selectorELNS0_4arch9wavefront6targetE0EEEvSK_,comdat
	.protected	_ZN7rocprim17ROCPRIM_400000_NS6detail17trampoline_kernelINS0_14default_configENS1_22reduce_config_selectorIN6thrust23THRUST_200600_302600_NS5tupleIblNS6_9null_typeES8_S8_S8_S8_S8_S8_S8_EEEEZNS1_11reduce_implILb1ES3_PS9_SC_S9_NS6_11hip_rocprim9__find_if7functorIS9_EEEE10hipError_tPvRmT1_T2_T3_mT4_P12ihipStream_tbEUlT_E1_NS1_11comp_targetILNS1_3genE8ELNS1_11target_archE1030ELNS1_3gpuE2ELNS1_3repE0EEENS1_30default_config_static_selectorELNS0_4arch9wavefront6targetE0EEEvSK_ ; -- Begin function _ZN7rocprim17ROCPRIM_400000_NS6detail17trampoline_kernelINS0_14default_configENS1_22reduce_config_selectorIN6thrust23THRUST_200600_302600_NS5tupleIblNS6_9null_typeES8_S8_S8_S8_S8_S8_S8_EEEEZNS1_11reduce_implILb1ES3_PS9_SC_S9_NS6_11hip_rocprim9__find_if7functorIS9_EEEE10hipError_tPvRmT1_T2_T3_mT4_P12ihipStream_tbEUlT_E1_NS1_11comp_targetILNS1_3genE8ELNS1_11target_archE1030ELNS1_3gpuE2ELNS1_3repE0EEENS1_30default_config_static_selectorELNS0_4arch9wavefront6targetE0EEEvSK_
	.globl	_ZN7rocprim17ROCPRIM_400000_NS6detail17trampoline_kernelINS0_14default_configENS1_22reduce_config_selectorIN6thrust23THRUST_200600_302600_NS5tupleIblNS6_9null_typeES8_S8_S8_S8_S8_S8_S8_EEEEZNS1_11reduce_implILb1ES3_PS9_SC_S9_NS6_11hip_rocprim9__find_if7functorIS9_EEEE10hipError_tPvRmT1_T2_T3_mT4_P12ihipStream_tbEUlT_E1_NS1_11comp_targetILNS1_3genE8ELNS1_11target_archE1030ELNS1_3gpuE2ELNS1_3repE0EEENS1_30default_config_static_selectorELNS0_4arch9wavefront6targetE0EEEvSK_
	.p2align	8
	.type	_ZN7rocprim17ROCPRIM_400000_NS6detail17trampoline_kernelINS0_14default_configENS1_22reduce_config_selectorIN6thrust23THRUST_200600_302600_NS5tupleIblNS6_9null_typeES8_S8_S8_S8_S8_S8_S8_EEEEZNS1_11reduce_implILb1ES3_PS9_SC_S9_NS6_11hip_rocprim9__find_if7functorIS9_EEEE10hipError_tPvRmT1_T2_T3_mT4_P12ihipStream_tbEUlT_E1_NS1_11comp_targetILNS1_3genE8ELNS1_11target_archE1030ELNS1_3gpuE2ELNS1_3repE0EEENS1_30default_config_static_selectorELNS0_4arch9wavefront6targetE0EEEvSK_,@function
_ZN7rocprim17ROCPRIM_400000_NS6detail17trampoline_kernelINS0_14default_configENS1_22reduce_config_selectorIN6thrust23THRUST_200600_302600_NS5tupleIblNS6_9null_typeES8_S8_S8_S8_S8_S8_S8_EEEEZNS1_11reduce_implILb1ES3_PS9_SC_S9_NS6_11hip_rocprim9__find_if7functorIS9_EEEE10hipError_tPvRmT1_T2_T3_mT4_P12ihipStream_tbEUlT_E1_NS1_11comp_targetILNS1_3genE8ELNS1_11target_archE1030ELNS1_3gpuE2ELNS1_3repE0EEENS1_30default_config_static_selectorELNS0_4arch9wavefront6targetE0EEEvSK_: ; @_ZN7rocprim17ROCPRIM_400000_NS6detail17trampoline_kernelINS0_14default_configENS1_22reduce_config_selectorIN6thrust23THRUST_200600_302600_NS5tupleIblNS6_9null_typeES8_S8_S8_S8_S8_S8_S8_EEEEZNS1_11reduce_implILb1ES3_PS9_SC_S9_NS6_11hip_rocprim9__find_if7functorIS9_EEEE10hipError_tPvRmT1_T2_T3_mT4_P12ihipStream_tbEUlT_E1_NS1_11comp_targetILNS1_3genE8ELNS1_11target_archE1030ELNS1_3gpuE2ELNS1_3repE0EEENS1_30default_config_static_selectorELNS0_4arch9wavefront6targetE0EEEvSK_
; %bb.0:
	s_clause 0x3
	s_load_dword s19, s[4:5], 0x4
	s_load_dwordx4 s[12:15], s[4:5], 0x8
	s_load_dword s18, s[4:5], 0x20
	s_load_dwordx2 s[16:17], s[4:5], 0x28
	s_waitcnt lgkmcnt(0)
	s_cmp_lt_i32 s19, 4
	s_cbranch_scc1 .LBB467_45
; %bb.1:
	s_cmp_gt_i32 s19, 7
	s_cbranch_scc0 .LBB467_46
; %bb.2:
	s_cmp_eq_u32 s19, 8
	s_mov_b32 s20, 0
	s_cbranch_scc0 .LBB467_47
; %bb.3:
	s_mov_b32 s7, 0
	s_lshl_b32 s2, s6, 11
	s_mov_b32 s3, s7
	s_lshr_b64 s[8:9], s[14:15], 11
	s_lshl_b64 s[0:1], s[2:3], 4
	s_add_u32 s10, s12, s0
	s_addc_u32 s11, s13, s1
	s_cmp_lg_u64 s[8:9], s[6:7]
	s_cbranch_scc0 .LBB467_76
; %bb.4:
	v_lshlrev_b32_e32 v7, 4, v0
	v_add_co_u32 v8, s0, s10, v7
	v_add_co_ci_u32_e64 v19, null, s11, 0, s0
	v_add_co_u32 v1, vcc_lo, 0x1000, v8
	v_add_co_ci_u32_e64 v2, null, 0, v19, vcc_lo
	v_add_co_u32 v3, vcc_lo, 0x2000, v8
	v_add_co_ci_u32_e64 v4, null, 0, v19, vcc_lo
	;; [unrolled: 2-line block ×3, first 2 shown]
	s_clause 0x7
	global_load_ubyte v25, v7, s[10:11]
	global_load_dwordx2 v[15:16], v7, s[10:11] offset:8
	global_load_ubyte v26, v[1:2], off
	global_load_dwordx2 v[17:18], v[1:2], off offset:8
	global_load_ubyte v24, v[3:4], off
	global_load_dwordx2 v[11:12], v[3:4], off offset:8
	global_load_ubyte v23, v[5:6], off
	global_load_dwordx2 v[9:10], v[5:6], off offset:8
	v_add_co_u32 v1, vcc_lo, 0x4000, v8
	v_add_co_ci_u32_e64 v2, null, 0, v19, vcc_lo
	v_add_co_u32 v3, vcc_lo, 0x5000, v8
	v_add_co_ci_u32_e64 v4, null, 0, v19, vcc_lo
	;; [unrolled: 2-line block ×4, first 2 shown]
	s_clause 0x7
	global_load_ubyte v22, v[1:2], off
	global_load_dwordx2 v[7:8], v[1:2], off offset:8
	global_load_ubyte v21, v[3:4], off
	global_load_dwordx2 v[5:6], v[3:4], off offset:8
	;; [unrolled: 2-line block ×4, first 2 shown]
	s_waitcnt vmcnt(13)
	v_and_b32_e32 v13, v26, v25
	v_and_b32_e32 v13, 1, v13
	v_cmp_eq_u32_e32 vcc_lo, 1, v13
                                        ; implicit-def: $vgpr13_vgpr14
	s_and_saveexec_b32 s0, vcc_lo
	s_xor_b32 s0, exec_lo, s0
	s_cbranch_execz .LBB467_6
; %bb.5:
	s_waitcnt vmcnt(12)
	v_cmp_lt_i64_e32 vcc_lo, v[17:18], v[15:16]
                                        ; implicit-def: $vgpr25
                                        ; implicit-def: $vgpr26
	v_cndmask_b32_e32 v14, v16, v18, vcc_lo
	v_cndmask_b32_e32 v13, v15, v17, vcc_lo
                                        ; implicit-def: $vgpr17_vgpr18
                                        ; implicit-def: $vgpr15_vgpr16
.LBB467_6:
	s_or_saveexec_b32 s0, s0
	s_mov_b32 s1, -1
	s_xor_b32 exec_lo, exec_lo, s0
	s_cbranch_execz .LBB467_8
; %bb.7:
	v_and_b32_e32 v13, 1, v25
	v_or_b32_e32 v14, v26, v25
	v_mov_b32_e32 v25, 0
	v_cmp_eq_u32_e32 vcc_lo, 1, v13
	v_cmp_ne_u16_sdwa s1, v14, v25 src0_sel:BYTE_0 src1_sel:DWORD
	s_waitcnt vmcnt(12)
	v_cndmask_b32_e32 v14, v18, v16, vcc_lo
	v_cndmask_b32_e32 v13, v17, v15, vcc_lo
	s_orn2_b32 s1, s1, exec_lo
.LBB467_8:
	s_or_b32 exec_lo, exec_lo, s0
	s_waitcnt vmcnt(11)
	v_and_b32_e32 v15, 1, v24
	v_cmp_eq_u32_e32 vcc_lo, 1, v15
                                        ; implicit-def: $vgpr15_vgpr16
	s_and_b32 s0, s1, vcc_lo
	s_xor_b32 s3, s0, -1
                                        ; implicit-def: $sgpr0
	s_and_saveexec_b32 s8, s3
	s_xor_b32 s3, exec_lo, s8
	s_cbranch_execz .LBB467_10
; %bb.9:
	s_waitcnt vmcnt(10)
	v_cndmask_b32_e64 v16, v12, v14, s1
	v_cndmask_b32_e64 v15, v11, v13, s1
	s_or_b32 s0, s1, vcc_lo
                                        ; implicit-def: $vgpr11_vgpr12
                                        ; implicit-def: $vgpr13_vgpr14
.LBB467_10:
	s_andn2_saveexec_b32 s1, s3
	s_cbranch_execz .LBB467_12
; %bb.11:
	s_waitcnt vmcnt(10)
	v_cmp_lt_i64_e32 vcc_lo, v[11:12], v[13:14]
	s_or_b32 s0, s0, exec_lo
	v_cndmask_b32_e32 v16, v14, v12, vcc_lo
	v_cndmask_b32_e32 v15, v13, v11, vcc_lo
.LBB467_12:
	s_or_b32 exec_lo, exec_lo, s1
	s_waitcnt vmcnt(9)
	v_and_b32_e32 v11, 1, v23
	v_cmp_eq_u32_e32 vcc_lo, 1, v11
                                        ; implicit-def: $vgpr11_vgpr12
	s_and_b32 s1, s0, vcc_lo
	s_xor_b32 s3, s1, -1
                                        ; implicit-def: $sgpr1
	s_and_saveexec_b32 s8, s3
	s_xor_b32 s3, exec_lo, s8
	s_cbranch_execz .LBB467_14
; %bb.13:
	s_waitcnt vmcnt(8)
	v_cndmask_b32_e64 v12, v10, v16, s0
	v_cndmask_b32_e64 v11, v9, v15, s0
	s_or_b32 s1, s0, vcc_lo
                                        ; implicit-def: $vgpr9_vgpr10
                                        ; implicit-def: $vgpr15_vgpr16
.LBB467_14:
	s_andn2_saveexec_b32 s0, s3
	s_cbranch_execz .LBB467_16
; %bb.15:
	s_waitcnt vmcnt(8)
	v_cmp_lt_i64_e32 vcc_lo, v[9:10], v[15:16]
	s_or_b32 s1, s1, exec_lo
	v_cndmask_b32_e32 v12, v16, v10, vcc_lo
	v_cndmask_b32_e32 v11, v15, v9, vcc_lo
.LBB467_16:
	s_or_b32 exec_lo, exec_lo, s0
	s_waitcnt vmcnt(7)
	v_and_b32_e32 v9, 1, v22
	v_cmp_eq_u32_e32 vcc_lo, 1, v9
                                        ; implicit-def: $vgpr9_vgpr10
	s_and_b32 s0, s1, vcc_lo
	s_xor_b32 s3, s0, -1
                                        ; implicit-def: $sgpr0
	s_and_saveexec_b32 s8, s3
	s_xor_b32 s3, exec_lo, s8
	s_cbranch_execz .LBB467_18
; %bb.17:
	s_waitcnt vmcnt(6)
	v_cndmask_b32_e64 v10, v8, v12, s1
	v_cndmask_b32_e64 v9, v7, v11, s1
	s_or_b32 s0, s1, vcc_lo
                                        ; implicit-def: $vgpr7_vgpr8
                                        ; implicit-def: $vgpr11_vgpr12
.LBB467_18:
	s_andn2_saveexec_b32 s1, s3
	s_cbranch_execz .LBB467_20
; %bb.19:
	s_waitcnt vmcnt(6)
	v_cmp_lt_i64_e32 vcc_lo, v[7:8], v[11:12]
	s_or_b32 s0, s0, exec_lo
	v_cndmask_b32_e32 v10, v12, v8, vcc_lo
	v_cndmask_b32_e32 v9, v11, v7, vcc_lo
.LBB467_20:
	s_or_b32 exec_lo, exec_lo, s1
	s_waitcnt vmcnt(5)
	v_and_b32_e32 v7, 1, v21
	v_cmp_eq_u32_e32 vcc_lo, 1, v7
                                        ; implicit-def: $vgpr7_vgpr8
	s_and_b32 s1, s0, vcc_lo
	s_xor_b32 s3, s1, -1
                                        ; implicit-def: $sgpr1
	s_and_saveexec_b32 s8, s3
	s_xor_b32 s3, exec_lo, s8
	s_cbranch_execz .LBB467_22
; %bb.21:
	s_waitcnt vmcnt(4)
	v_cndmask_b32_e64 v8, v6, v10, s0
	v_cndmask_b32_e64 v7, v5, v9, s0
	s_or_b32 s1, s0, vcc_lo
                                        ; implicit-def: $vgpr5_vgpr6
                                        ; implicit-def: $vgpr9_vgpr10
.LBB467_22:
	s_andn2_saveexec_b32 s0, s3
	s_cbranch_execz .LBB467_24
; %bb.23:
	s_waitcnt vmcnt(4)
	v_cmp_lt_i64_e32 vcc_lo, v[5:6], v[9:10]
	s_or_b32 s1, s1, exec_lo
	v_cndmask_b32_e32 v8, v10, v6, vcc_lo
	v_cndmask_b32_e32 v7, v9, v5, vcc_lo
.LBB467_24:
	s_or_b32 exec_lo, exec_lo, s0
	s_waitcnt vmcnt(3)
	v_and_b32_e32 v5, 1, v20
                                        ; implicit-def: $sgpr3
	v_cmp_eq_u32_e32 vcc_lo, 1, v5
                                        ; implicit-def: $vgpr5_vgpr6
	s_and_b32 s0, s1, vcc_lo
	s_xor_b32 s0, s0, -1
	s_and_saveexec_b32 s8, s0
	s_xor_b32 s0, exec_lo, s8
	s_cbranch_execz .LBB467_26
; %bb.25:
	s_waitcnt vmcnt(2)
	v_cndmask_b32_e64 v6, v4, v8, s1
	v_cndmask_b32_e64 v5, v3, v7, s1
	s_or_b32 s3, s1, vcc_lo
                                        ; implicit-def: $vgpr3_vgpr4
                                        ; implicit-def: $vgpr7_vgpr8
.LBB467_26:
	s_andn2_saveexec_b32 s0, s0
	s_cbranch_execz .LBB467_28
; %bb.27:
	s_waitcnt vmcnt(2)
	v_cmp_lt_i64_e32 vcc_lo, v[3:4], v[7:8]
	s_or_b32 s3, s3, exec_lo
	v_cndmask_b32_e32 v6, v8, v4, vcc_lo
	v_cndmask_b32_e32 v5, v7, v3, vcc_lo
.LBB467_28:
	s_or_b32 exec_lo, exec_lo, s0
	s_waitcnt vmcnt(1)
	v_and_b32_e32 v3, 1, v19
	s_waitcnt vmcnt(0)
	v_cmp_lt_i64_e32 vcc_lo, v[1:2], v[5:6]
	v_cmp_eq_u32_e64 s0, 1, v3
	s_and_b32 vcc_lo, s0, vcc_lo
	v_cndmask_b32_e32 v3, v5, v1, vcc_lo
	v_cndmask_b32_e32 v4, v6, v2, vcc_lo
	v_cndmask_b32_e64 v5, v19, 1, s3
	v_cndmask_b32_e64 v1, v1, v3, s3
	;; [unrolled: 1-line block ×3, first 2 shown]
	v_and_b32_e32 v6, 0xff, v5
	v_and_b32_e32 v5, 1, v5
	v_mov_b32_dpp v3, v1 quad_perm:[1,0,3,2] row_mask:0xf bank_mask:0xf
	v_mov_b32_dpp v4, v2 quad_perm:[1,0,3,2] row_mask:0xf bank_mask:0xf
	;; [unrolled: 1-line block ×3, first 2 shown]
	v_cmp_eq_u32_e64 s0, 1, v5
	v_cmp_lt_i64_e32 vcc_lo, v[1:2], v[3:4]
	v_and_b32_e32 v5, 1, v7
	s_and_b32 vcc_lo, s0, vcc_lo
	v_cndmask_b32_e32 v3, v3, v1, vcc_lo
	v_cndmask_b32_e32 v4, v4, v2, vcc_lo
	v_cmp_eq_u32_e32 vcc_lo, 1, v5
	v_cndmask_b32_e32 v2, v2, v4, vcc_lo
	v_cndmask_b32_e32 v1, v1, v3, vcc_lo
	v_cndmask_b32_e64 v5, v6, 1, vcc_lo
	v_mov_b32_dpp v4, v2 quad_perm:[2,3,0,1] row_mask:0xf bank_mask:0xf
	v_mov_b32_dpp v3, v1 quad_perm:[2,3,0,1] row_mask:0xf bank_mask:0xf
	v_and_b32_e32 v7, 1, v5
	v_mov_b32_dpp v6, v5 quad_perm:[2,3,0,1] row_mask:0xf bank_mask:0xf
	v_cmp_lt_i64_e32 vcc_lo, v[1:2], v[3:4]
	v_cmp_eq_u32_e64 s0, 1, v7
	v_and_b32_e32 v6, 1, v6
	s_and_b32 vcc_lo, s0, vcc_lo
	v_cmp_eq_u32_e64 s1, 1, v6
	v_cndmask_b32_e32 v3, v3, v1, vcc_lo
	v_cndmask_b32_e32 v4, v4, v2, vcc_lo
	v_cndmask_b32_e64 v5, v5, 1, s1
	v_cndmask_b32_e64 v1, v1, v3, s1
	;; [unrolled: 1-line block ×3, first 2 shown]
	v_and_b32_e32 v7, 1, v5
	v_mov_b32_dpp v3, v1 row_ror:4 row_mask:0xf bank_mask:0xf
	v_mov_b32_dpp v4, v2 row_ror:4 row_mask:0xf bank_mask:0xf
	v_mov_b32_dpp v6, v5 row_ror:4 row_mask:0xf bank_mask:0xf
	v_cmp_eq_u32_e64 s0, 1, v7
	v_cmp_lt_i64_e32 vcc_lo, v[1:2], v[3:4]
	v_and_b32_e32 v6, 1, v6
	s_and_b32 vcc_lo, s0, vcc_lo
	v_cmp_eq_u32_e64 s1, 1, v6
	v_cndmask_b32_e32 v3, v3, v1, vcc_lo
	v_cndmask_b32_e32 v4, v4, v2, vcc_lo
	v_cndmask_b32_e64 v5, v5, 1, s1
	v_cndmask_b32_e64 v1, v1, v3, s1
	;; [unrolled: 1-line block ×3, first 2 shown]
	v_and_b32_e32 v7, 1, v5
	v_mov_b32_dpp v3, v1 row_ror:8 row_mask:0xf bank_mask:0xf
	v_mov_b32_dpp v4, v2 row_ror:8 row_mask:0xf bank_mask:0xf
	;; [unrolled: 1-line block ×3, first 2 shown]
	v_cmp_eq_u32_e64 s0, 1, v7
	v_cmp_lt_i64_e32 vcc_lo, v[1:2], v[3:4]
	v_and_b32_e32 v6, 1, v6
	s_and_b32 vcc_lo, s0, vcc_lo
	v_cmp_eq_u32_e64 s1, 1, v6
	v_cndmask_b32_e32 v3, v3, v1, vcc_lo
	v_cndmask_b32_e32 v4, v4, v2, vcc_lo
	v_cndmask_b32_e64 v5, v5, 1, s1
	v_cndmask_b32_e64 v1, v1, v3, s1
	;; [unrolled: 1-line block ×3, first 2 shown]
	ds_swizzle_b32 v6, v5 offset:swizzle(BROADCAST,32,15)
	ds_swizzle_b32 v3, v1 offset:swizzle(BROADCAST,32,15)
	;; [unrolled: 1-line block ×3, first 2 shown]
	v_and_b32_e32 v7, 1, v5
	v_cmp_eq_u32_e64 s0, 1, v7
	v_mbcnt_lo_u32_b32 v7, -1, 0
	s_waitcnt lgkmcnt(2)
	v_and_b32_e32 v6, 1, v6
	s_waitcnt lgkmcnt(0)
	v_cmp_lt_i64_e32 vcc_lo, v[1:2], v[3:4]
	v_cmp_eq_u32_e64 s1, 1, v6
	v_mov_b32_e32 v6, 0
	s_and_b32 vcc_lo, s0, vcc_lo
	s_mov_b32 s0, exec_lo
	v_cndmask_b32_e32 v3, v3, v1, vcc_lo
	v_cndmask_b32_e32 v4, v4, v2, vcc_lo
	v_cndmask_b32_e64 v5, v5, 1, s1
	v_cndmask_b32_e64 v1, v1, v3, s1
	;; [unrolled: 1-line block ×3, first 2 shown]
	ds_bpermute_b32 v17, v6, v5 offset:124
	ds_bpermute_b32 v1, v6, v1 offset:124
	ds_bpermute_b32 v2, v6, v2 offset:124
	v_cmpx_eq_u32_e32 0, v7
	s_xor_b32 s0, exec_lo, s0
	s_cbranch_execz .LBB467_30
; %bb.29:
	v_lshrrev_b32_e32 v3, 1, v0
	v_and_b32_e32 v3, 0x70, v3
	s_waitcnt lgkmcnt(2)
	ds_write_b8 v3, v17 offset:384
	s_waitcnt lgkmcnt(1)
	ds_write_b64 v3, v[1:2] offset:392
.LBB467_30:
	s_or_b32 exec_lo, exec_lo, s0
	s_mov_b32 s0, exec_lo
	s_waitcnt lgkmcnt(0)
	s_barrier
	buffer_gl0_inv
	v_cmpx_gt_u32_e32 32, v0
	s_cbranch_execz .LBB467_44
; %bb.31:
	v_and_b32_e32 v8, 7, v7
	v_lshlrev_b32_e32 v1, 4, v8
	v_cmp_ne_u32_e32 vcc_lo, 7, v8
	ds_read_u8 v10, v1 offset:384
	ds_read_b64 v[3:4], v1 offset:392
	v_add_co_ci_u32_e64 v2, null, 0, v7, vcc_lo
	v_lshlrev_b32_e32 v2, 2, v2
	s_waitcnt lgkmcnt(1)
	v_and_b32_e32 v1, 0xff, v10
	s_waitcnt lgkmcnt(0)
	ds_bpermute_b32 v5, v2, v3
	ds_bpermute_b32 v6, v2, v4
	;; [unrolled: 1-line block ×3, first 2 shown]
	s_waitcnt lgkmcnt(0)
	v_and_b32_e32 v1, v10, v11
	v_and_b32_e32 v1, 1, v1
	v_cmp_eq_u32_e32 vcc_lo, 1, v1
                                        ; implicit-def: $vgpr1_vgpr2
	s_and_saveexec_b32 s1, vcc_lo
	s_xor_b32 s1, exec_lo, s1
; %bb.32:
	v_cmp_lt_i64_e32 vcc_lo, v[5:6], v[3:4]
                                        ; implicit-def: $vgpr10
                                        ; implicit-def: $vgpr11
	v_cndmask_b32_e32 v2, v4, v6, vcc_lo
	v_cndmask_b32_e32 v1, v3, v5, vcc_lo
                                        ; implicit-def: $vgpr5_vgpr6
                                        ; implicit-def: $vgpr3_vgpr4
; %bb.33:
	s_or_saveexec_b32 s1, s1
	v_mov_b32_e32 v9, 1
	s_xor_b32 exec_lo, exec_lo, s1
; %bb.34:
	v_and_b32_e32 v1, 1, v10
	v_and_b32_e32 v9, 0xff, v11
	v_cmp_eq_u32_e32 vcc_lo, 1, v1
	v_cndmask_b32_e32 v2, v6, v4, vcc_lo
	v_cndmask_b32_e32 v1, v5, v3, vcc_lo
	v_cndmask_b32_e64 v9, v9, 1, vcc_lo
; %bb.35:
	s_or_b32 exec_lo, exec_lo, s1
	v_cmp_gt_u32_e32 vcc_lo, 6, v8
	v_cndmask_b32_e64 v3, 0, 2, vcc_lo
	v_add_lshl_u32 v3, v3, v7, 2
	ds_bpermute_b32 v8, v3, v9
	ds_bpermute_b32 v5, v3, v1
	;; [unrolled: 1-line block ×3, first 2 shown]
	s_waitcnt lgkmcnt(2)
	v_and_b32_e32 v3, v9, v8
	v_and_b32_e32 v3, 1, v3
	v_cmp_eq_u32_e32 vcc_lo, 1, v3
                                        ; implicit-def: $vgpr3_vgpr4
	s_and_saveexec_b32 s1, vcc_lo
	s_xor_b32 s1, exec_lo, s1
	s_cbranch_execz .LBB467_37
; %bb.36:
	s_waitcnt lgkmcnt(0)
	v_cmp_lt_i64_e32 vcc_lo, v[5:6], v[1:2]
                                        ; implicit-def: $vgpr9
                                        ; implicit-def: $vgpr8
	v_cndmask_b32_e32 v4, v2, v6, vcc_lo
	v_cndmask_b32_e32 v3, v1, v5, vcc_lo
                                        ; implicit-def: $vgpr5_vgpr6
                                        ; implicit-def: $vgpr1_vgpr2
.LBB467_37:
	s_or_saveexec_b32 s1, s1
	v_lshlrev_b32_e32 v10, 2, v7
	v_mov_b32_e32 v7, 1
	s_xor_b32 exec_lo, exec_lo, s1
	s_cbranch_execz .LBB467_39
; %bb.38:
	v_and_b32_e32 v3, 1, v9
	v_and_b32_e32 v7, 0xff, v8
	v_cmp_eq_u32_e32 vcc_lo, 1, v3
	s_waitcnt lgkmcnt(0)
	v_cndmask_b32_e32 v4, v6, v2, vcc_lo
	v_cndmask_b32_e32 v3, v5, v1, vcc_lo
	v_cndmask_b32_e64 v7, v7, 1, vcc_lo
.LBB467_39:
	s_or_b32 exec_lo, exec_lo, s1
	v_or_b32_e32 v1, 16, v10
	ds_bpermute_b32 v8, v1, v7
	s_waitcnt lgkmcnt(2)
	ds_bpermute_b32 v5, v1, v3
	s_waitcnt lgkmcnt(2)
	;; [unrolled: 2-line block ×3, first 2 shown]
	v_and_b32_e32 v1, v7, v8
	v_and_b32_e32 v1, 1, v1
	v_cmp_eq_u32_e32 vcc_lo, 1, v1
                                        ; implicit-def: $vgpr1_vgpr2
	s_and_saveexec_b32 s1, vcc_lo
	s_xor_b32 s1, exec_lo, s1
	s_cbranch_execz .LBB467_41
; %bb.40:
	s_waitcnt lgkmcnt(0)
	v_cmp_lt_i64_e32 vcc_lo, v[5:6], v[3:4]
                                        ; implicit-def: $vgpr7
                                        ; implicit-def: $vgpr8
	v_cndmask_b32_e32 v2, v4, v6, vcc_lo
	v_cndmask_b32_e32 v1, v3, v5, vcc_lo
                                        ; implicit-def: $vgpr5_vgpr6
                                        ; implicit-def: $vgpr3_vgpr4
.LBB467_41:
	s_or_saveexec_b32 s1, s1
	v_mov_b32_e32 v17, 1
	s_xor_b32 exec_lo, exec_lo, s1
	s_cbranch_execz .LBB467_43
; %bb.42:
	v_and_b32_e32 v1, 1, v7
	v_cmp_eq_u32_e32 vcc_lo, 1, v1
	s_waitcnt lgkmcnt(0)
	v_cndmask_b32_e32 v2, v6, v4, vcc_lo
	v_cndmask_b32_e32 v1, v5, v3, vcc_lo
	v_cndmask_b32_e64 v17, v8, 1, vcc_lo
.LBB467_43:
	s_or_b32 exec_lo, exec_lo, s1
.LBB467_44:
	s_or_b32 exec_lo, exec_lo, s0
	s_branch .LBB467_199
.LBB467_45:
	s_mov_b32 s10, 0
                                        ; implicit-def: $vgpr3_vgpr4
                                        ; implicit-def: $vgpr5
                                        ; implicit-def: $vgpr1_vgpr2
	s_cbranch_execnz .LBB467_279
	s_branch .LBB467_384
.LBB467_46:
	s_mov_b32 s20, -1
.LBB467_47:
	s_mov_b32 s10, 0
                                        ; implicit-def: $vgpr3_vgpr4
                                        ; implicit-def: $vgpr5
                                        ; implicit-def: $vgpr1_vgpr2
	s_and_b32 vcc_lo, exec_lo, s20
	s_cbranch_vccz .LBB467_204
.LBB467_48:
	s_cmp_eq_u32 s19, 4
	s_cbranch_scc0 .LBB467_75
; %bb.49:
	s_mov_b32 s7, 0
	s_lshl_b32 s8, s6, 10
	s_mov_b32 s9, s7
	s_lshr_b64 s[20:21], s[14:15], 10
	s_lshl_b64 s[0:1], s[8:9], 4
	s_add_u32 s2, s12, s0
	s_addc_u32 s3, s13, s1
	s_cmp_lg_u64 s[20:21], s[6:7]
	s_cbranch_scc0 .LBB467_99
; %bb.50:
	v_lshlrev_b32_e32 v7, 4, v0
	s_waitcnt lgkmcnt(1)
	v_add_co_u32 v5, s0, s2, v7
	s_waitcnt lgkmcnt(0)
	v_add_co_ci_u32_e64 v6, null, s3, 0, s0
	v_add_co_u32 v1, vcc_lo, 0x1000, v5
	v_add_co_ci_u32_e64 v2, null, 0, v6, vcc_lo
	v_add_co_u32 v3, vcc_lo, 0x2000, v5
	s_clause 0x1
	global_load_ubyte v13, v7, s[2:3]
	global_load_ubyte v14, v[1:2], off
	v_add_co_ci_u32_e64 v4, null, 0, v6, vcc_lo
	v_add_co_u32 v5, vcc_lo, 0x3000, v5
	v_add_co_ci_u32_e64 v6, null, 0, v6, vcc_lo
	s_clause 0x5
	global_load_dwordx2 v[9:10], v7, s[2:3] offset:8
	global_load_dwordx2 v[7:8], v[1:2], off offset:8
	global_load_ubyte v12, v[3:4], off
	global_load_dwordx2 v[3:4], v[3:4], off offset:8
	global_load_ubyte v11, v[5:6], off
	global_load_dwordx2 v[1:2], v[5:6], off offset:8
	s_waitcnt vmcnt(6)
	v_and_b32_e32 v5, v14, v13
	v_and_b32_e32 v5, 1, v5
	v_cmp_eq_u32_e32 vcc_lo, 1, v5
                                        ; implicit-def: $vgpr5_vgpr6
	s_and_saveexec_b32 s0, vcc_lo
	s_xor_b32 s0, exec_lo, s0
	s_cbranch_execz .LBB467_52
; %bb.51:
	s_waitcnt vmcnt(4)
	v_cmp_lt_i64_e32 vcc_lo, v[7:8], v[9:10]
                                        ; implicit-def: $vgpr13
                                        ; implicit-def: $vgpr14
	v_cndmask_b32_e32 v6, v10, v8, vcc_lo
	v_cndmask_b32_e32 v5, v9, v7, vcc_lo
                                        ; implicit-def: $vgpr7_vgpr8
                                        ; implicit-def: $vgpr9_vgpr10
.LBB467_52:
	s_or_saveexec_b32 s0, s0
	s_mov_b32 s9, -1
	s_xor_b32 exec_lo, exec_lo, s0
	s_cbranch_execz .LBB467_54
; %bb.53:
	v_and_b32_e32 v5, 1, v13
	v_or_b32_e32 v6, v14, v13
	v_mov_b32_e32 v13, 0
	v_cmp_eq_u32_e32 vcc_lo, 1, v5
	v_cmp_ne_u16_sdwa s1, v6, v13 src0_sel:BYTE_0 src1_sel:DWORD
	s_waitcnt vmcnt(4)
	v_cndmask_b32_e32 v6, v8, v10, vcc_lo
	v_cndmask_b32_e32 v5, v7, v9, vcc_lo
	s_orn2_b32 s9, s1, exec_lo
.LBB467_54:
	s_or_b32 exec_lo, exec_lo, s0
	s_waitcnt vmcnt(3)
	v_and_b32_e32 v7, 1, v12
                                        ; implicit-def: $sgpr1
	v_cmp_eq_u32_e32 vcc_lo, 1, v7
                                        ; implicit-def: $vgpr7_vgpr8
	s_and_b32 s0, s9, vcc_lo
	s_xor_b32 s0, s0, -1
	s_and_saveexec_b32 s11, s0
	s_xor_b32 s0, exec_lo, s11
	s_cbranch_execz .LBB467_56
; %bb.55:
	s_waitcnt vmcnt(2)
	v_cndmask_b32_e64 v8, v4, v6, s9
	v_cndmask_b32_e64 v7, v3, v5, s9
	s_or_b32 s1, s9, vcc_lo
                                        ; implicit-def: $vgpr3_vgpr4
                                        ; implicit-def: $vgpr5_vgpr6
.LBB467_56:
	s_andn2_saveexec_b32 s0, s0
	s_cbranch_execz .LBB467_58
; %bb.57:
	s_waitcnt vmcnt(2)
	v_cmp_lt_i64_e32 vcc_lo, v[3:4], v[5:6]
	s_or_b32 s1, s1, exec_lo
	v_cndmask_b32_e32 v8, v6, v4, vcc_lo
	v_cndmask_b32_e32 v7, v5, v3, vcc_lo
.LBB467_58:
	s_or_b32 exec_lo, exec_lo, s0
	s_waitcnt vmcnt(1)
	v_and_b32_e32 v3, 1, v11
	s_waitcnt vmcnt(0)
	v_cmp_lt_i64_e32 vcc_lo, v[1:2], v[7:8]
	v_cndmask_b32_e64 v5, v11, 1, s1
	v_cmp_eq_u32_e64 s0, 1, v3
	v_and_b32_e32 v6, 0xff, v5
	v_and_b32_e32 v5, 1, v5
	s_and_b32 vcc_lo, s0, vcc_lo
	v_cndmask_b32_e32 v3, v7, v1, vcc_lo
	v_cndmask_b32_e32 v4, v8, v2, vcc_lo
	v_mov_b32_dpp v7, v6 quad_perm:[1,0,3,2] row_mask:0xf bank_mask:0xf
	v_cmp_eq_u32_e64 s0, 1, v5
	v_cndmask_b32_e64 v1, v1, v3, s1
	v_cndmask_b32_e64 v2, v2, v4, s1
	v_and_b32_e32 v5, 1, v7
	v_mov_b32_dpp v3, v1 quad_perm:[1,0,3,2] row_mask:0xf bank_mask:0xf
	v_mov_b32_dpp v4, v2 quad_perm:[1,0,3,2] row_mask:0xf bank_mask:0xf
	v_cmp_lt_i64_e32 vcc_lo, v[1:2], v[3:4]
	s_and_b32 vcc_lo, s0, vcc_lo
	v_cndmask_b32_e32 v3, v3, v1, vcc_lo
	v_cndmask_b32_e32 v4, v4, v2, vcc_lo
	v_cmp_eq_u32_e32 vcc_lo, 1, v5
	v_cndmask_b32_e32 v2, v2, v4, vcc_lo
	v_cndmask_b32_e32 v1, v1, v3, vcc_lo
	v_cndmask_b32_e64 v5, v6, 1, vcc_lo
	v_mov_b32_dpp v4, v2 quad_perm:[2,3,0,1] row_mask:0xf bank_mask:0xf
	v_mov_b32_dpp v3, v1 quad_perm:[2,3,0,1] row_mask:0xf bank_mask:0xf
	v_and_b32_e32 v7, 1, v5
	v_mov_b32_dpp v6, v5 quad_perm:[2,3,0,1] row_mask:0xf bank_mask:0xf
	v_cmp_lt_i64_e32 vcc_lo, v[1:2], v[3:4]
	v_cmp_eq_u32_e64 s0, 1, v7
	v_and_b32_e32 v6, 1, v6
	s_and_b32 vcc_lo, s0, vcc_lo
	v_cmp_eq_u32_e64 s1, 1, v6
	v_cndmask_b32_e32 v3, v3, v1, vcc_lo
	v_cndmask_b32_e32 v4, v4, v2, vcc_lo
	v_cndmask_b32_e64 v5, v5, 1, s1
	v_cndmask_b32_e64 v1, v1, v3, s1
	;; [unrolled: 1-line block ×3, first 2 shown]
	v_and_b32_e32 v7, 1, v5
	v_mov_b32_dpp v3, v1 row_ror:4 row_mask:0xf bank_mask:0xf
	v_mov_b32_dpp v4, v2 row_ror:4 row_mask:0xf bank_mask:0xf
	;; [unrolled: 1-line block ×3, first 2 shown]
	v_cmp_eq_u32_e64 s0, 1, v7
	v_cmp_lt_i64_e32 vcc_lo, v[1:2], v[3:4]
	v_and_b32_e32 v6, 1, v6
	s_and_b32 vcc_lo, s0, vcc_lo
	v_cmp_eq_u32_e64 s1, 1, v6
	v_cndmask_b32_e32 v3, v3, v1, vcc_lo
	v_cndmask_b32_e32 v4, v4, v2, vcc_lo
	v_cndmask_b32_e64 v5, v5, 1, s1
	v_cndmask_b32_e64 v1, v1, v3, s1
	;; [unrolled: 1-line block ×3, first 2 shown]
	v_and_b32_e32 v7, 1, v5
	v_mov_b32_dpp v3, v1 row_ror:8 row_mask:0xf bank_mask:0xf
	v_mov_b32_dpp v4, v2 row_ror:8 row_mask:0xf bank_mask:0xf
	v_mov_b32_dpp v6, v5 row_ror:8 row_mask:0xf bank_mask:0xf
	v_cmp_eq_u32_e64 s0, 1, v7
	v_cmp_lt_i64_e32 vcc_lo, v[1:2], v[3:4]
	v_and_b32_e32 v6, 1, v6
	s_and_b32 vcc_lo, s0, vcc_lo
	v_cmp_eq_u32_e64 s1, 1, v6
	v_cndmask_b32_e32 v3, v3, v1, vcc_lo
	v_cndmask_b32_e32 v4, v4, v2, vcc_lo
	v_cndmask_b32_e64 v5, v5, 1, s1
	v_cndmask_b32_e64 v1, v1, v3, s1
	v_cndmask_b32_e64 v2, v2, v4, s1
	ds_swizzle_b32 v6, v5 offset:swizzle(BROADCAST,32,15)
	ds_swizzle_b32 v3, v1 offset:swizzle(BROADCAST,32,15)
	;; [unrolled: 1-line block ×3, first 2 shown]
	v_and_b32_e32 v7, 1, v5
	v_cmp_eq_u32_e64 s0, 1, v7
	v_mbcnt_lo_u32_b32 v7, -1, 0
	s_waitcnt lgkmcnt(2)
	v_and_b32_e32 v6, 1, v6
	s_waitcnt lgkmcnt(0)
	v_cmp_lt_i64_e32 vcc_lo, v[1:2], v[3:4]
	v_cmp_eq_u32_e64 s1, 1, v6
	v_mov_b32_e32 v6, 0
	s_and_b32 vcc_lo, s0, vcc_lo
	s_mov_b32 s0, exec_lo
	v_cndmask_b32_e32 v3, v3, v1, vcc_lo
	v_cndmask_b32_e32 v4, v4, v2, vcc_lo
	v_cndmask_b32_e64 v5, v5, 1, s1
	v_cndmask_b32_e64 v1, v1, v3, s1
	;; [unrolled: 1-line block ×3, first 2 shown]
	ds_bpermute_b32 v9, v6, v5 offset:124
	ds_bpermute_b32 v1, v6, v1 offset:124
	;; [unrolled: 1-line block ×3, first 2 shown]
	v_cmpx_eq_u32_e32 0, v7
	s_xor_b32 s0, exec_lo, s0
	s_cbranch_execz .LBB467_60
; %bb.59:
	v_lshrrev_b32_e32 v3, 1, v0
	v_and_b32_e32 v3, 0x70, v3
	s_waitcnt lgkmcnt(2)
	ds_write_b8 v3, v9 offset:256
	s_waitcnt lgkmcnt(1)
	ds_write_b64 v3, v[1:2] offset:264
.LBB467_60:
	s_or_b32 exec_lo, exec_lo, s0
	s_mov_b32 s0, exec_lo
	s_waitcnt lgkmcnt(0)
	s_barrier
	buffer_gl0_inv
	v_cmpx_gt_u32_e32 32, v0
	s_cbranch_execz .LBB467_74
; %bb.61:
	v_and_b32_e32 v8, 7, v7
	v_lshlrev_b32_e32 v1, 4, v8
	v_cmp_ne_u32_e32 vcc_lo, 7, v8
	ds_read_u8 v10, v1 offset:256
	ds_read_b64 v[3:4], v1 offset:264
	v_add_co_ci_u32_e64 v2, null, 0, v7, vcc_lo
	v_lshlrev_b32_e32 v2, 2, v2
	s_waitcnt lgkmcnt(1)
	v_and_b32_e32 v1, 0xff, v10
	s_waitcnt lgkmcnt(0)
	ds_bpermute_b32 v5, v2, v3
	ds_bpermute_b32 v6, v2, v4
	;; [unrolled: 1-line block ×3, first 2 shown]
	s_waitcnt lgkmcnt(0)
	v_and_b32_e32 v1, v10, v11
	v_and_b32_e32 v1, 1, v1
	v_cmp_eq_u32_e32 vcc_lo, 1, v1
                                        ; implicit-def: $vgpr1_vgpr2
	s_and_saveexec_b32 s1, vcc_lo
	s_xor_b32 s1, exec_lo, s1
; %bb.62:
	v_cmp_lt_i64_e32 vcc_lo, v[5:6], v[3:4]
                                        ; implicit-def: $vgpr10
                                        ; implicit-def: $vgpr11
	v_cndmask_b32_e32 v2, v4, v6, vcc_lo
	v_cndmask_b32_e32 v1, v3, v5, vcc_lo
                                        ; implicit-def: $vgpr5_vgpr6
                                        ; implicit-def: $vgpr3_vgpr4
; %bb.63:
	s_or_saveexec_b32 s1, s1
	v_mov_b32_e32 v9, 1
	s_xor_b32 exec_lo, exec_lo, s1
; %bb.64:
	v_and_b32_e32 v1, 1, v10
	v_and_b32_e32 v9, 0xff, v11
	v_cmp_eq_u32_e32 vcc_lo, 1, v1
	v_cndmask_b32_e32 v2, v6, v4, vcc_lo
	v_cndmask_b32_e32 v1, v5, v3, vcc_lo
	v_cndmask_b32_e64 v9, v9, 1, vcc_lo
; %bb.65:
	s_or_b32 exec_lo, exec_lo, s1
	v_cmp_gt_u32_e32 vcc_lo, 6, v8
	v_cndmask_b32_e64 v3, 0, 2, vcc_lo
	v_add_lshl_u32 v3, v3, v7, 2
	ds_bpermute_b32 v8, v3, v9
	ds_bpermute_b32 v5, v3, v1
	;; [unrolled: 1-line block ×3, first 2 shown]
	s_waitcnt lgkmcnt(2)
	v_and_b32_e32 v3, v9, v8
	v_and_b32_e32 v3, 1, v3
	v_cmp_eq_u32_e32 vcc_lo, 1, v3
                                        ; implicit-def: $vgpr3_vgpr4
	s_and_saveexec_b32 s1, vcc_lo
	s_xor_b32 s1, exec_lo, s1
	s_cbranch_execz .LBB467_67
; %bb.66:
	s_waitcnt lgkmcnt(0)
	v_cmp_lt_i64_e32 vcc_lo, v[5:6], v[1:2]
                                        ; implicit-def: $vgpr9
                                        ; implicit-def: $vgpr8
	v_cndmask_b32_e32 v4, v2, v6, vcc_lo
	v_cndmask_b32_e32 v3, v1, v5, vcc_lo
                                        ; implicit-def: $vgpr5_vgpr6
                                        ; implicit-def: $vgpr1_vgpr2
.LBB467_67:
	s_or_saveexec_b32 s1, s1
	v_lshlrev_b32_e32 v10, 2, v7
	v_mov_b32_e32 v7, 1
	s_xor_b32 exec_lo, exec_lo, s1
	s_cbranch_execz .LBB467_69
; %bb.68:
	v_and_b32_e32 v3, 1, v9
	v_and_b32_e32 v7, 0xff, v8
	v_cmp_eq_u32_e32 vcc_lo, 1, v3
	s_waitcnt lgkmcnt(0)
	v_cndmask_b32_e32 v4, v6, v2, vcc_lo
	v_cndmask_b32_e32 v3, v5, v1, vcc_lo
	v_cndmask_b32_e64 v7, v7, 1, vcc_lo
.LBB467_69:
	s_or_b32 exec_lo, exec_lo, s1
	v_or_b32_e32 v1, 16, v10
	ds_bpermute_b32 v8, v1, v7
	s_waitcnt lgkmcnt(2)
	ds_bpermute_b32 v5, v1, v3
	s_waitcnt lgkmcnt(2)
	;; [unrolled: 2-line block ×3, first 2 shown]
	v_and_b32_e32 v1, v7, v8
	v_and_b32_e32 v1, 1, v1
	v_cmp_eq_u32_e32 vcc_lo, 1, v1
                                        ; implicit-def: $vgpr1_vgpr2
	s_and_saveexec_b32 s1, vcc_lo
	s_xor_b32 s1, exec_lo, s1
	s_cbranch_execz .LBB467_71
; %bb.70:
	s_waitcnt lgkmcnt(0)
	v_cmp_lt_i64_e32 vcc_lo, v[5:6], v[3:4]
                                        ; implicit-def: $vgpr7
                                        ; implicit-def: $vgpr8
	v_cndmask_b32_e32 v2, v4, v6, vcc_lo
	v_cndmask_b32_e32 v1, v3, v5, vcc_lo
                                        ; implicit-def: $vgpr5_vgpr6
                                        ; implicit-def: $vgpr3_vgpr4
.LBB467_71:
	s_or_saveexec_b32 s1, s1
	v_mov_b32_e32 v9, 1
	s_xor_b32 exec_lo, exec_lo, s1
	s_cbranch_execz .LBB467_73
; %bb.72:
	v_and_b32_e32 v1, 1, v7
	v_cmp_eq_u32_e32 vcc_lo, 1, v1
	s_waitcnt lgkmcnt(0)
	v_cndmask_b32_e32 v2, v6, v4, vcc_lo
	v_cndmask_b32_e32 v1, v5, v3, vcc_lo
	v_cndmask_b32_e64 v9, v8, 1, vcc_lo
.LBB467_73:
	s_or_b32 exec_lo, exec_lo, s1
.LBB467_74:
	s_or_b32 exec_lo, exec_lo, s0
	s_branch .LBB467_274
.LBB467_75:
                                        ; implicit-def: $vgpr3_vgpr4
                                        ; implicit-def: $vgpr5
                                        ; implicit-def: $vgpr1_vgpr2
	s_branch .LBB467_384
.LBB467_76:
                                        ; implicit-def: $vgpr1_vgpr2
                                        ; implicit-def: $vgpr17
	s_cbranch_execz .LBB467_199
; %bb.77:
	v_mov_b32_e32 v15, 0
	v_mov_b32_e32 v1, 0
	;; [unrolled: 1-line block ×6, first 2 shown]
	s_sub_i32 s21, s14, s2
	s_mov_b32 s0, exec_lo
	v_cmpx_gt_u32_e64 s21, v0
	s_cbranch_execz .LBB467_79
; %bb.78:
	v_lshlrev_b32_e32 v1, 4, v0
	s_clause 0x1
	global_load_ubyte v17, v1, s[10:11]
	global_load_dwordx2 v[1:2], v1, s[10:11] offset:8
.LBB467_79:
	s_or_b32 exec_lo, exec_lo, s0
	v_or_b32_e32 v3, 0x100, v0
	v_cmp_gt_u32_e64 s9, s21, v3
	s_and_saveexec_b32 s0, s9
	s_cbranch_execz .LBB467_81
; %bb.80:
	v_lshlrev_b32_e32 v3, 4, v3
	s_clause 0x1
	global_load_ubyte v24, v3, s[10:11]
	global_load_dwordx2 v[15:16], v3, s[10:11] offset:8
.LBB467_81:
	s_or_b32 exec_lo, exec_lo, s0
	v_or_b32_e32 v3, 0x200, v0
	v_mov_b32_e32 v11, 0
	v_mov_b32_e32 v13, 0
	;; [unrolled: 1-line block ×5, first 2 shown]
	v_cmp_gt_u32_e64 s8, s21, v3
	v_mov_b32_e32 v23, 0
	s_and_saveexec_b32 s0, s8
	s_cbranch_execz .LBB467_83
; %bb.82:
	v_lshlrev_b32_e32 v3, 4, v3
	s_clause 0x1
	global_load_ubyte v23, v3, s[10:11]
	global_load_dwordx2 v[13:14], v3, s[10:11] offset:8
.LBB467_83:
	s_or_b32 exec_lo, exec_lo, s0
	v_or_b32_e32 v3, 0x300, v0
	v_cmp_gt_u32_e64 s3, s21, v3
	s_and_saveexec_b32 s0, s3
	s_cbranch_execz .LBB467_85
; %bb.84:
	v_lshlrev_b32_e32 v3, 4, v3
	s_clause 0x1
	global_load_ubyte v22, v3, s[10:11]
	global_load_dwordx2 v[11:12], v3, s[10:11] offset:8
.LBB467_85:
	s_or_b32 exec_lo, exec_lo, s0
	v_or_b32_e32 v3, 0x400, v0
	v_mov_b32_e32 v7, 0
	v_mov_b32_e32 v9, 0
	;; [unrolled: 1-line block ×5, first 2 shown]
	v_cmp_gt_u32_e64 s2, s21, v3
	v_mov_b32_e32 v21, 0
	s_and_saveexec_b32 s0, s2
	s_cbranch_execz .LBB467_87
; %bb.86:
	v_lshlrev_b32_e32 v3, 4, v3
	s_clause 0x1
	global_load_ubyte v21, v3, s[10:11]
	global_load_dwordx2 v[9:10], v3, s[10:11] offset:8
.LBB467_87:
	s_or_b32 exec_lo, exec_lo, s0
	v_or_b32_e32 v3, 0x500, v0
	v_cmp_gt_u32_e64 s1, s21, v3
	s_and_saveexec_b32 s0, s1
	s_cbranch_execz .LBB467_89
; %bb.88:
	v_lshlrev_b32_e32 v3, 4, v3
	s_clause 0x1
	global_load_ubyte v20, v3, s[10:11]
	global_load_dwordx2 v[7:8], v3, s[10:11] offset:8
.LBB467_89:
	s_or_b32 exec_lo, exec_lo, s0
	v_or_b32_e32 v25, 0x600, v0
	v_mov_b32_e32 v3, 0
	s_waitcnt lgkmcnt(0)
	v_mov_b32_e32 v5, 0
	v_mov_b32_e32 v4, 0
	v_mov_b32_e32 v18, 0
	v_mov_b32_e32 v6, 0
	v_cmp_gt_u32_e64 s0, s21, v25
	v_mov_b32_e32 v19, 0
	s_and_saveexec_b32 s22, s0
	s_cbranch_execz .LBB467_91
; %bb.90:
	v_lshlrev_b32_e32 v5, 4, v25
	s_clause 0x1
	global_load_ubyte v19, v5, s[10:11]
	global_load_dwordx2 v[5:6], v5, s[10:11] offset:8
.LBB467_91:
	s_or_b32 exec_lo, exec_lo, s22
	v_or_b32_e32 v25, 0x700, v0
	v_cmp_gt_u32_e32 vcc_lo, s21, v25
	s_and_saveexec_b32 s22, vcc_lo
	s_cbranch_execnz .LBB467_110
; %bb.92:
	s_or_b32 exec_lo, exec_lo, s22
	s_and_saveexec_b32 s11, s9
	s_cbranch_execnz .LBB467_111
.LBB467_93:
	s_or_b32 exec_lo, exec_lo, s11
	s_and_saveexec_b32 s10, s8
	s_cbranch_execnz .LBB467_116
.LBB467_94:
	s_or_b32 exec_lo, exec_lo, s10
	s_and_saveexec_b32 s9, s3
	s_cbranch_execnz .LBB467_121
.LBB467_95:
	s_or_b32 exec_lo, exec_lo, s9
	s_and_saveexec_b32 s8, s2
	s_cbranch_execnz .LBB467_126
.LBB467_96:
	s_or_b32 exec_lo, exec_lo, s8
	s_and_saveexec_b32 s3, s1
	s_cbranch_execnz .LBB467_131
.LBB467_97:
	s_or_b32 exec_lo, exec_lo, s3
	s_and_saveexec_b32 s2, s0
	s_cbranch_execnz .LBB467_136
.LBB467_98:
	s_or_b32 exec_lo, exec_lo, s2
	s_and_saveexec_b32 s1, vcc_lo
	s_cbranch_execnz .LBB467_141
	s_branch .LBB467_146
.LBB467_99:
                                        ; implicit-def: $vgpr1_vgpr2
                                        ; implicit-def: $vgpr9
	s_cbranch_execz .LBB467_274
; %bb.100:
	v_mov_b32_e32 v7, 0
	v_mov_b32_e32 v1, 0
	;; [unrolled: 1-line block ×6, first 2 shown]
	s_sub_i32 s8, s14, s8
	s_mov_b32 s0, exec_lo
	v_cmpx_gt_u32_e64 s8, v0
	s_cbranch_execz .LBB467_102
; %bb.101:
	v_lshlrev_b32_e32 v1, 4, v0
	s_clause 0x1
	global_load_ubyte v9, v1, s[2:3]
	global_load_dwordx2 v[1:2], v1, s[2:3] offset:8
.LBB467_102:
	s_or_b32 exec_lo, exec_lo, s0
	s_waitcnt lgkmcnt(1)
	v_or_b32_e32 v3, 0x100, v0
	v_cmp_gt_u32_e64 s1, s8, v3
	s_and_saveexec_b32 s0, s1
	s_cbranch_execz .LBB467_104
; %bb.103:
	v_lshlrev_b32_e32 v3, 4, v3
	s_clause 0x1
	global_load_ubyte v12, v3, s[2:3]
	global_load_dwordx2 v[7:8], v3, s[2:3] offset:8
.LBB467_104:
	s_or_b32 exec_lo, exec_lo, s0
	v_or_b32_e32 v13, 0x200, v0
	s_waitcnt lgkmcnt(0)
	v_mov_b32_e32 v3, 0
	v_mov_b32_e32 v5, 0
	;; [unrolled: 1-line block ×5, first 2 shown]
	v_cmp_gt_u32_e64 s0, s8, v13
	v_mov_b32_e32 v11, 0
	s_and_saveexec_b32 s9, s0
	s_cbranch_execz .LBB467_106
; %bb.105:
	v_lshlrev_b32_e32 v5, 4, v13
	s_clause 0x1
	global_load_ubyte v11, v5, s[2:3]
	global_load_dwordx2 v[5:6], v5, s[2:3] offset:8
.LBB467_106:
	s_or_b32 exec_lo, exec_lo, s9
	v_or_b32_e32 v13, 0x300, v0
	v_cmp_gt_u32_e32 vcc_lo, s8, v13
	s_and_saveexec_b32 s9, vcc_lo
	s_cbranch_execnz .LBB467_205
; %bb.107:
	s_or_b32 exec_lo, exec_lo, s9
	s_and_saveexec_b32 s3, s1
	s_cbranch_execnz .LBB467_206
.LBB467_108:
	s_or_b32 exec_lo, exec_lo, s3
	s_and_saveexec_b32 s2, s0
	s_cbranch_execnz .LBB467_211
.LBB467_109:
	s_or_b32 exec_lo, exec_lo, s2
	s_and_saveexec_b32 s1, vcc_lo
	s_cbranch_execnz .LBB467_216
	s_branch .LBB467_221
.LBB467_110:
	v_lshlrev_b32_e32 v3, 4, v25
	s_clause 0x1
	global_load_ubyte v18, v3, s[10:11]
	global_load_dwordx2 v[3:4], v3, s[10:11] offset:8
	s_or_b32 exec_lo, exec_lo, s22
	s_and_saveexec_b32 s11, s9
	s_cbranch_execz .LBB467_93
.LBB467_111:
	s_waitcnt vmcnt(1)
	v_and_b32_e32 v17, 1, v17
	v_and_b32_e32 v25, 1, v24
	v_cmp_eq_u32_e64 s9, 1, v17
	v_cmp_eq_u32_e64 s10, 1, v25
                                        ; implicit-def: $vgpr17
	s_and_b32 s10, s9, s10
	s_xor_b32 s10, s10, -1
	s_and_saveexec_b32 s22, s10
	s_xor_b32 s10, exec_lo, s22
	s_cbranch_execz .LBB467_113
; %bb.112:
	v_and_b32_e32 v17, 0xff, v24
	s_waitcnt vmcnt(0)
	v_cndmask_b32_e64 v2, v16, v2, s9
	v_cndmask_b32_e64 v1, v15, v1, s9
                                        ; implicit-def: $vgpr15_vgpr16
	v_cndmask_b32_e64 v17, v17, 1, s9
.LBB467_113:
	s_andn2_saveexec_b32 s10, s10
	s_cbranch_execz .LBB467_115
; %bb.114:
	s_waitcnt vmcnt(0)
	v_cmp_lt_i64_e64 s9, v[15:16], v[1:2]
	v_mov_b32_e32 v17, 1
	v_cndmask_b32_e64 v2, v2, v16, s9
	v_cndmask_b32_e64 v1, v1, v15, s9
.LBB467_115:
	s_or_b32 exec_lo, exec_lo, s10
	s_or_b32 exec_lo, exec_lo, s11
	s_and_saveexec_b32 s10, s8
	s_cbranch_execz .LBB467_94
.LBB467_116:
	s_waitcnt vmcnt(0)
	v_and_b32_e32 v15, 1, v17
	v_and_b32_e32 v16, 1, v23
                                        ; implicit-def: $vgpr17
	v_cmp_eq_u32_e64 s8, 1, v15
	v_cmp_eq_u32_e64 s9, 1, v16
	s_and_b32 s9, s8, s9
	s_xor_b32 s9, s9, -1
	s_and_saveexec_b32 s11, s9
	s_xor_b32 s9, exec_lo, s11
; %bb.117:
	v_and_b32_e32 v15, 0xff, v23
	v_cndmask_b32_e64 v2, v14, v2, s8
	v_cndmask_b32_e64 v1, v13, v1, s8
                                        ; implicit-def: $vgpr13_vgpr14
	v_cndmask_b32_e64 v17, v15, 1, s8
; %bb.118:
	s_andn2_saveexec_b32 s9, s9
; %bb.119:
	v_cmp_lt_i64_e64 s8, v[13:14], v[1:2]
	v_mov_b32_e32 v17, 1
	v_cndmask_b32_e64 v2, v2, v14, s8
	v_cndmask_b32_e64 v1, v1, v13, s8
; %bb.120:
	s_or_b32 exec_lo, exec_lo, s9
	s_or_b32 exec_lo, exec_lo, s10
	s_and_saveexec_b32 s9, s3
	s_cbranch_execz .LBB467_95
.LBB467_121:
	s_waitcnt vmcnt(0)
	v_and_b32_e32 v13, 1, v17
	v_and_b32_e32 v14, 1, v22
                                        ; implicit-def: $vgpr17
	v_cmp_eq_u32_e64 s3, 1, v13
	v_cmp_eq_u32_e64 s8, 1, v14
	s_and_b32 s8, s3, s8
	s_xor_b32 s8, s8, -1
	s_and_saveexec_b32 s10, s8
	s_xor_b32 s8, exec_lo, s10
; %bb.122:
	v_and_b32_e32 v13, 0xff, v22
	v_cndmask_b32_e64 v2, v12, v2, s3
	v_cndmask_b32_e64 v1, v11, v1, s3
                                        ; implicit-def: $vgpr11_vgpr12
	v_cndmask_b32_e64 v17, v13, 1, s3
; %bb.123:
	s_andn2_saveexec_b32 s8, s8
; %bb.124:
	v_cmp_lt_i64_e64 s3, v[11:12], v[1:2]
	v_mov_b32_e32 v17, 1
	v_cndmask_b32_e64 v2, v2, v12, s3
	v_cndmask_b32_e64 v1, v1, v11, s3
; %bb.125:
	s_or_b32 exec_lo, exec_lo, s8
	s_or_b32 exec_lo, exec_lo, s9
	s_and_saveexec_b32 s8, s2
	s_cbranch_execz .LBB467_96
.LBB467_126:
	s_waitcnt vmcnt(0)
	v_and_b32_e32 v11, 1, v17
	v_and_b32_e32 v12, 1, v21
                                        ; implicit-def: $vgpr17
	v_cmp_eq_u32_e64 s2, 1, v11
	v_cmp_eq_u32_e64 s3, 1, v12
	s_and_b32 s3, s2, s3
	s_xor_b32 s3, s3, -1
	s_and_saveexec_b32 s9, s3
	s_xor_b32 s3, exec_lo, s9
; %bb.127:
	v_and_b32_e32 v11, 0xff, v21
	v_cndmask_b32_e64 v2, v10, v2, s2
	v_cndmask_b32_e64 v1, v9, v1, s2
                                        ; implicit-def: $vgpr9_vgpr10
	v_cndmask_b32_e64 v17, v11, 1, s2
; %bb.128:
	s_andn2_saveexec_b32 s3, s3
; %bb.129:
	v_cmp_lt_i64_e64 s2, v[9:10], v[1:2]
	v_mov_b32_e32 v17, 1
	v_cndmask_b32_e64 v2, v2, v10, s2
	v_cndmask_b32_e64 v1, v1, v9, s2
; %bb.130:
	s_or_b32 exec_lo, exec_lo, s3
	s_or_b32 exec_lo, exec_lo, s8
	s_and_saveexec_b32 s3, s1
	s_cbranch_execz .LBB467_97
.LBB467_131:
	s_waitcnt vmcnt(0)
	v_and_b32_e32 v9, 1, v17
	v_and_b32_e32 v10, 1, v20
                                        ; implicit-def: $vgpr17
	v_cmp_eq_u32_e64 s1, 1, v9
	v_cmp_eq_u32_e64 s2, 1, v10
	s_and_b32 s2, s1, s2
	s_xor_b32 s2, s2, -1
	s_and_saveexec_b32 s8, s2
	s_xor_b32 s2, exec_lo, s8
; %bb.132:
	v_and_b32_e32 v9, 0xff, v20
	v_cndmask_b32_e64 v2, v8, v2, s1
	v_cndmask_b32_e64 v1, v7, v1, s1
                                        ; implicit-def: $vgpr7_vgpr8
	v_cndmask_b32_e64 v17, v9, 1, s1
; %bb.133:
	s_andn2_saveexec_b32 s2, s2
; %bb.134:
	v_cmp_lt_i64_e64 s1, v[7:8], v[1:2]
	v_mov_b32_e32 v17, 1
	v_cndmask_b32_e64 v2, v2, v8, s1
	v_cndmask_b32_e64 v1, v1, v7, s1
; %bb.135:
	s_or_b32 exec_lo, exec_lo, s2
	s_or_b32 exec_lo, exec_lo, s3
	s_and_saveexec_b32 s2, s0
	s_cbranch_execz .LBB467_98
.LBB467_136:
	s_waitcnt vmcnt(0)
	v_and_b32_e32 v7, 1, v17
	v_and_b32_e32 v8, 1, v19
                                        ; implicit-def: $vgpr17
	v_cmp_eq_u32_e64 s0, 1, v7
	v_cmp_eq_u32_e64 s1, 1, v8
	s_and_b32 s1, s0, s1
	s_xor_b32 s1, s1, -1
	s_and_saveexec_b32 s3, s1
	s_xor_b32 s1, exec_lo, s3
; %bb.137:
	v_and_b32_e32 v7, 0xff, v19
	v_cndmask_b32_e64 v2, v6, v2, s0
	v_cndmask_b32_e64 v1, v5, v1, s0
                                        ; implicit-def: $vgpr5_vgpr6
	v_cndmask_b32_e64 v17, v7, 1, s0
; %bb.138:
	s_andn2_saveexec_b32 s1, s1
; %bb.139:
	v_cmp_lt_i64_e64 s0, v[5:6], v[1:2]
	v_mov_b32_e32 v17, 1
	v_cndmask_b32_e64 v2, v2, v6, s0
	v_cndmask_b32_e64 v1, v1, v5, s0
; %bb.140:
	s_or_b32 exec_lo, exec_lo, s1
	s_or_b32 exec_lo, exec_lo, s2
	s_and_saveexec_b32 s1, vcc_lo
	s_cbranch_execz .LBB467_146
.LBB467_141:
	s_waitcnt vmcnt(0)
	v_and_b32_e32 v5, 1, v17
	v_and_b32_e32 v6, 1, v18
                                        ; implicit-def: $vgpr17
	v_cmp_eq_u32_e32 vcc_lo, 1, v5
	v_cmp_eq_u32_e64 s0, 1, v6
	s_and_b32 s0, vcc_lo, s0
	s_xor_b32 s0, s0, -1
	s_and_saveexec_b32 s2, s0
	s_xor_b32 s0, exec_lo, s2
; %bb.142:
	v_and_b32_e32 v5, 0xff, v18
	v_cndmask_b32_e32 v2, v4, v2, vcc_lo
	v_cndmask_b32_e32 v1, v3, v1, vcc_lo
                                        ; implicit-def: $vgpr3_vgpr4
	v_cndmask_b32_e64 v17, v5, 1, vcc_lo
; %bb.143:
	s_andn2_saveexec_b32 s0, s0
; %bb.144:
	v_cmp_lt_i64_e32 vcc_lo, v[3:4], v[1:2]
	v_mov_b32_e32 v17, 1
	v_cndmask_b32_e32 v2, v2, v4, vcc_lo
	v_cndmask_b32_e32 v1, v1, v3, vcc_lo
; %bb.145:
	s_or_b32 exec_lo, exec_lo, s0
.LBB467_146:
	s_or_b32 exec_lo, exec_lo, s1
	s_waitcnt vmcnt(0)
	v_mbcnt_lo_u32_b32 v5, -1, 0
	v_and_b32_e32 v6, 0xe0, v0
	s_min_u32 s0, s21, 0x100
	s_mov_b32 s1, exec_lo
	v_cmp_ne_u32_e32 vcc_lo, 31, v5
	v_sub_nc_u32_e64 v6, s0, v6 clamp
	v_add_nc_u32_e32 v8, 1, v5
	v_add_co_ci_u32_e64 v3, null, 0, v5, vcc_lo
	v_lshlrev_b32_e32 v4, 2, v3
	ds_bpermute_b32 v7, v4, v17
	ds_bpermute_b32 v3, v4, v1
	;; [unrolled: 1-line block ×3, first 2 shown]
	v_cmpx_lt_u32_e64 v8, v6
	s_xor_b32 s1, exec_lo, s1
	s_cbranch_execz .LBB467_152
; %bb.147:
	s_waitcnt lgkmcnt(2)
	v_and_b32_e32 v8, v7, v17
	s_mov_b32 s2, exec_lo
	v_cmpx_ne_u32_e32 0, v8
	s_xor_b32 s2, exec_lo, s2
	s_cbranch_execz .LBB467_149
; %bb.148:
	s_waitcnt lgkmcnt(0)
	v_cmp_lt_i64_e32 vcc_lo, v[3:4], v[1:2]
                                        ; implicit-def: $vgpr17
                                        ; implicit-def: $vgpr7
	v_cndmask_b32_e32 v2, v2, v4, vcc_lo
	v_cndmask_b32_e32 v1, v1, v3, vcc_lo
                                        ; implicit-def: $vgpr3_vgpr4
.LBB467_149:
	s_or_saveexec_b32 s2, s2
	v_mov_b32_e32 v8, 1
	s_xor_b32 exec_lo, exec_lo, s2
	s_cbranch_execz .LBB467_151
; %bb.150:
	v_and_b32_e32 v8, 1, v17
	v_and_b32_e32 v7, 0xff, v7
	v_cmp_eq_u32_e32 vcc_lo, 1, v8
	s_waitcnt lgkmcnt(0)
	v_cndmask_b32_e32 v2, v4, v2, vcc_lo
	v_cndmask_b32_e32 v1, v3, v1, vcc_lo
	v_cndmask_b32_e64 v8, v7, 1, vcc_lo
.LBB467_151:
	s_or_b32 exec_lo, exec_lo, s2
	v_mov_b32_e32 v17, v8
.LBB467_152:
	s_or_b32 exec_lo, exec_lo, s1
	v_cmp_gt_u32_e32 vcc_lo, 30, v5
	v_add_nc_u32_e32 v8, 2, v5
	s_mov_b32 s1, exec_lo
	s_waitcnt lgkmcnt(1)
	v_cndmask_b32_e64 v3, 0, 2, vcc_lo
	s_waitcnt lgkmcnt(0)
	v_add_lshl_u32 v4, v3, v5, 2
	ds_bpermute_b32 v7, v4, v17
	ds_bpermute_b32 v3, v4, v1
	ds_bpermute_b32 v4, v4, v2
	v_cmpx_lt_u32_e64 v8, v6
	s_cbranch_execz .LBB467_158
; %bb.153:
	s_waitcnt lgkmcnt(2)
	v_and_b32_e32 v8, v17, v7
	s_mov_b32 s2, exec_lo
	v_and_b32_e32 v8, 1, v8
	v_cmpx_eq_u32_e32 1, v8
	s_xor_b32 s2, exec_lo, s2
	s_cbranch_execz .LBB467_155
; %bb.154:
	s_waitcnt lgkmcnt(0)
	v_cmp_lt_i64_e32 vcc_lo, v[3:4], v[1:2]
                                        ; implicit-def: $vgpr17
                                        ; implicit-def: $vgpr7
	v_cndmask_b32_e32 v2, v2, v4, vcc_lo
	v_cndmask_b32_e32 v1, v1, v3, vcc_lo
                                        ; implicit-def: $vgpr3_vgpr4
.LBB467_155:
	s_or_saveexec_b32 s2, s2
	v_mov_b32_e32 v8, 1
	s_xor_b32 exec_lo, exec_lo, s2
	s_cbranch_execz .LBB467_157
; %bb.156:
	v_and_b32_e32 v8, 1, v17
	v_and_b32_e32 v7, 0xff, v7
	v_cmp_eq_u32_e32 vcc_lo, 1, v8
	s_waitcnt lgkmcnt(0)
	v_cndmask_b32_e32 v2, v4, v2, vcc_lo
	v_cndmask_b32_e32 v1, v3, v1, vcc_lo
	v_cndmask_b32_e64 v8, v7, 1, vcc_lo
.LBB467_157:
	s_or_b32 exec_lo, exec_lo, s2
	v_mov_b32_e32 v17, v8
.LBB467_158:
	s_or_b32 exec_lo, exec_lo, s1
	v_cmp_gt_u32_e32 vcc_lo, 28, v5
	v_add_nc_u32_e32 v8, 4, v5
	s_mov_b32 s1, exec_lo
	s_waitcnt lgkmcnt(1)
	v_cndmask_b32_e64 v3, 0, 4, vcc_lo
	s_waitcnt lgkmcnt(0)
	v_add_lshl_u32 v4, v3, v5, 2
	ds_bpermute_b32 v7, v4, v17
	ds_bpermute_b32 v3, v4, v1
	ds_bpermute_b32 v4, v4, v2
	v_cmpx_lt_u32_e64 v8, v6
	s_cbranch_execz .LBB467_164
; %bb.159:
	s_waitcnt lgkmcnt(2)
	v_and_b32_e32 v8, v17, v7
	s_mov_b32 s2, exec_lo
	v_and_b32_e32 v8, 1, v8
	v_cmpx_eq_u32_e32 1, v8
	s_xor_b32 s2, exec_lo, s2
	s_cbranch_execz .LBB467_161
; %bb.160:
	s_waitcnt lgkmcnt(0)
	v_cmp_lt_i64_e32 vcc_lo, v[3:4], v[1:2]
                                        ; implicit-def: $vgpr17
                                        ; implicit-def: $vgpr7
	v_cndmask_b32_e32 v2, v2, v4, vcc_lo
	v_cndmask_b32_e32 v1, v1, v3, vcc_lo
                                        ; implicit-def: $vgpr3_vgpr4
.LBB467_161:
	s_or_saveexec_b32 s2, s2
	v_mov_b32_e32 v8, 1
	s_xor_b32 exec_lo, exec_lo, s2
	s_cbranch_execz .LBB467_163
; %bb.162:
	v_and_b32_e32 v8, 1, v17
	v_and_b32_e32 v7, 0xff, v7
	v_cmp_eq_u32_e32 vcc_lo, 1, v8
	s_waitcnt lgkmcnt(0)
	v_cndmask_b32_e32 v2, v4, v2, vcc_lo
	v_cndmask_b32_e32 v1, v3, v1, vcc_lo
	v_cndmask_b32_e64 v8, v7, 1, vcc_lo
.LBB467_163:
	s_or_b32 exec_lo, exec_lo, s2
	v_mov_b32_e32 v17, v8
.LBB467_164:
	;; [unrolled: 46-line block ×3, first 2 shown]
	s_or_b32 exec_lo, exec_lo, s1
	s_waitcnt lgkmcnt(2)
	v_lshlrev_b32_e32 v7, 2, v5
	v_add_nc_u32_e32 v9, 16, v5
	s_waitcnt lgkmcnt(0)
	v_or_b32_e32 v4, 64, v7
	v_cmp_lt_u32_e32 vcc_lo, v9, v6
	v_mov_b32_e32 v6, v17
	ds_bpermute_b32 v8, v4, v17
	ds_bpermute_b32 v3, v4, v1
	;; [unrolled: 1-line block ×3, first 2 shown]
	s_and_saveexec_b32 s1, vcc_lo
	s_cbranch_execz .LBB467_176
; %bb.171:
	s_waitcnt lgkmcnt(2)
	v_and_b32_e32 v6, v17, v8
	s_mov_b32 s2, exec_lo
	v_and_b32_e32 v6, 1, v6
	v_cmpx_eq_u32_e32 1, v6
	s_xor_b32 s2, exec_lo, s2
	s_cbranch_execz .LBB467_173
; %bb.172:
	s_waitcnt lgkmcnt(0)
	v_cmp_lt_i64_e32 vcc_lo, v[3:4], v[1:2]
                                        ; implicit-def: $vgpr17
                                        ; implicit-def: $vgpr8
	v_cndmask_b32_e32 v2, v2, v4, vcc_lo
	v_cndmask_b32_e32 v1, v1, v3, vcc_lo
                                        ; implicit-def: $vgpr3_vgpr4
.LBB467_173:
	s_or_saveexec_b32 s2, s2
	v_mov_b32_e32 v6, 1
	s_xor_b32 exec_lo, exec_lo, s2
	s_cbranch_execz .LBB467_175
; %bb.174:
	v_and_b32_e32 v6, 1, v17
	v_cmp_eq_u32_e32 vcc_lo, 1, v6
	v_cndmask_b32_e64 v6, v8, 1, vcc_lo
	s_waitcnt lgkmcnt(0)
	v_cndmask_b32_e32 v2, v4, v2, vcc_lo
	v_cndmask_b32_e32 v1, v3, v1, vcc_lo
.LBB467_175:
	s_or_b32 exec_lo, exec_lo, s2
	v_and_b32_e32 v17, 0xff, v6
.LBB467_176:
	s_or_b32 exec_lo, exec_lo, s1
	s_mov_b32 s1, exec_lo
	v_cmpx_eq_u32_e32 0, v5
	s_cbranch_execz .LBB467_178
; %bb.177:
	s_waitcnt lgkmcnt(1)
	v_lshrrev_b32_e32 v3, 1, v0
	v_and_b32_e32 v3, 0x70, v3
	ds_write_b8 v3, v6 offset:512
	ds_write_b64 v3, v[1:2] offset:520
.LBB467_178:
	s_or_b32 exec_lo, exec_lo, s1
	s_mov_b32 s1, exec_lo
	s_waitcnt lgkmcnt(0)
	s_barrier
	buffer_gl0_inv
	v_cmpx_gt_u32_e32 8, v0
	s_cbranch_execz .LBB467_198
; %bb.179:
	v_lshlrev_b32_e32 v1, 4, v5
	v_and_b32_e32 v6, 7, v5
	s_add_i32 s0, s0, 31
	s_mov_b32 s2, exec_lo
	s_lshr_b32 s0, s0, 5
	ds_read_u8 v8, v1 offset:512
	ds_read_b64 v[1:2], v1 offset:520
	v_cmp_ne_u32_e32 vcc_lo, 7, v6
	v_add_nc_u32_e32 v10, 1, v6
	v_add_co_ci_u32_e64 v3, null, 0, v5, vcc_lo
	v_lshlrev_b32_e32 v4, 2, v3
	s_waitcnt lgkmcnt(1)
	v_and_b32_e32 v17, 0xff, v8
	s_waitcnt lgkmcnt(0)
	ds_bpermute_b32 v3, v4, v1
	ds_bpermute_b32 v9, v4, v17
	;; [unrolled: 1-line block ×3, first 2 shown]
	v_cmpx_gt_u32_e64 s0, v10
	s_cbranch_execz .LBB467_185
; %bb.180:
	s_waitcnt lgkmcnt(1)
	v_and_b32_e32 v10, v17, v9
	s_mov_b32 s3, exec_lo
	v_and_b32_e32 v10, 1, v10
	v_cmpx_eq_u32_e32 1, v10
	s_xor_b32 s3, exec_lo, s3
	s_cbranch_execz .LBB467_182
; %bb.181:
	s_waitcnt lgkmcnt(0)
	v_cmp_lt_i64_e32 vcc_lo, v[3:4], v[1:2]
                                        ; implicit-def: $vgpr8
                                        ; implicit-def: $vgpr9
	v_cndmask_b32_e32 v2, v2, v4, vcc_lo
	v_cndmask_b32_e32 v1, v1, v3, vcc_lo
                                        ; implicit-def: $vgpr3_vgpr4
.LBB467_182:
	s_or_saveexec_b32 s3, s3
	v_mov_b32_e32 v17, 1
	s_xor_b32 exec_lo, exec_lo, s3
	s_cbranch_execz .LBB467_184
; %bb.183:
	v_and_b32_e32 v8, 1, v8
	v_cmp_eq_u32_e32 vcc_lo, 1, v8
	v_and_b32_e32 v8, 0xff, v9
	s_waitcnt lgkmcnt(0)
	v_cndmask_b32_e32 v2, v4, v2, vcc_lo
	v_cndmask_b32_e32 v1, v3, v1, vcc_lo
	v_cndmask_b32_e64 v17, v8, 1, vcc_lo
.LBB467_184:
	s_or_b32 exec_lo, exec_lo, s3
.LBB467_185:
	s_or_b32 exec_lo, exec_lo, s2
	v_cmp_gt_u32_e32 vcc_lo, 6, v6
	v_add_nc_u32_e32 v8, 2, v6
	s_mov_b32 s2, exec_lo
	s_waitcnt lgkmcnt(2)
	v_cndmask_b32_e64 v3, 0, 2, vcc_lo
	s_waitcnt lgkmcnt(0)
	v_add_lshl_u32 v4, v3, v5, 2
	ds_bpermute_b32 v5, v4, v17
	ds_bpermute_b32 v3, v4, v1
	;; [unrolled: 1-line block ×3, first 2 shown]
	v_cmpx_gt_u32_e64 s0, v8
	s_cbranch_execz .LBB467_191
; %bb.186:
	s_waitcnt lgkmcnt(2)
	v_and_b32_e32 v8, v17, v5
	s_mov_b32 s3, exec_lo
	v_and_b32_e32 v8, 1, v8
	v_cmpx_eq_u32_e32 1, v8
	s_xor_b32 s3, exec_lo, s3
	s_cbranch_execz .LBB467_188
; %bb.187:
	s_waitcnt lgkmcnt(0)
	v_cmp_lt_i64_e32 vcc_lo, v[3:4], v[1:2]
                                        ; implicit-def: $vgpr17
                                        ; implicit-def: $vgpr5
	v_cndmask_b32_e32 v2, v2, v4, vcc_lo
	v_cndmask_b32_e32 v1, v1, v3, vcc_lo
                                        ; implicit-def: $vgpr3_vgpr4
.LBB467_188:
	s_or_saveexec_b32 s3, s3
	v_mov_b32_e32 v8, 1
	s_xor_b32 exec_lo, exec_lo, s3
	s_cbranch_execz .LBB467_190
; %bb.189:
	v_and_b32_e32 v8, 1, v17
	v_and_b32_e32 v5, 0xff, v5
	v_cmp_eq_u32_e32 vcc_lo, 1, v8
	s_waitcnt lgkmcnt(0)
	v_cndmask_b32_e32 v2, v4, v2, vcc_lo
	v_cndmask_b32_e32 v1, v3, v1, vcc_lo
	v_cndmask_b32_e64 v8, v5, 1, vcc_lo
.LBB467_190:
	s_or_b32 exec_lo, exec_lo, s3
	v_mov_b32_e32 v17, v8
.LBB467_191:
	s_or_b32 exec_lo, exec_lo, s2
	s_waitcnt lgkmcnt(0)
	v_or_b32_e32 v4, 16, v7
	v_add_nc_u32_e32 v6, 4, v6
	ds_bpermute_b32 v5, v4, v17
	ds_bpermute_b32 v3, v4, v1
	;; [unrolled: 1-line block ×3, first 2 shown]
	v_cmp_gt_u32_e32 vcc_lo, s0, v6
	s_and_saveexec_b32 s0, vcc_lo
	s_cbranch_execz .LBB467_197
; %bb.192:
	s_waitcnt lgkmcnt(2)
	v_and_b32_e32 v6, v17, v5
	s_mov_b32 s2, exec_lo
	v_and_b32_e32 v6, 1, v6
	v_cmpx_eq_u32_e32 1, v6
	s_xor_b32 s2, exec_lo, s2
	s_cbranch_execz .LBB467_194
; %bb.193:
	s_waitcnt lgkmcnt(0)
	v_cmp_lt_i64_e32 vcc_lo, v[3:4], v[1:2]
                                        ; implicit-def: $vgpr17
                                        ; implicit-def: $vgpr5
	v_cndmask_b32_e32 v2, v2, v4, vcc_lo
	v_cndmask_b32_e32 v1, v1, v3, vcc_lo
                                        ; implicit-def: $vgpr3_vgpr4
.LBB467_194:
	s_or_saveexec_b32 s2, s2
	v_mov_b32_e32 v6, 1
	s_xor_b32 exec_lo, exec_lo, s2
	s_cbranch_execz .LBB467_196
; %bb.195:
	v_and_b32_e32 v6, 1, v17
	v_cmp_eq_u32_e32 vcc_lo, 1, v6
	s_waitcnt lgkmcnt(0)
	v_cndmask_b32_e32 v2, v4, v2, vcc_lo
	v_cndmask_b32_e32 v1, v3, v1, vcc_lo
	v_cndmask_b32_e64 v6, v5, 1, vcc_lo
.LBB467_196:
	s_or_b32 exec_lo, exec_lo, s2
	v_mov_b32_e32 v17, v6
.LBB467_197:
	s_or_b32 exec_lo, exec_lo, s0
.LBB467_198:
	s_or_b32 exec_lo, exec_lo, s1
.LBB467_199:
	s_mov_b32 s10, 0
                                        ; implicit-def: $vgpr3_vgpr4
                                        ; implicit-def: $vgpr5
	s_mov_b32 s0, exec_lo
	v_cmpx_eq_u32_e32 0, v0
	s_xor_b32 s2, exec_lo, s0
	s_cbranch_execz .LBB467_203
; %bb.200:
	s_waitcnt lgkmcnt(0)
	v_mov_b32_e32 v3, s16
	v_mov_b32_e32 v4, s17
	;; [unrolled: 1-line block ×3, first 2 shown]
	s_cmp_eq_u64 s[14:15], 0
	s_cbranch_scc1 .LBB467_202
; %bb.201:
	v_and_b32_e32 v3, 1, v17
	v_cmp_gt_i64_e32 vcc_lo, s[16:17], v[1:2]
	s_bitcmp1_b32 s18, 0
	s_cselect_b32 s1, -1, 0
	v_cmp_eq_u32_e64 s0, 1, v3
	v_cndmask_b32_e64 v5, v17, 1, s1
	s_and_b32 vcc_lo, s0, vcc_lo
	v_cndmask_b32_e32 v3, s16, v1, vcc_lo
	v_cndmask_b32_e32 v4, s17, v2, vcc_lo
	v_cndmask_b32_e64 v3, v1, v3, s1
	v_cndmask_b32_e64 v4, v2, v4, s1
.LBB467_202:
	s_mov_b32 s10, exec_lo
.LBB467_203:
	s_or_b32 exec_lo, exec_lo, s2
	v_mov_b32_e32 v1, s6
	v_mov_b32_e32 v2, s7
	s_and_b32 vcc_lo, exec_lo, s20
	s_cbranch_vccnz .LBB467_48
.LBB467_204:
	s_branch .LBB467_384
.LBB467_205:
	v_lshlrev_b32_e32 v3, 4, v13
	s_clause 0x1
	global_load_ubyte v10, v3, s[2:3]
	global_load_dwordx2 v[3:4], v3, s[2:3] offset:8
	s_or_b32 exec_lo, exec_lo, s9
	s_and_saveexec_b32 s3, s1
	s_cbranch_execz .LBB467_108
.LBB467_206:
	s_waitcnt vmcnt(1)
	v_and_b32_e32 v9, 1, v9
	v_and_b32_e32 v13, 1, v12
	v_cmp_eq_u32_e64 s1, 1, v9
	v_cmp_eq_u32_e64 s2, 1, v13
                                        ; implicit-def: $vgpr9
	s_and_b32 s2, s1, s2
	s_xor_b32 s2, s2, -1
	s_and_saveexec_b32 s9, s2
	s_xor_b32 s2, exec_lo, s9
	s_cbranch_execz .LBB467_208
; %bb.207:
	v_and_b32_e32 v9, 0xff, v12
	s_waitcnt vmcnt(0)
	v_cndmask_b32_e64 v2, v8, v2, s1
	v_cndmask_b32_e64 v1, v7, v1, s1
                                        ; implicit-def: $vgpr7_vgpr8
	v_cndmask_b32_e64 v9, v9, 1, s1
.LBB467_208:
	s_andn2_saveexec_b32 s2, s2
	s_cbranch_execz .LBB467_210
; %bb.209:
	s_waitcnt vmcnt(0)
	v_cmp_lt_i64_e64 s1, v[7:8], v[1:2]
	v_mov_b32_e32 v9, 1
	v_cndmask_b32_e64 v2, v2, v8, s1
	v_cndmask_b32_e64 v1, v1, v7, s1
.LBB467_210:
	s_or_b32 exec_lo, exec_lo, s2
	s_or_b32 exec_lo, exec_lo, s3
	s_and_saveexec_b32 s2, s0
	s_cbranch_execz .LBB467_109
.LBB467_211:
	s_waitcnt vmcnt(0)
	v_and_b32_e32 v7, 1, v9
	v_and_b32_e32 v8, 1, v11
                                        ; implicit-def: $vgpr9
	v_cmp_eq_u32_e64 s0, 1, v7
	v_cmp_eq_u32_e64 s1, 1, v8
	s_and_b32 s1, s0, s1
	s_xor_b32 s1, s1, -1
	s_and_saveexec_b32 s3, s1
	s_xor_b32 s1, exec_lo, s3
; %bb.212:
	v_and_b32_e32 v7, 0xff, v11
	v_cndmask_b32_e64 v2, v6, v2, s0
	v_cndmask_b32_e64 v1, v5, v1, s0
                                        ; implicit-def: $vgpr5_vgpr6
	v_cndmask_b32_e64 v9, v7, 1, s0
; %bb.213:
	s_andn2_saveexec_b32 s1, s1
; %bb.214:
	v_cmp_lt_i64_e64 s0, v[5:6], v[1:2]
	v_mov_b32_e32 v9, 1
	v_cndmask_b32_e64 v2, v2, v6, s0
	v_cndmask_b32_e64 v1, v1, v5, s0
; %bb.215:
	s_or_b32 exec_lo, exec_lo, s1
	s_or_b32 exec_lo, exec_lo, s2
	s_and_saveexec_b32 s1, vcc_lo
	s_cbranch_execz .LBB467_221
.LBB467_216:
	s_waitcnt vmcnt(0)
	v_and_b32_e32 v5, 1, v9
	v_and_b32_e32 v6, 1, v10
                                        ; implicit-def: $vgpr9
	v_cmp_eq_u32_e32 vcc_lo, 1, v5
	v_cmp_eq_u32_e64 s0, 1, v6
	s_and_b32 s0, vcc_lo, s0
	s_xor_b32 s0, s0, -1
	s_and_saveexec_b32 s2, s0
	s_xor_b32 s0, exec_lo, s2
; %bb.217:
	v_and_b32_e32 v5, 0xff, v10
	v_cndmask_b32_e32 v2, v4, v2, vcc_lo
	v_cndmask_b32_e32 v1, v3, v1, vcc_lo
                                        ; implicit-def: $vgpr3_vgpr4
	v_cndmask_b32_e64 v9, v5, 1, vcc_lo
; %bb.218:
	s_andn2_saveexec_b32 s0, s0
; %bb.219:
	v_cmp_lt_i64_e32 vcc_lo, v[3:4], v[1:2]
	v_mov_b32_e32 v9, 1
	v_cndmask_b32_e32 v2, v2, v4, vcc_lo
	v_cndmask_b32_e32 v1, v1, v3, vcc_lo
; %bb.220:
	s_or_b32 exec_lo, exec_lo, s0
.LBB467_221:
	s_or_b32 exec_lo, exec_lo, s1
	s_waitcnt vmcnt(0)
	v_mbcnt_lo_u32_b32 v5, -1, 0
	v_and_b32_e32 v6, 0xe0, v0
	s_min_u32 s0, s8, 0x100
	s_mov_b32 s1, exec_lo
	v_cmp_ne_u32_e32 vcc_lo, 31, v5
	v_sub_nc_u32_e64 v6, s0, v6 clamp
	v_add_nc_u32_e32 v8, 1, v5
	v_add_co_ci_u32_e64 v3, null, 0, v5, vcc_lo
	v_lshlrev_b32_e32 v4, 2, v3
	ds_bpermute_b32 v7, v4, v9
	ds_bpermute_b32 v3, v4, v1
	;; [unrolled: 1-line block ×3, first 2 shown]
	v_cmpx_lt_u32_e64 v8, v6
	s_xor_b32 s1, exec_lo, s1
	s_cbranch_execz .LBB467_227
; %bb.222:
	s_waitcnt lgkmcnt(2)
	v_and_b32_e32 v8, v7, v9
	s_mov_b32 s2, exec_lo
	v_cmpx_ne_u32_e32 0, v8
	s_xor_b32 s2, exec_lo, s2
	s_cbranch_execz .LBB467_224
; %bb.223:
	s_waitcnt lgkmcnt(0)
	v_cmp_lt_i64_e32 vcc_lo, v[3:4], v[1:2]
                                        ; implicit-def: $vgpr9
                                        ; implicit-def: $vgpr7
	v_cndmask_b32_e32 v2, v2, v4, vcc_lo
	v_cndmask_b32_e32 v1, v1, v3, vcc_lo
                                        ; implicit-def: $vgpr3_vgpr4
.LBB467_224:
	s_or_saveexec_b32 s2, s2
	v_mov_b32_e32 v8, 1
	s_xor_b32 exec_lo, exec_lo, s2
	s_cbranch_execz .LBB467_226
; %bb.225:
	v_and_b32_e32 v8, 1, v9
	v_and_b32_e32 v7, 0xff, v7
	v_cmp_eq_u32_e32 vcc_lo, 1, v8
	s_waitcnt lgkmcnt(0)
	v_cndmask_b32_e32 v2, v4, v2, vcc_lo
	v_cndmask_b32_e32 v1, v3, v1, vcc_lo
	v_cndmask_b32_e64 v8, v7, 1, vcc_lo
.LBB467_226:
	s_or_b32 exec_lo, exec_lo, s2
	v_mov_b32_e32 v9, v8
.LBB467_227:
	s_or_b32 exec_lo, exec_lo, s1
	v_cmp_gt_u32_e32 vcc_lo, 30, v5
	v_add_nc_u32_e32 v8, 2, v5
	s_mov_b32 s1, exec_lo
	s_waitcnt lgkmcnt(1)
	v_cndmask_b32_e64 v3, 0, 2, vcc_lo
	s_waitcnt lgkmcnt(0)
	v_add_lshl_u32 v4, v3, v5, 2
	ds_bpermute_b32 v7, v4, v9
	ds_bpermute_b32 v3, v4, v1
	ds_bpermute_b32 v4, v4, v2
	v_cmpx_lt_u32_e64 v8, v6
	s_cbranch_execz .LBB467_233
; %bb.228:
	s_waitcnt lgkmcnt(2)
	v_and_b32_e32 v8, v9, v7
	s_mov_b32 s2, exec_lo
	v_and_b32_e32 v8, 1, v8
	v_cmpx_eq_u32_e32 1, v8
	s_xor_b32 s2, exec_lo, s2
	s_cbranch_execz .LBB467_230
; %bb.229:
	s_waitcnt lgkmcnt(0)
	v_cmp_lt_i64_e32 vcc_lo, v[3:4], v[1:2]
                                        ; implicit-def: $vgpr9
                                        ; implicit-def: $vgpr7
	v_cndmask_b32_e32 v2, v2, v4, vcc_lo
	v_cndmask_b32_e32 v1, v1, v3, vcc_lo
                                        ; implicit-def: $vgpr3_vgpr4
.LBB467_230:
	s_or_saveexec_b32 s2, s2
	v_mov_b32_e32 v8, 1
	s_xor_b32 exec_lo, exec_lo, s2
	s_cbranch_execz .LBB467_232
; %bb.231:
	v_and_b32_e32 v8, 1, v9
	v_and_b32_e32 v7, 0xff, v7
	v_cmp_eq_u32_e32 vcc_lo, 1, v8
	s_waitcnt lgkmcnt(0)
	v_cndmask_b32_e32 v2, v4, v2, vcc_lo
	v_cndmask_b32_e32 v1, v3, v1, vcc_lo
	v_cndmask_b32_e64 v8, v7, 1, vcc_lo
.LBB467_232:
	s_or_b32 exec_lo, exec_lo, s2
	v_mov_b32_e32 v9, v8
.LBB467_233:
	s_or_b32 exec_lo, exec_lo, s1
	v_cmp_gt_u32_e32 vcc_lo, 28, v5
	v_add_nc_u32_e32 v8, 4, v5
	s_mov_b32 s1, exec_lo
	s_waitcnt lgkmcnt(1)
	v_cndmask_b32_e64 v3, 0, 4, vcc_lo
	s_waitcnt lgkmcnt(0)
	v_add_lshl_u32 v4, v3, v5, 2
	ds_bpermute_b32 v7, v4, v9
	ds_bpermute_b32 v3, v4, v1
	ds_bpermute_b32 v4, v4, v2
	v_cmpx_lt_u32_e64 v8, v6
	s_cbranch_execz .LBB467_239
; %bb.234:
	s_waitcnt lgkmcnt(2)
	v_and_b32_e32 v8, v9, v7
	s_mov_b32 s2, exec_lo
	v_and_b32_e32 v8, 1, v8
	v_cmpx_eq_u32_e32 1, v8
	s_xor_b32 s2, exec_lo, s2
	s_cbranch_execz .LBB467_236
; %bb.235:
	s_waitcnt lgkmcnt(0)
	v_cmp_lt_i64_e32 vcc_lo, v[3:4], v[1:2]
                                        ; implicit-def: $vgpr9
                                        ; implicit-def: $vgpr7
	v_cndmask_b32_e32 v2, v2, v4, vcc_lo
	v_cndmask_b32_e32 v1, v1, v3, vcc_lo
                                        ; implicit-def: $vgpr3_vgpr4
.LBB467_236:
	s_or_saveexec_b32 s2, s2
	v_mov_b32_e32 v8, 1
	s_xor_b32 exec_lo, exec_lo, s2
	s_cbranch_execz .LBB467_238
; %bb.237:
	v_and_b32_e32 v8, 1, v9
	v_and_b32_e32 v7, 0xff, v7
	v_cmp_eq_u32_e32 vcc_lo, 1, v8
	s_waitcnt lgkmcnt(0)
	v_cndmask_b32_e32 v2, v4, v2, vcc_lo
	v_cndmask_b32_e32 v1, v3, v1, vcc_lo
	v_cndmask_b32_e64 v8, v7, 1, vcc_lo
.LBB467_238:
	s_or_b32 exec_lo, exec_lo, s2
	v_mov_b32_e32 v9, v8
.LBB467_239:
	;; [unrolled: 46-line block ×3, first 2 shown]
	s_or_b32 exec_lo, exec_lo, s1
	s_waitcnt lgkmcnt(2)
	v_lshlrev_b32_e32 v7, 2, v5
	v_add_nc_u32_e32 v10, 16, v5
	s_waitcnt lgkmcnt(0)
	v_or_b32_e32 v4, 64, v7
	v_cmp_lt_u32_e32 vcc_lo, v10, v6
	v_mov_b32_e32 v6, v9
	ds_bpermute_b32 v8, v4, v9
	ds_bpermute_b32 v3, v4, v1
	;; [unrolled: 1-line block ×3, first 2 shown]
	s_and_saveexec_b32 s1, vcc_lo
	s_cbranch_execz .LBB467_251
; %bb.246:
	s_waitcnt lgkmcnt(2)
	v_and_b32_e32 v6, v9, v8
	s_mov_b32 s2, exec_lo
	v_and_b32_e32 v6, 1, v6
	v_cmpx_eq_u32_e32 1, v6
	s_xor_b32 s2, exec_lo, s2
	s_cbranch_execz .LBB467_248
; %bb.247:
	s_waitcnt lgkmcnt(0)
	v_cmp_lt_i64_e32 vcc_lo, v[3:4], v[1:2]
                                        ; implicit-def: $vgpr9
                                        ; implicit-def: $vgpr8
	v_cndmask_b32_e32 v2, v2, v4, vcc_lo
	v_cndmask_b32_e32 v1, v1, v3, vcc_lo
                                        ; implicit-def: $vgpr3_vgpr4
.LBB467_248:
	s_or_saveexec_b32 s2, s2
	v_mov_b32_e32 v6, 1
	s_xor_b32 exec_lo, exec_lo, s2
	s_cbranch_execz .LBB467_250
; %bb.249:
	v_and_b32_e32 v6, 1, v9
	v_cmp_eq_u32_e32 vcc_lo, 1, v6
	v_cndmask_b32_e64 v6, v8, 1, vcc_lo
	s_waitcnt lgkmcnt(0)
	v_cndmask_b32_e32 v2, v4, v2, vcc_lo
	v_cndmask_b32_e32 v1, v3, v1, vcc_lo
.LBB467_250:
	s_or_b32 exec_lo, exec_lo, s2
	v_and_b32_e32 v9, 0xff, v6
.LBB467_251:
	s_or_b32 exec_lo, exec_lo, s1
	s_mov_b32 s1, exec_lo
	v_cmpx_eq_u32_e32 0, v5
	s_cbranch_execz .LBB467_253
; %bb.252:
	s_waitcnt lgkmcnt(1)
	v_lshrrev_b32_e32 v3, 1, v0
	v_and_b32_e32 v3, 0x70, v3
	ds_write_b8 v3, v6 offset:512
	ds_write_b64 v3, v[1:2] offset:520
.LBB467_253:
	s_or_b32 exec_lo, exec_lo, s1
	s_mov_b32 s1, exec_lo
	s_waitcnt lgkmcnt(0)
	s_barrier
	buffer_gl0_inv
	v_cmpx_gt_u32_e32 8, v0
	s_cbranch_execz .LBB467_273
; %bb.254:
	v_lshlrev_b32_e32 v1, 4, v5
	v_and_b32_e32 v6, 7, v5
	s_add_i32 s0, s0, 31
	s_mov_b32 s2, exec_lo
	s_lshr_b32 s0, s0, 5
	ds_read_u8 v8, v1 offset:512
	ds_read_b64 v[1:2], v1 offset:520
	v_cmp_ne_u32_e32 vcc_lo, 7, v6
	v_add_nc_u32_e32 v11, 1, v6
	v_add_co_ci_u32_e64 v3, null, 0, v5, vcc_lo
	v_lshlrev_b32_e32 v4, 2, v3
	s_waitcnt lgkmcnt(1)
	v_and_b32_e32 v9, 0xff, v8
	s_waitcnt lgkmcnt(0)
	ds_bpermute_b32 v3, v4, v1
	ds_bpermute_b32 v10, v4, v9
	;; [unrolled: 1-line block ×3, first 2 shown]
	v_cmpx_gt_u32_e64 s0, v11
	s_cbranch_execz .LBB467_260
; %bb.255:
	s_waitcnt lgkmcnt(1)
	v_and_b32_e32 v9, v9, v10
	s_mov_b32 s3, exec_lo
	v_and_b32_e32 v9, 1, v9
	v_cmpx_eq_u32_e32 1, v9
	s_xor_b32 s3, exec_lo, s3
	s_cbranch_execz .LBB467_257
; %bb.256:
	s_waitcnt lgkmcnt(0)
	v_cmp_lt_i64_e32 vcc_lo, v[3:4], v[1:2]
                                        ; implicit-def: $vgpr8
                                        ; implicit-def: $vgpr10
	v_cndmask_b32_e32 v2, v2, v4, vcc_lo
	v_cndmask_b32_e32 v1, v1, v3, vcc_lo
                                        ; implicit-def: $vgpr3_vgpr4
.LBB467_257:
	s_or_saveexec_b32 s3, s3
	v_mov_b32_e32 v9, 1
	s_xor_b32 exec_lo, exec_lo, s3
	s_cbranch_execz .LBB467_259
; %bb.258:
	v_and_b32_e32 v8, 1, v8
	v_cmp_eq_u32_e32 vcc_lo, 1, v8
	v_and_b32_e32 v8, 0xff, v10
	s_waitcnt lgkmcnt(0)
	v_cndmask_b32_e32 v2, v4, v2, vcc_lo
	v_cndmask_b32_e32 v1, v3, v1, vcc_lo
	v_cndmask_b32_e64 v9, v8, 1, vcc_lo
.LBB467_259:
	s_or_b32 exec_lo, exec_lo, s3
.LBB467_260:
	s_or_b32 exec_lo, exec_lo, s2
	v_cmp_gt_u32_e32 vcc_lo, 6, v6
	v_add_nc_u32_e32 v8, 2, v6
	s_mov_b32 s2, exec_lo
	s_waitcnt lgkmcnt(2)
	v_cndmask_b32_e64 v3, 0, 2, vcc_lo
	s_waitcnt lgkmcnt(0)
	v_add_lshl_u32 v4, v3, v5, 2
	ds_bpermute_b32 v5, v4, v9
	ds_bpermute_b32 v3, v4, v1
	;; [unrolled: 1-line block ×3, first 2 shown]
	v_cmpx_gt_u32_e64 s0, v8
	s_cbranch_execz .LBB467_266
; %bb.261:
	s_waitcnt lgkmcnt(2)
	v_and_b32_e32 v8, v9, v5
	s_mov_b32 s3, exec_lo
	v_and_b32_e32 v8, 1, v8
	v_cmpx_eq_u32_e32 1, v8
	s_xor_b32 s3, exec_lo, s3
	s_cbranch_execz .LBB467_263
; %bb.262:
	s_waitcnt lgkmcnt(0)
	v_cmp_lt_i64_e32 vcc_lo, v[3:4], v[1:2]
                                        ; implicit-def: $vgpr9
                                        ; implicit-def: $vgpr5
	v_cndmask_b32_e32 v2, v2, v4, vcc_lo
	v_cndmask_b32_e32 v1, v1, v3, vcc_lo
                                        ; implicit-def: $vgpr3_vgpr4
.LBB467_263:
	s_or_saveexec_b32 s3, s3
	v_mov_b32_e32 v8, 1
	s_xor_b32 exec_lo, exec_lo, s3
	s_cbranch_execz .LBB467_265
; %bb.264:
	v_and_b32_e32 v8, 1, v9
	v_and_b32_e32 v5, 0xff, v5
	v_cmp_eq_u32_e32 vcc_lo, 1, v8
	s_waitcnt lgkmcnt(0)
	v_cndmask_b32_e32 v2, v4, v2, vcc_lo
	v_cndmask_b32_e32 v1, v3, v1, vcc_lo
	v_cndmask_b32_e64 v8, v5, 1, vcc_lo
.LBB467_265:
	s_or_b32 exec_lo, exec_lo, s3
	v_mov_b32_e32 v9, v8
.LBB467_266:
	s_or_b32 exec_lo, exec_lo, s2
	s_waitcnt lgkmcnt(0)
	v_or_b32_e32 v4, 16, v7
	v_add_nc_u32_e32 v6, 4, v6
	ds_bpermute_b32 v5, v4, v9
	ds_bpermute_b32 v3, v4, v1
	;; [unrolled: 1-line block ×3, first 2 shown]
	v_cmp_gt_u32_e32 vcc_lo, s0, v6
	s_and_saveexec_b32 s0, vcc_lo
	s_cbranch_execz .LBB467_272
; %bb.267:
	s_waitcnt lgkmcnt(2)
	v_and_b32_e32 v6, v9, v5
	s_mov_b32 s2, exec_lo
	v_and_b32_e32 v6, 1, v6
	v_cmpx_eq_u32_e32 1, v6
	s_xor_b32 s2, exec_lo, s2
	s_cbranch_execz .LBB467_269
; %bb.268:
	s_waitcnt lgkmcnt(0)
	v_cmp_lt_i64_e32 vcc_lo, v[3:4], v[1:2]
                                        ; implicit-def: $vgpr9
                                        ; implicit-def: $vgpr5
	v_cndmask_b32_e32 v2, v2, v4, vcc_lo
	v_cndmask_b32_e32 v1, v1, v3, vcc_lo
                                        ; implicit-def: $vgpr3_vgpr4
.LBB467_269:
	s_or_saveexec_b32 s2, s2
	v_mov_b32_e32 v6, 1
	s_xor_b32 exec_lo, exec_lo, s2
	s_cbranch_execz .LBB467_271
; %bb.270:
	v_and_b32_e32 v6, 1, v9
	v_cmp_eq_u32_e32 vcc_lo, 1, v6
	s_waitcnt lgkmcnt(0)
	v_cndmask_b32_e32 v2, v4, v2, vcc_lo
	v_cndmask_b32_e32 v1, v3, v1, vcc_lo
	v_cndmask_b32_e64 v6, v5, 1, vcc_lo
.LBB467_271:
	s_or_b32 exec_lo, exec_lo, s2
	v_mov_b32_e32 v9, v6
.LBB467_272:
	s_or_b32 exec_lo, exec_lo, s0
.LBB467_273:
	s_or_b32 exec_lo, exec_lo, s1
.LBB467_274:
                                        ; implicit-def: $vgpr3_vgpr4
                                        ; implicit-def: $vgpr5
	s_mov_b32 s0, exec_lo
	v_cmpx_eq_u32_e32 0, v0
	s_xor_b32 s2, exec_lo, s0
	s_cbranch_execz .LBB467_278
; %bb.275:
	s_waitcnt lgkmcnt(0)
	v_mov_b32_e32 v3, s16
	v_mov_b32_e32 v4, s17
	;; [unrolled: 1-line block ×3, first 2 shown]
	s_cmp_eq_u64 s[14:15], 0
	s_cbranch_scc1 .LBB467_277
; %bb.276:
	v_and_b32_e32 v3, 1, v9
	v_cmp_gt_i64_e32 vcc_lo, s[16:17], v[1:2]
	s_bitcmp1_b32 s18, 0
	s_cselect_b32 s1, -1, 0
	v_cmp_eq_u32_e64 s0, 1, v3
	v_cndmask_b32_e64 v5, v9, 1, s1
	s_and_b32 vcc_lo, s0, vcc_lo
	v_cndmask_b32_e32 v3, s16, v1, vcc_lo
	v_cndmask_b32_e32 v4, s17, v2, vcc_lo
	v_cndmask_b32_e64 v3, v1, v3, s1
	v_cndmask_b32_e64 v4, v2, v4, s1
.LBB467_277:
	s_or_b32 s10, s10, exec_lo
.LBB467_278:
	s_or_b32 exec_lo, exec_lo, s2
	v_mov_b32_e32 v1, s6
	v_mov_b32_e32 v2, s7
	s_branch .LBB467_384
.LBB467_279:
	s_cmp_gt_i32 s19, 1
	s_cbranch_scc0 .LBB467_299
; %bb.280:
	s_cmp_eq_u32 s19, 2
	s_cbranch_scc0 .LBB467_300
; %bb.281:
	s_mov_b32 s7, 0
	s_lshl_b32 s8, s6, 9
	s_mov_b32 s9, s7
	s_lshr_b64 s[20:21], s[14:15], 9
	s_lshl_b64 s[0:1], s[8:9], 4
	s_add_u32 s2, s12, s0
	s_addc_u32 s3, s13, s1
	s_cmp_lg_u64 s[20:21], s[6:7]
	s_cbranch_scc0 .LBB467_301
; %bb.282:
	s_waitcnt lgkmcnt(1)
	v_lshlrev_b32_e32 v3, 4, v0
	v_mbcnt_lo_u32_b32 v8, -1, 0
	v_add_co_u32 v1, s0, s2, v3
	v_add_co_ci_u32_e64 v2, null, s3, 0, s0
	v_add_co_u32 v1, vcc_lo, 0x1000, v1
	v_add_co_ci_u32_e64 v2, null, 0, v2, vcc_lo
	global_load_ubyte v5, v[1:2], off
	s_waitcnt lgkmcnt(0)
	s_clause 0x2
	global_load_ubyte v6, v3, s[2:3]
	global_load_dwordx2 v[3:4], v3, s[2:3] offset:8
	global_load_dwordx2 v[1:2], v[1:2], off offset:8
	s_waitcnt vmcnt(3)
	v_and_b32_e32 v7, 1, v5
	s_waitcnt vmcnt(2)
	v_and_b32_e32 v6, 1, v6
	s_waitcnt vmcnt(0)
	v_cmp_lt_i64_e32 vcc_lo, v[1:2], v[3:4]
	v_cmp_eq_u32_e64 s0, 1, v7
	v_cmp_eq_u32_e64 s1, 1, v6
	s_and_b32 vcc_lo, s0, vcc_lo
	v_cndmask_b32_e64 v5, v5, 1, s1
	v_cndmask_b32_e32 v3, v3, v1, vcc_lo
	v_cndmask_b32_e32 v4, v4, v2, vcc_lo
	v_and_b32_e32 v5, 1, v5
	v_cndmask_b32_e64 v1, v1, v3, s1
	v_cndmask_b32_e64 v2, v2, v4, s1
	v_mov_b32_dpp v6, v5 quad_perm:[1,0,3,2] row_mask:0xf bank_mask:0xf
	v_mov_b32_dpp v3, v1 quad_perm:[1,0,3,2] row_mask:0xf bank_mask:0xf
	v_mov_b32_dpp v4, v2 quad_perm:[1,0,3,2] row_mask:0xf bank_mask:0xf
	v_cmp_eq_u32_e64 s0, 1, v5
	v_and_b32_e32 v6, 1, v6
	v_cmp_lt_i64_e32 vcc_lo, v[1:2], v[3:4]
	s_and_b32 vcc_lo, s0, vcc_lo
	v_cndmask_b32_e32 v3, v3, v1, vcc_lo
	v_cndmask_b32_e32 v4, v4, v2, vcc_lo
	v_cmp_eq_u32_e32 vcc_lo, 1, v6
	v_cndmask_b32_e32 v2, v2, v4, vcc_lo
	v_cndmask_b32_e32 v1, v1, v3, vcc_lo
	v_cndmask_b32_e64 v5, v5, 1, vcc_lo
	v_mov_b32_dpp v4, v2 quad_perm:[2,3,0,1] row_mask:0xf bank_mask:0xf
	v_mov_b32_dpp v3, v1 quad_perm:[2,3,0,1] row_mask:0xf bank_mask:0xf
	v_and_b32_e32 v7, 1, v5
	v_mov_b32_dpp v6, v5 quad_perm:[2,3,0,1] row_mask:0xf bank_mask:0xf
	v_cmp_lt_i64_e32 vcc_lo, v[1:2], v[3:4]
	v_cmp_eq_u32_e64 s0, 1, v7
	v_and_b32_e32 v6, 1, v6
	s_and_b32 vcc_lo, s0, vcc_lo
	v_cmp_eq_u32_e64 s1, 1, v6
	v_cndmask_b32_e32 v3, v3, v1, vcc_lo
	v_cndmask_b32_e32 v4, v4, v2, vcc_lo
	v_cndmask_b32_e64 v5, v5, 1, s1
	v_cndmask_b32_e64 v1, v1, v3, s1
	;; [unrolled: 1-line block ×3, first 2 shown]
	v_and_b32_e32 v7, 1, v5
	v_mov_b32_dpp v3, v1 row_ror:4 row_mask:0xf bank_mask:0xf
	v_mov_b32_dpp v4, v2 row_ror:4 row_mask:0xf bank_mask:0xf
	;; [unrolled: 1-line block ×3, first 2 shown]
	v_cmp_eq_u32_e64 s0, 1, v7
	v_cmp_lt_i64_e32 vcc_lo, v[1:2], v[3:4]
	v_and_b32_e32 v6, 1, v6
	s_and_b32 vcc_lo, s0, vcc_lo
	v_cmp_eq_u32_e64 s1, 1, v6
	v_cndmask_b32_e32 v3, v3, v1, vcc_lo
	v_cndmask_b32_e32 v4, v4, v2, vcc_lo
	v_cndmask_b32_e64 v5, v5, 1, s1
	v_cndmask_b32_e64 v1, v1, v3, s1
	;; [unrolled: 1-line block ×3, first 2 shown]
	v_and_b32_e32 v7, 1, v5
	v_mov_b32_dpp v3, v1 row_ror:8 row_mask:0xf bank_mask:0xf
	v_mov_b32_dpp v4, v2 row_ror:8 row_mask:0xf bank_mask:0xf
	;; [unrolled: 1-line block ×3, first 2 shown]
	v_cmp_eq_u32_e64 s0, 1, v7
	v_cmp_lt_i64_e32 vcc_lo, v[1:2], v[3:4]
	v_and_b32_e32 v6, 1, v6
	s_and_b32 vcc_lo, s0, vcc_lo
	v_cmp_eq_u32_e64 s1, 1, v6
	v_cndmask_b32_e32 v3, v3, v1, vcc_lo
	v_cndmask_b32_e32 v4, v4, v2, vcc_lo
	v_cndmask_b32_e64 v5, v5, 1, s1
	v_cndmask_b32_e64 v1, v1, v3, s1
	;; [unrolled: 1-line block ×3, first 2 shown]
	ds_swizzle_b32 v6, v5 offset:swizzle(BROADCAST,32,15)
	ds_swizzle_b32 v3, v1 offset:swizzle(BROADCAST,32,15)
	;; [unrolled: 1-line block ×3, first 2 shown]
	v_and_b32_e32 v7, 1, v5
	v_cmp_eq_u32_e64 s0, 1, v7
	s_waitcnt lgkmcnt(2)
	v_and_b32_e32 v6, 1, v6
	s_waitcnt lgkmcnt(0)
	v_cmp_lt_i64_e32 vcc_lo, v[1:2], v[3:4]
	v_cmp_eq_u32_e64 s1, 1, v6
	v_mov_b32_e32 v6, 0
	s_and_b32 vcc_lo, s0, vcc_lo
	s_mov_b32 s0, exec_lo
	v_cndmask_b32_e32 v3, v3, v1, vcc_lo
	v_cndmask_b32_e32 v4, v4, v2, vcc_lo
	v_cndmask_b32_e64 v5, v5, 1, s1
	v_cndmask_b32_e64 v1, v1, v3, s1
	;; [unrolled: 1-line block ×3, first 2 shown]
	ds_bpermute_b32 v7, v6, v5 offset:124
	ds_bpermute_b32 v1, v6, v1 offset:124
	;; [unrolled: 1-line block ×3, first 2 shown]
	v_cmpx_eq_u32_e32 0, v8
	s_cbranch_execz .LBB467_284
; %bb.283:
	v_lshrrev_b32_e32 v3, 1, v0
	v_and_b32_e32 v3, 0x70, v3
	s_waitcnt lgkmcnt(2)
	ds_write_b8 v3, v7 offset:128
	s_waitcnt lgkmcnt(1)
	ds_write_b64 v3, v[1:2] offset:136
.LBB467_284:
	s_or_b32 exec_lo, exec_lo, s0
	s_mov_b32 s0, exec_lo
	s_waitcnt lgkmcnt(0)
	s_barrier
	buffer_gl0_inv
	v_cmpx_gt_u32_e32 32, v0
	s_cbranch_execz .LBB467_298
; %bb.285:
	v_and_b32_e32 v7, 7, v8
	v_lshlrev_b32_e32 v1, 4, v7
	v_cmp_ne_u32_e32 vcc_lo, 7, v7
	ds_read_u8 v10, v1 offset:128
	ds_read_b64 v[3:4], v1 offset:136
	v_add_co_ci_u32_e64 v2, null, 0, v8, vcc_lo
	v_lshlrev_b32_e32 v2, 2, v2
	s_waitcnt lgkmcnt(1)
	v_and_b32_e32 v1, 0xff, v10
	s_waitcnt lgkmcnt(0)
	ds_bpermute_b32 v5, v2, v3
	ds_bpermute_b32 v6, v2, v4
	;; [unrolled: 1-line block ×3, first 2 shown]
	s_waitcnt lgkmcnt(0)
	v_and_b32_e32 v1, v10, v11
	v_and_b32_e32 v1, 1, v1
	v_cmp_eq_u32_e32 vcc_lo, 1, v1
                                        ; implicit-def: $vgpr1_vgpr2
	s_and_saveexec_b32 s1, vcc_lo
	s_xor_b32 s1, exec_lo, s1
; %bb.286:
	v_cmp_lt_i64_e32 vcc_lo, v[5:6], v[3:4]
                                        ; implicit-def: $vgpr10
                                        ; implicit-def: $vgpr11
	v_cndmask_b32_e32 v2, v4, v6, vcc_lo
	v_cndmask_b32_e32 v1, v3, v5, vcc_lo
                                        ; implicit-def: $vgpr5_vgpr6
                                        ; implicit-def: $vgpr3_vgpr4
; %bb.287:
	s_or_saveexec_b32 s1, s1
	v_mov_b32_e32 v9, 1
	s_xor_b32 exec_lo, exec_lo, s1
; %bb.288:
	v_and_b32_e32 v1, 1, v10
	v_and_b32_e32 v9, 0xff, v11
	v_cmp_eq_u32_e32 vcc_lo, 1, v1
	v_cndmask_b32_e32 v2, v6, v4, vcc_lo
	v_cndmask_b32_e32 v1, v5, v3, vcc_lo
	v_cndmask_b32_e64 v9, v9, 1, vcc_lo
; %bb.289:
	s_or_b32 exec_lo, exec_lo, s1
	v_cmp_gt_u32_e32 vcc_lo, 6, v7
	v_cndmask_b32_e64 v3, 0, 2, vcc_lo
	v_add_lshl_u32 v3, v3, v8, 2
	ds_bpermute_b32 v7, v3, v9
	ds_bpermute_b32 v5, v3, v1
	;; [unrolled: 1-line block ×3, first 2 shown]
	s_waitcnt lgkmcnt(2)
	v_and_b32_e32 v3, v9, v7
	v_and_b32_e32 v3, 1, v3
	v_cmp_eq_u32_e32 vcc_lo, 1, v3
                                        ; implicit-def: $vgpr3_vgpr4
	s_and_saveexec_b32 s1, vcc_lo
	s_xor_b32 s1, exec_lo, s1
	s_cbranch_execz .LBB467_291
; %bb.290:
	s_waitcnt lgkmcnt(0)
	v_cmp_lt_i64_e32 vcc_lo, v[5:6], v[1:2]
                                        ; implicit-def: $vgpr9
                                        ; implicit-def: $vgpr7
	v_cndmask_b32_e32 v4, v2, v6, vcc_lo
	v_cndmask_b32_e32 v3, v1, v5, vcc_lo
                                        ; implicit-def: $vgpr5_vgpr6
                                        ; implicit-def: $vgpr1_vgpr2
.LBB467_291:
	s_or_saveexec_b32 s1, s1
	v_lshlrev_b32_e32 v10, 2, v8
	v_mov_b32_e32 v8, 1
	s_xor_b32 exec_lo, exec_lo, s1
	s_cbranch_execz .LBB467_293
; %bb.292:
	v_and_b32_e32 v3, 1, v9
	v_and_b32_e32 v7, 0xff, v7
	v_cmp_eq_u32_e32 vcc_lo, 1, v3
	s_waitcnt lgkmcnt(0)
	v_cndmask_b32_e32 v4, v6, v2, vcc_lo
	v_cndmask_b32_e32 v3, v5, v1, vcc_lo
	v_cndmask_b32_e64 v8, v7, 1, vcc_lo
.LBB467_293:
	s_or_b32 exec_lo, exec_lo, s1
	v_or_b32_e32 v1, 16, v10
	ds_bpermute_b32 v9, v1, v8
	s_waitcnt lgkmcnt(2)
	ds_bpermute_b32 v5, v1, v3
	s_waitcnt lgkmcnt(2)
	;; [unrolled: 2-line block ×3, first 2 shown]
	v_and_b32_e32 v1, v8, v9
	v_and_b32_e32 v1, 1, v1
	v_cmp_eq_u32_e32 vcc_lo, 1, v1
                                        ; implicit-def: $vgpr1_vgpr2
	s_and_saveexec_b32 s1, vcc_lo
	s_xor_b32 s1, exec_lo, s1
	s_cbranch_execz .LBB467_295
; %bb.294:
	s_waitcnt lgkmcnt(0)
	v_cmp_lt_i64_e32 vcc_lo, v[5:6], v[3:4]
                                        ; implicit-def: $vgpr8
                                        ; implicit-def: $vgpr9
	v_cndmask_b32_e32 v2, v4, v6, vcc_lo
	v_cndmask_b32_e32 v1, v3, v5, vcc_lo
                                        ; implicit-def: $vgpr5_vgpr6
                                        ; implicit-def: $vgpr3_vgpr4
.LBB467_295:
	s_or_saveexec_b32 s1, s1
	v_mov_b32_e32 v7, 1
	s_xor_b32 exec_lo, exec_lo, s1
	s_cbranch_execz .LBB467_297
; %bb.296:
	v_and_b32_e32 v1, 1, v8
	v_cmp_eq_u32_e32 vcc_lo, 1, v1
	s_waitcnt lgkmcnt(0)
	v_cndmask_b32_e32 v2, v6, v4, vcc_lo
	v_cndmask_b32_e32 v1, v5, v3, vcc_lo
	v_cndmask_b32_e64 v7, v9, 1, vcc_lo
.LBB467_297:
	s_or_b32 exec_lo, exec_lo, s1
.LBB467_298:
	s_or_b32 exec_lo, exec_lo, s0
	s_branch .LBB467_359
.LBB467_299:
                                        ; implicit-def: $vgpr3_vgpr4
                                        ; implicit-def: $vgpr5
                                        ; implicit-def: $vgpr1_vgpr2
	s_cbranch_execnz .LBB467_364
	s_branch .LBB467_384
.LBB467_300:
                                        ; implicit-def: $vgpr3_vgpr4
                                        ; implicit-def: $vgpr5
                                        ; implicit-def: $vgpr1_vgpr2
	s_branch .LBB467_384
.LBB467_301:
                                        ; implicit-def: $vgpr1_vgpr2
                                        ; implicit-def: $vgpr7
	s_cbranch_execz .LBB467_359
; %bb.302:
	s_waitcnt lgkmcnt(0)
	v_mov_b32_e32 v3, 0
	v_mov_b32_e32 v1, 0
	;; [unrolled: 1-line block ×6, first 2 shown]
	s_sub_i32 s8, s14, s8
	s_mov_b32 s0, exec_lo
	v_cmpx_gt_u32_e64 s8, v0
	s_cbranch_execz .LBB467_304
; %bb.303:
	v_lshlrev_b32_e32 v1, 4, v0
	s_clause 0x1
	global_load_ubyte v6, v1, s[2:3]
	global_load_dwordx2 v[1:2], v1, s[2:3] offset:8
.LBB467_304:
	s_or_b32 exec_lo, exec_lo, s0
	v_or_b32_e32 v7, 0x100, v0
	v_cmp_gt_u32_e32 vcc_lo, s8, v7
	s_and_saveexec_b32 s0, vcc_lo
	s_cbranch_execz .LBB467_306
; %bb.305:
	v_lshlrev_b32_e32 v3, 4, v7
	s_clause 0x1
	global_load_ubyte v5, v3, s[2:3]
	global_load_dwordx2 v[3:4], v3, s[2:3] offset:8
.LBB467_306:
	s_or_b32 exec_lo, exec_lo, s0
	s_waitcnt vmcnt(1)
	v_and_b32_e32 v7, 1, v5
	s_waitcnt vmcnt(0)
	v_cmp_lt_i64_e64 s0, v[3:4], v[1:2]
	v_and_b32_e32 v8, 0xff, v5
	v_mbcnt_lo_u32_b32 v5, -1, 0
	v_cmp_eq_u32_e64 s1, 1, v7
	v_and_b32_e32 v7, 0xff, v6
	v_and_b32_e32 v6, 1, v6
	s_and_b32 s0, s1, s0
	v_cmp_ne_u32_e64 s1, 31, v5
	v_cndmask_b32_e64 v9, v2, v4, s0
	v_cndmask_b32_e64 v10, v1, v3, s0
	v_cmp_eq_u32_e64 s0, 1, v6
	v_cndmask_b32_e64 v6, v8, 1, s0
	v_add_co_ci_u32_e64 v8, null, 0, v5, s1
	v_cndmask_b32_e64 v3, v3, v10, s0
	v_cndmask_b32_e64 v4, v4, v9, s0
	v_cndmask_b32_e32 v7, v7, v6, vcc_lo
	v_lshlrev_b32_e32 v6, 2, v8
	s_min_u32 s0, s8, 0x100
	v_cndmask_b32_e32 v1, v1, v3, vcc_lo
	v_cndmask_b32_e32 v2, v2, v4, vcc_lo
	v_add_nc_u32_e32 v9, 1, v5
	ds_bpermute_b32 v8, v6, v7
	s_mov_b32 s1, exec_lo
	ds_bpermute_b32 v3, v6, v1
	ds_bpermute_b32 v4, v6, v2
	v_and_b32_e32 v6, 0xe0, v0
	v_sub_nc_u32_e64 v6, s0, v6 clamp
	v_cmpx_lt_u32_e64 v9, v6
	s_cbranch_execz .LBB467_312
; %bb.307:
	s_waitcnt lgkmcnt(2)
	v_and_b32_e32 v9, v7, v8
	s_mov_b32 s2, exec_lo
	v_cmpx_ne_u32_e32 0, v9
	s_xor_b32 s2, exec_lo, s2
	s_cbranch_execz .LBB467_309
; %bb.308:
	s_waitcnt lgkmcnt(0)
	v_cmp_lt_i64_e32 vcc_lo, v[3:4], v[1:2]
                                        ; implicit-def: $vgpr7
                                        ; implicit-def: $vgpr8
	v_cndmask_b32_e32 v2, v2, v4, vcc_lo
	v_cndmask_b32_e32 v1, v1, v3, vcc_lo
                                        ; implicit-def: $vgpr3_vgpr4
.LBB467_309:
	s_or_saveexec_b32 s2, s2
	v_mov_b32_e32 v9, 1
	s_xor_b32 exec_lo, exec_lo, s2
	s_cbranch_execz .LBB467_311
; %bb.310:
	v_and_b32_e32 v7, 1, v7
	v_cmp_eq_u32_e32 vcc_lo, 1, v7
	v_and_b32_e32 v7, 0xff, v8
	s_waitcnt lgkmcnt(0)
	v_cndmask_b32_e32 v2, v4, v2, vcc_lo
	v_cndmask_b32_e32 v1, v3, v1, vcc_lo
	v_cndmask_b32_e64 v9, v7, 1, vcc_lo
.LBB467_311:
	s_or_b32 exec_lo, exec_lo, s2
	v_mov_b32_e32 v7, v9
.LBB467_312:
	s_or_b32 exec_lo, exec_lo, s1
	v_cmp_gt_u32_e32 vcc_lo, 30, v5
	v_add_nc_u32_e32 v9, 2, v5
	s_mov_b32 s1, exec_lo
	s_waitcnt lgkmcnt(1)
	v_cndmask_b32_e64 v3, 0, 2, vcc_lo
	s_waitcnt lgkmcnt(0)
	v_add_lshl_u32 v4, v3, v5, 2
	ds_bpermute_b32 v8, v4, v7
	ds_bpermute_b32 v3, v4, v1
	ds_bpermute_b32 v4, v4, v2
	v_cmpx_lt_u32_e64 v9, v6
	s_cbranch_execz .LBB467_318
; %bb.313:
	s_waitcnt lgkmcnt(2)
	v_and_b32_e32 v9, v7, v8
	s_mov_b32 s2, exec_lo
	v_and_b32_e32 v9, 1, v9
	v_cmpx_eq_u32_e32 1, v9
	s_xor_b32 s2, exec_lo, s2
	s_cbranch_execz .LBB467_315
; %bb.314:
	s_waitcnt lgkmcnt(0)
	v_cmp_lt_i64_e32 vcc_lo, v[3:4], v[1:2]
                                        ; implicit-def: $vgpr7
                                        ; implicit-def: $vgpr8
	v_cndmask_b32_e32 v2, v2, v4, vcc_lo
	v_cndmask_b32_e32 v1, v1, v3, vcc_lo
                                        ; implicit-def: $vgpr3_vgpr4
.LBB467_315:
	s_or_saveexec_b32 s2, s2
	v_mov_b32_e32 v9, 1
	s_xor_b32 exec_lo, exec_lo, s2
	s_cbranch_execz .LBB467_317
; %bb.316:
	v_and_b32_e32 v7, 1, v7
	v_cmp_eq_u32_e32 vcc_lo, 1, v7
	v_and_b32_e32 v7, 0xff, v8
	s_waitcnt lgkmcnt(0)
	v_cndmask_b32_e32 v2, v4, v2, vcc_lo
	v_cndmask_b32_e32 v1, v3, v1, vcc_lo
	v_cndmask_b32_e64 v9, v7, 1, vcc_lo
.LBB467_317:
	s_or_b32 exec_lo, exec_lo, s2
	v_mov_b32_e32 v7, v9
.LBB467_318:
	s_or_b32 exec_lo, exec_lo, s1
	v_cmp_gt_u32_e32 vcc_lo, 28, v5
	v_add_nc_u32_e32 v9, 4, v5
	s_mov_b32 s1, exec_lo
	s_waitcnt lgkmcnt(1)
	v_cndmask_b32_e64 v3, 0, 4, vcc_lo
	s_waitcnt lgkmcnt(0)
	v_add_lshl_u32 v4, v3, v5, 2
	ds_bpermute_b32 v8, v4, v7
	ds_bpermute_b32 v3, v4, v1
	ds_bpermute_b32 v4, v4, v2
	v_cmpx_lt_u32_e64 v9, v6
	s_cbranch_execz .LBB467_324
; %bb.319:
	s_waitcnt lgkmcnt(2)
	v_and_b32_e32 v9, v7, v8
	s_mov_b32 s2, exec_lo
	v_and_b32_e32 v9, 1, v9
	v_cmpx_eq_u32_e32 1, v9
	s_xor_b32 s2, exec_lo, s2
	s_cbranch_execz .LBB467_321
; %bb.320:
	s_waitcnt lgkmcnt(0)
	v_cmp_lt_i64_e32 vcc_lo, v[3:4], v[1:2]
                                        ; implicit-def: $vgpr7
                                        ; implicit-def: $vgpr8
	v_cndmask_b32_e32 v2, v2, v4, vcc_lo
	v_cndmask_b32_e32 v1, v1, v3, vcc_lo
                                        ; implicit-def: $vgpr3_vgpr4
.LBB467_321:
	s_or_saveexec_b32 s2, s2
	v_mov_b32_e32 v9, 1
	s_xor_b32 exec_lo, exec_lo, s2
	s_cbranch_execz .LBB467_323
; %bb.322:
	v_and_b32_e32 v7, 1, v7
	v_cmp_eq_u32_e32 vcc_lo, 1, v7
	v_and_b32_e32 v7, 0xff, v8
	s_waitcnt lgkmcnt(0)
	v_cndmask_b32_e32 v2, v4, v2, vcc_lo
	v_cndmask_b32_e32 v1, v3, v1, vcc_lo
	v_cndmask_b32_e64 v9, v7, 1, vcc_lo
.LBB467_323:
	s_or_b32 exec_lo, exec_lo, s2
	v_mov_b32_e32 v7, v9
.LBB467_324:
	;; [unrolled: 46-line block ×3, first 2 shown]
	s_or_b32 exec_lo, exec_lo, s1
	s_waitcnt lgkmcnt(2)
	v_lshlrev_b32_e32 v8, 2, v5
	v_add_nc_u32_e32 v10, 16, v5
	s_waitcnt lgkmcnt(0)
	v_or_b32_e32 v4, 64, v8
	v_cmp_lt_u32_e32 vcc_lo, v10, v6
	v_mov_b32_e32 v6, v7
	ds_bpermute_b32 v9, v4, v7
	ds_bpermute_b32 v3, v4, v1
	;; [unrolled: 1-line block ×3, first 2 shown]
	s_and_saveexec_b32 s1, vcc_lo
	s_cbranch_execz .LBB467_336
; %bb.331:
	s_waitcnt lgkmcnt(2)
	v_and_b32_e32 v6, v7, v9
	s_mov_b32 s2, exec_lo
	v_and_b32_e32 v6, 1, v6
	v_cmpx_eq_u32_e32 1, v6
	s_xor_b32 s2, exec_lo, s2
	s_cbranch_execz .LBB467_333
; %bb.332:
	s_waitcnt lgkmcnt(0)
	v_cmp_lt_i64_e32 vcc_lo, v[3:4], v[1:2]
                                        ; implicit-def: $vgpr7
                                        ; implicit-def: $vgpr9
	v_cndmask_b32_e32 v2, v2, v4, vcc_lo
	v_cndmask_b32_e32 v1, v1, v3, vcc_lo
                                        ; implicit-def: $vgpr3_vgpr4
.LBB467_333:
	s_or_saveexec_b32 s2, s2
	v_mov_b32_e32 v6, 1
	s_xor_b32 exec_lo, exec_lo, s2
	s_cbranch_execz .LBB467_335
; %bb.334:
	v_and_b32_e32 v6, 1, v7
	v_cmp_eq_u32_e32 vcc_lo, 1, v6
	v_cndmask_b32_e64 v6, v9, 1, vcc_lo
	s_waitcnt lgkmcnt(0)
	v_cndmask_b32_e32 v2, v4, v2, vcc_lo
	v_cndmask_b32_e32 v1, v3, v1, vcc_lo
.LBB467_335:
	s_or_b32 exec_lo, exec_lo, s2
	v_and_b32_e32 v7, 0xff, v6
.LBB467_336:
	s_or_b32 exec_lo, exec_lo, s1
	s_mov_b32 s1, exec_lo
	v_cmpx_eq_u32_e32 0, v5
	s_cbranch_execz .LBB467_338
; %bb.337:
	s_waitcnt lgkmcnt(1)
	v_lshrrev_b32_e32 v3, 1, v0
	v_and_b32_e32 v3, 0x70, v3
	ds_write_b8 v3, v6 offset:512
	ds_write_b64 v3, v[1:2] offset:520
.LBB467_338:
	s_or_b32 exec_lo, exec_lo, s1
	s_mov_b32 s1, exec_lo
	s_waitcnt lgkmcnt(0)
	s_barrier
	buffer_gl0_inv
	v_cmpx_gt_u32_e32 8, v0
	s_cbranch_execz .LBB467_358
; %bb.339:
	v_lshlrev_b32_e32 v1, 4, v5
	v_and_b32_e32 v6, 7, v5
	s_add_i32 s0, s0, 31
	s_mov_b32 s2, exec_lo
	s_lshr_b32 s0, s0, 5
	ds_read_u8 v9, v1 offset:512
	ds_read_b64 v[1:2], v1 offset:520
	v_cmp_ne_u32_e32 vcc_lo, 7, v6
	v_add_nc_u32_e32 v11, 1, v6
	v_add_co_ci_u32_e64 v3, null, 0, v5, vcc_lo
	v_lshlrev_b32_e32 v4, 2, v3
	s_waitcnt lgkmcnt(1)
	v_and_b32_e32 v7, 0xff, v9
	s_waitcnt lgkmcnt(0)
	ds_bpermute_b32 v3, v4, v1
	ds_bpermute_b32 v10, v4, v7
	;; [unrolled: 1-line block ×3, first 2 shown]
	v_cmpx_gt_u32_e64 s0, v11
	s_cbranch_execz .LBB467_345
; %bb.340:
	s_waitcnt lgkmcnt(1)
	v_and_b32_e32 v7, v7, v10
	s_mov_b32 s3, exec_lo
	v_and_b32_e32 v7, 1, v7
	v_cmpx_eq_u32_e32 1, v7
	s_xor_b32 s3, exec_lo, s3
	s_cbranch_execz .LBB467_342
; %bb.341:
	s_waitcnt lgkmcnt(0)
	v_cmp_lt_i64_e32 vcc_lo, v[3:4], v[1:2]
                                        ; implicit-def: $vgpr9
                                        ; implicit-def: $vgpr10
	v_cndmask_b32_e32 v2, v2, v4, vcc_lo
	v_cndmask_b32_e32 v1, v1, v3, vcc_lo
                                        ; implicit-def: $vgpr3_vgpr4
.LBB467_342:
	s_or_saveexec_b32 s3, s3
	v_mov_b32_e32 v7, 1
	s_xor_b32 exec_lo, exec_lo, s3
	s_cbranch_execz .LBB467_344
; %bb.343:
	v_and_b32_e32 v7, 1, v9
	v_cmp_eq_u32_e32 vcc_lo, 1, v7
	v_and_b32_e32 v7, 0xff, v10
	s_waitcnt lgkmcnt(0)
	v_cndmask_b32_e32 v2, v4, v2, vcc_lo
	v_cndmask_b32_e32 v1, v3, v1, vcc_lo
	v_cndmask_b32_e64 v7, v7, 1, vcc_lo
.LBB467_344:
	s_or_b32 exec_lo, exec_lo, s3
.LBB467_345:
	s_or_b32 exec_lo, exec_lo, s2
	v_cmp_gt_u32_e32 vcc_lo, 6, v6
	v_add_nc_u32_e32 v9, 2, v6
	s_mov_b32 s2, exec_lo
	s_waitcnt lgkmcnt(2)
	v_cndmask_b32_e64 v3, 0, 2, vcc_lo
	s_waitcnt lgkmcnt(0)
	v_add_lshl_u32 v4, v3, v5, 2
	ds_bpermute_b32 v5, v4, v7
	ds_bpermute_b32 v3, v4, v1
	;; [unrolled: 1-line block ×3, first 2 shown]
	v_cmpx_gt_u32_e64 s0, v9
	s_cbranch_execz .LBB467_351
; %bb.346:
	s_waitcnt lgkmcnt(2)
	v_and_b32_e32 v9, v7, v5
	s_mov_b32 s3, exec_lo
	v_and_b32_e32 v9, 1, v9
	v_cmpx_eq_u32_e32 1, v9
	s_xor_b32 s3, exec_lo, s3
	s_cbranch_execz .LBB467_348
; %bb.347:
	s_waitcnt lgkmcnt(0)
	v_cmp_lt_i64_e32 vcc_lo, v[3:4], v[1:2]
                                        ; implicit-def: $vgpr7
                                        ; implicit-def: $vgpr5
	v_cndmask_b32_e32 v2, v2, v4, vcc_lo
	v_cndmask_b32_e32 v1, v1, v3, vcc_lo
                                        ; implicit-def: $vgpr3_vgpr4
.LBB467_348:
	s_or_saveexec_b32 s3, s3
	v_mov_b32_e32 v9, 1
	s_xor_b32 exec_lo, exec_lo, s3
	s_cbranch_execz .LBB467_350
; %bb.349:
	v_and_b32_e32 v7, 1, v7
	v_and_b32_e32 v5, 0xff, v5
	v_cmp_eq_u32_e32 vcc_lo, 1, v7
	s_waitcnt lgkmcnt(0)
	v_cndmask_b32_e32 v2, v4, v2, vcc_lo
	v_cndmask_b32_e32 v1, v3, v1, vcc_lo
	v_cndmask_b32_e64 v9, v5, 1, vcc_lo
.LBB467_350:
	s_or_b32 exec_lo, exec_lo, s3
	v_mov_b32_e32 v7, v9
.LBB467_351:
	s_or_b32 exec_lo, exec_lo, s2
	s_waitcnt lgkmcnt(0)
	v_or_b32_e32 v4, 16, v8
	v_add_nc_u32_e32 v6, 4, v6
	ds_bpermute_b32 v5, v4, v7
	ds_bpermute_b32 v3, v4, v1
	;; [unrolled: 1-line block ×3, first 2 shown]
	v_cmp_gt_u32_e32 vcc_lo, s0, v6
	s_and_saveexec_b32 s0, vcc_lo
	s_cbranch_execz .LBB467_357
; %bb.352:
	s_waitcnt lgkmcnt(2)
	v_and_b32_e32 v6, v7, v5
	s_mov_b32 s2, exec_lo
	v_and_b32_e32 v6, 1, v6
	v_cmpx_eq_u32_e32 1, v6
	s_xor_b32 s2, exec_lo, s2
	s_cbranch_execz .LBB467_354
; %bb.353:
	s_waitcnt lgkmcnt(0)
	v_cmp_lt_i64_e32 vcc_lo, v[3:4], v[1:2]
                                        ; implicit-def: $vgpr7
                                        ; implicit-def: $vgpr5
	v_cndmask_b32_e32 v2, v2, v4, vcc_lo
	v_cndmask_b32_e32 v1, v1, v3, vcc_lo
                                        ; implicit-def: $vgpr3_vgpr4
.LBB467_354:
	s_or_saveexec_b32 s2, s2
	v_mov_b32_e32 v6, 1
	s_xor_b32 exec_lo, exec_lo, s2
	s_cbranch_execz .LBB467_356
; %bb.355:
	v_and_b32_e32 v6, 1, v7
	v_cmp_eq_u32_e32 vcc_lo, 1, v6
	s_waitcnt lgkmcnt(0)
	v_cndmask_b32_e32 v2, v4, v2, vcc_lo
	v_cndmask_b32_e32 v1, v3, v1, vcc_lo
	v_cndmask_b32_e64 v6, v5, 1, vcc_lo
.LBB467_356:
	s_or_b32 exec_lo, exec_lo, s2
	v_mov_b32_e32 v7, v6
.LBB467_357:
	s_or_b32 exec_lo, exec_lo, s0
.LBB467_358:
	s_or_b32 exec_lo, exec_lo, s1
.LBB467_359:
                                        ; implicit-def: $vgpr3_vgpr4
                                        ; implicit-def: $vgpr5
	s_mov_b32 s0, exec_lo
	v_cmpx_eq_u32_e32 0, v0
	s_xor_b32 s2, exec_lo, s0
	s_cbranch_execz .LBB467_363
; %bb.360:
	s_waitcnt lgkmcnt(0)
	v_mov_b32_e32 v3, s16
	v_mov_b32_e32 v4, s17
	;; [unrolled: 1-line block ×3, first 2 shown]
	s_cmp_eq_u64 s[14:15], 0
	s_cbranch_scc1 .LBB467_362
; %bb.361:
	v_and_b32_e32 v3, 1, v7
	v_cmp_gt_i64_e32 vcc_lo, s[16:17], v[1:2]
	s_bitcmp1_b32 s18, 0
	s_cselect_b32 s1, -1, 0
	v_cmp_eq_u32_e64 s0, 1, v3
	v_cndmask_b32_e64 v5, v7, 1, s1
	s_and_b32 vcc_lo, s0, vcc_lo
	v_cndmask_b32_e32 v3, s16, v1, vcc_lo
	v_cndmask_b32_e32 v4, s17, v2, vcc_lo
	v_cndmask_b32_e64 v3, v1, v3, s1
	v_cndmask_b32_e64 v4, v2, v4, s1
.LBB467_362:
	s_or_b32 s10, s10, exec_lo
.LBB467_363:
	s_or_b32 exec_lo, exec_lo, s2
	v_mov_b32_e32 v1, s6
	v_mov_b32_e32 v2, s7
	s_branch .LBB467_384
.LBB467_364:
	s_cmp_eq_u32 s19, 1
	s_cbranch_scc0 .LBB467_383
; %bb.365:
	s_mov_b32 s3, 0
	v_mbcnt_lo_u32_b32 v7, -1, 0
	s_lshr_b64 s[0:1], s[14:15], 8
	s_mov_b32 s7, s3
	s_lshl_b32 s2, s6, 8
	s_cmp_lg_u64 s[0:1], s[6:7]
	s_cbranch_scc0 .LBB467_387
; %bb.366:
	s_lshl_b64 s[0:1], s[2:3], 4
	v_lshlrev_b32_e32 v1, 4, v0
	s_add_u32 s0, s12, s0
	s_addc_u32 s1, s13, s1
	s_waitcnt lgkmcnt(1)
	s_clause 0x1
	global_load_ubyte v3, v1, s[0:1]
	global_load_dwordx2 v[1:2], v1, s[0:1] offset:8
	s_waitcnt vmcnt(1)
	v_and_b32_e32 v5, 1, v3
	s_waitcnt vmcnt(0)
	v_mov_b32_dpp v3, v1 quad_perm:[1,0,3,2] row_mask:0xf bank_mask:0xf
	s_waitcnt lgkmcnt(0)
	v_mov_b32_dpp v4, v2 quad_perm:[1,0,3,2] row_mask:0xf bank_mask:0xf
	v_mov_b32_dpp v6, v5 quad_perm:[1,0,3,2] row_mask:0xf bank_mask:0xf
	v_cmp_eq_u32_e64 s0, 1, v5
	v_cmp_lt_i64_e32 vcc_lo, v[1:2], v[3:4]
	v_and_b32_e32 v6, 1, v6
	s_and_b32 vcc_lo, s0, vcc_lo
	v_cndmask_b32_e32 v3, v3, v1, vcc_lo
	v_cndmask_b32_e32 v4, v4, v2, vcc_lo
	v_cmp_eq_u32_e32 vcc_lo, 1, v6
	v_cndmask_b32_e32 v2, v2, v4, vcc_lo
	v_cndmask_b32_e32 v1, v1, v3, vcc_lo
	v_cndmask_b32_e64 v5, v5, 1, vcc_lo
	v_mov_b32_dpp v4, v2 quad_perm:[2,3,0,1] row_mask:0xf bank_mask:0xf
	v_mov_b32_dpp v3, v1 quad_perm:[2,3,0,1] row_mask:0xf bank_mask:0xf
	v_and_b32_e32 v8, 1, v5
	v_mov_b32_dpp v6, v5 quad_perm:[2,3,0,1] row_mask:0xf bank_mask:0xf
	v_cmp_lt_i64_e32 vcc_lo, v[1:2], v[3:4]
	v_cmp_eq_u32_e64 s0, 1, v8
	v_and_b32_e32 v6, 1, v6
	s_and_b32 vcc_lo, s0, vcc_lo
	v_cmp_eq_u32_e64 s1, 1, v6
	v_cndmask_b32_e32 v3, v3, v1, vcc_lo
	v_cndmask_b32_e32 v4, v4, v2, vcc_lo
	v_cndmask_b32_e64 v5, v5, 1, s1
	v_cndmask_b32_e64 v1, v1, v3, s1
	;; [unrolled: 1-line block ×3, first 2 shown]
	v_and_b32_e32 v8, 1, v5
	v_mov_b32_dpp v3, v1 row_ror:4 row_mask:0xf bank_mask:0xf
	v_mov_b32_dpp v4, v2 row_ror:4 row_mask:0xf bank_mask:0xf
	;; [unrolled: 1-line block ×3, first 2 shown]
	v_cmp_eq_u32_e64 s0, 1, v8
	v_cmp_lt_i64_e32 vcc_lo, v[1:2], v[3:4]
	v_and_b32_e32 v6, 1, v6
	s_and_b32 vcc_lo, s0, vcc_lo
	v_cmp_eq_u32_e64 s1, 1, v6
	v_cndmask_b32_e32 v3, v3, v1, vcc_lo
	v_cndmask_b32_e32 v4, v4, v2, vcc_lo
	v_cndmask_b32_e64 v5, v5, 1, s1
	v_cndmask_b32_e64 v1, v1, v3, s1
	;; [unrolled: 1-line block ×3, first 2 shown]
	v_and_b32_e32 v8, 1, v5
	v_mov_b32_dpp v3, v1 row_ror:8 row_mask:0xf bank_mask:0xf
	v_mov_b32_dpp v4, v2 row_ror:8 row_mask:0xf bank_mask:0xf
	;; [unrolled: 1-line block ×3, first 2 shown]
	v_cmp_eq_u32_e64 s0, 1, v8
	v_cmp_lt_i64_e32 vcc_lo, v[1:2], v[3:4]
	v_and_b32_e32 v6, 1, v6
	s_and_b32 vcc_lo, s0, vcc_lo
	v_cmp_eq_u32_e64 s1, 1, v6
	v_cndmask_b32_e32 v3, v3, v1, vcc_lo
	v_cndmask_b32_e32 v4, v4, v2, vcc_lo
	v_cndmask_b32_e64 v5, v5, 1, s1
	v_cndmask_b32_e64 v1, v1, v3, s1
	;; [unrolled: 1-line block ×3, first 2 shown]
	ds_swizzle_b32 v6, v5 offset:swizzle(BROADCAST,32,15)
	ds_swizzle_b32 v3, v1 offset:swizzle(BROADCAST,32,15)
	;; [unrolled: 1-line block ×3, first 2 shown]
	v_and_b32_e32 v8, 1, v5
	v_cmp_eq_u32_e64 s0, 1, v8
	s_waitcnt lgkmcnt(2)
	v_and_b32_e32 v6, 1, v6
	s_waitcnt lgkmcnt(0)
	v_cmp_lt_i64_e32 vcc_lo, v[1:2], v[3:4]
	v_cmp_eq_u32_e64 s1, 1, v6
	v_mov_b32_e32 v6, 0
	s_and_b32 vcc_lo, s0, vcc_lo
	s_mov_b32 s0, exec_lo
	v_cndmask_b32_e32 v3, v3, v1, vcc_lo
	v_cndmask_b32_e32 v4, v4, v2, vcc_lo
	v_cndmask_b32_e64 v5, v5, 1, s1
	v_cndmask_b32_e64 v1, v1, v3, s1
	;; [unrolled: 1-line block ×3, first 2 shown]
	ds_bpermute_b32 v8, v6, v5 offset:124
	ds_bpermute_b32 v1, v6, v1 offset:124
	;; [unrolled: 1-line block ×3, first 2 shown]
	v_cmpx_eq_u32_e32 0, v7
	s_cbranch_execz .LBB467_368
; %bb.367:
	v_lshrrev_b32_e32 v3, 1, v0
	v_and_b32_e32 v3, 0x70, v3
	s_waitcnt lgkmcnt(2)
	ds_write_b8 v3, v8
	s_waitcnt lgkmcnt(1)
	ds_write_b64 v3, v[1:2] offset:8
.LBB467_368:
	s_or_b32 exec_lo, exec_lo, s0
	s_mov_b32 s0, exec_lo
	s_waitcnt lgkmcnt(0)
	s_barrier
	buffer_gl0_inv
	v_cmpx_gt_u32_e32 32, v0
	s_cbranch_execz .LBB467_382
; %bb.369:
	v_and_b32_e32 v8, 7, v7
	v_lshlrev_b32_e32 v1, 4, v8
	v_cmp_ne_u32_e32 vcc_lo, 7, v8
	ds_read_u8 v10, v1
	ds_read_b64 v[3:4], v1 offset:8
	v_add_co_ci_u32_e64 v2, null, 0, v7, vcc_lo
	v_lshlrev_b32_e32 v2, 2, v2
	s_waitcnt lgkmcnt(1)
	v_and_b32_e32 v1, 0xff, v10
	s_waitcnt lgkmcnt(0)
	ds_bpermute_b32 v5, v2, v3
	ds_bpermute_b32 v6, v2, v4
	;; [unrolled: 1-line block ×3, first 2 shown]
	s_waitcnt lgkmcnt(0)
	v_and_b32_e32 v1, v10, v11
	v_and_b32_e32 v1, 1, v1
	v_cmp_eq_u32_e32 vcc_lo, 1, v1
                                        ; implicit-def: $vgpr1_vgpr2
	s_and_saveexec_b32 s1, vcc_lo
	s_xor_b32 s1, exec_lo, s1
; %bb.370:
	v_cmp_lt_i64_e32 vcc_lo, v[5:6], v[3:4]
                                        ; implicit-def: $vgpr10
                                        ; implicit-def: $vgpr11
	v_cndmask_b32_e32 v2, v4, v6, vcc_lo
	v_cndmask_b32_e32 v1, v3, v5, vcc_lo
                                        ; implicit-def: $vgpr5_vgpr6
                                        ; implicit-def: $vgpr3_vgpr4
; %bb.371:
	s_or_saveexec_b32 s1, s1
	v_mov_b32_e32 v9, 1
	s_xor_b32 exec_lo, exec_lo, s1
; %bb.372:
	v_and_b32_e32 v1, 1, v10
	v_and_b32_e32 v9, 0xff, v11
	v_cmp_eq_u32_e32 vcc_lo, 1, v1
	v_cndmask_b32_e32 v2, v6, v4, vcc_lo
	v_cndmask_b32_e32 v1, v5, v3, vcc_lo
	v_cndmask_b32_e64 v9, v9, 1, vcc_lo
; %bb.373:
	s_or_b32 exec_lo, exec_lo, s1
	v_cmp_gt_u32_e32 vcc_lo, 6, v8
	v_cndmask_b32_e64 v3, 0, 2, vcc_lo
	v_add_lshl_u32 v3, v3, v7, 2
	ds_bpermute_b32 v8, v3, v9
	ds_bpermute_b32 v5, v3, v1
	;; [unrolled: 1-line block ×3, first 2 shown]
	s_waitcnt lgkmcnt(2)
	v_and_b32_e32 v3, v9, v8
	v_and_b32_e32 v3, 1, v3
	v_cmp_eq_u32_e32 vcc_lo, 1, v3
                                        ; implicit-def: $vgpr3_vgpr4
	s_and_saveexec_b32 s1, vcc_lo
	s_xor_b32 s1, exec_lo, s1
	s_cbranch_execz .LBB467_375
; %bb.374:
	s_waitcnt lgkmcnt(0)
	v_cmp_lt_i64_e32 vcc_lo, v[5:6], v[1:2]
                                        ; implicit-def: $vgpr9
                                        ; implicit-def: $vgpr8
	v_cndmask_b32_e32 v4, v2, v6, vcc_lo
	v_cndmask_b32_e32 v3, v1, v5, vcc_lo
                                        ; implicit-def: $vgpr5_vgpr6
                                        ; implicit-def: $vgpr1_vgpr2
.LBB467_375:
	s_or_saveexec_b32 s1, s1
	v_lshlrev_b32_e32 v11, 2, v7
	v_mov_b32_e32 v10, 1
	s_xor_b32 exec_lo, exec_lo, s1
	s_cbranch_execz .LBB467_377
; %bb.376:
	v_and_b32_e32 v3, 1, v9
	v_and_b32_e32 v8, 0xff, v8
	v_cmp_eq_u32_e32 vcc_lo, 1, v3
	s_waitcnt lgkmcnt(0)
	v_cndmask_b32_e32 v4, v6, v2, vcc_lo
	v_cndmask_b32_e32 v3, v5, v1, vcc_lo
	v_cndmask_b32_e64 v10, v8, 1, vcc_lo
.LBB467_377:
	s_or_b32 exec_lo, exec_lo, s1
	v_or_b32_e32 v1, 16, v11
	ds_bpermute_b32 v9, v1, v10
	s_waitcnt lgkmcnt(2)
	ds_bpermute_b32 v5, v1, v3
	s_waitcnt lgkmcnt(2)
	;; [unrolled: 2-line block ×3, first 2 shown]
	v_and_b32_e32 v1, v10, v9
	v_and_b32_e32 v1, 1, v1
	v_cmp_eq_u32_e32 vcc_lo, 1, v1
                                        ; implicit-def: $vgpr1_vgpr2
	s_and_saveexec_b32 s1, vcc_lo
	s_xor_b32 s1, exec_lo, s1
	s_cbranch_execz .LBB467_379
; %bb.378:
	s_waitcnt lgkmcnt(0)
	v_cmp_lt_i64_e32 vcc_lo, v[5:6], v[3:4]
                                        ; implicit-def: $vgpr10
                                        ; implicit-def: $vgpr9
	v_cndmask_b32_e32 v2, v4, v6, vcc_lo
	v_cndmask_b32_e32 v1, v3, v5, vcc_lo
                                        ; implicit-def: $vgpr5_vgpr6
                                        ; implicit-def: $vgpr3_vgpr4
.LBB467_379:
	s_or_saveexec_b32 s1, s1
	v_mov_b32_e32 v8, 1
	s_xor_b32 exec_lo, exec_lo, s1
	s_cbranch_execz .LBB467_381
; %bb.380:
	v_and_b32_e32 v1, 1, v10
	v_cmp_eq_u32_e32 vcc_lo, 1, v1
	s_waitcnt lgkmcnt(0)
	v_cndmask_b32_e32 v2, v6, v4, vcc_lo
	v_cndmask_b32_e32 v1, v5, v3, vcc_lo
	v_cndmask_b32_e64 v8, v9, 1, vcc_lo
.LBB467_381:
	s_or_b32 exec_lo, exec_lo, s1
.LBB467_382:
	s_or_b32 exec_lo, exec_lo, s0
	s_branch .LBB467_443
.LBB467_383:
                                        ; implicit-def: $vgpr3_vgpr4
                                        ; implicit-def: $vgpr5
                                        ; implicit-def: $vgpr1_vgpr2
.LBB467_384:
	s_and_saveexec_b32 s0, s10
	s_cbranch_execz .LBB467_386
.LBB467_385:
	s_load_dwordx2 s[0:1], s[4:5], 0x18
	v_lshlrev_b64 v[0:1], 4, v[1:2]
	s_waitcnt lgkmcnt(0)
	v_add_co_u32 v0, vcc_lo, s0, v0
	v_add_co_ci_u32_e64 v1, null, s1, v1, vcc_lo
	global_store_byte v[0:1], v5, off
	global_store_dwordx2 v[0:1], v[3:4], off offset:8
.LBB467_386:
	s_endpgm
.LBB467_387:
                                        ; implicit-def: $vgpr1_vgpr2
                                        ; implicit-def: $vgpr8
	s_cbranch_execz .LBB467_443
; %bb.388:
	v_mov_b32_e32 v1, 0
	v_mov_b32_e32 v2, 0
	s_waitcnt lgkmcnt(0)
	v_mov_b32_e32 v6, 0
	s_sub_i32 s0, s14, s2
	s_mov_b32 s1, exec_lo
	v_cmpx_gt_u32_e64 s0, v0
	s_cbranch_execz .LBB467_390
; %bb.389:
	s_lshl_b64 s[2:3], s[2:3], 4
	v_lshlrev_b32_e32 v1, 4, v0
	s_add_u32 s2, s12, s2
	s_addc_u32 s3, s13, s3
	s_clause 0x1
	global_load_ubyte v6, v1, s[2:3]
	global_load_dwordx2 v[1:2], v1, s[2:3] offset:8
.LBB467_390:
	s_or_b32 exec_lo, exec_lo, s1
	v_cmp_ne_u32_e32 vcc_lo, 31, v7
	s_waitcnt vmcnt(1)
	v_and_b32_e32 v8, 0xff, v6
	v_and_b32_e32 v5, 0xe0, v0
	s_min_u32 s0, s0, 0x100
	v_add_nc_u32_e32 v10, 1, v7
	v_add_co_ci_u32_e64 v3, null, 0, v7, vcc_lo
	v_sub_nc_u32_e64 v5, s0, v5 clamp
	s_mov_b32 s1, exec_lo
	v_lshlrev_b32_e32 v4, 2, v3
	ds_bpermute_b32 v9, v4, v8
	s_waitcnt vmcnt(0)
	ds_bpermute_b32 v3, v4, v1
	ds_bpermute_b32 v4, v4, v2
	v_cmpx_lt_u32_e64 v10, v5
	s_cbranch_execz .LBB467_396
; %bb.391:
	s_waitcnt lgkmcnt(2)
	v_and_b32_e32 v8, v9, v8
	s_mov_b32 s2, exec_lo
	v_cmpx_ne_u32_e32 0, v8
	s_xor_b32 s2, exec_lo, s2
	s_cbranch_execz .LBB467_393
; %bb.392:
	s_waitcnt lgkmcnt(0)
	v_cmp_lt_i64_e32 vcc_lo, v[3:4], v[1:2]
                                        ; implicit-def: $vgpr6
                                        ; implicit-def: $vgpr9
	v_cndmask_b32_e32 v2, v2, v4, vcc_lo
	v_cndmask_b32_e32 v1, v1, v3, vcc_lo
                                        ; implicit-def: $vgpr3_vgpr4
.LBB467_393:
	s_or_saveexec_b32 s2, s2
	v_mov_b32_e32 v8, 1
	s_xor_b32 exec_lo, exec_lo, s2
	s_cbranch_execz .LBB467_395
; %bb.394:
	v_and_b32_e32 v6, 1, v6
	v_cmp_eq_u32_e32 vcc_lo, 1, v6
	v_and_b32_e32 v6, 0xff, v9
	s_waitcnt lgkmcnt(0)
	v_cndmask_b32_e32 v2, v4, v2, vcc_lo
	v_cndmask_b32_e32 v1, v3, v1, vcc_lo
	v_cndmask_b32_e64 v8, v6, 1, vcc_lo
.LBB467_395:
	s_or_b32 exec_lo, exec_lo, s2
.LBB467_396:
	s_or_b32 exec_lo, exec_lo, s1
	v_cmp_gt_u32_e32 vcc_lo, 30, v7
	s_waitcnt lgkmcnt(2)
	v_add_nc_u32_e32 v9, 2, v7
	s_mov_b32 s1, exec_lo
	s_waitcnt lgkmcnt(1)
	v_cndmask_b32_e64 v3, 0, 2, vcc_lo
	s_waitcnt lgkmcnt(0)
	v_add_lshl_u32 v4, v3, v7, 2
	ds_bpermute_b32 v6, v4, v8
	ds_bpermute_b32 v3, v4, v1
	;; [unrolled: 1-line block ×3, first 2 shown]
	v_cmpx_lt_u32_e64 v9, v5
	s_cbranch_execz .LBB467_402
; %bb.397:
	s_waitcnt lgkmcnt(2)
	v_and_b32_e32 v9, v8, v6
	s_mov_b32 s2, exec_lo
	v_and_b32_e32 v9, 1, v9
	v_cmpx_eq_u32_e32 1, v9
	s_xor_b32 s2, exec_lo, s2
	s_cbranch_execz .LBB467_399
; %bb.398:
	s_waitcnt lgkmcnt(0)
	v_cmp_lt_i64_e32 vcc_lo, v[3:4], v[1:2]
                                        ; implicit-def: $vgpr8
                                        ; implicit-def: $vgpr6
	v_cndmask_b32_e32 v2, v2, v4, vcc_lo
	v_cndmask_b32_e32 v1, v1, v3, vcc_lo
                                        ; implicit-def: $vgpr3_vgpr4
.LBB467_399:
	s_or_saveexec_b32 s2, s2
	v_mov_b32_e32 v9, 1
	s_xor_b32 exec_lo, exec_lo, s2
	s_cbranch_execz .LBB467_401
; %bb.400:
	v_and_b32_e32 v8, 1, v8
	v_and_b32_e32 v6, 0xff, v6
	v_cmp_eq_u32_e32 vcc_lo, 1, v8
	s_waitcnt lgkmcnt(0)
	v_cndmask_b32_e32 v2, v4, v2, vcc_lo
	v_cndmask_b32_e32 v1, v3, v1, vcc_lo
	v_cndmask_b32_e64 v9, v6, 1, vcc_lo
.LBB467_401:
	s_or_b32 exec_lo, exec_lo, s2
	v_mov_b32_e32 v8, v9
.LBB467_402:
	s_or_b32 exec_lo, exec_lo, s1
	v_cmp_gt_u32_e32 vcc_lo, 28, v7
	v_add_nc_u32_e32 v9, 4, v7
	s_mov_b32 s1, exec_lo
	s_waitcnt lgkmcnt(1)
	v_cndmask_b32_e64 v3, 0, 4, vcc_lo
	s_waitcnt lgkmcnt(0)
	v_add_lshl_u32 v4, v3, v7, 2
	ds_bpermute_b32 v6, v4, v8
	ds_bpermute_b32 v3, v4, v1
	;; [unrolled: 1-line block ×3, first 2 shown]
	v_cmpx_lt_u32_e64 v9, v5
	s_cbranch_execz .LBB467_408
; %bb.403:
	s_waitcnt lgkmcnt(2)
	v_and_b32_e32 v9, v8, v6
	s_mov_b32 s2, exec_lo
	v_and_b32_e32 v9, 1, v9
	v_cmpx_eq_u32_e32 1, v9
	s_xor_b32 s2, exec_lo, s2
	s_cbranch_execz .LBB467_405
; %bb.404:
	s_waitcnt lgkmcnt(0)
	v_cmp_lt_i64_e32 vcc_lo, v[3:4], v[1:2]
                                        ; implicit-def: $vgpr8
                                        ; implicit-def: $vgpr6
	v_cndmask_b32_e32 v2, v2, v4, vcc_lo
	v_cndmask_b32_e32 v1, v1, v3, vcc_lo
                                        ; implicit-def: $vgpr3_vgpr4
.LBB467_405:
	s_or_saveexec_b32 s2, s2
	v_mov_b32_e32 v9, 1
	s_xor_b32 exec_lo, exec_lo, s2
	s_cbranch_execz .LBB467_407
; %bb.406:
	v_and_b32_e32 v8, 1, v8
	v_and_b32_e32 v6, 0xff, v6
	v_cmp_eq_u32_e32 vcc_lo, 1, v8
	s_waitcnt lgkmcnt(0)
	v_cndmask_b32_e32 v2, v4, v2, vcc_lo
	v_cndmask_b32_e32 v1, v3, v1, vcc_lo
	v_cndmask_b32_e64 v9, v6, 1, vcc_lo
.LBB467_407:
	s_or_b32 exec_lo, exec_lo, s2
	v_mov_b32_e32 v8, v9
.LBB467_408:
	s_or_b32 exec_lo, exec_lo, s1
	v_cmp_gt_u32_e32 vcc_lo, 24, v7
	v_add_nc_u32_e32 v9, 8, v7
	s_mov_b32 s1, exec_lo
	s_waitcnt lgkmcnt(1)
	v_cndmask_b32_e64 v3, 0, 8, vcc_lo
	s_waitcnt lgkmcnt(0)
	v_add_lshl_u32 v4, v3, v7, 2
	ds_bpermute_b32 v6, v4, v8
	ds_bpermute_b32 v3, v4, v1
	;; [unrolled: 1-line block ×3, first 2 shown]
	v_cmpx_lt_u32_e64 v9, v5
	s_cbranch_execz .LBB467_414
; %bb.409:
	s_waitcnt lgkmcnt(2)
	v_and_b32_e32 v9, v8, v6
	s_mov_b32 s2, exec_lo
	v_and_b32_e32 v9, 1, v9
	v_cmpx_eq_u32_e32 1, v9
	s_xor_b32 s2, exec_lo, s2
	s_cbranch_execz .LBB467_411
; %bb.410:
	s_waitcnt lgkmcnt(0)
	v_cmp_lt_i64_e32 vcc_lo, v[3:4], v[1:2]
                                        ; implicit-def: $vgpr8
                                        ; implicit-def: $vgpr6
	v_cndmask_b32_e32 v2, v2, v4, vcc_lo
	v_cndmask_b32_e32 v1, v1, v3, vcc_lo
                                        ; implicit-def: $vgpr3_vgpr4
.LBB467_411:
	s_or_saveexec_b32 s2, s2
	v_mov_b32_e32 v9, 1
	s_xor_b32 exec_lo, exec_lo, s2
	s_cbranch_execz .LBB467_413
; %bb.412:
	v_and_b32_e32 v8, 1, v8
	v_and_b32_e32 v6, 0xff, v6
	v_cmp_eq_u32_e32 vcc_lo, 1, v8
	s_waitcnt lgkmcnt(0)
	v_cndmask_b32_e32 v2, v4, v2, vcc_lo
	v_cndmask_b32_e32 v1, v3, v1, vcc_lo
	v_cndmask_b32_e64 v9, v6, 1, vcc_lo
.LBB467_413:
	s_or_b32 exec_lo, exec_lo, s2
	v_mov_b32_e32 v8, v9
.LBB467_414:
	s_or_b32 exec_lo, exec_lo, s1
	s_waitcnt lgkmcnt(2)
	v_lshlrev_b32_e32 v6, 2, v7
	v_add_nc_u32_e32 v10, 16, v7
	s_waitcnt lgkmcnt(0)
	v_or_b32_e32 v4, 64, v6
	v_cmp_lt_u32_e32 vcc_lo, v10, v5
	v_mov_b32_e32 v5, v8
	ds_bpermute_b32 v9, v4, v8
	ds_bpermute_b32 v3, v4, v1
	;; [unrolled: 1-line block ×3, first 2 shown]
	s_and_saveexec_b32 s1, vcc_lo
	s_cbranch_execz .LBB467_420
; %bb.415:
	s_waitcnt lgkmcnt(2)
	v_and_b32_e32 v5, v8, v9
	s_mov_b32 s2, exec_lo
	v_and_b32_e32 v5, 1, v5
	v_cmpx_eq_u32_e32 1, v5
	s_xor_b32 s2, exec_lo, s2
	s_cbranch_execz .LBB467_417
; %bb.416:
	s_waitcnt lgkmcnt(0)
	v_cmp_lt_i64_e32 vcc_lo, v[3:4], v[1:2]
                                        ; implicit-def: $vgpr8
                                        ; implicit-def: $vgpr9
	v_cndmask_b32_e32 v2, v2, v4, vcc_lo
	v_cndmask_b32_e32 v1, v1, v3, vcc_lo
                                        ; implicit-def: $vgpr3_vgpr4
.LBB467_417:
	s_or_saveexec_b32 s2, s2
	v_mov_b32_e32 v5, 1
	s_xor_b32 exec_lo, exec_lo, s2
	s_cbranch_execz .LBB467_419
; %bb.418:
	v_and_b32_e32 v5, 1, v8
	v_cmp_eq_u32_e32 vcc_lo, 1, v5
	v_cndmask_b32_e64 v5, v9, 1, vcc_lo
	s_waitcnt lgkmcnt(0)
	v_cndmask_b32_e32 v2, v4, v2, vcc_lo
	v_cndmask_b32_e32 v1, v3, v1, vcc_lo
.LBB467_419:
	s_or_b32 exec_lo, exec_lo, s2
	v_and_b32_e32 v8, 0xff, v5
.LBB467_420:
	s_or_b32 exec_lo, exec_lo, s1
	s_mov_b32 s1, exec_lo
	v_cmpx_eq_u32_e32 0, v7
	s_cbranch_execz .LBB467_422
; %bb.421:
	s_waitcnt lgkmcnt(1)
	v_lshrrev_b32_e32 v3, 1, v0
	v_and_b32_e32 v3, 0x70, v3
	ds_write_b8 v3, v5 offset:512
	ds_write_b64 v3, v[1:2] offset:520
.LBB467_422:
	s_or_b32 exec_lo, exec_lo, s1
	s_mov_b32 s1, exec_lo
	s_waitcnt lgkmcnt(0)
	s_barrier
	buffer_gl0_inv
	v_cmpx_gt_u32_e32 8, v0
	s_cbranch_execz .LBB467_442
; %bb.423:
	v_lshlrev_b32_e32 v1, 4, v7
	v_and_b32_e32 v5, 7, v7
	s_add_i32 s0, s0, 31
	s_mov_b32 s2, exec_lo
	s_lshr_b32 s0, s0, 5
	ds_read_u8 v9, v1 offset:512
	ds_read_b64 v[1:2], v1 offset:520
	v_cmp_ne_u32_e32 vcc_lo, 7, v5
	v_add_nc_u32_e32 v11, 1, v5
	v_add_co_ci_u32_e64 v3, null, 0, v7, vcc_lo
	v_lshlrev_b32_e32 v4, 2, v3
	s_waitcnt lgkmcnt(1)
	v_and_b32_e32 v8, 0xff, v9
	s_waitcnt lgkmcnt(0)
	ds_bpermute_b32 v3, v4, v1
	ds_bpermute_b32 v10, v4, v8
	;; [unrolled: 1-line block ×3, first 2 shown]
	v_cmpx_gt_u32_e64 s0, v11
	s_cbranch_execz .LBB467_429
; %bb.424:
	s_waitcnt lgkmcnt(1)
	v_and_b32_e32 v8, v8, v10
	s_mov_b32 s3, exec_lo
	v_and_b32_e32 v8, 1, v8
	v_cmpx_eq_u32_e32 1, v8
	s_xor_b32 s3, exec_lo, s3
	s_cbranch_execz .LBB467_426
; %bb.425:
	s_waitcnt lgkmcnt(0)
	v_cmp_lt_i64_e32 vcc_lo, v[3:4], v[1:2]
                                        ; implicit-def: $vgpr9
                                        ; implicit-def: $vgpr10
	v_cndmask_b32_e32 v2, v2, v4, vcc_lo
	v_cndmask_b32_e32 v1, v1, v3, vcc_lo
                                        ; implicit-def: $vgpr3_vgpr4
.LBB467_426:
	s_or_saveexec_b32 s3, s3
	v_mov_b32_e32 v8, 1
	s_xor_b32 exec_lo, exec_lo, s3
	s_cbranch_execz .LBB467_428
; %bb.427:
	v_and_b32_e32 v8, 1, v9
	v_cmp_eq_u32_e32 vcc_lo, 1, v8
	v_and_b32_e32 v8, 0xff, v10
	s_waitcnt lgkmcnt(0)
	v_cndmask_b32_e32 v2, v4, v2, vcc_lo
	v_cndmask_b32_e32 v1, v3, v1, vcc_lo
	v_cndmask_b32_e64 v8, v8, 1, vcc_lo
.LBB467_428:
	s_or_b32 exec_lo, exec_lo, s3
.LBB467_429:
	s_or_b32 exec_lo, exec_lo, s2
	v_cmp_gt_u32_e32 vcc_lo, 6, v5
	v_add_nc_u32_e32 v9, 2, v5
	s_mov_b32 s2, exec_lo
	s_waitcnt lgkmcnt(2)
	v_cndmask_b32_e64 v3, 0, 2, vcc_lo
	s_waitcnt lgkmcnt(0)
	v_add_lshl_u32 v4, v3, v7, 2
	ds_bpermute_b32 v7, v4, v8
	ds_bpermute_b32 v3, v4, v1
	;; [unrolled: 1-line block ×3, first 2 shown]
	v_cmpx_gt_u32_e64 s0, v9
	s_cbranch_execz .LBB467_435
; %bb.430:
	s_waitcnt lgkmcnt(2)
	v_and_b32_e32 v9, v8, v7
	s_mov_b32 s3, exec_lo
	v_and_b32_e32 v9, 1, v9
	v_cmpx_eq_u32_e32 1, v9
	s_xor_b32 s3, exec_lo, s3
	s_cbranch_execz .LBB467_432
; %bb.431:
	s_waitcnt lgkmcnt(0)
	v_cmp_lt_i64_e32 vcc_lo, v[3:4], v[1:2]
                                        ; implicit-def: $vgpr8
                                        ; implicit-def: $vgpr7
	v_cndmask_b32_e32 v2, v2, v4, vcc_lo
	v_cndmask_b32_e32 v1, v1, v3, vcc_lo
                                        ; implicit-def: $vgpr3_vgpr4
.LBB467_432:
	s_or_saveexec_b32 s3, s3
	v_mov_b32_e32 v9, 1
	s_xor_b32 exec_lo, exec_lo, s3
	s_cbranch_execz .LBB467_434
; %bb.433:
	v_and_b32_e32 v8, 1, v8
	v_and_b32_e32 v7, 0xff, v7
	v_cmp_eq_u32_e32 vcc_lo, 1, v8
	s_waitcnt lgkmcnt(0)
	v_cndmask_b32_e32 v2, v4, v2, vcc_lo
	v_cndmask_b32_e32 v1, v3, v1, vcc_lo
	v_cndmask_b32_e64 v9, v7, 1, vcc_lo
.LBB467_434:
	s_or_b32 exec_lo, exec_lo, s3
	v_mov_b32_e32 v8, v9
.LBB467_435:
	s_or_b32 exec_lo, exec_lo, s2
	s_waitcnt lgkmcnt(0)
	v_or_b32_e32 v4, 16, v6
	v_add_nc_u32_e32 v5, 4, v5
	ds_bpermute_b32 v6, v4, v8
	ds_bpermute_b32 v3, v4, v1
	;; [unrolled: 1-line block ×3, first 2 shown]
	v_cmp_gt_u32_e32 vcc_lo, s0, v5
	s_and_saveexec_b32 s0, vcc_lo
	s_cbranch_execz .LBB467_441
; %bb.436:
	s_waitcnt lgkmcnt(2)
	v_and_b32_e32 v5, v8, v6
	s_mov_b32 s2, exec_lo
	v_and_b32_e32 v5, 1, v5
	v_cmpx_eq_u32_e32 1, v5
	s_xor_b32 s2, exec_lo, s2
	s_cbranch_execz .LBB467_438
; %bb.437:
	s_waitcnt lgkmcnt(0)
	v_cmp_lt_i64_e32 vcc_lo, v[3:4], v[1:2]
                                        ; implicit-def: $vgpr8
                                        ; implicit-def: $vgpr6
	v_cndmask_b32_e32 v2, v2, v4, vcc_lo
	v_cndmask_b32_e32 v1, v1, v3, vcc_lo
                                        ; implicit-def: $vgpr3_vgpr4
.LBB467_438:
	s_or_saveexec_b32 s2, s2
	v_mov_b32_e32 v5, 1
	s_xor_b32 exec_lo, exec_lo, s2
	s_cbranch_execz .LBB467_440
; %bb.439:
	v_and_b32_e32 v5, 1, v8
	v_cmp_eq_u32_e32 vcc_lo, 1, v5
	s_waitcnt lgkmcnt(0)
	v_cndmask_b32_e32 v2, v4, v2, vcc_lo
	v_cndmask_b32_e32 v1, v3, v1, vcc_lo
	v_cndmask_b32_e64 v5, v6, 1, vcc_lo
.LBB467_440:
	s_or_b32 exec_lo, exec_lo, s2
	v_mov_b32_e32 v8, v5
.LBB467_441:
	s_or_b32 exec_lo, exec_lo, s0
.LBB467_442:
	s_or_b32 exec_lo, exec_lo, s1
.LBB467_443:
	s_mov_b32 s2, exec_lo
                                        ; implicit-def: $vgpr3_vgpr4
                                        ; implicit-def: $vgpr5
	v_cmpx_eq_u32_e32 0, v0
	s_cbranch_execz .LBB467_447
; %bb.444:
	s_waitcnt lgkmcnt(0)
	v_mov_b32_e32 v3, s16
	v_mov_b32_e32 v4, s17
	;; [unrolled: 1-line block ×3, first 2 shown]
	s_cmp_eq_u64 s[14:15], 0
	s_cbranch_scc1 .LBB467_446
; %bb.445:
	v_and_b32_e32 v0, 1, v8
	v_cmp_gt_i64_e32 vcc_lo, s[16:17], v[1:2]
	s_bitcmp1_b32 s18, 0
	s_cselect_b32 s1, -1, 0
	v_cmp_eq_u32_e64 s0, 1, v0
	v_cndmask_b32_e64 v5, v8, 1, s1
	s_and_b32 vcc_lo, s0, vcc_lo
	v_cndmask_b32_e32 v0, s16, v1, vcc_lo
	v_cndmask_b32_e32 v3, s17, v2, vcc_lo
	v_cndmask_b32_e64 v4, v2, v3, s1
	v_cndmask_b32_e64 v3, v1, v0, s1
.LBB467_446:
	s_or_b32 s10, s10, exec_lo
.LBB467_447:
	s_or_b32 exec_lo, exec_lo, s2
	v_mov_b32_e32 v1, s6
	v_mov_b32_e32 v2, s7
	s_and_saveexec_b32 s0, s10
	s_cbranch_execnz .LBB467_385
	s_branch .LBB467_386
	.section	.rodata,"a",@progbits
	.p2align	6, 0x0
	.amdhsa_kernel _ZN7rocprim17ROCPRIM_400000_NS6detail17trampoline_kernelINS0_14default_configENS1_22reduce_config_selectorIN6thrust23THRUST_200600_302600_NS5tupleIblNS6_9null_typeES8_S8_S8_S8_S8_S8_S8_EEEEZNS1_11reduce_implILb1ES3_PS9_SC_S9_NS6_11hip_rocprim9__find_if7functorIS9_EEEE10hipError_tPvRmT1_T2_T3_mT4_P12ihipStream_tbEUlT_E1_NS1_11comp_targetILNS1_3genE8ELNS1_11target_archE1030ELNS1_3gpuE2ELNS1_3repE0EEENS1_30default_config_static_selectorELNS0_4arch9wavefront6targetE0EEEvSK_
		.amdhsa_group_segment_fixed_size 640
		.amdhsa_private_segment_fixed_size 0
		.amdhsa_kernarg_size 56
		.amdhsa_user_sgpr_count 6
		.amdhsa_user_sgpr_private_segment_buffer 1
		.amdhsa_user_sgpr_dispatch_ptr 0
		.amdhsa_user_sgpr_queue_ptr 0
		.amdhsa_user_sgpr_kernarg_segment_ptr 1
		.amdhsa_user_sgpr_dispatch_id 0
		.amdhsa_user_sgpr_flat_scratch_init 0
		.amdhsa_user_sgpr_private_segment_size 0
		.amdhsa_wavefront_size32 1
		.amdhsa_uses_dynamic_stack 0
		.amdhsa_system_sgpr_private_segment_wavefront_offset 0
		.amdhsa_system_sgpr_workgroup_id_x 1
		.amdhsa_system_sgpr_workgroup_id_y 0
		.amdhsa_system_sgpr_workgroup_id_z 0
		.amdhsa_system_sgpr_workgroup_info 0
		.amdhsa_system_vgpr_workitem_id 0
		.amdhsa_next_free_vgpr 29
		.amdhsa_next_free_sgpr 23
		.amdhsa_reserve_vcc 1
		.amdhsa_reserve_flat_scratch 0
		.amdhsa_float_round_mode_32 0
		.amdhsa_float_round_mode_16_64 0
		.amdhsa_float_denorm_mode_32 3
		.amdhsa_float_denorm_mode_16_64 3
		.amdhsa_dx10_clamp 1
		.amdhsa_ieee_mode 1
		.amdhsa_fp16_overflow 0
		.amdhsa_workgroup_processor_mode 1
		.amdhsa_memory_ordered 1
		.amdhsa_forward_progress 1
		.amdhsa_shared_vgpr_count 0
		.amdhsa_exception_fp_ieee_invalid_op 0
		.amdhsa_exception_fp_denorm_src 0
		.amdhsa_exception_fp_ieee_div_zero 0
		.amdhsa_exception_fp_ieee_overflow 0
		.amdhsa_exception_fp_ieee_underflow 0
		.amdhsa_exception_fp_ieee_inexact 0
		.amdhsa_exception_int_div_zero 0
	.end_amdhsa_kernel
	.section	.text._ZN7rocprim17ROCPRIM_400000_NS6detail17trampoline_kernelINS0_14default_configENS1_22reduce_config_selectorIN6thrust23THRUST_200600_302600_NS5tupleIblNS6_9null_typeES8_S8_S8_S8_S8_S8_S8_EEEEZNS1_11reduce_implILb1ES3_PS9_SC_S9_NS6_11hip_rocprim9__find_if7functorIS9_EEEE10hipError_tPvRmT1_T2_T3_mT4_P12ihipStream_tbEUlT_E1_NS1_11comp_targetILNS1_3genE8ELNS1_11target_archE1030ELNS1_3gpuE2ELNS1_3repE0EEENS1_30default_config_static_selectorELNS0_4arch9wavefront6targetE0EEEvSK_,"axG",@progbits,_ZN7rocprim17ROCPRIM_400000_NS6detail17trampoline_kernelINS0_14default_configENS1_22reduce_config_selectorIN6thrust23THRUST_200600_302600_NS5tupleIblNS6_9null_typeES8_S8_S8_S8_S8_S8_S8_EEEEZNS1_11reduce_implILb1ES3_PS9_SC_S9_NS6_11hip_rocprim9__find_if7functorIS9_EEEE10hipError_tPvRmT1_T2_T3_mT4_P12ihipStream_tbEUlT_E1_NS1_11comp_targetILNS1_3genE8ELNS1_11target_archE1030ELNS1_3gpuE2ELNS1_3repE0EEENS1_30default_config_static_selectorELNS0_4arch9wavefront6targetE0EEEvSK_,comdat
.Lfunc_end467:
	.size	_ZN7rocprim17ROCPRIM_400000_NS6detail17trampoline_kernelINS0_14default_configENS1_22reduce_config_selectorIN6thrust23THRUST_200600_302600_NS5tupleIblNS6_9null_typeES8_S8_S8_S8_S8_S8_S8_EEEEZNS1_11reduce_implILb1ES3_PS9_SC_S9_NS6_11hip_rocprim9__find_if7functorIS9_EEEE10hipError_tPvRmT1_T2_T3_mT4_P12ihipStream_tbEUlT_E1_NS1_11comp_targetILNS1_3genE8ELNS1_11target_archE1030ELNS1_3gpuE2ELNS1_3repE0EEENS1_30default_config_static_selectorELNS0_4arch9wavefront6targetE0EEEvSK_, .Lfunc_end467-_ZN7rocprim17ROCPRIM_400000_NS6detail17trampoline_kernelINS0_14default_configENS1_22reduce_config_selectorIN6thrust23THRUST_200600_302600_NS5tupleIblNS6_9null_typeES8_S8_S8_S8_S8_S8_S8_EEEEZNS1_11reduce_implILb1ES3_PS9_SC_S9_NS6_11hip_rocprim9__find_if7functorIS9_EEEE10hipError_tPvRmT1_T2_T3_mT4_P12ihipStream_tbEUlT_E1_NS1_11comp_targetILNS1_3genE8ELNS1_11target_archE1030ELNS1_3gpuE2ELNS1_3repE0EEENS1_30default_config_static_selectorELNS0_4arch9wavefront6targetE0EEEvSK_
                                        ; -- End function
	.set _ZN7rocprim17ROCPRIM_400000_NS6detail17trampoline_kernelINS0_14default_configENS1_22reduce_config_selectorIN6thrust23THRUST_200600_302600_NS5tupleIblNS6_9null_typeES8_S8_S8_S8_S8_S8_S8_EEEEZNS1_11reduce_implILb1ES3_PS9_SC_S9_NS6_11hip_rocprim9__find_if7functorIS9_EEEE10hipError_tPvRmT1_T2_T3_mT4_P12ihipStream_tbEUlT_E1_NS1_11comp_targetILNS1_3genE8ELNS1_11target_archE1030ELNS1_3gpuE2ELNS1_3repE0EEENS1_30default_config_static_selectorELNS0_4arch9wavefront6targetE0EEEvSK_.num_vgpr, 29
	.set _ZN7rocprim17ROCPRIM_400000_NS6detail17trampoline_kernelINS0_14default_configENS1_22reduce_config_selectorIN6thrust23THRUST_200600_302600_NS5tupleIblNS6_9null_typeES8_S8_S8_S8_S8_S8_S8_EEEEZNS1_11reduce_implILb1ES3_PS9_SC_S9_NS6_11hip_rocprim9__find_if7functorIS9_EEEE10hipError_tPvRmT1_T2_T3_mT4_P12ihipStream_tbEUlT_E1_NS1_11comp_targetILNS1_3genE8ELNS1_11target_archE1030ELNS1_3gpuE2ELNS1_3repE0EEENS1_30default_config_static_selectorELNS0_4arch9wavefront6targetE0EEEvSK_.num_agpr, 0
	.set _ZN7rocprim17ROCPRIM_400000_NS6detail17trampoline_kernelINS0_14default_configENS1_22reduce_config_selectorIN6thrust23THRUST_200600_302600_NS5tupleIblNS6_9null_typeES8_S8_S8_S8_S8_S8_S8_EEEEZNS1_11reduce_implILb1ES3_PS9_SC_S9_NS6_11hip_rocprim9__find_if7functorIS9_EEEE10hipError_tPvRmT1_T2_T3_mT4_P12ihipStream_tbEUlT_E1_NS1_11comp_targetILNS1_3genE8ELNS1_11target_archE1030ELNS1_3gpuE2ELNS1_3repE0EEENS1_30default_config_static_selectorELNS0_4arch9wavefront6targetE0EEEvSK_.numbered_sgpr, 23
	.set _ZN7rocprim17ROCPRIM_400000_NS6detail17trampoline_kernelINS0_14default_configENS1_22reduce_config_selectorIN6thrust23THRUST_200600_302600_NS5tupleIblNS6_9null_typeES8_S8_S8_S8_S8_S8_S8_EEEEZNS1_11reduce_implILb1ES3_PS9_SC_S9_NS6_11hip_rocprim9__find_if7functorIS9_EEEE10hipError_tPvRmT1_T2_T3_mT4_P12ihipStream_tbEUlT_E1_NS1_11comp_targetILNS1_3genE8ELNS1_11target_archE1030ELNS1_3gpuE2ELNS1_3repE0EEENS1_30default_config_static_selectorELNS0_4arch9wavefront6targetE0EEEvSK_.num_named_barrier, 0
	.set _ZN7rocprim17ROCPRIM_400000_NS6detail17trampoline_kernelINS0_14default_configENS1_22reduce_config_selectorIN6thrust23THRUST_200600_302600_NS5tupleIblNS6_9null_typeES8_S8_S8_S8_S8_S8_S8_EEEEZNS1_11reduce_implILb1ES3_PS9_SC_S9_NS6_11hip_rocprim9__find_if7functorIS9_EEEE10hipError_tPvRmT1_T2_T3_mT4_P12ihipStream_tbEUlT_E1_NS1_11comp_targetILNS1_3genE8ELNS1_11target_archE1030ELNS1_3gpuE2ELNS1_3repE0EEENS1_30default_config_static_selectorELNS0_4arch9wavefront6targetE0EEEvSK_.private_seg_size, 0
	.set _ZN7rocprim17ROCPRIM_400000_NS6detail17trampoline_kernelINS0_14default_configENS1_22reduce_config_selectorIN6thrust23THRUST_200600_302600_NS5tupleIblNS6_9null_typeES8_S8_S8_S8_S8_S8_S8_EEEEZNS1_11reduce_implILb1ES3_PS9_SC_S9_NS6_11hip_rocprim9__find_if7functorIS9_EEEE10hipError_tPvRmT1_T2_T3_mT4_P12ihipStream_tbEUlT_E1_NS1_11comp_targetILNS1_3genE8ELNS1_11target_archE1030ELNS1_3gpuE2ELNS1_3repE0EEENS1_30default_config_static_selectorELNS0_4arch9wavefront6targetE0EEEvSK_.uses_vcc, 1
	.set _ZN7rocprim17ROCPRIM_400000_NS6detail17trampoline_kernelINS0_14default_configENS1_22reduce_config_selectorIN6thrust23THRUST_200600_302600_NS5tupleIblNS6_9null_typeES8_S8_S8_S8_S8_S8_S8_EEEEZNS1_11reduce_implILb1ES3_PS9_SC_S9_NS6_11hip_rocprim9__find_if7functorIS9_EEEE10hipError_tPvRmT1_T2_T3_mT4_P12ihipStream_tbEUlT_E1_NS1_11comp_targetILNS1_3genE8ELNS1_11target_archE1030ELNS1_3gpuE2ELNS1_3repE0EEENS1_30default_config_static_selectorELNS0_4arch9wavefront6targetE0EEEvSK_.uses_flat_scratch, 0
	.set _ZN7rocprim17ROCPRIM_400000_NS6detail17trampoline_kernelINS0_14default_configENS1_22reduce_config_selectorIN6thrust23THRUST_200600_302600_NS5tupleIblNS6_9null_typeES8_S8_S8_S8_S8_S8_S8_EEEEZNS1_11reduce_implILb1ES3_PS9_SC_S9_NS6_11hip_rocprim9__find_if7functorIS9_EEEE10hipError_tPvRmT1_T2_T3_mT4_P12ihipStream_tbEUlT_E1_NS1_11comp_targetILNS1_3genE8ELNS1_11target_archE1030ELNS1_3gpuE2ELNS1_3repE0EEENS1_30default_config_static_selectorELNS0_4arch9wavefront6targetE0EEEvSK_.has_dyn_sized_stack, 0
	.set _ZN7rocprim17ROCPRIM_400000_NS6detail17trampoline_kernelINS0_14default_configENS1_22reduce_config_selectorIN6thrust23THRUST_200600_302600_NS5tupleIblNS6_9null_typeES8_S8_S8_S8_S8_S8_S8_EEEEZNS1_11reduce_implILb1ES3_PS9_SC_S9_NS6_11hip_rocprim9__find_if7functorIS9_EEEE10hipError_tPvRmT1_T2_T3_mT4_P12ihipStream_tbEUlT_E1_NS1_11comp_targetILNS1_3genE8ELNS1_11target_archE1030ELNS1_3gpuE2ELNS1_3repE0EEENS1_30default_config_static_selectorELNS0_4arch9wavefront6targetE0EEEvSK_.has_recursion, 0
	.set _ZN7rocprim17ROCPRIM_400000_NS6detail17trampoline_kernelINS0_14default_configENS1_22reduce_config_selectorIN6thrust23THRUST_200600_302600_NS5tupleIblNS6_9null_typeES8_S8_S8_S8_S8_S8_S8_EEEEZNS1_11reduce_implILb1ES3_PS9_SC_S9_NS6_11hip_rocprim9__find_if7functorIS9_EEEE10hipError_tPvRmT1_T2_T3_mT4_P12ihipStream_tbEUlT_E1_NS1_11comp_targetILNS1_3genE8ELNS1_11target_archE1030ELNS1_3gpuE2ELNS1_3repE0EEENS1_30default_config_static_selectorELNS0_4arch9wavefront6targetE0EEEvSK_.has_indirect_call, 0
	.section	.AMDGPU.csdata,"",@progbits
; Kernel info:
; codeLenInByte = 14936
; TotalNumSgprs: 25
; NumVgprs: 29
; ScratchSize: 0
; MemoryBound: 0
; FloatMode: 240
; IeeeMode: 1
; LDSByteSize: 640 bytes/workgroup (compile time only)
; SGPRBlocks: 0
; VGPRBlocks: 3
; NumSGPRsForWavesPerEU: 25
; NumVGPRsForWavesPerEU: 29
; Occupancy: 16
; WaveLimiterHint : 1
; COMPUTE_PGM_RSRC2:SCRATCH_EN: 0
; COMPUTE_PGM_RSRC2:USER_SGPR: 6
; COMPUTE_PGM_RSRC2:TRAP_HANDLER: 0
; COMPUTE_PGM_RSRC2:TGID_X_EN: 1
; COMPUTE_PGM_RSRC2:TGID_Y_EN: 0
; COMPUTE_PGM_RSRC2:TGID_Z_EN: 0
; COMPUTE_PGM_RSRC2:TIDIG_COMP_CNT: 0
	.section	.text._ZN7rocprim17ROCPRIM_400000_NS6detail17trampoline_kernelINS0_14default_configENS1_22reduce_config_selectorIN6thrust23THRUST_200600_302600_NS5tupleIblNS6_9null_typeES8_S8_S8_S8_S8_S8_S8_EEEEZNS1_11reduce_implILb1ES3_NS6_12zip_iteratorINS7_INS6_11hip_rocprim26transform_input_iterator_tIbNSD_35transform_pair_of_input_iterators_tIbNS6_6detail15normal_iteratorINS6_10device_ptrIKiEEEESL_NS6_8equal_toIiEEEENSG_9not_fun_tINSD_8identityEEEEENSD_19counting_iterator_tIlEES8_S8_S8_S8_S8_S8_S8_S8_EEEEPS9_S9_NSD_9__find_if7functorIS9_EEEE10hipError_tPvRmT1_T2_T3_mT4_P12ihipStream_tbEUlT_E0_NS1_11comp_targetILNS1_3genE0ELNS1_11target_archE4294967295ELNS1_3gpuE0ELNS1_3repE0EEENS1_30default_config_static_selectorELNS0_4arch9wavefront6targetE0EEEvS14_,"axG",@progbits,_ZN7rocprim17ROCPRIM_400000_NS6detail17trampoline_kernelINS0_14default_configENS1_22reduce_config_selectorIN6thrust23THRUST_200600_302600_NS5tupleIblNS6_9null_typeES8_S8_S8_S8_S8_S8_S8_EEEEZNS1_11reduce_implILb1ES3_NS6_12zip_iteratorINS7_INS6_11hip_rocprim26transform_input_iterator_tIbNSD_35transform_pair_of_input_iterators_tIbNS6_6detail15normal_iteratorINS6_10device_ptrIKiEEEESL_NS6_8equal_toIiEEEENSG_9not_fun_tINSD_8identityEEEEENSD_19counting_iterator_tIlEES8_S8_S8_S8_S8_S8_S8_S8_EEEEPS9_S9_NSD_9__find_if7functorIS9_EEEE10hipError_tPvRmT1_T2_T3_mT4_P12ihipStream_tbEUlT_E0_NS1_11comp_targetILNS1_3genE0ELNS1_11target_archE4294967295ELNS1_3gpuE0ELNS1_3repE0EEENS1_30default_config_static_selectorELNS0_4arch9wavefront6targetE0EEEvS14_,comdat
	.protected	_ZN7rocprim17ROCPRIM_400000_NS6detail17trampoline_kernelINS0_14default_configENS1_22reduce_config_selectorIN6thrust23THRUST_200600_302600_NS5tupleIblNS6_9null_typeES8_S8_S8_S8_S8_S8_S8_EEEEZNS1_11reduce_implILb1ES3_NS6_12zip_iteratorINS7_INS6_11hip_rocprim26transform_input_iterator_tIbNSD_35transform_pair_of_input_iterators_tIbNS6_6detail15normal_iteratorINS6_10device_ptrIKiEEEESL_NS6_8equal_toIiEEEENSG_9not_fun_tINSD_8identityEEEEENSD_19counting_iterator_tIlEES8_S8_S8_S8_S8_S8_S8_S8_EEEEPS9_S9_NSD_9__find_if7functorIS9_EEEE10hipError_tPvRmT1_T2_T3_mT4_P12ihipStream_tbEUlT_E0_NS1_11comp_targetILNS1_3genE0ELNS1_11target_archE4294967295ELNS1_3gpuE0ELNS1_3repE0EEENS1_30default_config_static_selectorELNS0_4arch9wavefront6targetE0EEEvS14_ ; -- Begin function _ZN7rocprim17ROCPRIM_400000_NS6detail17trampoline_kernelINS0_14default_configENS1_22reduce_config_selectorIN6thrust23THRUST_200600_302600_NS5tupleIblNS6_9null_typeES8_S8_S8_S8_S8_S8_S8_EEEEZNS1_11reduce_implILb1ES3_NS6_12zip_iteratorINS7_INS6_11hip_rocprim26transform_input_iterator_tIbNSD_35transform_pair_of_input_iterators_tIbNS6_6detail15normal_iteratorINS6_10device_ptrIKiEEEESL_NS6_8equal_toIiEEEENSG_9not_fun_tINSD_8identityEEEEENSD_19counting_iterator_tIlEES8_S8_S8_S8_S8_S8_S8_S8_EEEEPS9_S9_NSD_9__find_if7functorIS9_EEEE10hipError_tPvRmT1_T2_T3_mT4_P12ihipStream_tbEUlT_E0_NS1_11comp_targetILNS1_3genE0ELNS1_11target_archE4294967295ELNS1_3gpuE0ELNS1_3repE0EEENS1_30default_config_static_selectorELNS0_4arch9wavefront6targetE0EEEvS14_
	.globl	_ZN7rocprim17ROCPRIM_400000_NS6detail17trampoline_kernelINS0_14default_configENS1_22reduce_config_selectorIN6thrust23THRUST_200600_302600_NS5tupleIblNS6_9null_typeES8_S8_S8_S8_S8_S8_S8_EEEEZNS1_11reduce_implILb1ES3_NS6_12zip_iteratorINS7_INS6_11hip_rocprim26transform_input_iterator_tIbNSD_35transform_pair_of_input_iterators_tIbNS6_6detail15normal_iteratorINS6_10device_ptrIKiEEEESL_NS6_8equal_toIiEEEENSG_9not_fun_tINSD_8identityEEEEENSD_19counting_iterator_tIlEES8_S8_S8_S8_S8_S8_S8_S8_EEEEPS9_S9_NSD_9__find_if7functorIS9_EEEE10hipError_tPvRmT1_T2_T3_mT4_P12ihipStream_tbEUlT_E0_NS1_11comp_targetILNS1_3genE0ELNS1_11target_archE4294967295ELNS1_3gpuE0ELNS1_3repE0EEENS1_30default_config_static_selectorELNS0_4arch9wavefront6targetE0EEEvS14_
	.p2align	8
	.type	_ZN7rocprim17ROCPRIM_400000_NS6detail17trampoline_kernelINS0_14default_configENS1_22reduce_config_selectorIN6thrust23THRUST_200600_302600_NS5tupleIblNS6_9null_typeES8_S8_S8_S8_S8_S8_S8_EEEEZNS1_11reduce_implILb1ES3_NS6_12zip_iteratorINS7_INS6_11hip_rocprim26transform_input_iterator_tIbNSD_35transform_pair_of_input_iterators_tIbNS6_6detail15normal_iteratorINS6_10device_ptrIKiEEEESL_NS6_8equal_toIiEEEENSG_9not_fun_tINSD_8identityEEEEENSD_19counting_iterator_tIlEES8_S8_S8_S8_S8_S8_S8_S8_EEEEPS9_S9_NSD_9__find_if7functorIS9_EEEE10hipError_tPvRmT1_T2_T3_mT4_P12ihipStream_tbEUlT_E0_NS1_11comp_targetILNS1_3genE0ELNS1_11target_archE4294967295ELNS1_3gpuE0ELNS1_3repE0EEENS1_30default_config_static_selectorELNS0_4arch9wavefront6targetE0EEEvS14_,@function
_ZN7rocprim17ROCPRIM_400000_NS6detail17trampoline_kernelINS0_14default_configENS1_22reduce_config_selectorIN6thrust23THRUST_200600_302600_NS5tupleIblNS6_9null_typeES8_S8_S8_S8_S8_S8_S8_EEEEZNS1_11reduce_implILb1ES3_NS6_12zip_iteratorINS7_INS6_11hip_rocprim26transform_input_iterator_tIbNSD_35transform_pair_of_input_iterators_tIbNS6_6detail15normal_iteratorINS6_10device_ptrIKiEEEESL_NS6_8equal_toIiEEEENSG_9not_fun_tINSD_8identityEEEEENSD_19counting_iterator_tIlEES8_S8_S8_S8_S8_S8_S8_S8_EEEEPS9_S9_NSD_9__find_if7functorIS9_EEEE10hipError_tPvRmT1_T2_T3_mT4_P12ihipStream_tbEUlT_E0_NS1_11comp_targetILNS1_3genE0ELNS1_11target_archE4294967295ELNS1_3gpuE0ELNS1_3repE0EEENS1_30default_config_static_selectorELNS0_4arch9wavefront6targetE0EEEvS14_: ; @_ZN7rocprim17ROCPRIM_400000_NS6detail17trampoline_kernelINS0_14default_configENS1_22reduce_config_selectorIN6thrust23THRUST_200600_302600_NS5tupleIblNS6_9null_typeES8_S8_S8_S8_S8_S8_S8_EEEEZNS1_11reduce_implILb1ES3_NS6_12zip_iteratorINS7_INS6_11hip_rocprim26transform_input_iterator_tIbNSD_35transform_pair_of_input_iterators_tIbNS6_6detail15normal_iteratorINS6_10device_ptrIKiEEEESL_NS6_8equal_toIiEEEENSG_9not_fun_tINSD_8identityEEEEENSD_19counting_iterator_tIlEES8_S8_S8_S8_S8_S8_S8_S8_EEEEPS9_S9_NSD_9__find_if7functorIS9_EEEE10hipError_tPvRmT1_T2_T3_mT4_P12ihipStream_tbEUlT_E0_NS1_11comp_targetILNS1_3genE0ELNS1_11target_archE4294967295ELNS1_3gpuE0ELNS1_3repE0EEENS1_30default_config_static_selectorELNS0_4arch9wavefront6targetE0EEEvS14_
; %bb.0:
	.section	.rodata,"a",@progbits
	.p2align	6, 0x0
	.amdhsa_kernel _ZN7rocprim17ROCPRIM_400000_NS6detail17trampoline_kernelINS0_14default_configENS1_22reduce_config_selectorIN6thrust23THRUST_200600_302600_NS5tupleIblNS6_9null_typeES8_S8_S8_S8_S8_S8_S8_EEEEZNS1_11reduce_implILb1ES3_NS6_12zip_iteratorINS7_INS6_11hip_rocprim26transform_input_iterator_tIbNSD_35transform_pair_of_input_iterators_tIbNS6_6detail15normal_iteratorINS6_10device_ptrIKiEEEESL_NS6_8equal_toIiEEEENSG_9not_fun_tINSD_8identityEEEEENSD_19counting_iterator_tIlEES8_S8_S8_S8_S8_S8_S8_S8_EEEEPS9_S9_NSD_9__find_if7functorIS9_EEEE10hipError_tPvRmT1_T2_T3_mT4_P12ihipStream_tbEUlT_E0_NS1_11comp_targetILNS1_3genE0ELNS1_11target_archE4294967295ELNS1_3gpuE0ELNS1_3repE0EEENS1_30default_config_static_selectorELNS0_4arch9wavefront6targetE0EEEvS14_
		.amdhsa_group_segment_fixed_size 0
		.amdhsa_private_segment_fixed_size 0
		.amdhsa_kernarg_size 104
		.amdhsa_user_sgpr_count 6
		.amdhsa_user_sgpr_private_segment_buffer 1
		.amdhsa_user_sgpr_dispatch_ptr 0
		.amdhsa_user_sgpr_queue_ptr 0
		.amdhsa_user_sgpr_kernarg_segment_ptr 1
		.amdhsa_user_sgpr_dispatch_id 0
		.amdhsa_user_sgpr_flat_scratch_init 0
		.amdhsa_user_sgpr_private_segment_size 0
		.amdhsa_wavefront_size32 1
		.amdhsa_uses_dynamic_stack 0
		.amdhsa_system_sgpr_private_segment_wavefront_offset 0
		.amdhsa_system_sgpr_workgroup_id_x 1
		.amdhsa_system_sgpr_workgroup_id_y 0
		.amdhsa_system_sgpr_workgroup_id_z 0
		.amdhsa_system_sgpr_workgroup_info 0
		.amdhsa_system_vgpr_workitem_id 0
		.amdhsa_next_free_vgpr 1
		.amdhsa_next_free_sgpr 1
		.amdhsa_reserve_vcc 0
		.amdhsa_reserve_flat_scratch 0
		.amdhsa_float_round_mode_32 0
		.amdhsa_float_round_mode_16_64 0
		.amdhsa_float_denorm_mode_32 3
		.amdhsa_float_denorm_mode_16_64 3
		.amdhsa_dx10_clamp 1
		.amdhsa_ieee_mode 1
		.amdhsa_fp16_overflow 0
		.amdhsa_workgroup_processor_mode 1
		.amdhsa_memory_ordered 1
		.amdhsa_forward_progress 1
		.amdhsa_shared_vgpr_count 0
		.amdhsa_exception_fp_ieee_invalid_op 0
		.amdhsa_exception_fp_denorm_src 0
		.amdhsa_exception_fp_ieee_div_zero 0
		.amdhsa_exception_fp_ieee_overflow 0
		.amdhsa_exception_fp_ieee_underflow 0
		.amdhsa_exception_fp_ieee_inexact 0
		.amdhsa_exception_int_div_zero 0
	.end_amdhsa_kernel
	.section	.text._ZN7rocprim17ROCPRIM_400000_NS6detail17trampoline_kernelINS0_14default_configENS1_22reduce_config_selectorIN6thrust23THRUST_200600_302600_NS5tupleIblNS6_9null_typeES8_S8_S8_S8_S8_S8_S8_EEEEZNS1_11reduce_implILb1ES3_NS6_12zip_iteratorINS7_INS6_11hip_rocprim26transform_input_iterator_tIbNSD_35transform_pair_of_input_iterators_tIbNS6_6detail15normal_iteratorINS6_10device_ptrIKiEEEESL_NS6_8equal_toIiEEEENSG_9not_fun_tINSD_8identityEEEEENSD_19counting_iterator_tIlEES8_S8_S8_S8_S8_S8_S8_S8_EEEEPS9_S9_NSD_9__find_if7functorIS9_EEEE10hipError_tPvRmT1_T2_T3_mT4_P12ihipStream_tbEUlT_E0_NS1_11comp_targetILNS1_3genE0ELNS1_11target_archE4294967295ELNS1_3gpuE0ELNS1_3repE0EEENS1_30default_config_static_selectorELNS0_4arch9wavefront6targetE0EEEvS14_,"axG",@progbits,_ZN7rocprim17ROCPRIM_400000_NS6detail17trampoline_kernelINS0_14default_configENS1_22reduce_config_selectorIN6thrust23THRUST_200600_302600_NS5tupleIblNS6_9null_typeES8_S8_S8_S8_S8_S8_S8_EEEEZNS1_11reduce_implILb1ES3_NS6_12zip_iteratorINS7_INS6_11hip_rocprim26transform_input_iterator_tIbNSD_35transform_pair_of_input_iterators_tIbNS6_6detail15normal_iteratorINS6_10device_ptrIKiEEEESL_NS6_8equal_toIiEEEENSG_9not_fun_tINSD_8identityEEEEENSD_19counting_iterator_tIlEES8_S8_S8_S8_S8_S8_S8_S8_EEEEPS9_S9_NSD_9__find_if7functorIS9_EEEE10hipError_tPvRmT1_T2_T3_mT4_P12ihipStream_tbEUlT_E0_NS1_11comp_targetILNS1_3genE0ELNS1_11target_archE4294967295ELNS1_3gpuE0ELNS1_3repE0EEENS1_30default_config_static_selectorELNS0_4arch9wavefront6targetE0EEEvS14_,comdat
.Lfunc_end468:
	.size	_ZN7rocprim17ROCPRIM_400000_NS6detail17trampoline_kernelINS0_14default_configENS1_22reduce_config_selectorIN6thrust23THRUST_200600_302600_NS5tupleIblNS6_9null_typeES8_S8_S8_S8_S8_S8_S8_EEEEZNS1_11reduce_implILb1ES3_NS6_12zip_iteratorINS7_INS6_11hip_rocprim26transform_input_iterator_tIbNSD_35transform_pair_of_input_iterators_tIbNS6_6detail15normal_iteratorINS6_10device_ptrIKiEEEESL_NS6_8equal_toIiEEEENSG_9not_fun_tINSD_8identityEEEEENSD_19counting_iterator_tIlEES8_S8_S8_S8_S8_S8_S8_S8_EEEEPS9_S9_NSD_9__find_if7functorIS9_EEEE10hipError_tPvRmT1_T2_T3_mT4_P12ihipStream_tbEUlT_E0_NS1_11comp_targetILNS1_3genE0ELNS1_11target_archE4294967295ELNS1_3gpuE0ELNS1_3repE0EEENS1_30default_config_static_selectorELNS0_4arch9wavefront6targetE0EEEvS14_, .Lfunc_end468-_ZN7rocprim17ROCPRIM_400000_NS6detail17trampoline_kernelINS0_14default_configENS1_22reduce_config_selectorIN6thrust23THRUST_200600_302600_NS5tupleIblNS6_9null_typeES8_S8_S8_S8_S8_S8_S8_EEEEZNS1_11reduce_implILb1ES3_NS6_12zip_iteratorINS7_INS6_11hip_rocprim26transform_input_iterator_tIbNSD_35transform_pair_of_input_iterators_tIbNS6_6detail15normal_iteratorINS6_10device_ptrIKiEEEESL_NS6_8equal_toIiEEEENSG_9not_fun_tINSD_8identityEEEEENSD_19counting_iterator_tIlEES8_S8_S8_S8_S8_S8_S8_S8_EEEEPS9_S9_NSD_9__find_if7functorIS9_EEEE10hipError_tPvRmT1_T2_T3_mT4_P12ihipStream_tbEUlT_E0_NS1_11comp_targetILNS1_3genE0ELNS1_11target_archE4294967295ELNS1_3gpuE0ELNS1_3repE0EEENS1_30default_config_static_selectorELNS0_4arch9wavefront6targetE0EEEvS14_
                                        ; -- End function
	.set _ZN7rocprim17ROCPRIM_400000_NS6detail17trampoline_kernelINS0_14default_configENS1_22reduce_config_selectorIN6thrust23THRUST_200600_302600_NS5tupleIblNS6_9null_typeES8_S8_S8_S8_S8_S8_S8_EEEEZNS1_11reduce_implILb1ES3_NS6_12zip_iteratorINS7_INS6_11hip_rocprim26transform_input_iterator_tIbNSD_35transform_pair_of_input_iterators_tIbNS6_6detail15normal_iteratorINS6_10device_ptrIKiEEEESL_NS6_8equal_toIiEEEENSG_9not_fun_tINSD_8identityEEEEENSD_19counting_iterator_tIlEES8_S8_S8_S8_S8_S8_S8_S8_EEEEPS9_S9_NSD_9__find_if7functorIS9_EEEE10hipError_tPvRmT1_T2_T3_mT4_P12ihipStream_tbEUlT_E0_NS1_11comp_targetILNS1_3genE0ELNS1_11target_archE4294967295ELNS1_3gpuE0ELNS1_3repE0EEENS1_30default_config_static_selectorELNS0_4arch9wavefront6targetE0EEEvS14_.num_vgpr, 0
	.set _ZN7rocprim17ROCPRIM_400000_NS6detail17trampoline_kernelINS0_14default_configENS1_22reduce_config_selectorIN6thrust23THRUST_200600_302600_NS5tupleIblNS6_9null_typeES8_S8_S8_S8_S8_S8_S8_EEEEZNS1_11reduce_implILb1ES3_NS6_12zip_iteratorINS7_INS6_11hip_rocprim26transform_input_iterator_tIbNSD_35transform_pair_of_input_iterators_tIbNS6_6detail15normal_iteratorINS6_10device_ptrIKiEEEESL_NS6_8equal_toIiEEEENSG_9not_fun_tINSD_8identityEEEEENSD_19counting_iterator_tIlEES8_S8_S8_S8_S8_S8_S8_S8_EEEEPS9_S9_NSD_9__find_if7functorIS9_EEEE10hipError_tPvRmT1_T2_T3_mT4_P12ihipStream_tbEUlT_E0_NS1_11comp_targetILNS1_3genE0ELNS1_11target_archE4294967295ELNS1_3gpuE0ELNS1_3repE0EEENS1_30default_config_static_selectorELNS0_4arch9wavefront6targetE0EEEvS14_.num_agpr, 0
	.set _ZN7rocprim17ROCPRIM_400000_NS6detail17trampoline_kernelINS0_14default_configENS1_22reduce_config_selectorIN6thrust23THRUST_200600_302600_NS5tupleIblNS6_9null_typeES8_S8_S8_S8_S8_S8_S8_EEEEZNS1_11reduce_implILb1ES3_NS6_12zip_iteratorINS7_INS6_11hip_rocprim26transform_input_iterator_tIbNSD_35transform_pair_of_input_iterators_tIbNS6_6detail15normal_iteratorINS6_10device_ptrIKiEEEESL_NS6_8equal_toIiEEEENSG_9not_fun_tINSD_8identityEEEEENSD_19counting_iterator_tIlEES8_S8_S8_S8_S8_S8_S8_S8_EEEEPS9_S9_NSD_9__find_if7functorIS9_EEEE10hipError_tPvRmT1_T2_T3_mT4_P12ihipStream_tbEUlT_E0_NS1_11comp_targetILNS1_3genE0ELNS1_11target_archE4294967295ELNS1_3gpuE0ELNS1_3repE0EEENS1_30default_config_static_selectorELNS0_4arch9wavefront6targetE0EEEvS14_.numbered_sgpr, 0
	.set _ZN7rocprim17ROCPRIM_400000_NS6detail17trampoline_kernelINS0_14default_configENS1_22reduce_config_selectorIN6thrust23THRUST_200600_302600_NS5tupleIblNS6_9null_typeES8_S8_S8_S8_S8_S8_S8_EEEEZNS1_11reduce_implILb1ES3_NS6_12zip_iteratorINS7_INS6_11hip_rocprim26transform_input_iterator_tIbNSD_35transform_pair_of_input_iterators_tIbNS6_6detail15normal_iteratorINS6_10device_ptrIKiEEEESL_NS6_8equal_toIiEEEENSG_9not_fun_tINSD_8identityEEEEENSD_19counting_iterator_tIlEES8_S8_S8_S8_S8_S8_S8_S8_EEEEPS9_S9_NSD_9__find_if7functorIS9_EEEE10hipError_tPvRmT1_T2_T3_mT4_P12ihipStream_tbEUlT_E0_NS1_11comp_targetILNS1_3genE0ELNS1_11target_archE4294967295ELNS1_3gpuE0ELNS1_3repE0EEENS1_30default_config_static_selectorELNS0_4arch9wavefront6targetE0EEEvS14_.num_named_barrier, 0
	.set _ZN7rocprim17ROCPRIM_400000_NS6detail17trampoline_kernelINS0_14default_configENS1_22reduce_config_selectorIN6thrust23THRUST_200600_302600_NS5tupleIblNS6_9null_typeES8_S8_S8_S8_S8_S8_S8_EEEEZNS1_11reduce_implILb1ES3_NS6_12zip_iteratorINS7_INS6_11hip_rocprim26transform_input_iterator_tIbNSD_35transform_pair_of_input_iterators_tIbNS6_6detail15normal_iteratorINS6_10device_ptrIKiEEEESL_NS6_8equal_toIiEEEENSG_9not_fun_tINSD_8identityEEEEENSD_19counting_iterator_tIlEES8_S8_S8_S8_S8_S8_S8_S8_EEEEPS9_S9_NSD_9__find_if7functorIS9_EEEE10hipError_tPvRmT1_T2_T3_mT4_P12ihipStream_tbEUlT_E0_NS1_11comp_targetILNS1_3genE0ELNS1_11target_archE4294967295ELNS1_3gpuE0ELNS1_3repE0EEENS1_30default_config_static_selectorELNS0_4arch9wavefront6targetE0EEEvS14_.private_seg_size, 0
	.set _ZN7rocprim17ROCPRIM_400000_NS6detail17trampoline_kernelINS0_14default_configENS1_22reduce_config_selectorIN6thrust23THRUST_200600_302600_NS5tupleIblNS6_9null_typeES8_S8_S8_S8_S8_S8_S8_EEEEZNS1_11reduce_implILb1ES3_NS6_12zip_iteratorINS7_INS6_11hip_rocprim26transform_input_iterator_tIbNSD_35transform_pair_of_input_iterators_tIbNS6_6detail15normal_iteratorINS6_10device_ptrIKiEEEESL_NS6_8equal_toIiEEEENSG_9not_fun_tINSD_8identityEEEEENSD_19counting_iterator_tIlEES8_S8_S8_S8_S8_S8_S8_S8_EEEEPS9_S9_NSD_9__find_if7functorIS9_EEEE10hipError_tPvRmT1_T2_T3_mT4_P12ihipStream_tbEUlT_E0_NS1_11comp_targetILNS1_3genE0ELNS1_11target_archE4294967295ELNS1_3gpuE0ELNS1_3repE0EEENS1_30default_config_static_selectorELNS0_4arch9wavefront6targetE0EEEvS14_.uses_vcc, 0
	.set _ZN7rocprim17ROCPRIM_400000_NS6detail17trampoline_kernelINS0_14default_configENS1_22reduce_config_selectorIN6thrust23THRUST_200600_302600_NS5tupleIblNS6_9null_typeES8_S8_S8_S8_S8_S8_S8_EEEEZNS1_11reduce_implILb1ES3_NS6_12zip_iteratorINS7_INS6_11hip_rocprim26transform_input_iterator_tIbNSD_35transform_pair_of_input_iterators_tIbNS6_6detail15normal_iteratorINS6_10device_ptrIKiEEEESL_NS6_8equal_toIiEEEENSG_9not_fun_tINSD_8identityEEEEENSD_19counting_iterator_tIlEES8_S8_S8_S8_S8_S8_S8_S8_EEEEPS9_S9_NSD_9__find_if7functorIS9_EEEE10hipError_tPvRmT1_T2_T3_mT4_P12ihipStream_tbEUlT_E0_NS1_11comp_targetILNS1_3genE0ELNS1_11target_archE4294967295ELNS1_3gpuE0ELNS1_3repE0EEENS1_30default_config_static_selectorELNS0_4arch9wavefront6targetE0EEEvS14_.uses_flat_scratch, 0
	.set _ZN7rocprim17ROCPRIM_400000_NS6detail17trampoline_kernelINS0_14default_configENS1_22reduce_config_selectorIN6thrust23THRUST_200600_302600_NS5tupleIblNS6_9null_typeES8_S8_S8_S8_S8_S8_S8_EEEEZNS1_11reduce_implILb1ES3_NS6_12zip_iteratorINS7_INS6_11hip_rocprim26transform_input_iterator_tIbNSD_35transform_pair_of_input_iterators_tIbNS6_6detail15normal_iteratorINS6_10device_ptrIKiEEEESL_NS6_8equal_toIiEEEENSG_9not_fun_tINSD_8identityEEEEENSD_19counting_iterator_tIlEES8_S8_S8_S8_S8_S8_S8_S8_EEEEPS9_S9_NSD_9__find_if7functorIS9_EEEE10hipError_tPvRmT1_T2_T3_mT4_P12ihipStream_tbEUlT_E0_NS1_11comp_targetILNS1_3genE0ELNS1_11target_archE4294967295ELNS1_3gpuE0ELNS1_3repE0EEENS1_30default_config_static_selectorELNS0_4arch9wavefront6targetE0EEEvS14_.has_dyn_sized_stack, 0
	.set _ZN7rocprim17ROCPRIM_400000_NS6detail17trampoline_kernelINS0_14default_configENS1_22reduce_config_selectorIN6thrust23THRUST_200600_302600_NS5tupleIblNS6_9null_typeES8_S8_S8_S8_S8_S8_S8_EEEEZNS1_11reduce_implILb1ES3_NS6_12zip_iteratorINS7_INS6_11hip_rocprim26transform_input_iterator_tIbNSD_35transform_pair_of_input_iterators_tIbNS6_6detail15normal_iteratorINS6_10device_ptrIKiEEEESL_NS6_8equal_toIiEEEENSG_9not_fun_tINSD_8identityEEEEENSD_19counting_iterator_tIlEES8_S8_S8_S8_S8_S8_S8_S8_EEEEPS9_S9_NSD_9__find_if7functorIS9_EEEE10hipError_tPvRmT1_T2_T3_mT4_P12ihipStream_tbEUlT_E0_NS1_11comp_targetILNS1_3genE0ELNS1_11target_archE4294967295ELNS1_3gpuE0ELNS1_3repE0EEENS1_30default_config_static_selectorELNS0_4arch9wavefront6targetE0EEEvS14_.has_recursion, 0
	.set _ZN7rocprim17ROCPRIM_400000_NS6detail17trampoline_kernelINS0_14default_configENS1_22reduce_config_selectorIN6thrust23THRUST_200600_302600_NS5tupleIblNS6_9null_typeES8_S8_S8_S8_S8_S8_S8_EEEEZNS1_11reduce_implILb1ES3_NS6_12zip_iteratorINS7_INS6_11hip_rocprim26transform_input_iterator_tIbNSD_35transform_pair_of_input_iterators_tIbNS6_6detail15normal_iteratorINS6_10device_ptrIKiEEEESL_NS6_8equal_toIiEEEENSG_9not_fun_tINSD_8identityEEEEENSD_19counting_iterator_tIlEES8_S8_S8_S8_S8_S8_S8_S8_EEEEPS9_S9_NSD_9__find_if7functorIS9_EEEE10hipError_tPvRmT1_T2_T3_mT4_P12ihipStream_tbEUlT_E0_NS1_11comp_targetILNS1_3genE0ELNS1_11target_archE4294967295ELNS1_3gpuE0ELNS1_3repE0EEENS1_30default_config_static_selectorELNS0_4arch9wavefront6targetE0EEEvS14_.has_indirect_call, 0
	.section	.AMDGPU.csdata,"",@progbits
; Kernel info:
; codeLenInByte = 0
; TotalNumSgprs: 0
; NumVgprs: 0
; ScratchSize: 0
; MemoryBound: 0
; FloatMode: 240
; IeeeMode: 1
; LDSByteSize: 0 bytes/workgroup (compile time only)
; SGPRBlocks: 0
; VGPRBlocks: 0
; NumSGPRsForWavesPerEU: 1
; NumVGPRsForWavesPerEU: 1
; Occupancy: 16
; WaveLimiterHint : 0
; COMPUTE_PGM_RSRC2:SCRATCH_EN: 0
; COMPUTE_PGM_RSRC2:USER_SGPR: 6
; COMPUTE_PGM_RSRC2:TRAP_HANDLER: 0
; COMPUTE_PGM_RSRC2:TGID_X_EN: 1
; COMPUTE_PGM_RSRC2:TGID_Y_EN: 0
; COMPUTE_PGM_RSRC2:TGID_Z_EN: 0
; COMPUTE_PGM_RSRC2:TIDIG_COMP_CNT: 0
	.section	.text._ZN7rocprim17ROCPRIM_400000_NS6detail17trampoline_kernelINS0_14default_configENS1_22reduce_config_selectorIN6thrust23THRUST_200600_302600_NS5tupleIblNS6_9null_typeES8_S8_S8_S8_S8_S8_S8_EEEEZNS1_11reduce_implILb1ES3_NS6_12zip_iteratorINS7_INS6_11hip_rocprim26transform_input_iterator_tIbNSD_35transform_pair_of_input_iterators_tIbNS6_6detail15normal_iteratorINS6_10device_ptrIKiEEEESL_NS6_8equal_toIiEEEENSG_9not_fun_tINSD_8identityEEEEENSD_19counting_iterator_tIlEES8_S8_S8_S8_S8_S8_S8_S8_EEEEPS9_S9_NSD_9__find_if7functorIS9_EEEE10hipError_tPvRmT1_T2_T3_mT4_P12ihipStream_tbEUlT_E0_NS1_11comp_targetILNS1_3genE5ELNS1_11target_archE942ELNS1_3gpuE9ELNS1_3repE0EEENS1_30default_config_static_selectorELNS0_4arch9wavefront6targetE0EEEvS14_,"axG",@progbits,_ZN7rocprim17ROCPRIM_400000_NS6detail17trampoline_kernelINS0_14default_configENS1_22reduce_config_selectorIN6thrust23THRUST_200600_302600_NS5tupleIblNS6_9null_typeES8_S8_S8_S8_S8_S8_S8_EEEEZNS1_11reduce_implILb1ES3_NS6_12zip_iteratorINS7_INS6_11hip_rocprim26transform_input_iterator_tIbNSD_35transform_pair_of_input_iterators_tIbNS6_6detail15normal_iteratorINS6_10device_ptrIKiEEEESL_NS6_8equal_toIiEEEENSG_9not_fun_tINSD_8identityEEEEENSD_19counting_iterator_tIlEES8_S8_S8_S8_S8_S8_S8_S8_EEEEPS9_S9_NSD_9__find_if7functorIS9_EEEE10hipError_tPvRmT1_T2_T3_mT4_P12ihipStream_tbEUlT_E0_NS1_11comp_targetILNS1_3genE5ELNS1_11target_archE942ELNS1_3gpuE9ELNS1_3repE0EEENS1_30default_config_static_selectorELNS0_4arch9wavefront6targetE0EEEvS14_,comdat
	.protected	_ZN7rocprim17ROCPRIM_400000_NS6detail17trampoline_kernelINS0_14default_configENS1_22reduce_config_selectorIN6thrust23THRUST_200600_302600_NS5tupleIblNS6_9null_typeES8_S8_S8_S8_S8_S8_S8_EEEEZNS1_11reduce_implILb1ES3_NS6_12zip_iteratorINS7_INS6_11hip_rocprim26transform_input_iterator_tIbNSD_35transform_pair_of_input_iterators_tIbNS6_6detail15normal_iteratorINS6_10device_ptrIKiEEEESL_NS6_8equal_toIiEEEENSG_9not_fun_tINSD_8identityEEEEENSD_19counting_iterator_tIlEES8_S8_S8_S8_S8_S8_S8_S8_EEEEPS9_S9_NSD_9__find_if7functorIS9_EEEE10hipError_tPvRmT1_T2_T3_mT4_P12ihipStream_tbEUlT_E0_NS1_11comp_targetILNS1_3genE5ELNS1_11target_archE942ELNS1_3gpuE9ELNS1_3repE0EEENS1_30default_config_static_selectorELNS0_4arch9wavefront6targetE0EEEvS14_ ; -- Begin function _ZN7rocprim17ROCPRIM_400000_NS6detail17trampoline_kernelINS0_14default_configENS1_22reduce_config_selectorIN6thrust23THRUST_200600_302600_NS5tupleIblNS6_9null_typeES8_S8_S8_S8_S8_S8_S8_EEEEZNS1_11reduce_implILb1ES3_NS6_12zip_iteratorINS7_INS6_11hip_rocprim26transform_input_iterator_tIbNSD_35transform_pair_of_input_iterators_tIbNS6_6detail15normal_iteratorINS6_10device_ptrIKiEEEESL_NS6_8equal_toIiEEEENSG_9not_fun_tINSD_8identityEEEEENSD_19counting_iterator_tIlEES8_S8_S8_S8_S8_S8_S8_S8_EEEEPS9_S9_NSD_9__find_if7functorIS9_EEEE10hipError_tPvRmT1_T2_T3_mT4_P12ihipStream_tbEUlT_E0_NS1_11comp_targetILNS1_3genE5ELNS1_11target_archE942ELNS1_3gpuE9ELNS1_3repE0EEENS1_30default_config_static_selectorELNS0_4arch9wavefront6targetE0EEEvS14_
	.globl	_ZN7rocprim17ROCPRIM_400000_NS6detail17trampoline_kernelINS0_14default_configENS1_22reduce_config_selectorIN6thrust23THRUST_200600_302600_NS5tupleIblNS6_9null_typeES8_S8_S8_S8_S8_S8_S8_EEEEZNS1_11reduce_implILb1ES3_NS6_12zip_iteratorINS7_INS6_11hip_rocprim26transform_input_iterator_tIbNSD_35transform_pair_of_input_iterators_tIbNS6_6detail15normal_iteratorINS6_10device_ptrIKiEEEESL_NS6_8equal_toIiEEEENSG_9not_fun_tINSD_8identityEEEEENSD_19counting_iterator_tIlEES8_S8_S8_S8_S8_S8_S8_S8_EEEEPS9_S9_NSD_9__find_if7functorIS9_EEEE10hipError_tPvRmT1_T2_T3_mT4_P12ihipStream_tbEUlT_E0_NS1_11comp_targetILNS1_3genE5ELNS1_11target_archE942ELNS1_3gpuE9ELNS1_3repE0EEENS1_30default_config_static_selectorELNS0_4arch9wavefront6targetE0EEEvS14_
	.p2align	8
	.type	_ZN7rocprim17ROCPRIM_400000_NS6detail17trampoline_kernelINS0_14default_configENS1_22reduce_config_selectorIN6thrust23THRUST_200600_302600_NS5tupleIblNS6_9null_typeES8_S8_S8_S8_S8_S8_S8_EEEEZNS1_11reduce_implILb1ES3_NS6_12zip_iteratorINS7_INS6_11hip_rocprim26transform_input_iterator_tIbNSD_35transform_pair_of_input_iterators_tIbNS6_6detail15normal_iteratorINS6_10device_ptrIKiEEEESL_NS6_8equal_toIiEEEENSG_9not_fun_tINSD_8identityEEEEENSD_19counting_iterator_tIlEES8_S8_S8_S8_S8_S8_S8_S8_EEEEPS9_S9_NSD_9__find_if7functorIS9_EEEE10hipError_tPvRmT1_T2_T3_mT4_P12ihipStream_tbEUlT_E0_NS1_11comp_targetILNS1_3genE5ELNS1_11target_archE942ELNS1_3gpuE9ELNS1_3repE0EEENS1_30default_config_static_selectorELNS0_4arch9wavefront6targetE0EEEvS14_,@function
_ZN7rocprim17ROCPRIM_400000_NS6detail17trampoline_kernelINS0_14default_configENS1_22reduce_config_selectorIN6thrust23THRUST_200600_302600_NS5tupleIblNS6_9null_typeES8_S8_S8_S8_S8_S8_S8_EEEEZNS1_11reduce_implILb1ES3_NS6_12zip_iteratorINS7_INS6_11hip_rocprim26transform_input_iterator_tIbNSD_35transform_pair_of_input_iterators_tIbNS6_6detail15normal_iteratorINS6_10device_ptrIKiEEEESL_NS6_8equal_toIiEEEENSG_9not_fun_tINSD_8identityEEEEENSD_19counting_iterator_tIlEES8_S8_S8_S8_S8_S8_S8_S8_EEEEPS9_S9_NSD_9__find_if7functorIS9_EEEE10hipError_tPvRmT1_T2_T3_mT4_P12ihipStream_tbEUlT_E0_NS1_11comp_targetILNS1_3genE5ELNS1_11target_archE942ELNS1_3gpuE9ELNS1_3repE0EEENS1_30default_config_static_selectorELNS0_4arch9wavefront6targetE0EEEvS14_: ; @_ZN7rocprim17ROCPRIM_400000_NS6detail17trampoline_kernelINS0_14default_configENS1_22reduce_config_selectorIN6thrust23THRUST_200600_302600_NS5tupleIblNS6_9null_typeES8_S8_S8_S8_S8_S8_S8_EEEEZNS1_11reduce_implILb1ES3_NS6_12zip_iteratorINS7_INS6_11hip_rocprim26transform_input_iterator_tIbNSD_35transform_pair_of_input_iterators_tIbNS6_6detail15normal_iteratorINS6_10device_ptrIKiEEEESL_NS6_8equal_toIiEEEENSG_9not_fun_tINSD_8identityEEEEENSD_19counting_iterator_tIlEES8_S8_S8_S8_S8_S8_S8_S8_EEEEPS9_S9_NSD_9__find_if7functorIS9_EEEE10hipError_tPvRmT1_T2_T3_mT4_P12ihipStream_tbEUlT_E0_NS1_11comp_targetILNS1_3genE5ELNS1_11target_archE942ELNS1_3gpuE9ELNS1_3repE0EEENS1_30default_config_static_selectorELNS0_4arch9wavefront6targetE0EEEvS14_
; %bb.0:
	.section	.rodata,"a",@progbits
	.p2align	6, 0x0
	.amdhsa_kernel _ZN7rocprim17ROCPRIM_400000_NS6detail17trampoline_kernelINS0_14default_configENS1_22reduce_config_selectorIN6thrust23THRUST_200600_302600_NS5tupleIblNS6_9null_typeES8_S8_S8_S8_S8_S8_S8_EEEEZNS1_11reduce_implILb1ES3_NS6_12zip_iteratorINS7_INS6_11hip_rocprim26transform_input_iterator_tIbNSD_35transform_pair_of_input_iterators_tIbNS6_6detail15normal_iteratorINS6_10device_ptrIKiEEEESL_NS6_8equal_toIiEEEENSG_9not_fun_tINSD_8identityEEEEENSD_19counting_iterator_tIlEES8_S8_S8_S8_S8_S8_S8_S8_EEEEPS9_S9_NSD_9__find_if7functorIS9_EEEE10hipError_tPvRmT1_T2_T3_mT4_P12ihipStream_tbEUlT_E0_NS1_11comp_targetILNS1_3genE5ELNS1_11target_archE942ELNS1_3gpuE9ELNS1_3repE0EEENS1_30default_config_static_selectorELNS0_4arch9wavefront6targetE0EEEvS14_
		.amdhsa_group_segment_fixed_size 0
		.amdhsa_private_segment_fixed_size 0
		.amdhsa_kernarg_size 104
		.amdhsa_user_sgpr_count 6
		.amdhsa_user_sgpr_private_segment_buffer 1
		.amdhsa_user_sgpr_dispatch_ptr 0
		.amdhsa_user_sgpr_queue_ptr 0
		.amdhsa_user_sgpr_kernarg_segment_ptr 1
		.amdhsa_user_sgpr_dispatch_id 0
		.amdhsa_user_sgpr_flat_scratch_init 0
		.amdhsa_user_sgpr_private_segment_size 0
		.amdhsa_wavefront_size32 1
		.amdhsa_uses_dynamic_stack 0
		.amdhsa_system_sgpr_private_segment_wavefront_offset 0
		.amdhsa_system_sgpr_workgroup_id_x 1
		.amdhsa_system_sgpr_workgroup_id_y 0
		.amdhsa_system_sgpr_workgroup_id_z 0
		.amdhsa_system_sgpr_workgroup_info 0
		.amdhsa_system_vgpr_workitem_id 0
		.amdhsa_next_free_vgpr 1
		.amdhsa_next_free_sgpr 1
		.amdhsa_reserve_vcc 0
		.amdhsa_reserve_flat_scratch 0
		.amdhsa_float_round_mode_32 0
		.amdhsa_float_round_mode_16_64 0
		.amdhsa_float_denorm_mode_32 3
		.amdhsa_float_denorm_mode_16_64 3
		.amdhsa_dx10_clamp 1
		.amdhsa_ieee_mode 1
		.amdhsa_fp16_overflow 0
		.amdhsa_workgroup_processor_mode 1
		.amdhsa_memory_ordered 1
		.amdhsa_forward_progress 1
		.amdhsa_shared_vgpr_count 0
		.amdhsa_exception_fp_ieee_invalid_op 0
		.amdhsa_exception_fp_denorm_src 0
		.amdhsa_exception_fp_ieee_div_zero 0
		.amdhsa_exception_fp_ieee_overflow 0
		.amdhsa_exception_fp_ieee_underflow 0
		.amdhsa_exception_fp_ieee_inexact 0
		.amdhsa_exception_int_div_zero 0
	.end_amdhsa_kernel
	.section	.text._ZN7rocprim17ROCPRIM_400000_NS6detail17trampoline_kernelINS0_14default_configENS1_22reduce_config_selectorIN6thrust23THRUST_200600_302600_NS5tupleIblNS6_9null_typeES8_S8_S8_S8_S8_S8_S8_EEEEZNS1_11reduce_implILb1ES3_NS6_12zip_iteratorINS7_INS6_11hip_rocprim26transform_input_iterator_tIbNSD_35transform_pair_of_input_iterators_tIbNS6_6detail15normal_iteratorINS6_10device_ptrIKiEEEESL_NS6_8equal_toIiEEEENSG_9not_fun_tINSD_8identityEEEEENSD_19counting_iterator_tIlEES8_S8_S8_S8_S8_S8_S8_S8_EEEEPS9_S9_NSD_9__find_if7functorIS9_EEEE10hipError_tPvRmT1_T2_T3_mT4_P12ihipStream_tbEUlT_E0_NS1_11comp_targetILNS1_3genE5ELNS1_11target_archE942ELNS1_3gpuE9ELNS1_3repE0EEENS1_30default_config_static_selectorELNS0_4arch9wavefront6targetE0EEEvS14_,"axG",@progbits,_ZN7rocprim17ROCPRIM_400000_NS6detail17trampoline_kernelINS0_14default_configENS1_22reduce_config_selectorIN6thrust23THRUST_200600_302600_NS5tupleIblNS6_9null_typeES8_S8_S8_S8_S8_S8_S8_EEEEZNS1_11reduce_implILb1ES3_NS6_12zip_iteratorINS7_INS6_11hip_rocprim26transform_input_iterator_tIbNSD_35transform_pair_of_input_iterators_tIbNS6_6detail15normal_iteratorINS6_10device_ptrIKiEEEESL_NS6_8equal_toIiEEEENSG_9not_fun_tINSD_8identityEEEEENSD_19counting_iterator_tIlEES8_S8_S8_S8_S8_S8_S8_S8_EEEEPS9_S9_NSD_9__find_if7functorIS9_EEEE10hipError_tPvRmT1_T2_T3_mT4_P12ihipStream_tbEUlT_E0_NS1_11comp_targetILNS1_3genE5ELNS1_11target_archE942ELNS1_3gpuE9ELNS1_3repE0EEENS1_30default_config_static_selectorELNS0_4arch9wavefront6targetE0EEEvS14_,comdat
.Lfunc_end469:
	.size	_ZN7rocprim17ROCPRIM_400000_NS6detail17trampoline_kernelINS0_14default_configENS1_22reduce_config_selectorIN6thrust23THRUST_200600_302600_NS5tupleIblNS6_9null_typeES8_S8_S8_S8_S8_S8_S8_EEEEZNS1_11reduce_implILb1ES3_NS6_12zip_iteratorINS7_INS6_11hip_rocprim26transform_input_iterator_tIbNSD_35transform_pair_of_input_iterators_tIbNS6_6detail15normal_iteratorINS6_10device_ptrIKiEEEESL_NS6_8equal_toIiEEEENSG_9not_fun_tINSD_8identityEEEEENSD_19counting_iterator_tIlEES8_S8_S8_S8_S8_S8_S8_S8_EEEEPS9_S9_NSD_9__find_if7functorIS9_EEEE10hipError_tPvRmT1_T2_T3_mT4_P12ihipStream_tbEUlT_E0_NS1_11comp_targetILNS1_3genE5ELNS1_11target_archE942ELNS1_3gpuE9ELNS1_3repE0EEENS1_30default_config_static_selectorELNS0_4arch9wavefront6targetE0EEEvS14_, .Lfunc_end469-_ZN7rocprim17ROCPRIM_400000_NS6detail17trampoline_kernelINS0_14default_configENS1_22reduce_config_selectorIN6thrust23THRUST_200600_302600_NS5tupleIblNS6_9null_typeES8_S8_S8_S8_S8_S8_S8_EEEEZNS1_11reduce_implILb1ES3_NS6_12zip_iteratorINS7_INS6_11hip_rocprim26transform_input_iterator_tIbNSD_35transform_pair_of_input_iterators_tIbNS6_6detail15normal_iteratorINS6_10device_ptrIKiEEEESL_NS6_8equal_toIiEEEENSG_9not_fun_tINSD_8identityEEEEENSD_19counting_iterator_tIlEES8_S8_S8_S8_S8_S8_S8_S8_EEEEPS9_S9_NSD_9__find_if7functorIS9_EEEE10hipError_tPvRmT1_T2_T3_mT4_P12ihipStream_tbEUlT_E0_NS1_11comp_targetILNS1_3genE5ELNS1_11target_archE942ELNS1_3gpuE9ELNS1_3repE0EEENS1_30default_config_static_selectorELNS0_4arch9wavefront6targetE0EEEvS14_
                                        ; -- End function
	.set _ZN7rocprim17ROCPRIM_400000_NS6detail17trampoline_kernelINS0_14default_configENS1_22reduce_config_selectorIN6thrust23THRUST_200600_302600_NS5tupleIblNS6_9null_typeES8_S8_S8_S8_S8_S8_S8_EEEEZNS1_11reduce_implILb1ES3_NS6_12zip_iteratorINS7_INS6_11hip_rocprim26transform_input_iterator_tIbNSD_35transform_pair_of_input_iterators_tIbNS6_6detail15normal_iteratorINS6_10device_ptrIKiEEEESL_NS6_8equal_toIiEEEENSG_9not_fun_tINSD_8identityEEEEENSD_19counting_iterator_tIlEES8_S8_S8_S8_S8_S8_S8_S8_EEEEPS9_S9_NSD_9__find_if7functorIS9_EEEE10hipError_tPvRmT1_T2_T3_mT4_P12ihipStream_tbEUlT_E0_NS1_11comp_targetILNS1_3genE5ELNS1_11target_archE942ELNS1_3gpuE9ELNS1_3repE0EEENS1_30default_config_static_selectorELNS0_4arch9wavefront6targetE0EEEvS14_.num_vgpr, 0
	.set _ZN7rocprim17ROCPRIM_400000_NS6detail17trampoline_kernelINS0_14default_configENS1_22reduce_config_selectorIN6thrust23THRUST_200600_302600_NS5tupleIblNS6_9null_typeES8_S8_S8_S8_S8_S8_S8_EEEEZNS1_11reduce_implILb1ES3_NS6_12zip_iteratorINS7_INS6_11hip_rocprim26transform_input_iterator_tIbNSD_35transform_pair_of_input_iterators_tIbNS6_6detail15normal_iteratorINS6_10device_ptrIKiEEEESL_NS6_8equal_toIiEEEENSG_9not_fun_tINSD_8identityEEEEENSD_19counting_iterator_tIlEES8_S8_S8_S8_S8_S8_S8_S8_EEEEPS9_S9_NSD_9__find_if7functorIS9_EEEE10hipError_tPvRmT1_T2_T3_mT4_P12ihipStream_tbEUlT_E0_NS1_11comp_targetILNS1_3genE5ELNS1_11target_archE942ELNS1_3gpuE9ELNS1_3repE0EEENS1_30default_config_static_selectorELNS0_4arch9wavefront6targetE0EEEvS14_.num_agpr, 0
	.set _ZN7rocprim17ROCPRIM_400000_NS6detail17trampoline_kernelINS0_14default_configENS1_22reduce_config_selectorIN6thrust23THRUST_200600_302600_NS5tupleIblNS6_9null_typeES8_S8_S8_S8_S8_S8_S8_EEEEZNS1_11reduce_implILb1ES3_NS6_12zip_iteratorINS7_INS6_11hip_rocprim26transform_input_iterator_tIbNSD_35transform_pair_of_input_iterators_tIbNS6_6detail15normal_iteratorINS6_10device_ptrIKiEEEESL_NS6_8equal_toIiEEEENSG_9not_fun_tINSD_8identityEEEEENSD_19counting_iterator_tIlEES8_S8_S8_S8_S8_S8_S8_S8_EEEEPS9_S9_NSD_9__find_if7functorIS9_EEEE10hipError_tPvRmT1_T2_T3_mT4_P12ihipStream_tbEUlT_E0_NS1_11comp_targetILNS1_3genE5ELNS1_11target_archE942ELNS1_3gpuE9ELNS1_3repE0EEENS1_30default_config_static_selectorELNS0_4arch9wavefront6targetE0EEEvS14_.numbered_sgpr, 0
	.set _ZN7rocprim17ROCPRIM_400000_NS6detail17trampoline_kernelINS0_14default_configENS1_22reduce_config_selectorIN6thrust23THRUST_200600_302600_NS5tupleIblNS6_9null_typeES8_S8_S8_S8_S8_S8_S8_EEEEZNS1_11reduce_implILb1ES3_NS6_12zip_iteratorINS7_INS6_11hip_rocprim26transform_input_iterator_tIbNSD_35transform_pair_of_input_iterators_tIbNS6_6detail15normal_iteratorINS6_10device_ptrIKiEEEESL_NS6_8equal_toIiEEEENSG_9not_fun_tINSD_8identityEEEEENSD_19counting_iterator_tIlEES8_S8_S8_S8_S8_S8_S8_S8_EEEEPS9_S9_NSD_9__find_if7functorIS9_EEEE10hipError_tPvRmT1_T2_T3_mT4_P12ihipStream_tbEUlT_E0_NS1_11comp_targetILNS1_3genE5ELNS1_11target_archE942ELNS1_3gpuE9ELNS1_3repE0EEENS1_30default_config_static_selectorELNS0_4arch9wavefront6targetE0EEEvS14_.num_named_barrier, 0
	.set _ZN7rocprim17ROCPRIM_400000_NS6detail17trampoline_kernelINS0_14default_configENS1_22reduce_config_selectorIN6thrust23THRUST_200600_302600_NS5tupleIblNS6_9null_typeES8_S8_S8_S8_S8_S8_S8_EEEEZNS1_11reduce_implILb1ES3_NS6_12zip_iteratorINS7_INS6_11hip_rocprim26transform_input_iterator_tIbNSD_35transform_pair_of_input_iterators_tIbNS6_6detail15normal_iteratorINS6_10device_ptrIKiEEEESL_NS6_8equal_toIiEEEENSG_9not_fun_tINSD_8identityEEEEENSD_19counting_iterator_tIlEES8_S8_S8_S8_S8_S8_S8_S8_EEEEPS9_S9_NSD_9__find_if7functorIS9_EEEE10hipError_tPvRmT1_T2_T3_mT4_P12ihipStream_tbEUlT_E0_NS1_11comp_targetILNS1_3genE5ELNS1_11target_archE942ELNS1_3gpuE9ELNS1_3repE0EEENS1_30default_config_static_selectorELNS0_4arch9wavefront6targetE0EEEvS14_.private_seg_size, 0
	.set _ZN7rocprim17ROCPRIM_400000_NS6detail17trampoline_kernelINS0_14default_configENS1_22reduce_config_selectorIN6thrust23THRUST_200600_302600_NS5tupleIblNS6_9null_typeES8_S8_S8_S8_S8_S8_S8_EEEEZNS1_11reduce_implILb1ES3_NS6_12zip_iteratorINS7_INS6_11hip_rocprim26transform_input_iterator_tIbNSD_35transform_pair_of_input_iterators_tIbNS6_6detail15normal_iteratorINS6_10device_ptrIKiEEEESL_NS6_8equal_toIiEEEENSG_9not_fun_tINSD_8identityEEEEENSD_19counting_iterator_tIlEES8_S8_S8_S8_S8_S8_S8_S8_EEEEPS9_S9_NSD_9__find_if7functorIS9_EEEE10hipError_tPvRmT1_T2_T3_mT4_P12ihipStream_tbEUlT_E0_NS1_11comp_targetILNS1_3genE5ELNS1_11target_archE942ELNS1_3gpuE9ELNS1_3repE0EEENS1_30default_config_static_selectorELNS0_4arch9wavefront6targetE0EEEvS14_.uses_vcc, 0
	.set _ZN7rocprim17ROCPRIM_400000_NS6detail17trampoline_kernelINS0_14default_configENS1_22reduce_config_selectorIN6thrust23THRUST_200600_302600_NS5tupleIblNS6_9null_typeES8_S8_S8_S8_S8_S8_S8_EEEEZNS1_11reduce_implILb1ES3_NS6_12zip_iteratorINS7_INS6_11hip_rocprim26transform_input_iterator_tIbNSD_35transform_pair_of_input_iterators_tIbNS6_6detail15normal_iteratorINS6_10device_ptrIKiEEEESL_NS6_8equal_toIiEEEENSG_9not_fun_tINSD_8identityEEEEENSD_19counting_iterator_tIlEES8_S8_S8_S8_S8_S8_S8_S8_EEEEPS9_S9_NSD_9__find_if7functorIS9_EEEE10hipError_tPvRmT1_T2_T3_mT4_P12ihipStream_tbEUlT_E0_NS1_11comp_targetILNS1_3genE5ELNS1_11target_archE942ELNS1_3gpuE9ELNS1_3repE0EEENS1_30default_config_static_selectorELNS0_4arch9wavefront6targetE0EEEvS14_.uses_flat_scratch, 0
	.set _ZN7rocprim17ROCPRIM_400000_NS6detail17trampoline_kernelINS0_14default_configENS1_22reduce_config_selectorIN6thrust23THRUST_200600_302600_NS5tupleIblNS6_9null_typeES8_S8_S8_S8_S8_S8_S8_EEEEZNS1_11reduce_implILb1ES3_NS6_12zip_iteratorINS7_INS6_11hip_rocprim26transform_input_iterator_tIbNSD_35transform_pair_of_input_iterators_tIbNS6_6detail15normal_iteratorINS6_10device_ptrIKiEEEESL_NS6_8equal_toIiEEEENSG_9not_fun_tINSD_8identityEEEEENSD_19counting_iterator_tIlEES8_S8_S8_S8_S8_S8_S8_S8_EEEEPS9_S9_NSD_9__find_if7functorIS9_EEEE10hipError_tPvRmT1_T2_T3_mT4_P12ihipStream_tbEUlT_E0_NS1_11comp_targetILNS1_3genE5ELNS1_11target_archE942ELNS1_3gpuE9ELNS1_3repE0EEENS1_30default_config_static_selectorELNS0_4arch9wavefront6targetE0EEEvS14_.has_dyn_sized_stack, 0
	.set _ZN7rocprim17ROCPRIM_400000_NS6detail17trampoline_kernelINS0_14default_configENS1_22reduce_config_selectorIN6thrust23THRUST_200600_302600_NS5tupleIblNS6_9null_typeES8_S8_S8_S8_S8_S8_S8_EEEEZNS1_11reduce_implILb1ES3_NS6_12zip_iteratorINS7_INS6_11hip_rocprim26transform_input_iterator_tIbNSD_35transform_pair_of_input_iterators_tIbNS6_6detail15normal_iteratorINS6_10device_ptrIKiEEEESL_NS6_8equal_toIiEEEENSG_9not_fun_tINSD_8identityEEEEENSD_19counting_iterator_tIlEES8_S8_S8_S8_S8_S8_S8_S8_EEEEPS9_S9_NSD_9__find_if7functorIS9_EEEE10hipError_tPvRmT1_T2_T3_mT4_P12ihipStream_tbEUlT_E0_NS1_11comp_targetILNS1_3genE5ELNS1_11target_archE942ELNS1_3gpuE9ELNS1_3repE0EEENS1_30default_config_static_selectorELNS0_4arch9wavefront6targetE0EEEvS14_.has_recursion, 0
	.set _ZN7rocprim17ROCPRIM_400000_NS6detail17trampoline_kernelINS0_14default_configENS1_22reduce_config_selectorIN6thrust23THRUST_200600_302600_NS5tupleIblNS6_9null_typeES8_S8_S8_S8_S8_S8_S8_EEEEZNS1_11reduce_implILb1ES3_NS6_12zip_iteratorINS7_INS6_11hip_rocprim26transform_input_iterator_tIbNSD_35transform_pair_of_input_iterators_tIbNS6_6detail15normal_iteratorINS6_10device_ptrIKiEEEESL_NS6_8equal_toIiEEEENSG_9not_fun_tINSD_8identityEEEEENSD_19counting_iterator_tIlEES8_S8_S8_S8_S8_S8_S8_S8_EEEEPS9_S9_NSD_9__find_if7functorIS9_EEEE10hipError_tPvRmT1_T2_T3_mT4_P12ihipStream_tbEUlT_E0_NS1_11comp_targetILNS1_3genE5ELNS1_11target_archE942ELNS1_3gpuE9ELNS1_3repE0EEENS1_30default_config_static_selectorELNS0_4arch9wavefront6targetE0EEEvS14_.has_indirect_call, 0
	.section	.AMDGPU.csdata,"",@progbits
; Kernel info:
; codeLenInByte = 0
; TotalNumSgprs: 0
; NumVgprs: 0
; ScratchSize: 0
; MemoryBound: 0
; FloatMode: 240
; IeeeMode: 1
; LDSByteSize: 0 bytes/workgroup (compile time only)
; SGPRBlocks: 0
; VGPRBlocks: 0
; NumSGPRsForWavesPerEU: 1
; NumVGPRsForWavesPerEU: 1
; Occupancy: 16
; WaveLimiterHint : 0
; COMPUTE_PGM_RSRC2:SCRATCH_EN: 0
; COMPUTE_PGM_RSRC2:USER_SGPR: 6
; COMPUTE_PGM_RSRC2:TRAP_HANDLER: 0
; COMPUTE_PGM_RSRC2:TGID_X_EN: 1
; COMPUTE_PGM_RSRC2:TGID_Y_EN: 0
; COMPUTE_PGM_RSRC2:TGID_Z_EN: 0
; COMPUTE_PGM_RSRC2:TIDIG_COMP_CNT: 0
	.section	.text._ZN7rocprim17ROCPRIM_400000_NS6detail17trampoline_kernelINS0_14default_configENS1_22reduce_config_selectorIN6thrust23THRUST_200600_302600_NS5tupleIblNS6_9null_typeES8_S8_S8_S8_S8_S8_S8_EEEEZNS1_11reduce_implILb1ES3_NS6_12zip_iteratorINS7_INS6_11hip_rocprim26transform_input_iterator_tIbNSD_35transform_pair_of_input_iterators_tIbNS6_6detail15normal_iteratorINS6_10device_ptrIKiEEEESL_NS6_8equal_toIiEEEENSG_9not_fun_tINSD_8identityEEEEENSD_19counting_iterator_tIlEES8_S8_S8_S8_S8_S8_S8_S8_EEEEPS9_S9_NSD_9__find_if7functorIS9_EEEE10hipError_tPvRmT1_T2_T3_mT4_P12ihipStream_tbEUlT_E0_NS1_11comp_targetILNS1_3genE4ELNS1_11target_archE910ELNS1_3gpuE8ELNS1_3repE0EEENS1_30default_config_static_selectorELNS0_4arch9wavefront6targetE0EEEvS14_,"axG",@progbits,_ZN7rocprim17ROCPRIM_400000_NS6detail17trampoline_kernelINS0_14default_configENS1_22reduce_config_selectorIN6thrust23THRUST_200600_302600_NS5tupleIblNS6_9null_typeES8_S8_S8_S8_S8_S8_S8_EEEEZNS1_11reduce_implILb1ES3_NS6_12zip_iteratorINS7_INS6_11hip_rocprim26transform_input_iterator_tIbNSD_35transform_pair_of_input_iterators_tIbNS6_6detail15normal_iteratorINS6_10device_ptrIKiEEEESL_NS6_8equal_toIiEEEENSG_9not_fun_tINSD_8identityEEEEENSD_19counting_iterator_tIlEES8_S8_S8_S8_S8_S8_S8_S8_EEEEPS9_S9_NSD_9__find_if7functorIS9_EEEE10hipError_tPvRmT1_T2_T3_mT4_P12ihipStream_tbEUlT_E0_NS1_11comp_targetILNS1_3genE4ELNS1_11target_archE910ELNS1_3gpuE8ELNS1_3repE0EEENS1_30default_config_static_selectorELNS0_4arch9wavefront6targetE0EEEvS14_,comdat
	.protected	_ZN7rocprim17ROCPRIM_400000_NS6detail17trampoline_kernelINS0_14default_configENS1_22reduce_config_selectorIN6thrust23THRUST_200600_302600_NS5tupleIblNS6_9null_typeES8_S8_S8_S8_S8_S8_S8_EEEEZNS1_11reduce_implILb1ES3_NS6_12zip_iteratorINS7_INS6_11hip_rocprim26transform_input_iterator_tIbNSD_35transform_pair_of_input_iterators_tIbNS6_6detail15normal_iteratorINS6_10device_ptrIKiEEEESL_NS6_8equal_toIiEEEENSG_9not_fun_tINSD_8identityEEEEENSD_19counting_iterator_tIlEES8_S8_S8_S8_S8_S8_S8_S8_EEEEPS9_S9_NSD_9__find_if7functorIS9_EEEE10hipError_tPvRmT1_T2_T3_mT4_P12ihipStream_tbEUlT_E0_NS1_11comp_targetILNS1_3genE4ELNS1_11target_archE910ELNS1_3gpuE8ELNS1_3repE0EEENS1_30default_config_static_selectorELNS0_4arch9wavefront6targetE0EEEvS14_ ; -- Begin function _ZN7rocprim17ROCPRIM_400000_NS6detail17trampoline_kernelINS0_14default_configENS1_22reduce_config_selectorIN6thrust23THRUST_200600_302600_NS5tupleIblNS6_9null_typeES8_S8_S8_S8_S8_S8_S8_EEEEZNS1_11reduce_implILb1ES3_NS6_12zip_iteratorINS7_INS6_11hip_rocprim26transform_input_iterator_tIbNSD_35transform_pair_of_input_iterators_tIbNS6_6detail15normal_iteratorINS6_10device_ptrIKiEEEESL_NS6_8equal_toIiEEEENSG_9not_fun_tINSD_8identityEEEEENSD_19counting_iterator_tIlEES8_S8_S8_S8_S8_S8_S8_S8_EEEEPS9_S9_NSD_9__find_if7functorIS9_EEEE10hipError_tPvRmT1_T2_T3_mT4_P12ihipStream_tbEUlT_E0_NS1_11comp_targetILNS1_3genE4ELNS1_11target_archE910ELNS1_3gpuE8ELNS1_3repE0EEENS1_30default_config_static_selectorELNS0_4arch9wavefront6targetE0EEEvS14_
	.globl	_ZN7rocprim17ROCPRIM_400000_NS6detail17trampoline_kernelINS0_14default_configENS1_22reduce_config_selectorIN6thrust23THRUST_200600_302600_NS5tupleIblNS6_9null_typeES8_S8_S8_S8_S8_S8_S8_EEEEZNS1_11reduce_implILb1ES3_NS6_12zip_iteratorINS7_INS6_11hip_rocprim26transform_input_iterator_tIbNSD_35transform_pair_of_input_iterators_tIbNS6_6detail15normal_iteratorINS6_10device_ptrIKiEEEESL_NS6_8equal_toIiEEEENSG_9not_fun_tINSD_8identityEEEEENSD_19counting_iterator_tIlEES8_S8_S8_S8_S8_S8_S8_S8_EEEEPS9_S9_NSD_9__find_if7functorIS9_EEEE10hipError_tPvRmT1_T2_T3_mT4_P12ihipStream_tbEUlT_E0_NS1_11comp_targetILNS1_3genE4ELNS1_11target_archE910ELNS1_3gpuE8ELNS1_3repE0EEENS1_30default_config_static_selectorELNS0_4arch9wavefront6targetE0EEEvS14_
	.p2align	8
	.type	_ZN7rocprim17ROCPRIM_400000_NS6detail17trampoline_kernelINS0_14default_configENS1_22reduce_config_selectorIN6thrust23THRUST_200600_302600_NS5tupleIblNS6_9null_typeES8_S8_S8_S8_S8_S8_S8_EEEEZNS1_11reduce_implILb1ES3_NS6_12zip_iteratorINS7_INS6_11hip_rocprim26transform_input_iterator_tIbNSD_35transform_pair_of_input_iterators_tIbNS6_6detail15normal_iteratorINS6_10device_ptrIKiEEEESL_NS6_8equal_toIiEEEENSG_9not_fun_tINSD_8identityEEEEENSD_19counting_iterator_tIlEES8_S8_S8_S8_S8_S8_S8_S8_EEEEPS9_S9_NSD_9__find_if7functorIS9_EEEE10hipError_tPvRmT1_T2_T3_mT4_P12ihipStream_tbEUlT_E0_NS1_11comp_targetILNS1_3genE4ELNS1_11target_archE910ELNS1_3gpuE8ELNS1_3repE0EEENS1_30default_config_static_selectorELNS0_4arch9wavefront6targetE0EEEvS14_,@function
_ZN7rocprim17ROCPRIM_400000_NS6detail17trampoline_kernelINS0_14default_configENS1_22reduce_config_selectorIN6thrust23THRUST_200600_302600_NS5tupleIblNS6_9null_typeES8_S8_S8_S8_S8_S8_S8_EEEEZNS1_11reduce_implILb1ES3_NS6_12zip_iteratorINS7_INS6_11hip_rocprim26transform_input_iterator_tIbNSD_35transform_pair_of_input_iterators_tIbNS6_6detail15normal_iteratorINS6_10device_ptrIKiEEEESL_NS6_8equal_toIiEEEENSG_9not_fun_tINSD_8identityEEEEENSD_19counting_iterator_tIlEES8_S8_S8_S8_S8_S8_S8_S8_EEEEPS9_S9_NSD_9__find_if7functorIS9_EEEE10hipError_tPvRmT1_T2_T3_mT4_P12ihipStream_tbEUlT_E0_NS1_11comp_targetILNS1_3genE4ELNS1_11target_archE910ELNS1_3gpuE8ELNS1_3repE0EEENS1_30default_config_static_selectorELNS0_4arch9wavefront6targetE0EEEvS14_: ; @_ZN7rocprim17ROCPRIM_400000_NS6detail17trampoline_kernelINS0_14default_configENS1_22reduce_config_selectorIN6thrust23THRUST_200600_302600_NS5tupleIblNS6_9null_typeES8_S8_S8_S8_S8_S8_S8_EEEEZNS1_11reduce_implILb1ES3_NS6_12zip_iteratorINS7_INS6_11hip_rocprim26transform_input_iterator_tIbNSD_35transform_pair_of_input_iterators_tIbNS6_6detail15normal_iteratorINS6_10device_ptrIKiEEEESL_NS6_8equal_toIiEEEENSG_9not_fun_tINSD_8identityEEEEENSD_19counting_iterator_tIlEES8_S8_S8_S8_S8_S8_S8_S8_EEEEPS9_S9_NSD_9__find_if7functorIS9_EEEE10hipError_tPvRmT1_T2_T3_mT4_P12ihipStream_tbEUlT_E0_NS1_11comp_targetILNS1_3genE4ELNS1_11target_archE910ELNS1_3gpuE8ELNS1_3repE0EEENS1_30default_config_static_selectorELNS0_4arch9wavefront6targetE0EEEvS14_
; %bb.0:
	.section	.rodata,"a",@progbits
	.p2align	6, 0x0
	.amdhsa_kernel _ZN7rocprim17ROCPRIM_400000_NS6detail17trampoline_kernelINS0_14default_configENS1_22reduce_config_selectorIN6thrust23THRUST_200600_302600_NS5tupleIblNS6_9null_typeES8_S8_S8_S8_S8_S8_S8_EEEEZNS1_11reduce_implILb1ES3_NS6_12zip_iteratorINS7_INS6_11hip_rocprim26transform_input_iterator_tIbNSD_35transform_pair_of_input_iterators_tIbNS6_6detail15normal_iteratorINS6_10device_ptrIKiEEEESL_NS6_8equal_toIiEEEENSG_9not_fun_tINSD_8identityEEEEENSD_19counting_iterator_tIlEES8_S8_S8_S8_S8_S8_S8_S8_EEEEPS9_S9_NSD_9__find_if7functorIS9_EEEE10hipError_tPvRmT1_T2_T3_mT4_P12ihipStream_tbEUlT_E0_NS1_11comp_targetILNS1_3genE4ELNS1_11target_archE910ELNS1_3gpuE8ELNS1_3repE0EEENS1_30default_config_static_selectorELNS0_4arch9wavefront6targetE0EEEvS14_
		.amdhsa_group_segment_fixed_size 0
		.amdhsa_private_segment_fixed_size 0
		.amdhsa_kernarg_size 104
		.amdhsa_user_sgpr_count 6
		.amdhsa_user_sgpr_private_segment_buffer 1
		.amdhsa_user_sgpr_dispatch_ptr 0
		.amdhsa_user_sgpr_queue_ptr 0
		.amdhsa_user_sgpr_kernarg_segment_ptr 1
		.amdhsa_user_sgpr_dispatch_id 0
		.amdhsa_user_sgpr_flat_scratch_init 0
		.amdhsa_user_sgpr_private_segment_size 0
		.amdhsa_wavefront_size32 1
		.amdhsa_uses_dynamic_stack 0
		.amdhsa_system_sgpr_private_segment_wavefront_offset 0
		.amdhsa_system_sgpr_workgroup_id_x 1
		.amdhsa_system_sgpr_workgroup_id_y 0
		.amdhsa_system_sgpr_workgroup_id_z 0
		.amdhsa_system_sgpr_workgroup_info 0
		.amdhsa_system_vgpr_workitem_id 0
		.amdhsa_next_free_vgpr 1
		.amdhsa_next_free_sgpr 1
		.amdhsa_reserve_vcc 0
		.amdhsa_reserve_flat_scratch 0
		.amdhsa_float_round_mode_32 0
		.amdhsa_float_round_mode_16_64 0
		.amdhsa_float_denorm_mode_32 3
		.amdhsa_float_denorm_mode_16_64 3
		.amdhsa_dx10_clamp 1
		.amdhsa_ieee_mode 1
		.amdhsa_fp16_overflow 0
		.amdhsa_workgroup_processor_mode 1
		.amdhsa_memory_ordered 1
		.amdhsa_forward_progress 1
		.amdhsa_shared_vgpr_count 0
		.amdhsa_exception_fp_ieee_invalid_op 0
		.amdhsa_exception_fp_denorm_src 0
		.amdhsa_exception_fp_ieee_div_zero 0
		.amdhsa_exception_fp_ieee_overflow 0
		.amdhsa_exception_fp_ieee_underflow 0
		.amdhsa_exception_fp_ieee_inexact 0
		.amdhsa_exception_int_div_zero 0
	.end_amdhsa_kernel
	.section	.text._ZN7rocprim17ROCPRIM_400000_NS6detail17trampoline_kernelINS0_14default_configENS1_22reduce_config_selectorIN6thrust23THRUST_200600_302600_NS5tupleIblNS6_9null_typeES8_S8_S8_S8_S8_S8_S8_EEEEZNS1_11reduce_implILb1ES3_NS6_12zip_iteratorINS7_INS6_11hip_rocprim26transform_input_iterator_tIbNSD_35transform_pair_of_input_iterators_tIbNS6_6detail15normal_iteratorINS6_10device_ptrIKiEEEESL_NS6_8equal_toIiEEEENSG_9not_fun_tINSD_8identityEEEEENSD_19counting_iterator_tIlEES8_S8_S8_S8_S8_S8_S8_S8_EEEEPS9_S9_NSD_9__find_if7functorIS9_EEEE10hipError_tPvRmT1_T2_T3_mT4_P12ihipStream_tbEUlT_E0_NS1_11comp_targetILNS1_3genE4ELNS1_11target_archE910ELNS1_3gpuE8ELNS1_3repE0EEENS1_30default_config_static_selectorELNS0_4arch9wavefront6targetE0EEEvS14_,"axG",@progbits,_ZN7rocprim17ROCPRIM_400000_NS6detail17trampoline_kernelINS0_14default_configENS1_22reduce_config_selectorIN6thrust23THRUST_200600_302600_NS5tupleIblNS6_9null_typeES8_S8_S8_S8_S8_S8_S8_EEEEZNS1_11reduce_implILb1ES3_NS6_12zip_iteratorINS7_INS6_11hip_rocprim26transform_input_iterator_tIbNSD_35transform_pair_of_input_iterators_tIbNS6_6detail15normal_iteratorINS6_10device_ptrIKiEEEESL_NS6_8equal_toIiEEEENSG_9not_fun_tINSD_8identityEEEEENSD_19counting_iterator_tIlEES8_S8_S8_S8_S8_S8_S8_S8_EEEEPS9_S9_NSD_9__find_if7functorIS9_EEEE10hipError_tPvRmT1_T2_T3_mT4_P12ihipStream_tbEUlT_E0_NS1_11comp_targetILNS1_3genE4ELNS1_11target_archE910ELNS1_3gpuE8ELNS1_3repE0EEENS1_30default_config_static_selectorELNS0_4arch9wavefront6targetE0EEEvS14_,comdat
.Lfunc_end470:
	.size	_ZN7rocprim17ROCPRIM_400000_NS6detail17trampoline_kernelINS0_14default_configENS1_22reduce_config_selectorIN6thrust23THRUST_200600_302600_NS5tupleIblNS6_9null_typeES8_S8_S8_S8_S8_S8_S8_EEEEZNS1_11reduce_implILb1ES3_NS6_12zip_iteratorINS7_INS6_11hip_rocprim26transform_input_iterator_tIbNSD_35transform_pair_of_input_iterators_tIbNS6_6detail15normal_iteratorINS6_10device_ptrIKiEEEESL_NS6_8equal_toIiEEEENSG_9not_fun_tINSD_8identityEEEEENSD_19counting_iterator_tIlEES8_S8_S8_S8_S8_S8_S8_S8_EEEEPS9_S9_NSD_9__find_if7functorIS9_EEEE10hipError_tPvRmT1_T2_T3_mT4_P12ihipStream_tbEUlT_E0_NS1_11comp_targetILNS1_3genE4ELNS1_11target_archE910ELNS1_3gpuE8ELNS1_3repE0EEENS1_30default_config_static_selectorELNS0_4arch9wavefront6targetE0EEEvS14_, .Lfunc_end470-_ZN7rocprim17ROCPRIM_400000_NS6detail17trampoline_kernelINS0_14default_configENS1_22reduce_config_selectorIN6thrust23THRUST_200600_302600_NS5tupleIblNS6_9null_typeES8_S8_S8_S8_S8_S8_S8_EEEEZNS1_11reduce_implILb1ES3_NS6_12zip_iteratorINS7_INS6_11hip_rocprim26transform_input_iterator_tIbNSD_35transform_pair_of_input_iterators_tIbNS6_6detail15normal_iteratorINS6_10device_ptrIKiEEEESL_NS6_8equal_toIiEEEENSG_9not_fun_tINSD_8identityEEEEENSD_19counting_iterator_tIlEES8_S8_S8_S8_S8_S8_S8_S8_EEEEPS9_S9_NSD_9__find_if7functorIS9_EEEE10hipError_tPvRmT1_T2_T3_mT4_P12ihipStream_tbEUlT_E0_NS1_11comp_targetILNS1_3genE4ELNS1_11target_archE910ELNS1_3gpuE8ELNS1_3repE0EEENS1_30default_config_static_selectorELNS0_4arch9wavefront6targetE0EEEvS14_
                                        ; -- End function
	.set _ZN7rocprim17ROCPRIM_400000_NS6detail17trampoline_kernelINS0_14default_configENS1_22reduce_config_selectorIN6thrust23THRUST_200600_302600_NS5tupleIblNS6_9null_typeES8_S8_S8_S8_S8_S8_S8_EEEEZNS1_11reduce_implILb1ES3_NS6_12zip_iteratorINS7_INS6_11hip_rocprim26transform_input_iterator_tIbNSD_35transform_pair_of_input_iterators_tIbNS6_6detail15normal_iteratorINS6_10device_ptrIKiEEEESL_NS6_8equal_toIiEEEENSG_9not_fun_tINSD_8identityEEEEENSD_19counting_iterator_tIlEES8_S8_S8_S8_S8_S8_S8_S8_EEEEPS9_S9_NSD_9__find_if7functorIS9_EEEE10hipError_tPvRmT1_T2_T3_mT4_P12ihipStream_tbEUlT_E0_NS1_11comp_targetILNS1_3genE4ELNS1_11target_archE910ELNS1_3gpuE8ELNS1_3repE0EEENS1_30default_config_static_selectorELNS0_4arch9wavefront6targetE0EEEvS14_.num_vgpr, 0
	.set _ZN7rocprim17ROCPRIM_400000_NS6detail17trampoline_kernelINS0_14default_configENS1_22reduce_config_selectorIN6thrust23THRUST_200600_302600_NS5tupleIblNS6_9null_typeES8_S8_S8_S8_S8_S8_S8_EEEEZNS1_11reduce_implILb1ES3_NS6_12zip_iteratorINS7_INS6_11hip_rocprim26transform_input_iterator_tIbNSD_35transform_pair_of_input_iterators_tIbNS6_6detail15normal_iteratorINS6_10device_ptrIKiEEEESL_NS6_8equal_toIiEEEENSG_9not_fun_tINSD_8identityEEEEENSD_19counting_iterator_tIlEES8_S8_S8_S8_S8_S8_S8_S8_EEEEPS9_S9_NSD_9__find_if7functorIS9_EEEE10hipError_tPvRmT1_T2_T3_mT4_P12ihipStream_tbEUlT_E0_NS1_11comp_targetILNS1_3genE4ELNS1_11target_archE910ELNS1_3gpuE8ELNS1_3repE0EEENS1_30default_config_static_selectorELNS0_4arch9wavefront6targetE0EEEvS14_.num_agpr, 0
	.set _ZN7rocprim17ROCPRIM_400000_NS6detail17trampoline_kernelINS0_14default_configENS1_22reduce_config_selectorIN6thrust23THRUST_200600_302600_NS5tupleIblNS6_9null_typeES8_S8_S8_S8_S8_S8_S8_EEEEZNS1_11reduce_implILb1ES3_NS6_12zip_iteratorINS7_INS6_11hip_rocprim26transform_input_iterator_tIbNSD_35transform_pair_of_input_iterators_tIbNS6_6detail15normal_iteratorINS6_10device_ptrIKiEEEESL_NS6_8equal_toIiEEEENSG_9not_fun_tINSD_8identityEEEEENSD_19counting_iterator_tIlEES8_S8_S8_S8_S8_S8_S8_S8_EEEEPS9_S9_NSD_9__find_if7functorIS9_EEEE10hipError_tPvRmT1_T2_T3_mT4_P12ihipStream_tbEUlT_E0_NS1_11comp_targetILNS1_3genE4ELNS1_11target_archE910ELNS1_3gpuE8ELNS1_3repE0EEENS1_30default_config_static_selectorELNS0_4arch9wavefront6targetE0EEEvS14_.numbered_sgpr, 0
	.set _ZN7rocprim17ROCPRIM_400000_NS6detail17trampoline_kernelINS0_14default_configENS1_22reduce_config_selectorIN6thrust23THRUST_200600_302600_NS5tupleIblNS6_9null_typeES8_S8_S8_S8_S8_S8_S8_EEEEZNS1_11reduce_implILb1ES3_NS6_12zip_iteratorINS7_INS6_11hip_rocprim26transform_input_iterator_tIbNSD_35transform_pair_of_input_iterators_tIbNS6_6detail15normal_iteratorINS6_10device_ptrIKiEEEESL_NS6_8equal_toIiEEEENSG_9not_fun_tINSD_8identityEEEEENSD_19counting_iterator_tIlEES8_S8_S8_S8_S8_S8_S8_S8_EEEEPS9_S9_NSD_9__find_if7functorIS9_EEEE10hipError_tPvRmT1_T2_T3_mT4_P12ihipStream_tbEUlT_E0_NS1_11comp_targetILNS1_3genE4ELNS1_11target_archE910ELNS1_3gpuE8ELNS1_3repE0EEENS1_30default_config_static_selectorELNS0_4arch9wavefront6targetE0EEEvS14_.num_named_barrier, 0
	.set _ZN7rocprim17ROCPRIM_400000_NS6detail17trampoline_kernelINS0_14default_configENS1_22reduce_config_selectorIN6thrust23THRUST_200600_302600_NS5tupleIblNS6_9null_typeES8_S8_S8_S8_S8_S8_S8_EEEEZNS1_11reduce_implILb1ES3_NS6_12zip_iteratorINS7_INS6_11hip_rocprim26transform_input_iterator_tIbNSD_35transform_pair_of_input_iterators_tIbNS6_6detail15normal_iteratorINS6_10device_ptrIKiEEEESL_NS6_8equal_toIiEEEENSG_9not_fun_tINSD_8identityEEEEENSD_19counting_iterator_tIlEES8_S8_S8_S8_S8_S8_S8_S8_EEEEPS9_S9_NSD_9__find_if7functorIS9_EEEE10hipError_tPvRmT1_T2_T3_mT4_P12ihipStream_tbEUlT_E0_NS1_11comp_targetILNS1_3genE4ELNS1_11target_archE910ELNS1_3gpuE8ELNS1_3repE0EEENS1_30default_config_static_selectorELNS0_4arch9wavefront6targetE0EEEvS14_.private_seg_size, 0
	.set _ZN7rocprim17ROCPRIM_400000_NS6detail17trampoline_kernelINS0_14default_configENS1_22reduce_config_selectorIN6thrust23THRUST_200600_302600_NS5tupleIblNS6_9null_typeES8_S8_S8_S8_S8_S8_S8_EEEEZNS1_11reduce_implILb1ES3_NS6_12zip_iteratorINS7_INS6_11hip_rocprim26transform_input_iterator_tIbNSD_35transform_pair_of_input_iterators_tIbNS6_6detail15normal_iteratorINS6_10device_ptrIKiEEEESL_NS6_8equal_toIiEEEENSG_9not_fun_tINSD_8identityEEEEENSD_19counting_iterator_tIlEES8_S8_S8_S8_S8_S8_S8_S8_EEEEPS9_S9_NSD_9__find_if7functorIS9_EEEE10hipError_tPvRmT1_T2_T3_mT4_P12ihipStream_tbEUlT_E0_NS1_11comp_targetILNS1_3genE4ELNS1_11target_archE910ELNS1_3gpuE8ELNS1_3repE0EEENS1_30default_config_static_selectorELNS0_4arch9wavefront6targetE0EEEvS14_.uses_vcc, 0
	.set _ZN7rocprim17ROCPRIM_400000_NS6detail17trampoline_kernelINS0_14default_configENS1_22reduce_config_selectorIN6thrust23THRUST_200600_302600_NS5tupleIblNS6_9null_typeES8_S8_S8_S8_S8_S8_S8_EEEEZNS1_11reduce_implILb1ES3_NS6_12zip_iteratorINS7_INS6_11hip_rocprim26transform_input_iterator_tIbNSD_35transform_pair_of_input_iterators_tIbNS6_6detail15normal_iteratorINS6_10device_ptrIKiEEEESL_NS6_8equal_toIiEEEENSG_9not_fun_tINSD_8identityEEEEENSD_19counting_iterator_tIlEES8_S8_S8_S8_S8_S8_S8_S8_EEEEPS9_S9_NSD_9__find_if7functorIS9_EEEE10hipError_tPvRmT1_T2_T3_mT4_P12ihipStream_tbEUlT_E0_NS1_11comp_targetILNS1_3genE4ELNS1_11target_archE910ELNS1_3gpuE8ELNS1_3repE0EEENS1_30default_config_static_selectorELNS0_4arch9wavefront6targetE0EEEvS14_.uses_flat_scratch, 0
	.set _ZN7rocprim17ROCPRIM_400000_NS6detail17trampoline_kernelINS0_14default_configENS1_22reduce_config_selectorIN6thrust23THRUST_200600_302600_NS5tupleIblNS6_9null_typeES8_S8_S8_S8_S8_S8_S8_EEEEZNS1_11reduce_implILb1ES3_NS6_12zip_iteratorINS7_INS6_11hip_rocprim26transform_input_iterator_tIbNSD_35transform_pair_of_input_iterators_tIbNS6_6detail15normal_iteratorINS6_10device_ptrIKiEEEESL_NS6_8equal_toIiEEEENSG_9not_fun_tINSD_8identityEEEEENSD_19counting_iterator_tIlEES8_S8_S8_S8_S8_S8_S8_S8_EEEEPS9_S9_NSD_9__find_if7functorIS9_EEEE10hipError_tPvRmT1_T2_T3_mT4_P12ihipStream_tbEUlT_E0_NS1_11comp_targetILNS1_3genE4ELNS1_11target_archE910ELNS1_3gpuE8ELNS1_3repE0EEENS1_30default_config_static_selectorELNS0_4arch9wavefront6targetE0EEEvS14_.has_dyn_sized_stack, 0
	.set _ZN7rocprim17ROCPRIM_400000_NS6detail17trampoline_kernelINS0_14default_configENS1_22reduce_config_selectorIN6thrust23THRUST_200600_302600_NS5tupleIblNS6_9null_typeES8_S8_S8_S8_S8_S8_S8_EEEEZNS1_11reduce_implILb1ES3_NS6_12zip_iteratorINS7_INS6_11hip_rocprim26transform_input_iterator_tIbNSD_35transform_pair_of_input_iterators_tIbNS6_6detail15normal_iteratorINS6_10device_ptrIKiEEEESL_NS6_8equal_toIiEEEENSG_9not_fun_tINSD_8identityEEEEENSD_19counting_iterator_tIlEES8_S8_S8_S8_S8_S8_S8_S8_EEEEPS9_S9_NSD_9__find_if7functorIS9_EEEE10hipError_tPvRmT1_T2_T3_mT4_P12ihipStream_tbEUlT_E0_NS1_11comp_targetILNS1_3genE4ELNS1_11target_archE910ELNS1_3gpuE8ELNS1_3repE0EEENS1_30default_config_static_selectorELNS0_4arch9wavefront6targetE0EEEvS14_.has_recursion, 0
	.set _ZN7rocprim17ROCPRIM_400000_NS6detail17trampoline_kernelINS0_14default_configENS1_22reduce_config_selectorIN6thrust23THRUST_200600_302600_NS5tupleIblNS6_9null_typeES8_S8_S8_S8_S8_S8_S8_EEEEZNS1_11reduce_implILb1ES3_NS6_12zip_iteratorINS7_INS6_11hip_rocprim26transform_input_iterator_tIbNSD_35transform_pair_of_input_iterators_tIbNS6_6detail15normal_iteratorINS6_10device_ptrIKiEEEESL_NS6_8equal_toIiEEEENSG_9not_fun_tINSD_8identityEEEEENSD_19counting_iterator_tIlEES8_S8_S8_S8_S8_S8_S8_S8_EEEEPS9_S9_NSD_9__find_if7functorIS9_EEEE10hipError_tPvRmT1_T2_T3_mT4_P12ihipStream_tbEUlT_E0_NS1_11comp_targetILNS1_3genE4ELNS1_11target_archE910ELNS1_3gpuE8ELNS1_3repE0EEENS1_30default_config_static_selectorELNS0_4arch9wavefront6targetE0EEEvS14_.has_indirect_call, 0
	.section	.AMDGPU.csdata,"",@progbits
; Kernel info:
; codeLenInByte = 0
; TotalNumSgprs: 0
; NumVgprs: 0
; ScratchSize: 0
; MemoryBound: 0
; FloatMode: 240
; IeeeMode: 1
; LDSByteSize: 0 bytes/workgroup (compile time only)
; SGPRBlocks: 0
; VGPRBlocks: 0
; NumSGPRsForWavesPerEU: 1
; NumVGPRsForWavesPerEU: 1
; Occupancy: 16
; WaveLimiterHint : 0
; COMPUTE_PGM_RSRC2:SCRATCH_EN: 0
; COMPUTE_PGM_RSRC2:USER_SGPR: 6
; COMPUTE_PGM_RSRC2:TRAP_HANDLER: 0
; COMPUTE_PGM_RSRC2:TGID_X_EN: 1
; COMPUTE_PGM_RSRC2:TGID_Y_EN: 0
; COMPUTE_PGM_RSRC2:TGID_Z_EN: 0
; COMPUTE_PGM_RSRC2:TIDIG_COMP_CNT: 0
	.section	.text._ZN7rocprim17ROCPRIM_400000_NS6detail17trampoline_kernelINS0_14default_configENS1_22reduce_config_selectorIN6thrust23THRUST_200600_302600_NS5tupleIblNS6_9null_typeES8_S8_S8_S8_S8_S8_S8_EEEEZNS1_11reduce_implILb1ES3_NS6_12zip_iteratorINS7_INS6_11hip_rocprim26transform_input_iterator_tIbNSD_35transform_pair_of_input_iterators_tIbNS6_6detail15normal_iteratorINS6_10device_ptrIKiEEEESL_NS6_8equal_toIiEEEENSG_9not_fun_tINSD_8identityEEEEENSD_19counting_iterator_tIlEES8_S8_S8_S8_S8_S8_S8_S8_EEEEPS9_S9_NSD_9__find_if7functorIS9_EEEE10hipError_tPvRmT1_T2_T3_mT4_P12ihipStream_tbEUlT_E0_NS1_11comp_targetILNS1_3genE3ELNS1_11target_archE908ELNS1_3gpuE7ELNS1_3repE0EEENS1_30default_config_static_selectorELNS0_4arch9wavefront6targetE0EEEvS14_,"axG",@progbits,_ZN7rocprim17ROCPRIM_400000_NS6detail17trampoline_kernelINS0_14default_configENS1_22reduce_config_selectorIN6thrust23THRUST_200600_302600_NS5tupleIblNS6_9null_typeES8_S8_S8_S8_S8_S8_S8_EEEEZNS1_11reduce_implILb1ES3_NS6_12zip_iteratorINS7_INS6_11hip_rocprim26transform_input_iterator_tIbNSD_35transform_pair_of_input_iterators_tIbNS6_6detail15normal_iteratorINS6_10device_ptrIKiEEEESL_NS6_8equal_toIiEEEENSG_9not_fun_tINSD_8identityEEEEENSD_19counting_iterator_tIlEES8_S8_S8_S8_S8_S8_S8_S8_EEEEPS9_S9_NSD_9__find_if7functorIS9_EEEE10hipError_tPvRmT1_T2_T3_mT4_P12ihipStream_tbEUlT_E0_NS1_11comp_targetILNS1_3genE3ELNS1_11target_archE908ELNS1_3gpuE7ELNS1_3repE0EEENS1_30default_config_static_selectorELNS0_4arch9wavefront6targetE0EEEvS14_,comdat
	.protected	_ZN7rocprim17ROCPRIM_400000_NS6detail17trampoline_kernelINS0_14default_configENS1_22reduce_config_selectorIN6thrust23THRUST_200600_302600_NS5tupleIblNS6_9null_typeES8_S8_S8_S8_S8_S8_S8_EEEEZNS1_11reduce_implILb1ES3_NS6_12zip_iteratorINS7_INS6_11hip_rocprim26transform_input_iterator_tIbNSD_35transform_pair_of_input_iterators_tIbNS6_6detail15normal_iteratorINS6_10device_ptrIKiEEEESL_NS6_8equal_toIiEEEENSG_9not_fun_tINSD_8identityEEEEENSD_19counting_iterator_tIlEES8_S8_S8_S8_S8_S8_S8_S8_EEEEPS9_S9_NSD_9__find_if7functorIS9_EEEE10hipError_tPvRmT1_T2_T3_mT4_P12ihipStream_tbEUlT_E0_NS1_11comp_targetILNS1_3genE3ELNS1_11target_archE908ELNS1_3gpuE7ELNS1_3repE0EEENS1_30default_config_static_selectorELNS0_4arch9wavefront6targetE0EEEvS14_ ; -- Begin function _ZN7rocprim17ROCPRIM_400000_NS6detail17trampoline_kernelINS0_14default_configENS1_22reduce_config_selectorIN6thrust23THRUST_200600_302600_NS5tupleIblNS6_9null_typeES8_S8_S8_S8_S8_S8_S8_EEEEZNS1_11reduce_implILb1ES3_NS6_12zip_iteratorINS7_INS6_11hip_rocprim26transform_input_iterator_tIbNSD_35transform_pair_of_input_iterators_tIbNS6_6detail15normal_iteratorINS6_10device_ptrIKiEEEESL_NS6_8equal_toIiEEEENSG_9not_fun_tINSD_8identityEEEEENSD_19counting_iterator_tIlEES8_S8_S8_S8_S8_S8_S8_S8_EEEEPS9_S9_NSD_9__find_if7functorIS9_EEEE10hipError_tPvRmT1_T2_T3_mT4_P12ihipStream_tbEUlT_E0_NS1_11comp_targetILNS1_3genE3ELNS1_11target_archE908ELNS1_3gpuE7ELNS1_3repE0EEENS1_30default_config_static_selectorELNS0_4arch9wavefront6targetE0EEEvS14_
	.globl	_ZN7rocprim17ROCPRIM_400000_NS6detail17trampoline_kernelINS0_14default_configENS1_22reduce_config_selectorIN6thrust23THRUST_200600_302600_NS5tupleIblNS6_9null_typeES8_S8_S8_S8_S8_S8_S8_EEEEZNS1_11reduce_implILb1ES3_NS6_12zip_iteratorINS7_INS6_11hip_rocprim26transform_input_iterator_tIbNSD_35transform_pair_of_input_iterators_tIbNS6_6detail15normal_iteratorINS6_10device_ptrIKiEEEESL_NS6_8equal_toIiEEEENSG_9not_fun_tINSD_8identityEEEEENSD_19counting_iterator_tIlEES8_S8_S8_S8_S8_S8_S8_S8_EEEEPS9_S9_NSD_9__find_if7functorIS9_EEEE10hipError_tPvRmT1_T2_T3_mT4_P12ihipStream_tbEUlT_E0_NS1_11comp_targetILNS1_3genE3ELNS1_11target_archE908ELNS1_3gpuE7ELNS1_3repE0EEENS1_30default_config_static_selectorELNS0_4arch9wavefront6targetE0EEEvS14_
	.p2align	8
	.type	_ZN7rocprim17ROCPRIM_400000_NS6detail17trampoline_kernelINS0_14default_configENS1_22reduce_config_selectorIN6thrust23THRUST_200600_302600_NS5tupleIblNS6_9null_typeES8_S8_S8_S8_S8_S8_S8_EEEEZNS1_11reduce_implILb1ES3_NS6_12zip_iteratorINS7_INS6_11hip_rocprim26transform_input_iterator_tIbNSD_35transform_pair_of_input_iterators_tIbNS6_6detail15normal_iteratorINS6_10device_ptrIKiEEEESL_NS6_8equal_toIiEEEENSG_9not_fun_tINSD_8identityEEEEENSD_19counting_iterator_tIlEES8_S8_S8_S8_S8_S8_S8_S8_EEEEPS9_S9_NSD_9__find_if7functorIS9_EEEE10hipError_tPvRmT1_T2_T3_mT4_P12ihipStream_tbEUlT_E0_NS1_11comp_targetILNS1_3genE3ELNS1_11target_archE908ELNS1_3gpuE7ELNS1_3repE0EEENS1_30default_config_static_selectorELNS0_4arch9wavefront6targetE0EEEvS14_,@function
_ZN7rocprim17ROCPRIM_400000_NS6detail17trampoline_kernelINS0_14default_configENS1_22reduce_config_selectorIN6thrust23THRUST_200600_302600_NS5tupleIblNS6_9null_typeES8_S8_S8_S8_S8_S8_S8_EEEEZNS1_11reduce_implILb1ES3_NS6_12zip_iteratorINS7_INS6_11hip_rocprim26transform_input_iterator_tIbNSD_35transform_pair_of_input_iterators_tIbNS6_6detail15normal_iteratorINS6_10device_ptrIKiEEEESL_NS6_8equal_toIiEEEENSG_9not_fun_tINSD_8identityEEEEENSD_19counting_iterator_tIlEES8_S8_S8_S8_S8_S8_S8_S8_EEEEPS9_S9_NSD_9__find_if7functorIS9_EEEE10hipError_tPvRmT1_T2_T3_mT4_P12ihipStream_tbEUlT_E0_NS1_11comp_targetILNS1_3genE3ELNS1_11target_archE908ELNS1_3gpuE7ELNS1_3repE0EEENS1_30default_config_static_selectorELNS0_4arch9wavefront6targetE0EEEvS14_: ; @_ZN7rocprim17ROCPRIM_400000_NS6detail17trampoline_kernelINS0_14default_configENS1_22reduce_config_selectorIN6thrust23THRUST_200600_302600_NS5tupleIblNS6_9null_typeES8_S8_S8_S8_S8_S8_S8_EEEEZNS1_11reduce_implILb1ES3_NS6_12zip_iteratorINS7_INS6_11hip_rocprim26transform_input_iterator_tIbNSD_35transform_pair_of_input_iterators_tIbNS6_6detail15normal_iteratorINS6_10device_ptrIKiEEEESL_NS6_8equal_toIiEEEENSG_9not_fun_tINSD_8identityEEEEENSD_19counting_iterator_tIlEES8_S8_S8_S8_S8_S8_S8_S8_EEEEPS9_S9_NSD_9__find_if7functorIS9_EEEE10hipError_tPvRmT1_T2_T3_mT4_P12ihipStream_tbEUlT_E0_NS1_11comp_targetILNS1_3genE3ELNS1_11target_archE908ELNS1_3gpuE7ELNS1_3repE0EEENS1_30default_config_static_selectorELNS0_4arch9wavefront6targetE0EEEvS14_
; %bb.0:
	.section	.rodata,"a",@progbits
	.p2align	6, 0x0
	.amdhsa_kernel _ZN7rocprim17ROCPRIM_400000_NS6detail17trampoline_kernelINS0_14default_configENS1_22reduce_config_selectorIN6thrust23THRUST_200600_302600_NS5tupleIblNS6_9null_typeES8_S8_S8_S8_S8_S8_S8_EEEEZNS1_11reduce_implILb1ES3_NS6_12zip_iteratorINS7_INS6_11hip_rocprim26transform_input_iterator_tIbNSD_35transform_pair_of_input_iterators_tIbNS6_6detail15normal_iteratorINS6_10device_ptrIKiEEEESL_NS6_8equal_toIiEEEENSG_9not_fun_tINSD_8identityEEEEENSD_19counting_iterator_tIlEES8_S8_S8_S8_S8_S8_S8_S8_EEEEPS9_S9_NSD_9__find_if7functorIS9_EEEE10hipError_tPvRmT1_T2_T3_mT4_P12ihipStream_tbEUlT_E0_NS1_11comp_targetILNS1_3genE3ELNS1_11target_archE908ELNS1_3gpuE7ELNS1_3repE0EEENS1_30default_config_static_selectorELNS0_4arch9wavefront6targetE0EEEvS14_
		.amdhsa_group_segment_fixed_size 0
		.amdhsa_private_segment_fixed_size 0
		.amdhsa_kernarg_size 104
		.amdhsa_user_sgpr_count 6
		.amdhsa_user_sgpr_private_segment_buffer 1
		.amdhsa_user_sgpr_dispatch_ptr 0
		.amdhsa_user_sgpr_queue_ptr 0
		.amdhsa_user_sgpr_kernarg_segment_ptr 1
		.amdhsa_user_sgpr_dispatch_id 0
		.amdhsa_user_sgpr_flat_scratch_init 0
		.amdhsa_user_sgpr_private_segment_size 0
		.amdhsa_wavefront_size32 1
		.amdhsa_uses_dynamic_stack 0
		.amdhsa_system_sgpr_private_segment_wavefront_offset 0
		.amdhsa_system_sgpr_workgroup_id_x 1
		.amdhsa_system_sgpr_workgroup_id_y 0
		.amdhsa_system_sgpr_workgroup_id_z 0
		.amdhsa_system_sgpr_workgroup_info 0
		.amdhsa_system_vgpr_workitem_id 0
		.amdhsa_next_free_vgpr 1
		.amdhsa_next_free_sgpr 1
		.amdhsa_reserve_vcc 0
		.amdhsa_reserve_flat_scratch 0
		.amdhsa_float_round_mode_32 0
		.amdhsa_float_round_mode_16_64 0
		.amdhsa_float_denorm_mode_32 3
		.amdhsa_float_denorm_mode_16_64 3
		.amdhsa_dx10_clamp 1
		.amdhsa_ieee_mode 1
		.amdhsa_fp16_overflow 0
		.amdhsa_workgroup_processor_mode 1
		.amdhsa_memory_ordered 1
		.amdhsa_forward_progress 1
		.amdhsa_shared_vgpr_count 0
		.amdhsa_exception_fp_ieee_invalid_op 0
		.amdhsa_exception_fp_denorm_src 0
		.amdhsa_exception_fp_ieee_div_zero 0
		.amdhsa_exception_fp_ieee_overflow 0
		.amdhsa_exception_fp_ieee_underflow 0
		.amdhsa_exception_fp_ieee_inexact 0
		.amdhsa_exception_int_div_zero 0
	.end_amdhsa_kernel
	.section	.text._ZN7rocprim17ROCPRIM_400000_NS6detail17trampoline_kernelINS0_14default_configENS1_22reduce_config_selectorIN6thrust23THRUST_200600_302600_NS5tupleIblNS6_9null_typeES8_S8_S8_S8_S8_S8_S8_EEEEZNS1_11reduce_implILb1ES3_NS6_12zip_iteratorINS7_INS6_11hip_rocprim26transform_input_iterator_tIbNSD_35transform_pair_of_input_iterators_tIbNS6_6detail15normal_iteratorINS6_10device_ptrIKiEEEESL_NS6_8equal_toIiEEEENSG_9not_fun_tINSD_8identityEEEEENSD_19counting_iterator_tIlEES8_S8_S8_S8_S8_S8_S8_S8_EEEEPS9_S9_NSD_9__find_if7functorIS9_EEEE10hipError_tPvRmT1_T2_T3_mT4_P12ihipStream_tbEUlT_E0_NS1_11comp_targetILNS1_3genE3ELNS1_11target_archE908ELNS1_3gpuE7ELNS1_3repE0EEENS1_30default_config_static_selectorELNS0_4arch9wavefront6targetE0EEEvS14_,"axG",@progbits,_ZN7rocprim17ROCPRIM_400000_NS6detail17trampoline_kernelINS0_14default_configENS1_22reduce_config_selectorIN6thrust23THRUST_200600_302600_NS5tupleIblNS6_9null_typeES8_S8_S8_S8_S8_S8_S8_EEEEZNS1_11reduce_implILb1ES3_NS6_12zip_iteratorINS7_INS6_11hip_rocprim26transform_input_iterator_tIbNSD_35transform_pair_of_input_iterators_tIbNS6_6detail15normal_iteratorINS6_10device_ptrIKiEEEESL_NS6_8equal_toIiEEEENSG_9not_fun_tINSD_8identityEEEEENSD_19counting_iterator_tIlEES8_S8_S8_S8_S8_S8_S8_S8_EEEEPS9_S9_NSD_9__find_if7functorIS9_EEEE10hipError_tPvRmT1_T2_T3_mT4_P12ihipStream_tbEUlT_E0_NS1_11comp_targetILNS1_3genE3ELNS1_11target_archE908ELNS1_3gpuE7ELNS1_3repE0EEENS1_30default_config_static_selectorELNS0_4arch9wavefront6targetE0EEEvS14_,comdat
.Lfunc_end471:
	.size	_ZN7rocprim17ROCPRIM_400000_NS6detail17trampoline_kernelINS0_14default_configENS1_22reduce_config_selectorIN6thrust23THRUST_200600_302600_NS5tupleIblNS6_9null_typeES8_S8_S8_S8_S8_S8_S8_EEEEZNS1_11reduce_implILb1ES3_NS6_12zip_iteratorINS7_INS6_11hip_rocprim26transform_input_iterator_tIbNSD_35transform_pair_of_input_iterators_tIbNS6_6detail15normal_iteratorINS6_10device_ptrIKiEEEESL_NS6_8equal_toIiEEEENSG_9not_fun_tINSD_8identityEEEEENSD_19counting_iterator_tIlEES8_S8_S8_S8_S8_S8_S8_S8_EEEEPS9_S9_NSD_9__find_if7functorIS9_EEEE10hipError_tPvRmT1_T2_T3_mT4_P12ihipStream_tbEUlT_E0_NS1_11comp_targetILNS1_3genE3ELNS1_11target_archE908ELNS1_3gpuE7ELNS1_3repE0EEENS1_30default_config_static_selectorELNS0_4arch9wavefront6targetE0EEEvS14_, .Lfunc_end471-_ZN7rocprim17ROCPRIM_400000_NS6detail17trampoline_kernelINS0_14default_configENS1_22reduce_config_selectorIN6thrust23THRUST_200600_302600_NS5tupleIblNS6_9null_typeES8_S8_S8_S8_S8_S8_S8_EEEEZNS1_11reduce_implILb1ES3_NS6_12zip_iteratorINS7_INS6_11hip_rocprim26transform_input_iterator_tIbNSD_35transform_pair_of_input_iterators_tIbNS6_6detail15normal_iteratorINS6_10device_ptrIKiEEEESL_NS6_8equal_toIiEEEENSG_9not_fun_tINSD_8identityEEEEENSD_19counting_iterator_tIlEES8_S8_S8_S8_S8_S8_S8_S8_EEEEPS9_S9_NSD_9__find_if7functorIS9_EEEE10hipError_tPvRmT1_T2_T3_mT4_P12ihipStream_tbEUlT_E0_NS1_11comp_targetILNS1_3genE3ELNS1_11target_archE908ELNS1_3gpuE7ELNS1_3repE0EEENS1_30default_config_static_selectorELNS0_4arch9wavefront6targetE0EEEvS14_
                                        ; -- End function
	.set _ZN7rocprim17ROCPRIM_400000_NS6detail17trampoline_kernelINS0_14default_configENS1_22reduce_config_selectorIN6thrust23THRUST_200600_302600_NS5tupleIblNS6_9null_typeES8_S8_S8_S8_S8_S8_S8_EEEEZNS1_11reduce_implILb1ES3_NS6_12zip_iteratorINS7_INS6_11hip_rocprim26transform_input_iterator_tIbNSD_35transform_pair_of_input_iterators_tIbNS6_6detail15normal_iteratorINS6_10device_ptrIKiEEEESL_NS6_8equal_toIiEEEENSG_9not_fun_tINSD_8identityEEEEENSD_19counting_iterator_tIlEES8_S8_S8_S8_S8_S8_S8_S8_EEEEPS9_S9_NSD_9__find_if7functorIS9_EEEE10hipError_tPvRmT1_T2_T3_mT4_P12ihipStream_tbEUlT_E0_NS1_11comp_targetILNS1_3genE3ELNS1_11target_archE908ELNS1_3gpuE7ELNS1_3repE0EEENS1_30default_config_static_selectorELNS0_4arch9wavefront6targetE0EEEvS14_.num_vgpr, 0
	.set _ZN7rocprim17ROCPRIM_400000_NS6detail17trampoline_kernelINS0_14default_configENS1_22reduce_config_selectorIN6thrust23THRUST_200600_302600_NS5tupleIblNS6_9null_typeES8_S8_S8_S8_S8_S8_S8_EEEEZNS1_11reduce_implILb1ES3_NS6_12zip_iteratorINS7_INS6_11hip_rocprim26transform_input_iterator_tIbNSD_35transform_pair_of_input_iterators_tIbNS6_6detail15normal_iteratorINS6_10device_ptrIKiEEEESL_NS6_8equal_toIiEEEENSG_9not_fun_tINSD_8identityEEEEENSD_19counting_iterator_tIlEES8_S8_S8_S8_S8_S8_S8_S8_EEEEPS9_S9_NSD_9__find_if7functorIS9_EEEE10hipError_tPvRmT1_T2_T3_mT4_P12ihipStream_tbEUlT_E0_NS1_11comp_targetILNS1_3genE3ELNS1_11target_archE908ELNS1_3gpuE7ELNS1_3repE0EEENS1_30default_config_static_selectorELNS0_4arch9wavefront6targetE0EEEvS14_.num_agpr, 0
	.set _ZN7rocprim17ROCPRIM_400000_NS6detail17trampoline_kernelINS0_14default_configENS1_22reduce_config_selectorIN6thrust23THRUST_200600_302600_NS5tupleIblNS6_9null_typeES8_S8_S8_S8_S8_S8_S8_EEEEZNS1_11reduce_implILb1ES3_NS6_12zip_iteratorINS7_INS6_11hip_rocprim26transform_input_iterator_tIbNSD_35transform_pair_of_input_iterators_tIbNS6_6detail15normal_iteratorINS6_10device_ptrIKiEEEESL_NS6_8equal_toIiEEEENSG_9not_fun_tINSD_8identityEEEEENSD_19counting_iterator_tIlEES8_S8_S8_S8_S8_S8_S8_S8_EEEEPS9_S9_NSD_9__find_if7functorIS9_EEEE10hipError_tPvRmT1_T2_T3_mT4_P12ihipStream_tbEUlT_E0_NS1_11comp_targetILNS1_3genE3ELNS1_11target_archE908ELNS1_3gpuE7ELNS1_3repE0EEENS1_30default_config_static_selectorELNS0_4arch9wavefront6targetE0EEEvS14_.numbered_sgpr, 0
	.set _ZN7rocprim17ROCPRIM_400000_NS6detail17trampoline_kernelINS0_14default_configENS1_22reduce_config_selectorIN6thrust23THRUST_200600_302600_NS5tupleIblNS6_9null_typeES8_S8_S8_S8_S8_S8_S8_EEEEZNS1_11reduce_implILb1ES3_NS6_12zip_iteratorINS7_INS6_11hip_rocprim26transform_input_iterator_tIbNSD_35transform_pair_of_input_iterators_tIbNS6_6detail15normal_iteratorINS6_10device_ptrIKiEEEESL_NS6_8equal_toIiEEEENSG_9not_fun_tINSD_8identityEEEEENSD_19counting_iterator_tIlEES8_S8_S8_S8_S8_S8_S8_S8_EEEEPS9_S9_NSD_9__find_if7functorIS9_EEEE10hipError_tPvRmT1_T2_T3_mT4_P12ihipStream_tbEUlT_E0_NS1_11comp_targetILNS1_3genE3ELNS1_11target_archE908ELNS1_3gpuE7ELNS1_3repE0EEENS1_30default_config_static_selectorELNS0_4arch9wavefront6targetE0EEEvS14_.num_named_barrier, 0
	.set _ZN7rocprim17ROCPRIM_400000_NS6detail17trampoline_kernelINS0_14default_configENS1_22reduce_config_selectorIN6thrust23THRUST_200600_302600_NS5tupleIblNS6_9null_typeES8_S8_S8_S8_S8_S8_S8_EEEEZNS1_11reduce_implILb1ES3_NS6_12zip_iteratorINS7_INS6_11hip_rocprim26transform_input_iterator_tIbNSD_35transform_pair_of_input_iterators_tIbNS6_6detail15normal_iteratorINS6_10device_ptrIKiEEEESL_NS6_8equal_toIiEEEENSG_9not_fun_tINSD_8identityEEEEENSD_19counting_iterator_tIlEES8_S8_S8_S8_S8_S8_S8_S8_EEEEPS9_S9_NSD_9__find_if7functorIS9_EEEE10hipError_tPvRmT1_T2_T3_mT4_P12ihipStream_tbEUlT_E0_NS1_11comp_targetILNS1_3genE3ELNS1_11target_archE908ELNS1_3gpuE7ELNS1_3repE0EEENS1_30default_config_static_selectorELNS0_4arch9wavefront6targetE0EEEvS14_.private_seg_size, 0
	.set _ZN7rocprim17ROCPRIM_400000_NS6detail17trampoline_kernelINS0_14default_configENS1_22reduce_config_selectorIN6thrust23THRUST_200600_302600_NS5tupleIblNS6_9null_typeES8_S8_S8_S8_S8_S8_S8_EEEEZNS1_11reduce_implILb1ES3_NS6_12zip_iteratorINS7_INS6_11hip_rocprim26transform_input_iterator_tIbNSD_35transform_pair_of_input_iterators_tIbNS6_6detail15normal_iteratorINS6_10device_ptrIKiEEEESL_NS6_8equal_toIiEEEENSG_9not_fun_tINSD_8identityEEEEENSD_19counting_iterator_tIlEES8_S8_S8_S8_S8_S8_S8_S8_EEEEPS9_S9_NSD_9__find_if7functorIS9_EEEE10hipError_tPvRmT1_T2_T3_mT4_P12ihipStream_tbEUlT_E0_NS1_11comp_targetILNS1_3genE3ELNS1_11target_archE908ELNS1_3gpuE7ELNS1_3repE0EEENS1_30default_config_static_selectorELNS0_4arch9wavefront6targetE0EEEvS14_.uses_vcc, 0
	.set _ZN7rocprim17ROCPRIM_400000_NS6detail17trampoline_kernelINS0_14default_configENS1_22reduce_config_selectorIN6thrust23THRUST_200600_302600_NS5tupleIblNS6_9null_typeES8_S8_S8_S8_S8_S8_S8_EEEEZNS1_11reduce_implILb1ES3_NS6_12zip_iteratorINS7_INS6_11hip_rocprim26transform_input_iterator_tIbNSD_35transform_pair_of_input_iterators_tIbNS6_6detail15normal_iteratorINS6_10device_ptrIKiEEEESL_NS6_8equal_toIiEEEENSG_9not_fun_tINSD_8identityEEEEENSD_19counting_iterator_tIlEES8_S8_S8_S8_S8_S8_S8_S8_EEEEPS9_S9_NSD_9__find_if7functorIS9_EEEE10hipError_tPvRmT1_T2_T3_mT4_P12ihipStream_tbEUlT_E0_NS1_11comp_targetILNS1_3genE3ELNS1_11target_archE908ELNS1_3gpuE7ELNS1_3repE0EEENS1_30default_config_static_selectorELNS0_4arch9wavefront6targetE0EEEvS14_.uses_flat_scratch, 0
	.set _ZN7rocprim17ROCPRIM_400000_NS6detail17trampoline_kernelINS0_14default_configENS1_22reduce_config_selectorIN6thrust23THRUST_200600_302600_NS5tupleIblNS6_9null_typeES8_S8_S8_S8_S8_S8_S8_EEEEZNS1_11reduce_implILb1ES3_NS6_12zip_iteratorINS7_INS6_11hip_rocprim26transform_input_iterator_tIbNSD_35transform_pair_of_input_iterators_tIbNS6_6detail15normal_iteratorINS6_10device_ptrIKiEEEESL_NS6_8equal_toIiEEEENSG_9not_fun_tINSD_8identityEEEEENSD_19counting_iterator_tIlEES8_S8_S8_S8_S8_S8_S8_S8_EEEEPS9_S9_NSD_9__find_if7functorIS9_EEEE10hipError_tPvRmT1_T2_T3_mT4_P12ihipStream_tbEUlT_E0_NS1_11comp_targetILNS1_3genE3ELNS1_11target_archE908ELNS1_3gpuE7ELNS1_3repE0EEENS1_30default_config_static_selectorELNS0_4arch9wavefront6targetE0EEEvS14_.has_dyn_sized_stack, 0
	.set _ZN7rocprim17ROCPRIM_400000_NS6detail17trampoline_kernelINS0_14default_configENS1_22reduce_config_selectorIN6thrust23THRUST_200600_302600_NS5tupleIblNS6_9null_typeES8_S8_S8_S8_S8_S8_S8_EEEEZNS1_11reduce_implILb1ES3_NS6_12zip_iteratorINS7_INS6_11hip_rocprim26transform_input_iterator_tIbNSD_35transform_pair_of_input_iterators_tIbNS6_6detail15normal_iteratorINS6_10device_ptrIKiEEEESL_NS6_8equal_toIiEEEENSG_9not_fun_tINSD_8identityEEEEENSD_19counting_iterator_tIlEES8_S8_S8_S8_S8_S8_S8_S8_EEEEPS9_S9_NSD_9__find_if7functorIS9_EEEE10hipError_tPvRmT1_T2_T3_mT4_P12ihipStream_tbEUlT_E0_NS1_11comp_targetILNS1_3genE3ELNS1_11target_archE908ELNS1_3gpuE7ELNS1_3repE0EEENS1_30default_config_static_selectorELNS0_4arch9wavefront6targetE0EEEvS14_.has_recursion, 0
	.set _ZN7rocprim17ROCPRIM_400000_NS6detail17trampoline_kernelINS0_14default_configENS1_22reduce_config_selectorIN6thrust23THRUST_200600_302600_NS5tupleIblNS6_9null_typeES8_S8_S8_S8_S8_S8_S8_EEEEZNS1_11reduce_implILb1ES3_NS6_12zip_iteratorINS7_INS6_11hip_rocprim26transform_input_iterator_tIbNSD_35transform_pair_of_input_iterators_tIbNS6_6detail15normal_iteratorINS6_10device_ptrIKiEEEESL_NS6_8equal_toIiEEEENSG_9not_fun_tINSD_8identityEEEEENSD_19counting_iterator_tIlEES8_S8_S8_S8_S8_S8_S8_S8_EEEEPS9_S9_NSD_9__find_if7functorIS9_EEEE10hipError_tPvRmT1_T2_T3_mT4_P12ihipStream_tbEUlT_E0_NS1_11comp_targetILNS1_3genE3ELNS1_11target_archE908ELNS1_3gpuE7ELNS1_3repE0EEENS1_30default_config_static_selectorELNS0_4arch9wavefront6targetE0EEEvS14_.has_indirect_call, 0
	.section	.AMDGPU.csdata,"",@progbits
; Kernel info:
; codeLenInByte = 0
; TotalNumSgprs: 0
; NumVgprs: 0
; ScratchSize: 0
; MemoryBound: 0
; FloatMode: 240
; IeeeMode: 1
; LDSByteSize: 0 bytes/workgroup (compile time only)
; SGPRBlocks: 0
; VGPRBlocks: 0
; NumSGPRsForWavesPerEU: 1
; NumVGPRsForWavesPerEU: 1
; Occupancy: 16
; WaveLimiterHint : 0
; COMPUTE_PGM_RSRC2:SCRATCH_EN: 0
; COMPUTE_PGM_RSRC2:USER_SGPR: 6
; COMPUTE_PGM_RSRC2:TRAP_HANDLER: 0
; COMPUTE_PGM_RSRC2:TGID_X_EN: 1
; COMPUTE_PGM_RSRC2:TGID_Y_EN: 0
; COMPUTE_PGM_RSRC2:TGID_Z_EN: 0
; COMPUTE_PGM_RSRC2:TIDIG_COMP_CNT: 0
	.section	.text._ZN7rocprim17ROCPRIM_400000_NS6detail17trampoline_kernelINS0_14default_configENS1_22reduce_config_selectorIN6thrust23THRUST_200600_302600_NS5tupleIblNS6_9null_typeES8_S8_S8_S8_S8_S8_S8_EEEEZNS1_11reduce_implILb1ES3_NS6_12zip_iteratorINS7_INS6_11hip_rocprim26transform_input_iterator_tIbNSD_35transform_pair_of_input_iterators_tIbNS6_6detail15normal_iteratorINS6_10device_ptrIKiEEEESL_NS6_8equal_toIiEEEENSG_9not_fun_tINSD_8identityEEEEENSD_19counting_iterator_tIlEES8_S8_S8_S8_S8_S8_S8_S8_EEEEPS9_S9_NSD_9__find_if7functorIS9_EEEE10hipError_tPvRmT1_T2_T3_mT4_P12ihipStream_tbEUlT_E0_NS1_11comp_targetILNS1_3genE2ELNS1_11target_archE906ELNS1_3gpuE6ELNS1_3repE0EEENS1_30default_config_static_selectorELNS0_4arch9wavefront6targetE0EEEvS14_,"axG",@progbits,_ZN7rocprim17ROCPRIM_400000_NS6detail17trampoline_kernelINS0_14default_configENS1_22reduce_config_selectorIN6thrust23THRUST_200600_302600_NS5tupleIblNS6_9null_typeES8_S8_S8_S8_S8_S8_S8_EEEEZNS1_11reduce_implILb1ES3_NS6_12zip_iteratorINS7_INS6_11hip_rocprim26transform_input_iterator_tIbNSD_35transform_pair_of_input_iterators_tIbNS6_6detail15normal_iteratorINS6_10device_ptrIKiEEEESL_NS6_8equal_toIiEEEENSG_9not_fun_tINSD_8identityEEEEENSD_19counting_iterator_tIlEES8_S8_S8_S8_S8_S8_S8_S8_EEEEPS9_S9_NSD_9__find_if7functorIS9_EEEE10hipError_tPvRmT1_T2_T3_mT4_P12ihipStream_tbEUlT_E0_NS1_11comp_targetILNS1_3genE2ELNS1_11target_archE906ELNS1_3gpuE6ELNS1_3repE0EEENS1_30default_config_static_selectorELNS0_4arch9wavefront6targetE0EEEvS14_,comdat
	.protected	_ZN7rocprim17ROCPRIM_400000_NS6detail17trampoline_kernelINS0_14default_configENS1_22reduce_config_selectorIN6thrust23THRUST_200600_302600_NS5tupleIblNS6_9null_typeES8_S8_S8_S8_S8_S8_S8_EEEEZNS1_11reduce_implILb1ES3_NS6_12zip_iteratorINS7_INS6_11hip_rocprim26transform_input_iterator_tIbNSD_35transform_pair_of_input_iterators_tIbNS6_6detail15normal_iteratorINS6_10device_ptrIKiEEEESL_NS6_8equal_toIiEEEENSG_9not_fun_tINSD_8identityEEEEENSD_19counting_iterator_tIlEES8_S8_S8_S8_S8_S8_S8_S8_EEEEPS9_S9_NSD_9__find_if7functorIS9_EEEE10hipError_tPvRmT1_T2_T3_mT4_P12ihipStream_tbEUlT_E0_NS1_11comp_targetILNS1_3genE2ELNS1_11target_archE906ELNS1_3gpuE6ELNS1_3repE0EEENS1_30default_config_static_selectorELNS0_4arch9wavefront6targetE0EEEvS14_ ; -- Begin function _ZN7rocprim17ROCPRIM_400000_NS6detail17trampoline_kernelINS0_14default_configENS1_22reduce_config_selectorIN6thrust23THRUST_200600_302600_NS5tupleIblNS6_9null_typeES8_S8_S8_S8_S8_S8_S8_EEEEZNS1_11reduce_implILb1ES3_NS6_12zip_iteratorINS7_INS6_11hip_rocprim26transform_input_iterator_tIbNSD_35transform_pair_of_input_iterators_tIbNS6_6detail15normal_iteratorINS6_10device_ptrIKiEEEESL_NS6_8equal_toIiEEEENSG_9not_fun_tINSD_8identityEEEEENSD_19counting_iterator_tIlEES8_S8_S8_S8_S8_S8_S8_S8_EEEEPS9_S9_NSD_9__find_if7functorIS9_EEEE10hipError_tPvRmT1_T2_T3_mT4_P12ihipStream_tbEUlT_E0_NS1_11comp_targetILNS1_3genE2ELNS1_11target_archE906ELNS1_3gpuE6ELNS1_3repE0EEENS1_30default_config_static_selectorELNS0_4arch9wavefront6targetE0EEEvS14_
	.globl	_ZN7rocprim17ROCPRIM_400000_NS6detail17trampoline_kernelINS0_14default_configENS1_22reduce_config_selectorIN6thrust23THRUST_200600_302600_NS5tupleIblNS6_9null_typeES8_S8_S8_S8_S8_S8_S8_EEEEZNS1_11reduce_implILb1ES3_NS6_12zip_iteratorINS7_INS6_11hip_rocprim26transform_input_iterator_tIbNSD_35transform_pair_of_input_iterators_tIbNS6_6detail15normal_iteratorINS6_10device_ptrIKiEEEESL_NS6_8equal_toIiEEEENSG_9not_fun_tINSD_8identityEEEEENSD_19counting_iterator_tIlEES8_S8_S8_S8_S8_S8_S8_S8_EEEEPS9_S9_NSD_9__find_if7functorIS9_EEEE10hipError_tPvRmT1_T2_T3_mT4_P12ihipStream_tbEUlT_E0_NS1_11comp_targetILNS1_3genE2ELNS1_11target_archE906ELNS1_3gpuE6ELNS1_3repE0EEENS1_30default_config_static_selectorELNS0_4arch9wavefront6targetE0EEEvS14_
	.p2align	8
	.type	_ZN7rocprim17ROCPRIM_400000_NS6detail17trampoline_kernelINS0_14default_configENS1_22reduce_config_selectorIN6thrust23THRUST_200600_302600_NS5tupleIblNS6_9null_typeES8_S8_S8_S8_S8_S8_S8_EEEEZNS1_11reduce_implILb1ES3_NS6_12zip_iteratorINS7_INS6_11hip_rocprim26transform_input_iterator_tIbNSD_35transform_pair_of_input_iterators_tIbNS6_6detail15normal_iteratorINS6_10device_ptrIKiEEEESL_NS6_8equal_toIiEEEENSG_9not_fun_tINSD_8identityEEEEENSD_19counting_iterator_tIlEES8_S8_S8_S8_S8_S8_S8_S8_EEEEPS9_S9_NSD_9__find_if7functorIS9_EEEE10hipError_tPvRmT1_T2_T3_mT4_P12ihipStream_tbEUlT_E0_NS1_11comp_targetILNS1_3genE2ELNS1_11target_archE906ELNS1_3gpuE6ELNS1_3repE0EEENS1_30default_config_static_selectorELNS0_4arch9wavefront6targetE0EEEvS14_,@function
_ZN7rocprim17ROCPRIM_400000_NS6detail17trampoline_kernelINS0_14default_configENS1_22reduce_config_selectorIN6thrust23THRUST_200600_302600_NS5tupleIblNS6_9null_typeES8_S8_S8_S8_S8_S8_S8_EEEEZNS1_11reduce_implILb1ES3_NS6_12zip_iteratorINS7_INS6_11hip_rocprim26transform_input_iterator_tIbNSD_35transform_pair_of_input_iterators_tIbNS6_6detail15normal_iteratorINS6_10device_ptrIKiEEEESL_NS6_8equal_toIiEEEENSG_9not_fun_tINSD_8identityEEEEENSD_19counting_iterator_tIlEES8_S8_S8_S8_S8_S8_S8_S8_EEEEPS9_S9_NSD_9__find_if7functorIS9_EEEE10hipError_tPvRmT1_T2_T3_mT4_P12ihipStream_tbEUlT_E0_NS1_11comp_targetILNS1_3genE2ELNS1_11target_archE906ELNS1_3gpuE6ELNS1_3repE0EEENS1_30default_config_static_selectorELNS0_4arch9wavefront6targetE0EEEvS14_: ; @_ZN7rocprim17ROCPRIM_400000_NS6detail17trampoline_kernelINS0_14default_configENS1_22reduce_config_selectorIN6thrust23THRUST_200600_302600_NS5tupleIblNS6_9null_typeES8_S8_S8_S8_S8_S8_S8_EEEEZNS1_11reduce_implILb1ES3_NS6_12zip_iteratorINS7_INS6_11hip_rocprim26transform_input_iterator_tIbNSD_35transform_pair_of_input_iterators_tIbNS6_6detail15normal_iteratorINS6_10device_ptrIKiEEEESL_NS6_8equal_toIiEEEENSG_9not_fun_tINSD_8identityEEEEENSD_19counting_iterator_tIlEES8_S8_S8_S8_S8_S8_S8_S8_EEEEPS9_S9_NSD_9__find_if7functorIS9_EEEE10hipError_tPvRmT1_T2_T3_mT4_P12ihipStream_tbEUlT_E0_NS1_11comp_targetILNS1_3genE2ELNS1_11target_archE906ELNS1_3gpuE6ELNS1_3repE0EEENS1_30default_config_static_selectorELNS0_4arch9wavefront6targetE0EEEvS14_
; %bb.0:
	.section	.rodata,"a",@progbits
	.p2align	6, 0x0
	.amdhsa_kernel _ZN7rocprim17ROCPRIM_400000_NS6detail17trampoline_kernelINS0_14default_configENS1_22reduce_config_selectorIN6thrust23THRUST_200600_302600_NS5tupleIblNS6_9null_typeES8_S8_S8_S8_S8_S8_S8_EEEEZNS1_11reduce_implILb1ES3_NS6_12zip_iteratorINS7_INS6_11hip_rocprim26transform_input_iterator_tIbNSD_35transform_pair_of_input_iterators_tIbNS6_6detail15normal_iteratorINS6_10device_ptrIKiEEEESL_NS6_8equal_toIiEEEENSG_9not_fun_tINSD_8identityEEEEENSD_19counting_iterator_tIlEES8_S8_S8_S8_S8_S8_S8_S8_EEEEPS9_S9_NSD_9__find_if7functorIS9_EEEE10hipError_tPvRmT1_T2_T3_mT4_P12ihipStream_tbEUlT_E0_NS1_11comp_targetILNS1_3genE2ELNS1_11target_archE906ELNS1_3gpuE6ELNS1_3repE0EEENS1_30default_config_static_selectorELNS0_4arch9wavefront6targetE0EEEvS14_
		.amdhsa_group_segment_fixed_size 0
		.amdhsa_private_segment_fixed_size 0
		.amdhsa_kernarg_size 104
		.amdhsa_user_sgpr_count 6
		.amdhsa_user_sgpr_private_segment_buffer 1
		.amdhsa_user_sgpr_dispatch_ptr 0
		.amdhsa_user_sgpr_queue_ptr 0
		.amdhsa_user_sgpr_kernarg_segment_ptr 1
		.amdhsa_user_sgpr_dispatch_id 0
		.amdhsa_user_sgpr_flat_scratch_init 0
		.amdhsa_user_sgpr_private_segment_size 0
		.amdhsa_wavefront_size32 1
		.amdhsa_uses_dynamic_stack 0
		.amdhsa_system_sgpr_private_segment_wavefront_offset 0
		.amdhsa_system_sgpr_workgroup_id_x 1
		.amdhsa_system_sgpr_workgroup_id_y 0
		.amdhsa_system_sgpr_workgroup_id_z 0
		.amdhsa_system_sgpr_workgroup_info 0
		.amdhsa_system_vgpr_workitem_id 0
		.amdhsa_next_free_vgpr 1
		.amdhsa_next_free_sgpr 1
		.amdhsa_reserve_vcc 0
		.amdhsa_reserve_flat_scratch 0
		.amdhsa_float_round_mode_32 0
		.amdhsa_float_round_mode_16_64 0
		.amdhsa_float_denorm_mode_32 3
		.amdhsa_float_denorm_mode_16_64 3
		.amdhsa_dx10_clamp 1
		.amdhsa_ieee_mode 1
		.amdhsa_fp16_overflow 0
		.amdhsa_workgroup_processor_mode 1
		.amdhsa_memory_ordered 1
		.amdhsa_forward_progress 1
		.amdhsa_shared_vgpr_count 0
		.amdhsa_exception_fp_ieee_invalid_op 0
		.amdhsa_exception_fp_denorm_src 0
		.amdhsa_exception_fp_ieee_div_zero 0
		.amdhsa_exception_fp_ieee_overflow 0
		.amdhsa_exception_fp_ieee_underflow 0
		.amdhsa_exception_fp_ieee_inexact 0
		.amdhsa_exception_int_div_zero 0
	.end_amdhsa_kernel
	.section	.text._ZN7rocprim17ROCPRIM_400000_NS6detail17trampoline_kernelINS0_14default_configENS1_22reduce_config_selectorIN6thrust23THRUST_200600_302600_NS5tupleIblNS6_9null_typeES8_S8_S8_S8_S8_S8_S8_EEEEZNS1_11reduce_implILb1ES3_NS6_12zip_iteratorINS7_INS6_11hip_rocprim26transform_input_iterator_tIbNSD_35transform_pair_of_input_iterators_tIbNS6_6detail15normal_iteratorINS6_10device_ptrIKiEEEESL_NS6_8equal_toIiEEEENSG_9not_fun_tINSD_8identityEEEEENSD_19counting_iterator_tIlEES8_S8_S8_S8_S8_S8_S8_S8_EEEEPS9_S9_NSD_9__find_if7functorIS9_EEEE10hipError_tPvRmT1_T2_T3_mT4_P12ihipStream_tbEUlT_E0_NS1_11comp_targetILNS1_3genE2ELNS1_11target_archE906ELNS1_3gpuE6ELNS1_3repE0EEENS1_30default_config_static_selectorELNS0_4arch9wavefront6targetE0EEEvS14_,"axG",@progbits,_ZN7rocprim17ROCPRIM_400000_NS6detail17trampoline_kernelINS0_14default_configENS1_22reduce_config_selectorIN6thrust23THRUST_200600_302600_NS5tupleIblNS6_9null_typeES8_S8_S8_S8_S8_S8_S8_EEEEZNS1_11reduce_implILb1ES3_NS6_12zip_iteratorINS7_INS6_11hip_rocprim26transform_input_iterator_tIbNSD_35transform_pair_of_input_iterators_tIbNS6_6detail15normal_iteratorINS6_10device_ptrIKiEEEESL_NS6_8equal_toIiEEEENSG_9not_fun_tINSD_8identityEEEEENSD_19counting_iterator_tIlEES8_S8_S8_S8_S8_S8_S8_S8_EEEEPS9_S9_NSD_9__find_if7functorIS9_EEEE10hipError_tPvRmT1_T2_T3_mT4_P12ihipStream_tbEUlT_E0_NS1_11comp_targetILNS1_3genE2ELNS1_11target_archE906ELNS1_3gpuE6ELNS1_3repE0EEENS1_30default_config_static_selectorELNS0_4arch9wavefront6targetE0EEEvS14_,comdat
.Lfunc_end472:
	.size	_ZN7rocprim17ROCPRIM_400000_NS6detail17trampoline_kernelINS0_14default_configENS1_22reduce_config_selectorIN6thrust23THRUST_200600_302600_NS5tupleIblNS6_9null_typeES8_S8_S8_S8_S8_S8_S8_EEEEZNS1_11reduce_implILb1ES3_NS6_12zip_iteratorINS7_INS6_11hip_rocprim26transform_input_iterator_tIbNSD_35transform_pair_of_input_iterators_tIbNS6_6detail15normal_iteratorINS6_10device_ptrIKiEEEESL_NS6_8equal_toIiEEEENSG_9not_fun_tINSD_8identityEEEEENSD_19counting_iterator_tIlEES8_S8_S8_S8_S8_S8_S8_S8_EEEEPS9_S9_NSD_9__find_if7functorIS9_EEEE10hipError_tPvRmT1_T2_T3_mT4_P12ihipStream_tbEUlT_E0_NS1_11comp_targetILNS1_3genE2ELNS1_11target_archE906ELNS1_3gpuE6ELNS1_3repE0EEENS1_30default_config_static_selectorELNS0_4arch9wavefront6targetE0EEEvS14_, .Lfunc_end472-_ZN7rocprim17ROCPRIM_400000_NS6detail17trampoline_kernelINS0_14default_configENS1_22reduce_config_selectorIN6thrust23THRUST_200600_302600_NS5tupleIblNS6_9null_typeES8_S8_S8_S8_S8_S8_S8_EEEEZNS1_11reduce_implILb1ES3_NS6_12zip_iteratorINS7_INS6_11hip_rocprim26transform_input_iterator_tIbNSD_35transform_pair_of_input_iterators_tIbNS6_6detail15normal_iteratorINS6_10device_ptrIKiEEEESL_NS6_8equal_toIiEEEENSG_9not_fun_tINSD_8identityEEEEENSD_19counting_iterator_tIlEES8_S8_S8_S8_S8_S8_S8_S8_EEEEPS9_S9_NSD_9__find_if7functorIS9_EEEE10hipError_tPvRmT1_T2_T3_mT4_P12ihipStream_tbEUlT_E0_NS1_11comp_targetILNS1_3genE2ELNS1_11target_archE906ELNS1_3gpuE6ELNS1_3repE0EEENS1_30default_config_static_selectorELNS0_4arch9wavefront6targetE0EEEvS14_
                                        ; -- End function
	.set _ZN7rocprim17ROCPRIM_400000_NS6detail17trampoline_kernelINS0_14default_configENS1_22reduce_config_selectorIN6thrust23THRUST_200600_302600_NS5tupleIblNS6_9null_typeES8_S8_S8_S8_S8_S8_S8_EEEEZNS1_11reduce_implILb1ES3_NS6_12zip_iteratorINS7_INS6_11hip_rocprim26transform_input_iterator_tIbNSD_35transform_pair_of_input_iterators_tIbNS6_6detail15normal_iteratorINS6_10device_ptrIKiEEEESL_NS6_8equal_toIiEEEENSG_9not_fun_tINSD_8identityEEEEENSD_19counting_iterator_tIlEES8_S8_S8_S8_S8_S8_S8_S8_EEEEPS9_S9_NSD_9__find_if7functorIS9_EEEE10hipError_tPvRmT1_T2_T3_mT4_P12ihipStream_tbEUlT_E0_NS1_11comp_targetILNS1_3genE2ELNS1_11target_archE906ELNS1_3gpuE6ELNS1_3repE0EEENS1_30default_config_static_selectorELNS0_4arch9wavefront6targetE0EEEvS14_.num_vgpr, 0
	.set _ZN7rocprim17ROCPRIM_400000_NS6detail17trampoline_kernelINS0_14default_configENS1_22reduce_config_selectorIN6thrust23THRUST_200600_302600_NS5tupleIblNS6_9null_typeES8_S8_S8_S8_S8_S8_S8_EEEEZNS1_11reduce_implILb1ES3_NS6_12zip_iteratorINS7_INS6_11hip_rocprim26transform_input_iterator_tIbNSD_35transform_pair_of_input_iterators_tIbNS6_6detail15normal_iteratorINS6_10device_ptrIKiEEEESL_NS6_8equal_toIiEEEENSG_9not_fun_tINSD_8identityEEEEENSD_19counting_iterator_tIlEES8_S8_S8_S8_S8_S8_S8_S8_EEEEPS9_S9_NSD_9__find_if7functorIS9_EEEE10hipError_tPvRmT1_T2_T3_mT4_P12ihipStream_tbEUlT_E0_NS1_11comp_targetILNS1_3genE2ELNS1_11target_archE906ELNS1_3gpuE6ELNS1_3repE0EEENS1_30default_config_static_selectorELNS0_4arch9wavefront6targetE0EEEvS14_.num_agpr, 0
	.set _ZN7rocprim17ROCPRIM_400000_NS6detail17trampoline_kernelINS0_14default_configENS1_22reduce_config_selectorIN6thrust23THRUST_200600_302600_NS5tupleIblNS6_9null_typeES8_S8_S8_S8_S8_S8_S8_EEEEZNS1_11reduce_implILb1ES3_NS6_12zip_iteratorINS7_INS6_11hip_rocprim26transform_input_iterator_tIbNSD_35transform_pair_of_input_iterators_tIbNS6_6detail15normal_iteratorINS6_10device_ptrIKiEEEESL_NS6_8equal_toIiEEEENSG_9not_fun_tINSD_8identityEEEEENSD_19counting_iterator_tIlEES8_S8_S8_S8_S8_S8_S8_S8_EEEEPS9_S9_NSD_9__find_if7functorIS9_EEEE10hipError_tPvRmT1_T2_T3_mT4_P12ihipStream_tbEUlT_E0_NS1_11comp_targetILNS1_3genE2ELNS1_11target_archE906ELNS1_3gpuE6ELNS1_3repE0EEENS1_30default_config_static_selectorELNS0_4arch9wavefront6targetE0EEEvS14_.numbered_sgpr, 0
	.set _ZN7rocprim17ROCPRIM_400000_NS6detail17trampoline_kernelINS0_14default_configENS1_22reduce_config_selectorIN6thrust23THRUST_200600_302600_NS5tupleIblNS6_9null_typeES8_S8_S8_S8_S8_S8_S8_EEEEZNS1_11reduce_implILb1ES3_NS6_12zip_iteratorINS7_INS6_11hip_rocprim26transform_input_iterator_tIbNSD_35transform_pair_of_input_iterators_tIbNS6_6detail15normal_iteratorINS6_10device_ptrIKiEEEESL_NS6_8equal_toIiEEEENSG_9not_fun_tINSD_8identityEEEEENSD_19counting_iterator_tIlEES8_S8_S8_S8_S8_S8_S8_S8_EEEEPS9_S9_NSD_9__find_if7functorIS9_EEEE10hipError_tPvRmT1_T2_T3_mT4_P12ihipStream_tbEUlT_E0_NS1_11comp_targetILNS1_3genE2ELNS1_11target_archE906ELNS1_3gpuE6ELNS1_3repE0EEENS1_30default_config_static_selectorELNS0_4arch9wavefront6targetE0EEEvS14_.num_named_barrier, 0
	.set _ZN7rocprim17ROCPRIM_400000_NS6detail17trampoline_kernelINS0_14default_configENS1_22reduce_config_selectorIN6thrust23THRUST_200600_302600_NS5tupleIblNS6_9null_typeES8_S8_S8_S8_S8_S8_S8_EEEEZNS1_11reduce_implILb1ES3_NS6_12zip_iteratorINS7_INS6_11hip_rocprim26transform_input_iterator_tIbNSD_35transform_pair_of_input_iterators_tIbNS6_6detail15normal_iteratorINS6_10device_ptrIKiEEEESL_NS6_8equal_toIiEEEENSG_9not_fun_tINSD_8identityEEEEENSD_19counting_iterator_tIlEES8_S8_S8_S8_S8_S8_S8_S8_EEEEPS9_S9_NSD_9__find_if7functorIS9_EEEE10hipError_tPvRmT1_T2_T3_mT4_P12ihipStream_tbEUlT_E0_NS1_11comp_targetILNS1_3genE2ELNS1_11target_archE906ELNS1_3gpuE6ELNS1_3repE0EEENS1_30default_config_static_selectorELNS0_4arch9wavefront6targetE0EEEvS14_.private_seg_size, 0
	.set _ZN7rocprim17ROCPRIM_400000_NS6detail17trampoline_kernelINS0_14default_configENS1_22reduce_config_selectorIN6thrust23THRUST_200600_302600_NS5tupleIblNS6_9null_typeES8_S8_S8_S8_S8_S8_S8_EEEEZNS1_11reduce_implILb1ES3_NS6_12zip_iteratorINS7_INS6_11hip_rocprim26transform_input_iterator_tIbNSD_35transform_pair_of_input_iterators_tIbNS6_6detail15normal_iteratorINS6_10device_ptrIKiEEEESL_NS6_8equal_toIiEEEENSG_9not_fun_tINSD_8identityEEEEENSD_19counting_iterator_tIlEES8_S8_S8_S8_S8_S8_S8_S8_EEEEPS9_S9_NSD_9__find_if7functorIS9_EEEE10hipError_tPvRmT1_T2_T3_mT4_P12ihipStream_tbEUlT_E0_NS1_11comp_targetILNS1_3genE2ELNS1_11target_archE906ELNS1_3gpuE6ELNS1_3repE0EEENS1_30default_config_static_selectorELNS0_4arch9wavefront6targetE0EEEvS14_.uses_vcc, 0
	.set _ZN7rocprim17ROCPRIM_400000_NS6detail17trampoline_kernelINS0_14default_configENS1_22reduce_config_selectorIN6thrust23THRUST_200600_302600_NS5tupleIblNS6_9null_typeES8_S8_S8_S8_S8_S8_S8_EEEEZNS1_11reduce_implILb1ES3_NS6_12zip_iteratorINS7_INS6_11hip_rocprim26transform_input_iterator_tIbNSD_35transform_pair_of_input_iterators_tIbNS6_6detail15normal_iteratorINS6_10device_ptrIKiEEEESL_NS6_8equal_toIiEEEENSG_9not_fun_tINSD_8identityEEEEENSD_19counting_iterator_tIlEES8_S8_S8_S8_S8_S8_S8_S8_EEEEPS9_S9_NSD_9__find_if7functorIS9_EEEE10hipError_tPvRmT1_T2_T3_mT4_P12ihipStream_tbEUlT_E0_NS1_11comp_targetILNS1_3genE2ELNS1_11target_archE906ELNS1_3gpuE6ELNS1_3repE0EEENS1_30default_config_static_selectorELNS0_4arch9wavefront6targetE0EEEvS14_.uses_flat_scratch, 0
	.set _ZN7rocprim17ROCPRIM_400000_NS6detail17trampoline_kernelINS0_14default_configENS1_22reduce_config_selectorIN6thrust23THRUST_200600_302600_NS5tupleIblNS6_9null_typeES8_S8_S8_S8_S8_S8_S8_EEEEZNS1_11reduce_implILb1ES3_NS6_12zip_iteratorINS7_INS6_11hip_rocprim26transform_input_iterator_tIbNSD_35transform_pair_of_input_iterators_tIbNS6_6detail15normal_iteratorINS6_10device_ptrIKiEEEESL_NS6_8equal_toIiEEEENSG_9not_fun_tINSD_8identityEEEEENSD_19counting_iterator_tIlEES8_S8_S8_S8_S8_S8_S8_S8_EEEEPS9_S9_NSD_9__find_if7functorIS9_EEEE10hipError_tPvRmT1_T2_T3_mT4_P12ihipStream_tbEUlT_E0_NS1_11comp_targetILNS1_3genE2ELNS1_11target_archE906ELNS1_3gpuE6ELNS1_3repE0EEENS1_30default_config_static_selectorELNS0_4arch9wavefront6targetE0EEEvS14_.has_dyn_sized_stack, 0
	.set _ZN7rocprim17ROCPRIM_400000_NS6detail17trampoline_kernelINS0_14default_configENS1_22reduce_config_selectorIN6thrust23THRUST_200600_302600_NS5tupleIblNS6_9null_typeES8_S8_S8_S8_S8_S8_S8_EEEEZNS1_11reduce_implILb1ES3_NS6_12zip_iteratorINS7_INS6_11hip_rocprim26transform_input_iterator_tIbNSD_35transform_pair_of_input_iterators_tIbNS6_6detail15normal_iteratorINS6_10device_ptrIKiEEEESL_NS6_8equal_toIiEEEENSG_9not_fun_tINSD_8identityEEEEENSD_19counting_iterator_tIlEES8_S8_S8_S8_S8_S8_S8_S8_EEEEPS9_S9_NSD_9__find_if7functorIS9_EEEE10hipError_tPvRmT1_T2_T3_mT4_P12ihipStream_tbEUlT_E0_NS1_11comp_targetILNS1_3genE2ELNS1_11target_archE906ELNS1_3gpuE6ELNS1_3repE0EEENS1_30default_config_static_selectorELNS0_4arch9wavefront6targetE0EEEvS14_.has_recursion, 0
	.set _ZN7rocprim17ROCPRIM_400000_NS6detail17trampoline_kernelINS0_14default_configENS1_22reduce_config_selectorIN6thrust23THRUST_200600_302600_NS5tupleIblNS6_9null_typeES8_S8_S8_S8_S8_S8_S8_EEEEZNS1_11reduce_implILb1ES3_NS6_12zip_iteratorINS7_INS6_11hip_rocprim26transform_input_iterator_tIbNSD_35transform_pair_of_input_iterators_tIbNS6_6detail15normal_iteratorINS6_10device_ptrIKiEEEESL_NS6_8equal_toIiEEEENSG_9not_fun_tINSD_8identityEEEEENSD_19counting_iterator_tIlEES8_S8_S8_S8_S8_S8_S8_S8_EEEEPS9_S9_NSD_9__find_if7functorIS9_EEEE10hipError_tPvRmT1_T2_T3_mT4_P12ihipStream_tbEUlT_E0_NS1_11comp_targetILNS1_3genE2ELNS1_11target_archE906ELNS1_3gpuE6ELNS1_3repE0EEENS1_30default_config_static_selectorELNS0_4arch9wavefront6targetE0EEEvS14_.has_indirect_call, 0
	.section	.AMDGPU.csdata,"",@progbits
; Kernel info:
; codeLenInByte = 0
; TotalNumSgprs: 0
; NumVgprs: 0
; ScratchSize: 0
; MemoryBound: 0
; FloatMode: 240
; IeeeMode: 1
; LDSByteSize: 0 bytes/workgroup (compile time only)
; SGPRBlocks: 0
; VGPRBlocks: 0
; NumSGPRsForWavesPerEU: 1
; NumVGPRsForWavesPerEU: 1
; Occupancy: 16
; WaveLimiterHint : 0
; COMPUTE_PGM_RSRC2:SCRATCH_EN: 0
; COMPUTE_PGM_RSRC2:USER_SGPR: 6
; COMPUTE_PGM_RSRC2:TRAP_HANDLER: 0
; COMPUTE_PGM_RSRC2:TGID_X_EN: 1
; COMPUTE_PGM_RSRC2:TGID_Y_EN: 0
; COMPUTE_PGM_RSRC2:TGID_Z_EN: 0
; COMPUTE_PGM_RSRC2:TIDIG_COMP_CNT: 0
	.section	.text._ZN7rocprim17ROCPRIM_400000_NS6detail17trampoline_kernelINS0_14default_configENS1_22reduce_config_selectorIN6thrust23THRUST_200600_302600_NS5tupleIblNS6_9null_typeES8_S8_S8_S8_S8_S8_S8_EEEEZNS1_11reduce_implILb1ES3_NS6_12zip_iteratorINS7_INS6_11hip_rocprim26transform_input_iterator_tIbNSD_35transform_pair_of_input_iterators_tIbNS6_6detail15normal_iteratorINS6_10device_ptrIKiEEEESL_NS6_8equal_toIiEEEENSG_9not_fun_tINSD_8identityEEEEENSD_19counting_iterator_tIlEES8_S8_S8_S8_S8_S8_S8_S8_EEEEPS9_S9_NSD_9__find_if7functorIS9_EEEE10hipError_tPvRmT1_T2_T3_mT4_P12ihipStream_tbEUlT_E0_NS1_11comp_targetILNS1_3genE10ELNS1_11target_archE1201ELNS1_3gpuE5ELNS1_3repE0EEENS1_30default_config_static_selectorELNS0_4arch9wavefront6targetE0EEEvS14_,"axG",@progbits,_ZN7rocprim17ROCPRIM_400000_NS6detail17trampoline_kernelINS0_14default_configENS1_22reduce_config_selectorIN6thrust23THRUST_200600_302600_NS5tupleIblNS6_9null_typeES8_S8_S8_S8_S8_S8_S8_EEEEZNS1_11reduce_implILb1ES3_NS6_12zip_iteratorINS7_INS6_11hip_rocprim26transform_input_iterator_tIbNSD_35transform_pair_of_input_iterators_tIbNS6_6detail15normal_iteratorINS6_10device_ptrIKiEEEESL_NS6_8equal_toIiEEEENSG_9not_fun_tINSD_8identityEEEEENSD_19counting_iterator_tIlEES8_S8_S8_S8_S8_S8_S8_S8_EEEEPS9_S9_NSD_9__find_if7functorIS9_EEEE10hipError_tPvRmT1_T2_T3_mT4_P12ihipStream_tbEUlT_E0_NS1_11comp_targetILNS1_3genE10ELNS1_11target_archE1201ELNS1_3gpuE5ELNS1_3repE0EEENS1_30default_config_static_selectorELNS0_4arch9wavefront6targetE0EEEvS14_,comdat
	.protected	_ZN7rocprim17ROCPRIM_400000_NS6detail17trampoline_kernelINS0_14default_configENS1_22reduce_config_selectorIN6thrust23THRUST_200600_302600_NS5tupleIblNS6_9null_typeES8_S8_S8_S8_S8_S8_S8_EEEEZNS1_11reduce_implILb1ES3_NS6_12zip_iteratorINS7_INS6_11hip_rocprim26transform_input_iterator_tIbNSD_35transform_pair_of_input_iterators_tIbNS6_6detail15normal_iteratorINS6_10device_ptrIKiEEEESL_NS6_8equal_toIiEEEENSG_9not_fun_tINSD_8identityEEEEENSD_19counting_iterator_tIlEES8_S8_S8_S8_S8_S8_S8_S8_EEEEPS9_S9_NSD_9__find_if7functorIS9_EEEE10hipError_tPvRmT1_T2_T3_mT4_P12ihipStream_tbEUlT_E0_NS1_11comp_targetILNS1_3genE10ELNS1_11target_archE1201ELNS1_3gpuE5ELNS1_3repE0EEENS1_30default_config_static_selectorELNS0_4arch9wavefront6targetE0EEEvS14_ ; -- Begin function _ZN7rocprim17ROCPRIM_400000_NS6detail17trampoline_kernelINS0_14default_configENS1_22reduce_config_selectorIN6thrust23THRUST_200600_302600_NS5tupleIblNS6_9null_typeES8_S8_S8_S8_S8_S8_S8_EEEEZNS1_11reduce_implILb1ES3_NS6_12zip_iteratorINS7_INS6_11hip_rocprim26transform_input_iterator_tIbNSD_35transform_pair_of_input_iterators_tIbNS6_6detail15normal_iteratorINS6_10device_ptrIKiEEEESL_NS6_8equal_toIiEEEENSG_9not_fun_tINSD_8identityEEEEENSD_19counting_iterator_tIlEES8_S8_S8_S8_S8_S8_S8_S8_EEEEPS9_S9_NSD_9__find_if7functorIS9_EEEE10hipError_tPvRmT1_T2_T3_mT4_P12ihipStream_tbEUlT_E0_NS1_11comp_targetILNS1_3genE10ELNS1_11target_archE1201ELNS1_3gpuE5ELNS1_3repE0EEENS1_30default_config_static_selectorELNS0_4arch9wavefront6targetE0EEEvS14_
	.globl	_ZN7rocprim17ROCPRIM_400000_NS6detail17trampoline_kernelINS0_14default_configENS1_22reduce_config_selectorIN6thrust23THRUST_200600_302600_NS5tupleIblNS6_9null_typeES8_S8_S8_S8_S8_S8_S8_EEEEZNS1_11reduce_implILb1ES3_NS6_12zip_iteratorINS7_INS6_11hip_rocprim26transform_input_iterator_tIbNSD_35transform_pair_of_input_iterators_tIbNS6_6detail15normal_iteratorINS6_10device_ptrIKiEEEESL_NS6_8equal_toIiEEEENSG_9not_fun_tINSD_8identityEEEEENSD_19counting_iterator_tIlEES8_S8_S8_S8_S8_S8_S8_S8_EEEEPS9_S9_NSD_9__find_if7functorIS9_EEEE10hipError_tPvRmT1_T2_T3_mT4_P12ihipStream_tbEUlT_E0_NS1_11comp_targetILNS1_3genE10ELNS1_11target_archE1201ELNS1_3gpuE5ELNS1_3repE0EEENS1_30default_config_static_selectorELNS0_4arch9wavefront6targetE0EEEvS14_
	.p2align	8
	.type	_ZN7rocprim17ROCPRIM_400000_NS6detail17trampoline_kernelINS0_14default_configENS1_22reduce_config_selectorIN6thrust23THRUST_200600_302600_NS5tupleIblNS6_9null_typeES8_S8_S8_S8_S8_S8_S8_EEEEZNS1_11reduce_implILb1ES3_NS6_12zip_iteratorINS7_INS6_11hip_rocprim26transform_input_iterator_tIbNSD_35transform_pair_of_input_iterators_tIbNS6_6detail15normal_iteratorINS6_10device_ptrIKiEEEESL_NS6_8equal_toIiEEEENSG_9not_fun_tINSD_8identityEEEEENSD_19counting_iterator_tIlEES8_S8_S8_S8_S8_S8_S8_S8_EEEEPS9_S9_NSD_9__find_if7functorIS9_EEEE10hipError_tPvRmT1_T2_T3_mT4_P12ihipStream_tbEUlT_E0_NS1_11comp_targetILNS1_3genE10ELNS1_11target_archE1201ELNS1_3gpuE5ELNS1_3repE0EEENS1_30default_config_static_selectorELNS0_4arch9wavefront6targetE0EEEvS14_,@function
_ZN7rocprim17ROCPRIM_400000_NS6detail17trampoline_kernelINS0_14default_configENS1_22reduce_config_selectorIN6thrust23THRUST_200600_302600_NS5tupleIblNS6_9null_typeES8_S8_S8_S8_S8_S8_S8_EEEEZNS1_11reduce_implILb1ES3_NS6_12zip_iteratorINS7_INS6_11hip_rocprim26transform_input_iterator_tIbNSD_35transform_pair_of_input_iterators_tIbNS6_6detail15normal_iteratorINS6_10device_ptrIKiEEEESL_NS6_8equal_toIiEEEENSG_9not_fun_tINSD_8identityEEEEENSD_19counting_iterator_tIlEES8_S8_S8_S8_S8_S8_S8_S8_EEEEPS9_S9_NSD_9__find_if7functorIS9_EEEE10hipError_tPvRmT1_T2_T3_mT4_P12ihipStream_tbEUlT_E0_NS1_11comp_targetILNS1_3genE10ELNS1_11target_archE1201ELNS1_3gpuE5ELNS1_3repE0EEENS1_30default_config_static_selectorELNS0_4arch9wavefront6targetE0EEEvS14_: ; @_ZN7rocprim17ROCPRIM_400000_NS6detail17trampoline_kernelINS0_14default_configENS1_22reduce_config_selectorIN6thrust23THRUST_200600_302600_NS5tupleIblNS6_9null_typeES8_S8_S8_S8_S8_S8_S8_EEEEZNS1_11reduce_implILb1ES3_NS6_12zip_iteratorINS7_INS6_11hip_rocprim26transform_input_iterator_tIbNSD_35transform_pair_of_input_iterators_tIbNS6_6detail15normal_iteratorINS6_10device_ptrIKiEEEESL_NS6_8equal_toIiEEEENSG_9not_fun_tINSD_8identityEEEEENSD_19counting_iterator_tIlEES8_S8_S8_S8_S8_S8_S8_S8_EEEEPS9_S9_NSD_9__find_if7functorIS9_EEEE10hipError_tPvRmT1_T2_T3_mT4_P12ihipStream_tbEUlT_E0_NS1_11comp_targetILNS1_3genE10ELNS1_11target_archE1201ELNS1_3gpuE5ELNS1_3repE0EEENS1_30default_config_static_selectorELNS0_4arch9wavefront6targetE0EEEvS14_
; %bb.0:
	.section	.rodata,"a",@progbits
	.p2align	6, 0x0
	.amdhsa_kernel _ZN7rocprim17ROCPRIM_400000_NS6detail17trampoline_kernelINS0_14default_configENS1_22reduce_config_selectorIN6thrust23THRUST_200600_302600_NS5tupleIblNS6_9null_typeES8_S8_S8_S8_S8_S8_S8_EEEEZNS1_11reduce_implILb1ES3_NS6_12zip_iteratorINS7_INS6_11hip_rocprim26transform_input_iterator_tIbNSD_35transform_pair_of_input_iterators_tIbNS6_6detail15normal_iteratorINS6_10device_ptrIKiEEEESL_NS6_8equal_toIiEEEENSG_9not_fun_tINSD_8identityEEEEENSD_19counting_iterator_tIlEES8_S8_S8_S8_S8_S8_S8_S8_EEEEPS9_S9_NSD_9__find_if7functorIS9_EEEE10hipError_tPvRmT1_T2_T3_mT4_P12ihipStream_tbEUlT_E0_NS1_11comp_targetILNS1_3genE10ELNS1_11target_archE1201ELNS1_3gpuE5ELNS1_3repE0EEENS1_30default_config_static_selectorELNS0_4arch9wavefront6targetE0EEEvS14_
		.amdhsa_group_segment_fixed_size 0
		.amdhsa_private_segment_fixed_size 0
		.amdhsa_kernarg_size 104
		.amdhsa_user_sgpr_count 6
		.amdhsa_user_sgpr_private_segment_buffer 1
		.amdhsa_user_sgpr_dispatch_ptr 0
		.amdhsa_user_sgpr_queue_ptr 0
		.amdhsa_user_sgpr_kernarg_segment_ptr 1
		.amdhsa_user_sgpr_dispatch_id 0
		.amdhsa_user_sgpr_flat_scratch_init 0
		.amdhsa_user_sgpr_private_segment_size 0
		.amdhsa_wavefront_size32 1
		.amdhsa_uses_dynamic_stack 0
		.amdhsa_system_sgpr_private_segment_wavefront_offset 0
		.amdhsa_system_sgpr_workgroup_id_x 1
		.amdhsa_system_sgpr_workgroup_id_y 0
		.amdhsa_system_sgpr_workgroup_id_z 0
		.amdhsa_system_sgpr_workgroup_info 0
		.amdhsa_system_vgpr_workitem_id 0
		.amdhsa_next_free_vgpr 1
		.amdhsa_next_free_sgpr 1
		.amdhsa_reserve_vcc 0
		.amdhsa_reserve_flat_scratch 0
		.amdhsa_float_round_mode_32 0
		.amdhsa_float_round_mode_16_64 0
		.amdhsa_float_denorm_mode_32 3
		.amdhsa_float_denorm_mode_16_64 3
		.amdhsa_dx10_clamp 1
		.amdhsa_ieee_mode 1
		.amdhsa_fp16_overflow 0
		.amdhsa_workgroup_processor_mode 1
		.amdhsa_memory_ordered 1
		.amdhsa_forward_progress 1
		.amdhsa_shared_vgpr_count 0
		.amdhsa_exception_fp_ieee_invalid_op 0
		.amdhsa_exception_fp_denorm_src 0
		.amdhsa_exception_fp_ieee_div_zero 0
		.amdhsa_exception_fp_ieee_overflow 0
		.amdhsa_exception_fp_ieee_underflow 0
		.amdhsa_exception_fp_ieee_inexact 0
		.amdhsa_exception_int_div_zero 0
	.end_amdhsa_kernel
	.section	.text._ZN7rocprim17ROCPRIM_400000_NS6detail17trampoline_kernelINS0_14default_configENS1_22reduce_config_selectorIN6thrust23THRUST_200600_302600_NS5tupleIblNS6_9null_typeES8_S8_S8_S8_S8_S8_S8_EEEEZNS1_11reduce_implILb1ES3_NS6_12zip_iteratorINS7_INS6_11hip_rocprim26transform_input_iterator_tIbNSD_35transform_pair_of_input_iterators_tIbNS6_6detail15normal_iteratorINS6_10device_ptrIKiEEEESL_NS6_8equal_toIiEEEENSG_9not_fun_tINSD_8identityEEEEENSD_19counting_iterator_tIlEES8_S8_S8_S8_S8_S8_S8_S8_EEEEPS9_S9_NSD_9__find_if7functorIS9_EEEE10hipError_tPvRmT1_T2_T3_mT4_P12ihipStream_tbEUlT_E0_NS1_11comp_targetILNS1_3genE10ELNS1_11target_archE1201ELNS1_3gpuE5ELNS1_3repE0EEENS1_30default_config_static_selectorELNS0_4arch9wavefront6targetE0EEEvS14_,"axG",@progbits,_ZN7rocprim17ROCPRIM_400000_NS6detail17trampoline_kernelINS0_14default_configENS1_22reduce_config_selectorIN6thrust23THRUST_200600_302600_NS5tupleIblNS6_9null_typeES8_S8_S8_S8_S8_S8_S8_EEEEZNS1_11reduce_implILb1ES3_NS6_12zip_iteratorINS7_INS6_11hip_rocprim26transform_input_iterator_tIbNSD_35transform_pair_of_input_iterators_tIbNS6_6detail15normal_iteratorINS6_10device_ptrIKiEEEESL_NS6_8equal_toIiEEEENSG_9not_fun_tINSD_8identityEEEEENSD_19counting_iterator_tIlEES8_S8_S8_S8_S8_S8_S8_S8_EEEEPS9_S9_NSD_9__find_if7functorIS9_EEEE10hipError_tPvRmT1_T2_T3_mT4_P12ihipStream_tbEUlT_E0_NS1_11comp_targetILNS1_3genE10ELNS1_11target_archE1201ELNS1_3gpuE5ELNS1_3repE0EEENS1_30default_config_static_selectorELNS0_4arch9wavefront6targetE0EEEvS14_,comdat
.Lfunc_end473:
	.size	_ZN7rocprim17ROCPRIM_400000_NS6detail17trampoline_kernelINS0_14default_configENS1_22reduce_config_selectorIN6thrust23THRUST_200600_302600_NS5tupleIblNS6_9null_typeES8_S8_S8_S8_S8_S8_S8_EEEEZNS1_11reduce_implILb1ES3_NS6_12zip_iteratorINS7_INS6_11hip_rocprim26transform_input_iterator_tIbNSD_35transform_pair_of_input_iterators_tIbNS6_6detail15normal_iteratorINS6_10device_ptrIKiEEEESL_NS6_8equal_toIiEEEENSG_9not_fun_tINSD_8identityEEEEENSD_19counting_iterator_tIlEES8_S8_S8_S8_S8_S8_S8_S8_EEEEPS9_S9_NSD_9__find_if7functorIS9_EEEE10hipError_tPvRmT1_T2_T3_mT4_P12ihipStream_tbEUlT_E0_NS1_11comp_targetILNS1_3genE10ELNS1_11target_archE1201ELNS1_3gpuE5ELNS1_3repE0EEENS1_30default_config_static_selectorELNS0_4arch9wavefront6targetE0EEEvS14_, .Lfunc_end473-_ZN7rocprim17ROCPRIM_400000_NS6detail17trampoline_kernelINS0_14default_configENS1_22reduce_config_selectorIN6thrust23THRUST_200600_302600_NS5tupleIblNS6_9null_typeES8_S8_S8_S8_S8_S8_S8_EEEEZNS1_11reduce_implILb1ES3_NS6_12zip_iteratorINS7_INS6_11hip_rocprim26transform_input_iterator_tIbNSD_35transform_pair_of_input_iterators_tIbNS6_6detail15normal_iteratorINS6_10device_ptrIKiEEEESL_NS6_8equal_toIiEEEENSG_9not_fun_tINSD_8identityEEEEENSD_19counting_iterator_tIlEES8_S8_S8_S8_S8_S8_S8_S8_EEEEPS9_S9_NSD_9__find_if7functorIS9_EEEE10hipError_tPvRmT1_T2_T3_mT4_P12ihipStream_tbEUlT_E0_NS1_11comp_targetILNS1_3genE10ELNS1_11target_archE1201ELNS1_3gpuE5ELNS1_3repE0EEENS1_30default_config_static_selectorELNS0_4arch9wavefront6targetE0EEEvS14_
                                        ; -- End function
	.set _ZN7rocprim17ROCPRIM_400000_NS6detail17trampoline_kernelINS0_14default_configENS1_22reduce_config_selectorIN6thrust23THRUST_200600_302600_NS5tupleIblNS6_9null_typeES8_S8_S8_S8_S8_S8_S8_EEEEZNS1_11reduce_implILb1ES3_NS6_12zip_iteratorINS7_INS6_11hip_rocprim26transform_input_iterator_tIbNSD_35transform_pair_of_input_iterators_tIbNS6_6detail15normal_iteratorINS6_10device_ptrIKiEEEESL_NS6_8equal_toIiEEEENSG_9not_fun_tINSD_8identityEEEEENSD_19counting_iterator_tIlEES8_S8_S8_S8_S8_S8_S8_S8_EEEEPS9_S9_NSD_9__find_if7functorIS9_EEEE10hipError_tPvRmT1_T2_T3_mT4_P12ihipStream_tbEUlT_E0_NS1_11comp_targetILNS1_3genE10ELNS1_11target_archE1201ELNS1_3gpuE5ELNS1_3repE0EEENS1_30default_config_static_selectorELNS0_4arch9wavefront6targetE0EEEvS14_.num_vgpr, 0
	.set _ZN7rocprim17ROCPRIM_400000_NS6detail17trampoline_kernelINS0_14default_configENS1_22reduce_config_selectorIN6thrust23THRUST_200600_302600_NS5tupleIblNS6_9null_typeES8_S8_S8_S8_S8_S8_S8_EEEEZNS1_11reduce_implILb1ES3_NS6_12zip_iteratorINS7_INS6_11hip_rocprim26transform_input_iterator_tIbNSD_35transform_pair_of_input_iterators_tIbNS6_6detail15normal_iteratorINS6_10device_ptrIKiEEEESL_NS6_8equal_toIiEEEENSG_9not_fun_tINSD_8identityEEEEENSD_19counting_iterator_tIlEES8_S8_S8_S8_S8_S8_S8_S8_EEEEPS9_S9_NSD_9__find_if7functorIS9_EEEE10hipError_tPvRmT1_T2_T3_mT4_P12ihipStream_tbEUlT_E0_NS1_11comp_targetILNS1_3genE10ELNS1_11target_archE1201ELNS1_3gpuE5ELNS1_3repE0EEENS1_30default_config_static_selectorELNS0_4arch9wavefront6targetE0EEEvS14_.num_agpr, 0
	.set _ZN7rocprim17ROCPRIM_400000_NS6detail17trampoline_kernelINS0_14default_configENS1_22reduce_config_selectorIN6thrust23THRUST_200600_302600_NS5tupleIblNS6_9null_typeES8_S8_S8_S8_S8_S8_S8_EEEEZNS1_11reduce_implILb1ES3_NS6_12zip_iteratorINS7_INS6_11hip_rocprim26transform_input_iterator_tIbNSD_35transform_pair_of_input_iterators_tIbNS6_6detail15normal_iteratorINS6_10device_ptrIKiEEEESL_NS6_8equal_toIiEEEENSG_9not_fun_tINSD_8identityEEEEENSD_19counting_iterator_tIlEES8_S8_S8_S8_S8_S8_S8_S8_EEEEPS9_S9_NSD_9__find_if7functorIS9_EEEE10hipError_tPvRmT1_T2_T3_mT4_P12ihipStream_tbEUlT_E0_NS1_11comp_targetILNS1_3genE10ELNS1_11target_archE1201ELNS1_3gpuE5ELNS1_3repE0EEENS1_30default_config_static_selectorELNS0_4arch9wavefront6targetE0EEEvS14_.numbered_sgpr, 0
	.set _ZN7rocprim17ROCPRIM_400000_NS6detail17trampoline_kernelINS0_14default_configENS1_22reduce_config_selectorIN6thrust23THRUST_200600_302600_NS5tupleIblNS6_9null_typeES8_S8_S8_S8_S8_S8_S8_EEEEZNS1_11reduce_implILb1ES3_NS6_12zip_iteratorINS7_INS6_11hip_rocprim26transform_input_iterator_tIbNSD_35transform_pair_of_input_iterators_tIbNS6_6detail15normal_iteratorINS6_10device_ptrIKiEEEESL_NS6_8equal_toIiEEEENSG_9not_fun_tINSD_8identityEEEEENSD_19counting_iterator_tIlEES8_S8_S8_S8_S8_S8_S8_S8_EEEEPS9_S9_NSD_9__find_if7functorIS9_EEEE10hipError_tPvRmT1_T2_T3_mT4_P12ihipStream_tbEUlT_E0_NS1_11comp_targetILNS1_3genE10ELNS1_11target_archE1201ELNS1_3gpuE5ELNS1_3repE0EEENS1_30default_config_static_selectorELNS0_4arch9wavefront6targetE0EEEvS14_.num_named_barrier, 0
	.set _ZN7rocprim17ROCPRIM_400000_NS6detail17trampoline_kernelINS0_14default_configENS1_22reduce_config_selectorIN6thrust23THRUST_200600_302600_NS5tupleIblNS6_9null_typeES8_S8_S8_S8_S8_S8_S8_EEEEZNS1_11reduce_implILb1ES3_NS6_12zip_iteratorINS7_INS6_11hip_rocprim26transform_input_iterator_tIbNSD_35transform_pair_of_input_iterators_tIbNS6_6detail15normal_iteratorINS6_10device_ptrIKiEEEESL_NS6_8equal_toIiEEEENSG_9not_fun_tINSD_8identityEEEEENSD_19counting_iterator_tIlEES8_S8_S8_S8_S8_S8_S8_S8_EEEEPS9_S9_NSD_9__find_if7functorIS9_EEEE10hipError_tPvRmT1_T2_T3_mT4_P12ihipStream_tbEUlT_E0_NS1_11comp_targetILNS1_3genE10ELNS1_11target_archE1201ELNS1_3gpuE5ELNS1_3repE0EEENS1_30default_config_static_selectorELNS0_4arch9wavefront6targetE0EEEvS14_.private_seg_size, 0
	.set _ZN7rocprim17ROCPRIM_400000_NS6detail17trampoline_kernelINS0_14default_configENS1_22reduce_config_selectorIN6thrust23THRUST_200600_302600_NS5tupleIblNS6_9null_typeES8_S8_S8_S8_S8_S8_S8_EEEEZNS1_11reduce_implILb1ES3_NS6_12zip_iteratorINS7_INS6_11hip_rocprim26transform_input_iterator_tIbNSD_35transform_pair_of_input_iterators_tIbNS6_6detail15normal_iteratorINS6_10device_ptrIKiEEEESL_NS6_8equal_toIiEEEENSG_9not_fun_tINSD_8identityEEEEENSD_19counting_iterator_tIlEES8_S8_S8_S8_S8_S8_S8_S8_EEEEPS9_S9_NSD_9__find_if7functorIS9_EEEE10hipError_tPvRmT1_T2_T3_mT4_P12ihipStream_tbEUlT_E0_NS1_11comp_targetILNS1_3genE10ELNS1_11target_archE1201ELNS1_3gpuE5ELNS1_3repE0EEENS1_30default_config_static_selectorELNS0_4arch9wavefront6targetE0EEEvS14_.uses_vcc, 0
	.set _ZN7rocprim17ROCPRIM_400000_NS6detail17trampoline_kernelINS0_14default_configENS1_22reduce_config_selectorIN6thrust23THRUST_200600_302600_NS5tupleIblNS6_9null_typeES8_S8_S8_S8_S8_S8_S8_EEEEZNS1_11reduce_implILb1ES3_NS6_12zip_iteratorINS7_INS6_11hip_rocprim26transform_input_iterator_tIbNSD_35transform_pair_of_input_iterators_tIbNS6_6detail15normal_iteratorINS6_10device_ptrIKiEEEESL_NS6_8equal_toIiEEEENSG_9not_fun_tINSD_8identityEEEEENSD_19counting_iterator_tIlEES8_S8_S8_S8_S8_S8_S8_S8_EEEEPS9_S9_NSD_9__find_if7functorIS9_EEEE10hipError_tPvRmT1_T2_T3_mT4_P12ihipStream_tbEUlT_E0_NS1_11comp_targetILNS1_3genE10ELNS1_11target_archE1201ELNS1_3gpuE5ELNS1_3repE0EEENS1_30default_config_static_selectorELNS0_4arch9wavefront6targetE0EEEvS14_.uses_flat_scratch, 0
	.set _ZN7rocprim17ROCPRIM_400000_NS6detail17trampoline_kernelINS0_14default_configENS1_22reduce_config_selectorIN6thrust23THRUST_200600_302600_NS5tupleIblNS6_9null_typeES8_S8_S8_S8_S8_S8_S8_EEEEZNS1_11reduce_implILb1ES3_NS6_12zip_iteratorINS7_INS6_11hip_rocprim26transform_input_iterator_tIbNSD_35transform_pair_of_input_iterators_tIbNS6_6detail15normal_iteratorINS6_10device_ptrIKiEEEESL_NS6_8equal_toIiEEEENSG_9not_fun_tINSD_8identityEEEEENSD_19counting_iterator_tIlEES8_S8_S8_S8_S8_S8_S8_S8_EEEEPS9_S9_NSD_9__find_if7functorIS9_EEEE10hipError_tPvRmT1_T2_T3_mT4_P12ihipStream_tbEUlT_E0_NS1_11comp_targetILNS1_3genE10ELNS1_11target_archE1201ELNS1_3gpuE5ELNS1_3repE0EEENS1_30default_config_static_selectorELNS0_4arch9wavefront6targetE0EEEvS14_.has_dyn_sized_stack, 0
	.set _ZN7rocprim17ROCPRIM_400000_NS6detail17trampoline_kernelINS0_14default_configENS1_22reduce_config_selectorIN6thrust23THRUST_200600_302600_NS5tupleIblNS6_9null_typeES8_S8_S8_S8_S8_S8_S8_EEEEZNS1_11reduce_implILb1ES3_NS6_12zip_iteratorINS7_INS6_11hip_rocprim26transform_input_iterator_tIbNSD_35transform_pair_of_input_iterators_tIbNS6_6detail15normal_iteratorINS6_10device_ptrIKiEEEESL_NS6_8equal_toIiEEEENSG_9not_fun_tINSD_8identityEEEEENSD_19counting_iterator_tIlEES8_S8_S8_S8_S8_S8_S8_S8_EEEEPS9_S9_NSD_9__find_if7functorIS9_EEEE10hipError_tPvRmT1_T2_T3_mT4_P12ihipStream_tbEUlT_E0_NS1_11comp_targetILNS1_3genE10ELNS1_11target_archE1201ELNS1_3gpuE5ELNS1_3repE0EEENS1_30default_config_static_selectorELNS0_4arch9wavefront6targetE0EEEvS14_.has_recursion, 0
	.set _ZN7rocprim17ROCPRIM_400000_NS6detail17trampoline_kernelINS0_14default_configENS1_22reduce_config_selectorIN6thrust23THRUST_200600_302600_NS5tupleIblNS6_9null_typeES8_S8_S8_S8_S8_S8_S8_EEEEZNS1_11reduce_implILb1ES3_NS6_12zip_iteratorINS7_INS6_11hip_rocprim26transform_input_iterator_tIbNSD_35transform_pair_of_input_iterators_tIbNS6_6detail15normal_iteratorINS6_10device_ptrIKiEEEESL_NS6_8equal_toIiEEEENSG_9not_fun_tINSD_8identityEEEEENSD_19counting_iterator_tIlEES8_S8_S8_S8_S8_S8_S8_S8_EEEEPS9_S9_NSD_9__find_if7functorIS9_EEEE10hipError_tPvRmT1_T2_T3_mT4_P12ihipStream_tbEUlT_E0_NS1_11comp_targetILNS1_3genE10ELNS1_11target_archE1201ELNS1_3gpuE5ELNS1_3repE0EEENS1_30default_config_static_selectorELNS0_4arch9wavefront6targetE0EEEvS14_.has_indirect_call, 0
	.section	.AMDGPU.csdata,"",@progbits
; Kernel info:
; codeLenInByte = 0
; TotalNumSgprs: 0
; NumVgprs: 0
; ScratchSize: 0
; MemoryBound: 0
; FloatMode: 240
; IeeeMode: 1
; LDSByteSize: 0 bytes/workgroup (compile time only)
; SGPRBlocks: 0
; VGPRBlocks: 0
; NumSGPRsForWavesPerEU: 1
; NumVGPRsForWavesPerEU: 1
; Occupancy: 16
; WaveLimiterHint : 0
; COMPUTE_PGM_RSRC2:SCRATCH_EN: 0
; COMPUTE_PGM_RSRC2:USER_SGPR: 6
; COMPUTE_PGM_RSRC2:TRAP_HANDLER: 0
; COMPUTE_PGM_RSRC2:TGID_X_EN: 1
; COMPUTE_PGM_RSRC2:TGID_Y_EN: 0
; COMPUTE_PGM_RSRC2:TGID_Z_EN: 0
; COMPUTE_PGM_RSRC2:TIDIG_COMP_CNT: 0
	.section	.text._ZN7rocprim17ROCPRIM_400000_NS6detail17trampoline_kernelINS0_14default_configENS1_22reduce_config_selectorIN6thrust23THRUST_200600_302600_NS5tupleIblNS6_9null_typeES8_S8_S8_S8_S8_S8_S8_EEEEZNS1_11reduce_implILb1ES3_NS6_12zip_iteratorINS7_INS6_11hip_rocprim26transform_input_iterator_tIbNSD_35transform_pair_of_input_iterators_tIbNS6_6detail15normal_iteratorINS6_10device_ptrIKiEEEESL_NS6_8equal_toIiEEEENSG_9not_fun_tINSD_8identityEEEEENSD_19counting_iterator_tIlEES8_S8_S8_S8_S8_S8_S8_S8_EEEEPS9_S9_NSD_9__find_if7functorIS9_EEEE10hipError_tPvRmT1_T2_T3_mT4_P12ihipStream_tbEUlT_E0_NS1_11comp_targetILNS1_3genE10ELNS1_11target_archE1200ELNS1_3gpuE4ELNS1_3repE0EEENS1_30default_config_static_selectorELNS0_4arch9wavefront6targetE0EEEvS14_,"axG",@progbits,_ZN7rocprim17ROCPRIM_400000_NS6detail17trampoline_kernelINS0_14default_configENS1_22reduce_config_selectorIN6thrust23THRUST_200600_302600_NS5tupleIblNS6_9null_typeES8_S8_S8_S8_S8_S8_S8_EEEEZNS1_11reduce_implILb1ES3_NS6_12zip_iteratorINS7_INS6_11hip_rocprim26transform_input_iterator_tIbNSD_35transform_pair_of_input_iterators_tIbNS6_6detail15normal_iteratorINS6_10device_ptrIKiEEEESL_NS6_8equal_toIiEEEENSG_9not_fun_tINSD_8identityEEEEENSD_19counting_iterator_tIlEES8_S8_S8_S8_S8_S8_S8_S8_EEEEPS9_S9_NSD_9__find_if7functorIS9_EEEE10hipError_tPvRmT1_T2_T3_mT4_P12ihipStream_tbEUlT_E0_NS1_11comp_targetILNS1_3genE10ELNS1_11target_archE1200ELNS1_3gpuE4ELNS1_3repE0EEENS1_30default_config_static_selectorELNS0_4arch9wavefront6targetE0EEEvS14_,comdat
	.protected	_ZN7rocprim17ROCPRIM_400000_NS6detail17trampoline_kernelINS0_14default_configENS1_22reduce_config_selectorIN6thrust23THRUST_200600_302600_NS5tupleIblNS6_9null_typeES8_S8_S8_S8_S8_S8_S8_EEEEZNS1_11reduce_implILb1ES3_NS6_12zip_iteratorINS7_INS6_11hip_rocprim26transform_input_iterator_tIbNSD_35transform_pair_of_input_iterators_tIbNS6_6detail15normal_iteratorINS6_10device_ptrIKiEEEESL_NS6_8equal_toIiEEEENSG_9not_fun_tINSD_8identityEEEEENSD_19counting_iterator_tIlEES8_S8_S8_S8_S8_S8_S8_S8_EEEEPS9_S9_NSD_9__find_if7functorIS9_EEEE10hipError_tPvRmT1_T2_T3_mT4_P12ihipStream_tbEUlT_E0_NS1_11comp_targetILNS1_3genE10ELNS1_11target_archE1200ELNS1_3gpuE4ELNS1_3repE0EEENS1_30default_config_static_selectorELNS0_4arch9wavefront6targetE0EEEvS14_ ; -- Begin function _ZN7rocprim17ROCPRIM_400000_NS6detail17trampoline_kernelINS0_14default_configENS1_22reduce_config_selectorIN6thrust23THRUST_200600_302600_NS5tupleIblNS6_9null_typeES8_S8_S8_S8_S8_S8_S8_EEEEZNS1_11reduce_implILb1ES3_NS6_12zip_iteratorINS7_INS6_11hip_rocprim26transform_input_iterator_tIbNSD_35transform_pair_of_input_iterators_tIbNS6_6detail15normal_iteratorINS6_10device_ptrIKiEEEESL_NS6_8equal_toIiEEEENSG_9not_fun_tINSD_8identityEEEEENSD_19counting_iterator_tIlEES8_S8_S8_S8_S8_S8_S8_S8_EEEEPS9_S9_NSD_9__find_if7functorIS9_EEEE10hipError_tPvRmT1_T2_T3_mT4_P12ihipStream_tbEUlT_E0_NS1_11comp_targetILNS1_3genE10ELNS1_11target_archE1200ELNS1_3gpuE4ELNS1_3repE0EEENS1_30default_config_static_selectorELNS0_4arch9wavefront6targetE0EEEvS14_
	.globl	_ZN7rocprim17ROCPRIM_400000_NS6detail17trampoline_kernelINS0_14default_configENS1_22reduce_config_selectorIN6thrust23THRUST_200600_302600_NS5tupleIblNS6_9null_typeES8_S8_S8_S8_S8_S8_S8_EEEEZNS1_11reduce_implILb1ES3_NS6_12zip_iteratorINS7_INS6_11hip_rocprim26transform_input_iterator_tIbNSD_35transform_pair_of_input_iterators_tIbNS6_6detail15normal_iteratorINS6_10device_ptrIKiEEEESL_NS6_8equal_toIiEEEENSG_9not_fun_tINSD_8identityEEEEENSD_19counting_iterator_tIlEES8_S8_S8_S8_S8_S8_S8_S8_EEEEPS9_S9_NSD_9__find_if7functorIS9_EEEE10hipError_tPvRmT1_T2_T3_mT4_P12ihipStream_tbEUlT_E0_NS1_11comp_targetILNS1_3genE10ELNS1_11target_archE1200ELNS1_3gpuE4ELNS1_3repE0EEENS1_30default_config_static_selectorELNS0_4arch9wavefront6targetE0EEEvS14_
	.p2align	8
	.type	_ZN7rocprim17ROCPRIM_400000_NS6detail17trampoline_kernelINS0_14default_configENS1_22reduce_config_selectorIN6thrust23THRUST_200600_302600_NS5tupleIblNS6_9null_typeES8_S8_S8_S8_S8_S8_S8_EEEEZNS1_11reduce_implILb1ES3_NS6_12zip_iteratorINS7_INS6_11hip_rocprim26transform_input_iterator_tIbNSD_35transform_pair_of_input_iterators_tIbNS6_6detail15normal_iteratorINS6_10device_ptrIKiEEEESL_NS6_8equal_toIiEEEENSG_9not_fun_tINSD_8identityEEEEENSD_19counting_iterator_tIlEES8_S8_S8_S8_S8_S8_S8_S8_EEEEPS9_S9_NSD_9__find_if7functorIS9_EEEE10hipError_tPvRmT1_T2_T3_mT4_P12ihipStream_tbEUlT_E0_NS1_11comp_targetILNS1_3genE10ELNS1_11target_archE1200ELNS1_3gpuE4ELNS1_3repE0EEENS1_30default_config_static_selectorELNS0_4arch9wavefront6targetE0EEEvS14_,@function
_ZN7rocprim17ROCPRIM_400000_NS6detail17trampoline_kernelINS0_14default_configENS1_22reduce_config_selectorIN6thrust23THRUST_200600_302600_NS5tupleIblNS6_9null_typeES8_S8_S8_S8_S8_S8_S8_EEEEZNS1_11reduce_implILb1ES3_NS6_12zip_iteratorINS7_INS6_11hip_rocprim26transform_input_iterator_tIbNSD_35transform_pair_of_input_iterators_tIbNS6_6detail15normal_iteratorINS6_10device_ptrIKiEEEESL_NS6_8equal_toIiEEEENSG_9not_fun_tINSD_8identityEEEEENSD_19counting_iterator_tIlEES8_S8_S8_S8_S8_S8_S8_S8_EEEEPS9_S9_NSD_9__find_if7functorIS9_EEEE10hipError_tPvRmT1_T2_T3_mT4_P12ihipStream_tbEUlT_E0_NS1_11comp_targetILNS1_3genE10ELNS1_11target_archE1200ELNS1_3gpuE4ELNS1_3repE0EEENS1_30default_config_static_selectorELNS0_4arch9wavefront6targetE0EEEvS14_: ; @_ZN7rocprim17ROCPRIM_400000_NS6detail17trampoline_kernelINS0_14default_configENS1_22reduce_config_selectorIN6thrust23THRUST_200600_302600_NS5tupleIblNS6_9null_typeES8_S8_S8_S8_S8_S8_S8_EEEEZNS1_11reduce_implILb1ES3_NS6_12zip_iteratorINS7_INS6_11hip_rocprim26transform_input_iterator_tIbNSD_35transform_pair_of_input_iterators_tIbNS6_6detail15normal_iteratorINS6_10device_ptrIKiEEEESL_NS6_8equal_toIiEEEENSG_9not_fun_tINSD_8identityEEEEENSD_19counting_iterator_tIlEES8_S8_S8_S8_S8_S8_S8_S8_EEEEPS9_S9_NSD_9__find_if7functorIS9_EEEE10hipError_tPvRmT1_T2_T3_mT4_P12ihipStream_tbEUlT_E0_NS1_11comp_targetILNS1_3genE10ELNS1_11target_archE1200ELNS1_3gpuE4ELNS1_3repE0EEENS1_30default_config_static_selectorELNS0_4arch9wavefront6targetE0EEEvS14_
; %bb.0:
	.section	.rodata,"a",@progbits
	.p2align	6, 0x0
	.amdhsa_kernel _ZN7rocprim17ROCPRIM_400000_NS6detail17trampoline_kernelINS0_14default_configENS1_22reduce_config_selectorIN6thrust23THRUST_200600_302600_NS5tupleIblNS6_9null_typeES8_S8_S8_S8_S8_S8_S8_EEEEZNS1_11reduce_implILb1ES3_NS6_12zip_iteratorINS7_INS6_11hip_rocprim26transform_input_iterator_tIbNSD_35transform_pair_of_input_iterators_tIbNS6_6detail15normal_iteratorINS6_10device_ptrIKiEEEESL_NS6_8equal_toIiEEEENSG_9not_fun_tINSD_8identityEEEEENSD_19counting_iterator_tIlEES8_S8_S8_S8_S8_S8_S8_S8_EEEEPS9_S9_NSD_9__find_if7functorIS9_EEEE10hipError_tPvRmT1_T2_T3_mT4_P12ihipStream_tbEUlT_E0_NS1_11comp_targetILNS1_3genE10ELNS1_11target_archE1200ELNS1_3gpuE4ELNS1_3repE0EEENS1_30default_config_static_selectorELNS0_4arch9wavefront6targetE0EEEvS14_
		.amdhsa_group_segment_fixed_size 0
		.amdhsa_private_segment_fixed_size 0
		.amdhsa_kernarg_size 104
		.amdhsa_user_sgpr_count 6
		.amdhsa_user_sgpr_private_segment_buffer 1
		.amdhsa_user_sgpr_dispatch_ptr 0
		.amdhsa_user_sgpr_queue_ptr 0
		.amdhsa_user_sgpr_kernarg_segment_ptr 1
		.amdhsa_user_sgpr_dispatch_id 0
		.amdhsa_user_sgpr_flat_scratch_init 0
		.amdhsa_user_sgpr_private_segment_size 0
		.amdhsa_wavefront_size32 1
		.amdhsa_uses_dynamic_stack 0
		.amdhsa_system_sgpr_private_segment_wavefront_offset 0
		.amdhsa_system_sgpr_workgroup_id_x 1
		.amdhsa_system_sgpr_workgroup_id_y 0
		.amdhsa_system_sgpr_workgroup_id_z 0
		.amdhsa_system_sgpr_workgroup_info 0
		.amdhsa_system_vgpr_workitem_id 0
		.amdhsa_next_free_vgpr 1
		.amdhsa_next_free_sgpr 1
		.amdhsa_reserve_vcc 0
		.amdhsa_reserve_flat_scratch 0
		.amdhsa_float_round_mode_32 0
		.amdhsa_float_round_mode_16_64 0
		.amdhsa_float_denorm_mode_32 3
		.amdhsa_float_denorm_mode_16_64 3
		.amdhsa_dx10_clamp 1
		.amdhsa_ieee_mode 1
		.amdhsa_fp16_overflow 0
		.amdhsa_workgroup_processor_mode 1
		.amdhsa_memory_ordered 1
		.amdhsa_forward_progress 1
		.amdhsa_shared_vgpr_count 0
		.amdhsa_exception_fp_ieee_invalid_op 0
		.amdhsa_exception_fp_denorm_src 0
		.amdhsa_exception_fp_ieee_div_zero 0
		.amdhsa_exception_fp_ieee_overflow 0
		.amdhsa_exception_fp_ieee_underflow 0
		.amdhsa_exception_fp_ieee_inexact 0
		.amdhsa_exception_int_div_zero 0
	.end_amdhsa_kernel
	.section	.text._ZN7rocprim17ROCPRIM_400000_NS6detail17trampoline_kernelINS0_14default_configENS1_22reduce_config_selectorIN6thrust23THRUST_200600_302600_NS5tupleIblNS6_9null_typeES8_S8_S8_S8_S8_S8_S8_EEEEZNS1_11reduce_implILb1ES3_NS6_12zip_iteratorINS7_INS6_11hip_rocprim26transform_input_iterator_tIbNSD_35transform_pair_of_input_iterators_tIbNS6_6detail15normal_iteratorINS6_10device_ptrIKiEEEESL_NS6_8equal_toIiEEEENSG_9not_fun_tINSD_8identityEEEEENSD_19counting_iterator_tIlEES8_S8_S8_S8_S8_S8_S8_S8_EEEEPS9_S9_NSD_9__find_if7functorIS9_EEEE10hipError_tPvRmT1_T2_T3_mT4_P12ihipStream_tbEUlT_E0_NS1_11comp_targetILNS1_3genE10ELNS1_11target_archE1200ELNS1_3gpuE4ELNS1_3repE0EEENS1_30default_config_static_selectorELNS0_4arch9wavefront6targetE0EEEvS14_,"axG",@progbits,_ZN7rocprim17ROCPRIM_400000_NS6detail17trampoline_kernelINS0_14default_configENS1_22reduce_config_selectorIN6thrust23THRUST_200600_302600_NS5tupleIblNS6_9null_typeES8_S8_S8_S8_S8_S8_S8_EEEEZNS1_11reduce_implILb1ES3_NS6_12zip_iteratorINS7_INS6_11hip_rocprim26transform_input_iterator_tIbNSD_35transform_pair_of_input_iterators_tIbNS6_6detail15normal_iteratorINS6_10device_ptrIKiEEEESL_NS6_8equal_toIiEEEENSG_9not_fun_tINSD_8identityEEEEENSD_19counting_iterator_tIlEES8_S8_S8_S8_S8_S8_S8_S8_EEEEPS9_S9_NSD_9__find_if7functorIS9_EEEE10hipError_tPvRmT1_T2_T3_mT4_P12ihipStream_tbEUlT_E0_NS1_11comp_targetILNS1_3genE10ELNS1_11target_archE1200ELNS1_3gpuE4ELNS1_3repE0EEENS1_30default_config_static_selectorELNS0_4arch9wavefront6targetE0EEEvS14_,comdat
.Lfunc_end474:
	.size	_ZN7rocprim17ROCPRIM_400000_NS6detail17trampoline_kernelINS0_14default_configENS1_22reduce_config_selectorIN6thrust23THRUST_200600_302600_NS5tupleIblNS6_9null_typeES8_S8_S8_S8_S8_S8_S8_EEEEZNS1_11reduce_implILb1ES3_NS6_12zip_iteratorINS7_INS6_11hip_rocprim26transform_input_iterator_tIbNSD_35transform_pair_of_input_iterators_tIbNS6_6detail15normal_iteratorINS6_10device_ptrIKiEEEESL_NS6_8equal_toIiEEEENSG_9not_fun_tINSD_8identityEEEEENSD_19counting_iterator_tIlEES8_S8_S8_S8_S8_S8_S8_S8_EEEEPS9_S9_NSD_9__find_if7functorIS9_EEEE10hipError_tPvRmT1_T2_T3_mT4_P12ihipStream_tbEUlT_E0_NS1_11comp_targetILNS1_3genE10ELNS1_11target_archE1200ELNS1_3gpuE4ELNS1_3repE0EEENS1_30default_config_static_selectorELNS0_4arch9wavefront6targetE0EEEvS14_, .Lfunc_end474-_ZN7rocprim17ROCPRIM_400000_NS6detail17trampoline_kernelINS0_14default_configENS1_22reduce_config_selectorIN6thrust23THRUST_200600_302600_NS5tupleIblNS6_9null_typeES8_S8_S8_S8_S8_S8_S8_EEEEZNS1_11reduce_implILb1ES3_NS6_12zip_iteratorINS7_INS6_11hip_rocprim26transform_input_iterator_tIbNSD_35transform_pair_of_input_iterators_tIbNS6_6detail15normal_iteratorINS6_10device_ptrIKiEEEESL_NS6_8equal_toIiEEEENSG_9not_fun_tINSD_8identityEEEEENSD_19counting_iterator_tIlEES8_S8_S8_S8_S8_S8_S8_S8_EEEEPS9_S9_NSD_9__find_if7functorIS9_EEEE10hipError_tPvRmT1_T2_T3_mT4_P12ihipStream_tbEUlT_E0_NS1_11comp_targetILNS1_3genE10ELNS1_11target_archE1200ELNS1_3gpuE4ELNS1_3repE0EEENS1_30default_config_static_selectorELNS0_4arch9wavefront6targetE0EEEvS14_
                                        ; -- End function
	.set _ZN7rocprim17ROCPRIM_400000_NS6detail17trampoline_kernelINS0_14default_configENS1_22reduce_config_selectorIN6thrust23THRUST_200600_302600_NS5tupleIblNS6_9null_typeES8_S8_S8_S8_S8_S8_S8_EEEEZNS1_11reduce_implILb1ES3_NS6_12zip_iteratorINS7_INS6_11hip_rocprim26transform_input_iterator_tIbNSD_35transform_pair_of_input_iterators_tIbNS6_6detail15normal_iteratorINS6_10device_ptrIKiEEEESL_NS6_8equal_toIiEEEENSG_9not_fun_tINSD_8identityEEEEENSD_19counting_iterator_tIlEES8_S8_S8_S8_S8_S8_S8_S8_EEEEPS9_S9_NSD_9__find_if7functorIS9_EEEE10hipError_tPvRmT1_T2_T3_mT4_P12ihipStream_tbEUlT_E0_NS1_11comp_targetILNS1_3genE10ELNS1_11target_archE1200ELNS1_3gpuE4ELNS1_3repE0EEENS1_30default_config_static_selectorELNS0_4arch9wavefront6targetE0EEEvS14_.num_vgpr, 0
	.set _ZN7rocprim17ROCPRIM_400000_NS6detail17trampoline_kernelINS0_14default_configENS1_22reduce_config_selectorIN6thrust23THRUST_200600_302600_NS5tupleIblNS6_9null_typeES8_S8_S8_S8_S8_S8_S8_EEEEZNS1_11reduce_implILb1ES3_NS6_12zip_iteratorINS7_INS6_11hip_rocprim26transform_input_iterator_tIbNSD_35transform_pair_of_input_iterators_tIbNS6_6detail15normal_iteratorINS6_10device_ptrIKiEEEESL_NS6_8equal_toIiEEEENSG_9not_fun_tINSD_8identityEEEEENSD_19counting_iterator_tIlEES8_S8_S8_S8_S8_S8_S8_S8_EEEEPS9_S9_NSD_9__find_if7functorIS9_EEEE10hipError_tPvRmT1_T2_T3_mT4_P12ihipStream_tbEUlT_E0_NS1_11comp_targetILNS1_3genE10ELNS1_11target_archE1200ELNS1_3gpuE4ELNS1_3repE0EEENS1_30default_config_static_selectorELNS0_4arch9wavefront6targetE0EEEvS14_.num_agpr, 0
	.set _ZN7rocprim17ROCPRIM_400000_NS6detail17trampoline_kernelINS0_14default_configENS1_22reduce_config_selectorIN6thrust23THRUST_200600_302600_NS5tupleIblNS6_9null_typeES8_S8_S8_S8_S8_S8_S8_EEEEZNS1_11reduce_implILb1ES3_NS6_12zip_iteratorINS7_INS6_11hip_rocprim26transform_input_iterator_tIbNSD_35transform_pair_of_input_iterators_tIbNS6_6detail15normal_iteratorINS6_10device_ptrIKiEEEESL_NS6_8equal_toIiEEEENSG_9not_fun_tINSD_8identityEEEEENSD_19counting_iterator_tIlEES8_S8_S8_S8_S8_S8_S8_S8_EEEEPS9_S9_NSD_9__find_if7functorIS9_EEEE10hipError_tPvRmT1_T2_T3_mT4_P12ihipStream_tbEUlT_E0_NS1_11comp_targetILNS1_3genE10ELNS1_11target_archE1200ELNS1_3gpuE4ELNS1_3repE0EEENS1_30default_config_static_selectorELNS0_4arch9wavefront6targetE0EEEvS14_.numbered_sgpr, 0
	.set _ZN7rocprim17ROCPRIM_400000_NS6detail17trampoline_kernelINS0_14default_configENS1_22reduce_config_selectorIN6thrust23THRUST_200600_302600_NS5tupleIblNS6_9null_typeES8_S8_S8_S8_S8_S8_S8_EEEEZNS1_11reduce_implILb1ES3_NS6_12zip_iteratorINS7_INS6_11hip_rocprim26transform_input_iterator_tIbNSD_35transform_pair_of_input_iterators_tIbNS6_6detail15normal_iteratorINS6_10device_ptrIKiEEEESL_NS6_8equal_toIiEEEENSG_9not_fun_tINSD_8identityEEEEENSD_19counting_iterator_tIlEES8_S8_S8_S8_S8_S8_S8_S8_EEEEPS9_S9_NSD_9__find_if7functorIS9_EEEE10hipError_tPvRmT1_T2_T3_mT4_P12ihipStream_tbEUlT_E0_NS1_11comp_targetILNS1_3genE10ELNS1_11target_archE1200ELNS1_3gpuE4ELNS1_3repE0EEENS1_30default_config_static_selectorELNS0_4arch9wavefront6targetE0EEEvS14_.num_named_barrier, 0
	.set _ZN7rocprim17ROCPRIM_400000_NS6detail17trampoline_kernelINS0_14default_configENS1_22reduce_config_selectorIN6thrust23THRUST_200600_302600_NS5tupleIblNS6_9null_typeES8_S8_S8_S8_S8_S8_S8_EEEEZNS1_11reduce_implILb1ES3_NS6_12zip_iteratorINS7_INS6_11hip_rocprim26transform_input_iterator_tIbNSD_35transform_pair_of_input_iterators_tIbNS6_6detail15normal_iteratorINS6_10device_ptrIKiEEEESL_NS6_8equal_toIiEEEENSG_9not_fun_tINSD_8identityEEEEENSD_19counting_iterator_tIlEES8_S8_S8_S8_S8_S8_S8_S8_EEEEPS9_S9_NSD_9__find_if7functorIS9_EEEE10hipError_tPvRmT1_T2_T3_mT4_P12ihipStream_tbEUlT_E0_NS1_11comp_targetILNS1_3genE10ELNS1_11target_archE1200ELNS1_3gpuE4ELNS1_3repE0EEENS1_30default_config_static_selectorELNS0_4arch9wavefront6targetE0EEEvS14_.private_seg_size, 0
	.set _ZN7rocprim17ROCPRIM_400000_NS6detail17trampoline_kernelINS0_14default_configENS1_22reduce_config_selectorIN6thrust23THRUST_200600_302600_NS5tupleIblNS6_9null_typeES8_S8_S8_S8_S8_S8_S8_EEEEZNS1_11reduce_implILb1ES3_NS6_12zip_iteratorINS7_INS6_11hip_rocprim26transform_input_iterator_tIbNSD_35transform_pair_of_input_iterators_tIbNS6_6detail15normal_iteratorINS6_10device_ptrIKiEEEESL_NS6_8equal_toIiEEEENSG_9not_fun_tINSD_8identityEEEEENSD_19counting_iterator_tIlEES8_S8_S8_S8_S8_S8_S8_S8_EEEEPS9_S9_NSD_9__find_if7functorIS9_EEEE10hipError_tPvRmT1_T2_T3_mT4_P12ihipStream_tbEUlT_E0_NS1_11comp_targetILNS1_3genE10ELNS1_11target_archE1200ELNS1_3gpuE4ELNS1_3repE0EEENS1_30default_config_static_selectorELNS0_4arch9wavefront6targetE0EEEvS14_.uses_vcc, 0
	.set _ZN7rocprim17ROCPRIM_400000_NS6detail17trampoline_kernelINS0_14default_configENS1_22reduce_config_selectorIN6thrust23THRUST_200600_302600_NS5tupleIblNS6_9null_typeES8_S8_S8_S8_S8_S8_S8_EEEEZNS1_11reduce_implILb1ES3_NS6_12zip_iteratorINS7_INS6_11hip_rocprim26transform_input_iterator_tIbNSD_35transform_pair_of_input_iterators_tIbNS6_6detail15normal_iteratorINS6_10device_ptrIKiEEEESL_NS6_8equal_toIiEEEENSG_9not_fun_tINSD_8identityEEEEENSD_19counting_iterator_tIlEES8_S8_S8_S8_S8_S8_S8_S8_EEEEPS9_S9_NSD_9__find_if7functorIS9_EEEE10hipError_tPvRmT1_T2_T3_mT4_P12ihipStream_tbEUlT_E0_NS1_11comp_targetILNS1_3genE10ELNS1_11target_archE1200ELNS1_3gpuE4ELNS1_3repE0EEENS1_30default_config_static_selectorELNS0_4arch9wavefront6targetE0EEEvS14_.uses_flat_scratch, 0
	.set _ZN7rocprim17ROCPRIM_400000_NS6detail17trampoline_kernelINS0_14default_configENS1_22reduce_config_selectorIN6thrust23THRUST_200600_302600_NS5tupleIblNS6_9null_typeES8_S8_S8_S8_S8_S8_S8_EEEEZNS1_11reduce_implILb1ES3_NS6_12zip_iteratorINS7_INS6_11hip_rocprim26transform_input_iterator_tIbNSD_35transform_pair_of_input_iterators_tIbNS6_6detail15normal_iteratorINS6_10device_ptrIKiEEEESL_NS6_8equal_toIiEEEENSG_9not_fun_tINSD_8identityEEEEENSD_19counting_iterator_tIlEES8_S8_S8_S8_S8_S8_S8_S8_EEEEPS9_S9_NSD_9__find_if7functorIS9_EEEE10hipError_tPvRmT1_T2_T3_mT4_P12ihipStream_tbEUlT_E0_NS1_11comp_targetILNS1_3genE10ELNS1_11target_archE1200ELNS1_3gpuE4ELNS1_3repE0EEENS1_30default_config_static_selectorELNS0_4arch9wavefront6targetE0EEEvS14_.has_dyn_sized_stack, 0
	.set _ZN7rocprim17ROCPRIM_400000_NS6detail17trampoline_kernelINS0_14default_configENS1_22reduce_config_selectorIN6thrust23THRUST_200600_302600_NS5tupleIblNS6_9null_typeES8_S8_S8_S8_S8_S8_S8_EEEEZNS1_11reduce_implILb1ES3_NS6_12zip_iteratorINS7_INS6_11hip_rocprim26transform_input_iterator_tIbNSD_35transform_pair_of_input_iterators_tIbNS6_6detail15normal_iteratorINS6_10device_ptrIKiEEEESL_NS6_8equal_toIiEEEENSG_9not_fun_tINSD_8identityEEEEENSD_19counting_iterator_tIlEES8_S8_S8_S8_S8_S8_S8_S8_EEEEPS9_S9_NSD_9__find_if7functorIS9_EEEE10hipError_tPvRmT1_T2_T3_mT4_P12ihipStream_tbEUlT_E0_NS1_11comp_targetILNS1_3genE10ELNS1_11target_archE1200ELNS1_3gpuE4ELNS1_3repE0EEENS1_30default_config_static_selectorELNS0_4arch9wavefront6targetE0EEEvS14_.has_recursion, 0
	.set _ZN7rocprim17ROCPRIM_400000_NS6detail17trampoline_kernelINS0_14default_configENS1_22reduce_config_selectorIN6thrust23THRUST_200600_302600_NS5tupleIblNS6_9null_typeES8_S8_S8_S8_S8_S8_S8_EEEEZNS1_11reduce_implILb1ES3_NS6_12zip_iteratorINS7_INS6_11hip_rocprim26transform_input_iterator_tIbNSD_35transform_pair_of_input_iterators_tIbNS6_6detail15normal_iteratorINS6_10device_ptrIKiEEEESL_NS6_8equal_toIiEEEENSG_9not_fun_tINSD_8identityEEEEENSD_19counting_iterator_tIlEES8_S8_S8_S8_S8_S8_S8_S8_EEEEPS9_S9_NSD_9__find_if7functorIS9_EEEE10hipError_tPvRmT1_T2_T3_mT4_P12ihipStream_tbEUlT_E0_NS1_11comp_targetILNS1_3genE10ELNS1_11target_archE1200ELNS1_3gpuE4ELNS1_3repE0EEENS1_30default_config_static_selectorELNS0_4arch9wavefront6targetE0EEEvS14_.has_indirect_call, 0
	.section	.AMDGPU.csdata,"",@progbits
; Kernel info:
; codeLenInByte = 0
; TotalNumSgprs: 0
; NumVgprs: 0
; ScratchSize: 0
; MemoryBound: 0
; FloatMode: 240
; IeeeMode: 1
; LDSByteSize: 0 bytes/workgroup (compile time only)
; SGPRBlocks: 0
; VGPRBlocks: 0
; NumSGPRsForWavesPerEU: 1
; NumVGPRsForWavesPerEU: 1
; Occupancy: 16
; WaveLimiterHint : 0
; COMPUTE_PGM_RSRC2:SCRATCH_EN: 0
; COMPUTE_PGM_RSRC2:USER_SGPR: 6
; COMPUTE_PGM_RSRC2:TRAP_HANDLER: 0
; COMPUTE_PGM_RSRC2:TGID_X_EN: 1
; COMPUTE_PGM_RSRC2:TGID_Y_EN: 0
; COMPUTE_PGM_RSRC2:TGID_Z_EN: 0
; COMPUTE_PGM_RSRC2:TIDIG_COMP_CNT: 0
	.section	.text._ZN7rocprim17ROCPRIM_400000_NS6detail17trampoline_kernelINS0_14default_configENS1_22reduce_config_selectorIN6thrust23THRUST_200600_302600_NS5tupleIblNS6_9null_typeES8_S8_S8_S8_S8_S8_S8_EEEEZNS1_11reduce_implILb1ES3_NS6_12zip_iteratorINS7_INS6_11hip_rocprim26transform_input_iterator_tIbNSD_35transform_pair_of_input_iterators_tIbNS6_6detail15normal_iteratorINS6_10device_ptrIKiEEEESL_NS6_8equal_toIiEEEENSG_9not_fun_tINSD_8identityEEEEENSD_19counting_iterator_tIlEES8_S8_S8_S8_S8_S8_S8_S8_EEEEPS9_S9_NSD_9__find_if7functorIS9_EEEE10hipError_tPvRmT1_T2_T3_mT4_P12ihipStream_tbEUlT_E0_NS1_11comp_targetILNS1_3genE9ELNS1_11target_archE1100ELNS1_3gpuE3ELNS1_3repE0EEENS1_30default_config_static_selectorELNS0_4arch9wavefront6targetE0EEEvS14_,"axG",@progbits,_ZN7rocprim17ROCPRIM_400000_NS6detail17trampoline_kernelINS0_14default_configENS1_22reduce_config_selectorIN6thrust23THRUST_200600_302600_NS5tupleIblNS6_9null_typeES8_S8_S8_S8_S8_S8_S8_EEEEZNS1_11reduce_implILb1ES3_NS6_12zip_iteratorINS7_INS6_11hip_rocprim26transform_input_iterator_tIbNSD_35transform_pair_of_input_iterators_tIbNS6_6detail15normal_iteratorINS6_10device_ptrIKiEEEESL_NS6_8equal_toIiEEEENSG_9not_fun_tINSD_8identityEEEEENSD_19counting_iterator_tIlEES8_S8_S8_S8_S8_S8_S8_S8_EEEEPS9_S9_NSD_9__find_if7functorIS9_EEEE10hipError_tPvRmT1_T2_T3_mT4_P12ihipStream_tbEUlT_E0_NS1_11comp_targetILNS1_3genE9ELNS1_11target_archE1100ELNS1_3gpuE3ELNS1_3repE0EEENS1_30default_config_static_selectorELNS0_4arch9wavefront6targetE0EEEvS14_,comdat
	.protected	_ZN7rocprim17ROCPRIM_400000_NS6detail17trampoline_kernelINS0_14default_configENS1_22reduce_config_selectorIN6thrust23THRUST_200600_302600_NS5tupleIblNS6_9null_typeES8_S8_S8_S8_S8_S8_S8_EEEEZNS1_11reduce_implILb1ES3_NS6_12zip_iteratorINS7_INS6_11hip_rocprim26transform_input_iterator_tIbNSD_35transform_pair_of_input_iterators_tIbNS6_6detail15normal_iteratorINS6_10device_ptrIKiEEEESL_NS6_8equal_toIiEEEENSG_9not_fun_tINSD_8identityEEEEENSD_19counting_iterator_tIlEES8_S8_S8_S8_S8_S8_S8_S8_EEEEPS9_S9_NSD_9__find_if7functorIS9_EEEE10hipError_tPvRmT1_T2_T3_mT4_P12ihipStream_tbEUlT_E0_NS1_11comp_targetILNS1_3genE9ELNS1_11target_archE1100ELNS1_3gpuE3ELNS1_3repE0EEENS1_30default_config_static_selectorELNS0_4arch9wavefront6targetE0EEEvS14_ ; -- Begin function _ZN7rocprim17ROCPRIM_400000_NS6detail17trampoline_kernelINS0_14default_configENS1_22reduce_config_selectorIN6thrust23THRUST_200600_302600_NS5tupleIblNS6_9null_typeES8_S8_S8_S8_S8_S8_S8_EEEEZNS1_11reduce_implILb1ES3_NS6_12zip_iteratorINS7_INS6_11hip_rocprim26transform_input_iterator_tIbNSD_35transform_pair_of_input_iterators_tIbNS6_6detail15normal_iteratorINS6_10device_ptrIKiEEEESL_NS6_8equal_toIiEEEENSG_9not_fun_tINSD_8identityEEEEENSD_19counting_iterator_tIlEES8_S8_S8_S8_S8_S8_S8_S8_EEEEPS9_S9_NSD_9__find_if7functorIS9_EEEE10hipError_tPvRmT1_T2_T3_mT4_P12ihipStream_tbEUlT_E0_NS1_11comp_targetILNS1_3genE9ELNS1_11target_archE1100ELNS1_3gpuE3ELNS1_3repE0EEENS1_30default_config_static_selectorELNS0_4arch9wavefront6targetE0EEEvS14_
	.globl	_ZN7rocprim17ROCPRIM_400000_NS6detail17trampoline_kernelINS0_14default_configENS1_22reduce_config_selectorIN6thrust23THRUST_200600_302600_NS5tupleIblNS6_9null_typeES8_S8_S8_S8_S8_S8_S8_EEEEZNS1_11reduce_implILb1ES3_NS6_12zip_iteratorINS7_INS6_11hip_rocprim26transform_input_iterator_tIbNSD_35transform_pair_of_input_iterators_tIbNS6_6detail15normal_iteratorINS6_10device_ptrIKiEEEESL_NS6_8equal_toIiEEEENSG_9not_fun_tINSD_8identityEEEEENSD_19counting_iterator_tIlEES8_S8_S8_S8_S8_S8_S8_S8_EEEEPS9_S9_NSD_9__find_if7functorIS9_EEEE10hipError_tPvRmT1_T2_T3_mT4_P12ihipStream_tbEUlT_E0_NS1_11comp_targetILNS1_3genE9ELNS1_11target_archE1100ELNS1_3gpuE3ELNS1_3repE0EEENS1_30default_config_static_selectorELNS0_4arch9wavefront6targetE0EEEvS14_
	.p2align	8
	.type	_ZN7rocprim17ROCPRIM_400000_NS6detail17trampoline_kernelINS0_14default_configENS1_22reduce_config_selectorIN6thrust23THRUST_200600_302600_NS5tupleIblNS6_9null_typeES8_S8_S8_S8_S8_S8_S8_EEEEZNS1_11reduce_implILb1ES3_NS6_12zip_iteratorINS7_INS6_11hip_rocprim26transform_input_iterator_tIbNSD_35transform_pair_of_input_iterators_tIbNS6_6detail15normal_iteratorINS6_10device_ptrIKiEEEESL_NS6_8equal_toIiEEEENSG_9not_fun_tINSD_8identityEEEEENSD_19counting_iterator_tIlEES8_S8_S8_S8_S8_S8_S8_S8_EEEEPS9_S9_NSD_9__find_if7functorIS9_EEEE10hipError_tPvRmT1_T2_T3_mT4_P12ihipStream_tbEUlT_E0_NS1_11comp_targetILNS1_3genE9ELNS1_11target_archE1100ELNS1_3gpuE3ELNS1_3repE0EEENS1_30default_config_static_selectorELNS0_4arch9wavefront6targetE0EEEvS14_,@function
_ZN7rocprim17ROCPRIM_400000_NS6detail17trampoline_kernelINS0_14default_configENS1_22reduce_config_selectorIN6thrust23THRUST_200600_302600_NS5tupleIblNS6_9null_typeES8_S8_S8_S8_S8_S8_S8_EEEEZNS1_11reduce_implILb1ES3_NS6_12zip_iteratorINS7_INS6_11hip_rocprim26transform_input_iterator_tIbNSD_35transform_pair_of_input_iterators_tIbNS6_6detail15normal_iteratorINS6_10device_ptrIKiEEEESL_NS6_8equal_toIiEEEENSG_9not_fun_tINSD_8identityEEEEENSD_19counting_iterator_tIlEES8_S8_S8_S8_S8_S8_S8_S8_EEEEPS9_S9_NSD_9__find_if7functorIS9_EEEE10hipError_tPvRmT1_T2_T3_mT4_P12ihipStream_tbEUlT_E0_NS1_11comp_targetILNS1_3genE9ELNS1_11target_archE1100ELNS1_3gpuE3ELNS1_3repE0EEENS1_30default_config_static_selectorELNS0_4arch9wavefront6targetE0EEEvS14_: ; @_ZN7rocprim17ROCPRIM_400000_NS6detail17trampoline_kernelINS0_14default_configENS1_22reduce_config_selectorIN6thrust23THRUST_200600_302600_NS5tupleIblNS6_9null_typeES8_S8_S8_S8_S8_S8_S8_EEEEZNS1_11reduce_implILb1ES3_NS6_12zip_iteratorINS7_INS6_11hip_rocprim26transform_input_iterator_tIbNSD_35transform_pair_of_input_iterators_tIbNS6_6detail15normal_iteratorINS6_10device_ptrIKiEEEESL_NS6_8equal_toIiEEEENSG_9not_fun_tINSD_8identityEEEEENSD_19counting_iterator_tIlEES8_S8_S8_S8_S8_S8_S8_S8_EEEEPS9_S9_NSD_9__find_if7functorIS9_EEEE10hipError_tPvRmT1_T2_T3_mT4_P12ihipStream_tbEUlT_E0_NS1_11comp_targetILNS1_3genE9ELNS1_11target_archE1100ELNS1_3gpuE3ELNS1_3repE0EEENS1_30default_config_static_selectorELNS0_4arch9wavefront6targetE0EEEvS14_
; %bb.0:
	.section	.rodata,"a",@progbits
	.p2align	6, 0x0
	.amdhsa_kernel _ZN7rocprim17ROCPRIM_400000_NS6detail17trampoline_kernelINS0_14default_configENS1_22reduce_config_selectorIN6thrust23THRUST_200600_302600_NS5tupleIblNS6_9null_typeES8_S8_S8_S8_S8_S8_S8_EEEEZNS1_11reduce_implILb1ES3_NS6_12zip_iteratorINS7_INS6_11hip_rocprim26transform_input_iterator_tIbNSD_35transform_pair_of_input_iterators_tIbNS6_6detail15normal_iteratorINS6_10device_ptrIKiEEEESL_NS6_8equal_toIiEEEENSG_9not_fun_tINSD_8identityEEEEENSD_19counting_iterator_tIlEES8_S8_S8_S8_S8_S8_S8_S8_EEEEPS9_S9_NSD_9__find_if7functorIS9_EEEE10hipError_tPvRmT1_T2_T3_mT4_P12ihipStream_tbEUlT_E0_NS1_11comp_targetILNS1_3genE9ELNS1_11target_archE1100ELNS1_3gpuE3ELNS1_3repE0EEENS1_30default_config_static_selectorELNS0_4arch9wavefront6targetE0EEEvS14_
		.amdhsa_group_segment_fixed_size 0
		.amdhsa_private_segment_fixed_size 0
		.amdhsa_kernarg_size 104
		.amdhsa_user_sgpr_count 6
		.amdhsa_user_sgpr_private_segment_buffer 1
		.amdhsa_user_sgpr_dispatch_ptr 0
		.amdhsa_user_sgpr_queue_ptr 0
		.amdhsa_user_sgpr_kernarg_segment_ptr 1
		.amdhsa_user_sgpr_dispatch_id 0
		.amdhsa_user_sgpr_flat_scratch_init 0
		.amdhsa_user_sgpr_private_segment_size 0
		.amdhsa_wavefront_size32 1
		.amdhsa_uses_dynamic_stack 0
		.amdhsa_system_sgpr_private_segment_wavefront_offset 0
		.amdhsa_system_sgpr_workgroup_id_x 1
		.amdhsa_system_sgpr_workgroup_id_y 0
		.amdhsa_system_sgpr_workgroup_id_z 0
		.amdhsa_system_sgpr_workgroup_info 0
		.amdhsa_system_vgpr_workitem_id 0
		.amdhsa_next_free_vgpr 1
		.amdhsa_next_free_sgpr 1
		.amdhsa_reserve_vcc 0
		.amdhsa_reserve_flat_scratch 0
		.amdhsa_float_round_mode_32 0
		.amdhsa_float_round_mode_16_64 0
		.amdhsa_float_denorm_mode_32 3
		.amdhsa_float_denorm_mode_16_64 3
		.amdhsa_dx10_clamp 1
		.amdhsa_ieee_mode 1
		.amdhsa_fp16_overflow 0
		.amdhsa_workgroup_processor_mode 1
		.amdhsa_memory_ordered 1
		.amdhsa_forward_progress 1
		.amdhsa_shared_vgpr_count 0
		.amdhsa_exception_fp_ieee_invalid_op 0
		.amdhsa_exception_fp_denorm_src 0
		.amdhsa_exception_fp_ieee_div_zero 0
		.amdhsa_exception_fp_ieee_overflow 0
		.amdhsa_exception_fp_ieee_underflow 0
		.amdhsa_exception_fp_ieee_inexact 0
		.amdhsa_exception_int_div_zero 0
	.end_amdhsa_kernel
	.section	.text._ZN7rocprim17ROCPRIM_400000_NS6detail17trampoline_kernelINS0_14default_configENS1_22reduce_config_selectorIN6thrust23THRUST_200600_302600_NS5tupleIblNS6_9null_typeES8_S8_S8_S8_S8_S8_S8_EEEEZNS1_11reduce_implILb1ES3_NS6_12zip_iteratorINS7_INS6_11hip_rocprim26transform_input_iterator_tIbNSD_35transform_pair_of_input_iterators_tIbNS6_6detail15normal_iteratorINS6_10device_ptrIKiEEEESL_NS6_8equal_toIiEEEENSG_9not_fun_tINSD_8identityEEEEENSD_19counting_iterator_tIlEES8_S8_S8_S8_S8_S8_S8_S8_EEEEPS9_S9_NSD_9__find_if7functorIS9_EEEE10hipError_tPvRmT1_T2_T3_mT4_P12ihipStream_tbEUlT_E0_NS1_11comp_targetILNS1_3genE9ELNS1_11target_archE1100ELNS1_3gpuE3ELNS1_3repE0EEENS1_30default_config_static_selectorELNS0_4arch9wavefront6targetE0EEEvS14_,"axG",@progbits,_ZN7rocprim17ROCPRIM_400000_NS6detail17trampoline_kernelINS0_14default_configENS1_22reduce_config_selectorIN6thrust23THRUST_200600_302600_NS5tupleIblNS6_9null_typeES8_S8_S8_S8_S8_S8_S8_EEEEZNS1_11reduce_implILb1ES3_NS6_12zip_iteratorINS7_INS6_11hip_rocprim26transform_input_iterator_tIbNSD_35transform_pair_of_input_iterators_tIbNS6_6detail15normal_iteratorINS6_10device_ptrIKiEEEESL_NS6_8equal_toIiEEEENSG_9not_fun_tINSD_8identityEEEEENSD_19counting_iterator_tIlEES8_S8_S8_S8_S8_S8_S8_S8_EEEEPS9_S9_NSD_9__find_if7functorIS9_EEEE10hipError_tPvRmT1_T2_T3_mT4_P12ihipStream_tbEUlT_E0_NS1_11comp_targetILNS1_3genE9ELNS1_11target_archE1100ELNS1_3gpuE3ELNS1_3repE0EEENS1_30default_config_static_selectorELNS0_4arch9wavefront6targetE0EEEvS14_,comdat
.Lfunc_end475:
	.size	_ZN7rocprim17ROCPRIM_400000_NS6detail17trampoline_kernelINS0_14default_configENS1_22reduce_config_selectorIN6thrust23THRUST_200600_302600_NS5tupleIblNS6_9null_typeES8_S8_S8_S8_S8_S8_S8_EEEEZNS1_11reduce_implILb1ES3_NS6_12zip_iteratorINS7_INS6_11hip_rocprim26transform_input_iterator_tIbNSD_35transform_pair_of_input_iterators_tIbNS6_6detail15normal_iteratorINS6_10device_ptrIKiEEEESL_NS6_8equal_toIiEEEENSG_9not_fun_tINSD_8identityEEEEENSD_19counting_iterator_tIlEES8_S8_S8_S8_S8_S8_S8_S8_EEEEPS9_S9_NSD_9__find_if7functorIS9_EEEE10hipError_tPvRmT1_T2_T3_mT4_P12ihipStream_tbEUlT_E0_NS1_11comp_targetILNS1_3genE9ELNS1_11target_archE1100ELNS1_3gpuE3ELNS1_3repE0EEENS1_30default_config_static_selectorELNS0_4arch9wavefront6targetE0EEEvS14_, .Lfunc_end475-_ZN7rocprim17ROCPRIM_400000_NS6detail17trampoline_kernelINS0_14default_configENS1_22reduce_config_selectorIN6thrust23THRUST_200600_302600_NS5tupleIblNS6_9null_typeES8_S8_S8_S8_S8_S8_S8_EEEEZNS1_11reduce_implILb1ES3_NS6_12zip_iteratorINS7_INS6_11hip_rocprim26transform_input_iterator_tIbNSD_35transform_pair_of_input_iterators_tIbNS6_6detail15normal_iteratorINS6_10device_ptrIKiEEEESL_NS6_8equal_toIiEEEENSG_9not_fun_tINSD_8identityEEEEENSD_19counting_iterator_tIlEES8_S8_S8_S8_S8_S8_S8_S8_EEEEPS9_S9_NSD_9__find_if7functorIS9_EEEE10hipError_tPvRmT1_T2_T3_mT4_P12ihipStream_tbEUlT_E0_NS1_11comp_targetILNS1_3genE9ELNS1_11target_archE1100ELNS1_3gpuE3ELNS1_3repE0EEENS1_30default_config_static_selectorELNS0_4arch9wavefront6targetE0EEEvS14_
                                        ; -- End function
	.set _ZN7rocprim17ROCPRIM_400000_NS6detail17trampoline_kernelINS0_14default_configENS1_22reduce_config_selectorIN6thrust23THRUST_200600_302600_NS5tupleIblNS6_9null_typeES8_S8_S8_S8_S8_S8_S8_EEEEZNS1_11reduce_implILb1ES3_NS6_12zip_iteratorINS7_INS6_11hip_rocprim26transform_input_iterator_tIbNSD_35transform_pair_of_input_iterators_tIbNS6_6detail15normal_iteratorINS6_10device_ptrIKiEEEESL_NS6_8equal_toIiEEEENSG_9not_fun_tINSD_8identityEEEEENSD_19counting_iterator_tIlEES8_S8_S8_S8_S8_S8_S8_S8_EEEEPS9_S9_NSD_9__find_if7functorIS9_EEEE10hipError_tPvRmT1_T2_T3_mT4_P12ihipStream_tbEUlT_E0_NS1_11comp_targetILNS1_3genE9ELNS1_11target_archE1100ELNS1_3gpuE3ELNS1_3repE0EEENS1_30default_config_static_selectorELNS0_4arch9wavefront6targetE0EEEvS14_.num_vgpr, 0
	.set _ZN7rocprim17ROCPRIM_400000_NS6detail17trampoline_kernelINS0_14default_configENS1_22reduce_config_selectorIN6thrust23THRUST_200600_302600_NS5tupleIblNS6_9null_typeES8_S8_S8_S8_S8_S8_S8_EEEEZNS1_11reduce_implILb1ES3_NS6_12zip_iteratorINS7_INS6_11hip_rocprim26transform_input_iterator_tIbNSD_35transform_pair_of_input_iterators_tIbNS6_6detail15normal_iteratorINS6_10device_ptrIKiEEEESL_NS6_8equal_toIiEEEENSG_9not_fun_tINSD_8identityEEEEENSD_19counting_iterator_tIlEES8_S8_S8_S8_S8_S8_S8_S8_EEEEPS9_S9_NSD_9__find_if7functorIS9_EEEE10hipError_tPvRmT1_T2_T3_mT4_P12ihipStream_tbEUlT_E0_NS1_11comp_targetILNS1_3genE9ELNS1_11target_archE1100ELNS1_3gpuE3ELNS1_3repE0EEENS1_30default_config_static_selectorELNS0_4arch9wavefront6targetE0EEEvS14_.num_agpr, 0
	.set _ZN7rocprim17ROCPRIM_400000_NS6detail17trampoline_kernelINS0_14default_configENS1_22reduce_config_selectorIN6thrust23THRUST_200600_302600_NS5tupleIblNS6_9null_typeES8_S8_S8_S8_S8_S8_S8_EEEEZNS1_11reduce_implILb1ES3_NS6_12zip_iteratorINS7_INS6_11hip_rocprim26transform_input_iterator_tIbNSD_35transform_pair_of_input_iterators_tIbNS6_6detail15normal_iteratorINS6_10device_ptrIKiEEEESL_NS6_8equal_toIiEEEENSG_9not_fun_tINSD_8identityEEEEENSD_19counting_iterator_tIlEES8_S8_S8_S8_S8_S8_S8_S8_EEEEPS9_S9_NSD_9__find_if7functorIS9_EEEE10hipError_tPvRmT1_T2_T3_mT4_P12ihipStream_tbEUlT_E0_NS1_11comp_targetILNS1_3genE9ELNS1_11target_archE1100ELNS1_3gpuE3ELNS1_3repE0EEENS1_30default_config_static_selectorELNS0_4arch9wavefront6targetE0EEEvS14_.numbered_sgpr, 0
	.set _ZN7rocprim17ROCPRIM_400000_NS6detail17trampoline_kernelINS0_14default_configENS1_22reduce_config_selectorIN6thrust23THRUST_200600_302600_NS5tupleIblNS6_9null_typeES8_S8_S8_S8_S8_S8_S8_EEEEZNS1_11reduce_implILb1ES3_NS6_12zip_iteratorINS7_INS6_11hip_rocprim26transform_input_iterator_tIbNSD_35transform_pair_of_input_iterators_tIbNS6_6detail15normal_iteratorINS6_10device_ptrIKiEEEESL_NS6_8equal_toIiEEEENSG_9not_fun_tINSD_8identityEEEEENSD_19counting_iterator_tIlEES8_S8_S8_S8_S8_S8_S8_S8_EEEEPS9_S9_NSD_9__find_if7functorIS9_EEEE10hipError_tPvRmT1_T2_T3_mT4_P12ihipStream_tbEUlT_E0_NS1_11comp_targetILNS1_3genE9ELNS1_11target_archE1100ELNS1_3gpuE3ELNS1_3repE0EEENS1_30default_config_static_selectorELNS0_4arch9wavefront6targetE0EEEvS14_.num_named_barrier, 0
	.set _ZN7rocprim17ROCPRIM_400000_NS6detail17trampoline_kernelINS0_14default_configENS1_22reduce_config_selectorIN6thrust23THRUST_200600_302600_NS5tupleIblNS6_9null_typeES8_S8_S8_S8_S8_S8_S8_EEEEZNS1_11reduce_implILb1ES3_NS6_12zip_iteratorINS7_INS6_11hip_rocprim26transform_input_iterator_tIbNSD_35transform_pair_of_input_iterators_tIbNS6_6detail15normal_iteratorINS6_10device_ptrIKiEEEESL_NS6_8equal_toIiEEEENSG_9not_fun_tINSD_8identityEEEEENSD_19counting_iterator_tIlEES8_S8_S8_S8_S8_S8_S8_S8_EEEEPS9_S9_NSD_9__find_if7functorIS9_EEEE10hipError_tPvRmT1_T2_T3_mT4_P12ihipStream_tbEUlT_E0_NS1_11comp_targetILNS1_3genE9ELNS1_11target_archE1100ELNS1_3gpuE3ELNS1_3repE0EEENS1_30default_config_static_selectorELNS0_4arch9wavefront6targetE0EEEvS14_.private_seg_size, 0
	.set _ZN7rocprim17ROCPRIM_400000_NS6detail17trampoline_kernelINS0_14default_configENS1_22reduce_config_selectorIN6thrust23THRUST_200600_302600_NS5tupleIblNS6_9null_typeES8_S8_S8_S8_S8_S8_S8_EEEEZNS1_11reduce_implILb1ES3_NS6_12zip_iteratorINS7_INS6_11hip_rocprim26transform_input_iterator_tIbNSD_35transform_pair_of_input_iterators_tIbNS6_6detail15normal_iteratorINS6_10device_ptrIKiEEEESL_NS6_8equal_toIiEEEENSG_9not_fun_tINSD_8identityEEEEENSD_19counting_iterator_tIlEES8_S8_S8_S8_S8_S8_S8_S8_EEEEPS9_S9_NSD_9__find_if7functorIS9_EEEE10hipError_tPvRmT1_T2_T3_mT4_P12ihipStream_tbEUlT_E0_NS1_11comp_targetILNS1_3genE9ELNS1_11target_archE1100ELNS1_3gpuE3ELNS1_3repE0EEENS1_30default_config_static_selectorELNS0_4arch9wavefront6targetE0EEEvS14_.uses_vcc, 0
	.set _ZN7rocprim17ROCPRIM_400000_NS6detail17trampoline_kernelINS0_14default_configENS1_22reduce_config_selectorIN6thrust23THRUST_200600_302600_NS5tupleIblNS6_9null_typeES8_S8_S8_S8_S8_S8_S8_EEEEZNS1_11reduce_implILb1ES3_NS6_12zip_iteratorINS7_INS6_11hip_rocprim26transform_input_iterator_tIbNSD_35transform_pair_of_input_iterators_tIbNS6_6detail15normal_iteratorINS6_10device_ptrIKiEEEESL_NS6_8equal_toIiEEEENSG_9not_fun_tINSD_8identityEEEEENSD_19counting_iterator_tIlEES8_S8_S8_S8_S8_S8_S8_S8_EEEEPS9_S9_NSD_9__find_if7functorIS9_EEEE10hipError_tPvRmT1_T2_T3_mT4_P12ihipStream_tbEUlT_E0_NS1_11comp_targetILNS1_3genE9ELNS1_11target_archE1100ELNS1_3gpuE3ELNS1_3repE0EEENS1_30default_config_static_selectorELNS0_4arch9wavefront6targetE0EEEvS14_.uses_flat_scratch, 0
	.set _ZN7rocprim17ROCPRIM_400000_NS6detail17trampoline_kernelINS0_14default_configENS1_22reduce_config_selectorIN6thrust23THRUST_200600_302600_NS5tupleIblNS6_9null_typeES8_S8_S8_S8_S8_S8_S8_EEEEZNS1_11reduce_implILb1ES3_NS6_12zip_iteratorINS7_INS6_11hip_rocprim26transform_input_iterator_tIbNSD_35transform_pair_of_input_iterators_tIbNS6_6detail15normal_iteratorINS6_10device_ptrIKiEEEESL_NS6_8equal_toIiEEEENSG_9not_fun_tINSD_8identityEEEEENSD_19counting_iterator_tIlEES8_S8_S8_S8_S8_S8_S8_S8_EEEEPS9_S9_NSD_9__find_if7functorIS9_EEEE10hipError_tPvRmT1_T2_T3_mT4_P12ihipStream_tbEUlT_E0_NS1_11comp_targetILNS1_3genE9ELNS1_11target_archE1100ELNS1_3gpuE3ELNS1_3repE0EEENS1_30default_config_static_selectorELNS0_4arch9wavefront6targetE0EEEvS14_.has_dyn_sized_stack, 0
	.set _ZN7rocprim17ROCPRIM_400000_NS6detail17trampoline_kernelINS0_14default_configENS1_22reduce_config_selectorIN6thrust23THRUST_200600_302600_NS5tupleIblNS6_9null_typeES8_S8_S8_S8_S8_S8_S8_EEEEZNS1_11reduce_implILb1ES3_NS6_12zip_iteratorINS7_INS6_11hip_rocprim26transform_input_iterator_tIbNSD_35transform_pair_of_input_iterators_tIbNS6_6detail15normal_iteratorINS6_10device_ptrIKiEEEESL_NS6_8equal_toIiEEEENSG_9not_fun_tINSD_8identityEEEEENSD_19counting_iterator_tIlEES8_S8_S8_S8_S8_S8_S8_S8_EEEEPS9_S9_NSD_9__find_if7functorIS9_EEEE10hipError_tPvRmT1_T2_T3_mT4_P12ihipStream_tbEUlT_E0_NS1_11comp_targetILNS1_3genE9ELNS1_11target_archE1100ELNS1_3gpuE3ELNS1_3repE0EEENS1_30default_config_static_selectorELNS0_4arch9wavefront6targetE0EEEvS14_.has_recursion, 0
	.set _ZN7rocprim17ROCPRIM_400000_NS6detail17trampoline_kernelINS0_14default_configENS1_22reduce_config_selectorIN6thrust23THRUST_200600_302600_NS5tupleIblNS6_9null_typeES8_S8_S8_S8_S8_S8_S8_EEEEZNS1_11reduce_implILb1ES3_NS6_12zip_iteratorINS7_INS6_11hip_rocprim26transform_input_iterator_tIbNSD_35transform_pair_of_input_iterators_tIbNS6_6detail15normal_iteratorINS6_10device_ptrIKiEEEESL_NS6_8equal_toIiEEEENSG_9not_fun_tINSD_8identityEEEEENSD_19counting_iterator_tIlEES8_S8_S8_S8_S8_S8_S8_S8_EEEEPS9_S9_NSD_9__find_if7functorIS9_EEEE10hipError_tPvRmT1_T2_T3_mT4_P12ihipStream_tbEUlT_E0_NS1_11comp_targetILNS1_3genE9ELNS1_11target_archE1100ELNS1_3gpuE3ELNS1_3repE0EEENS1_30default_config_static_selectorELNS0_4arch9wavefront6targetE0EEEvS14_.has_indirect_call, 0
	.section	.AMDGPU.csdata,"",@progbits
; Kernel info:
; codeLenInByte = 0
; TotalNumSgprs: 0
; NumVgprs: 0
; ScratchSize: 0
; MemoryBound: 0
; FloatMode: 240
; IeeeMode: 1
; LDSByteSize: 0 bytes/workgroup (compile time only)
; SGPRBlocks: 0
; VGPRBlocks: 0
; NumSGPRsForWavesPerEU: 1
; NumVGPRsForWavesPerEU: 1
; Occupancy: 16
; WaveLimiterHint : 0
; COMPUTE_PGM_RSRC2:SCRATCH_EN: 0
; COMPUTE_PGM_RSRC2:USER_SGPR: 6
; COMPUTE_PGM_RSRC2:TRAP_HANDLER: 0
; COMPUTE_PGM_RSRC2:TGID_X_EN: 1
; COMPUTE_PGM_RSRC2:TGID_Y_EN: 0
; COMPUTE_PGM_RSRC2:TGID_Z_EN: 0
; COMPUTE_PGM_RSRC2:TIDIG_COMP_CNT: 0
	.section	.text._ZN7rocprim17ROCPRIM_400000_NS6detail17trampoline_kernelINS0_14default_configENS1_22reduce_config_selectorIN6thrust23THRUST_200600_302600_NS5tupleIblNS6_9null_typeES8_S8_S8_S8_S8_S8_S8_EEEEZNS1_11reduce_implILb1ES3_NS6_12zip_iteratorINS7_INS6_11hip_rocprim26transform_input_iterator_tIbNSD_35transform_pair_of_input_iterators_tIbNS6_6detail15normal_iteratorINS6_10device_ptrIKiEEEESL_NS6_8equal_toIiEEEENSG_9not_fun_tINSD_8identityEEEEENSD_19counting_iterator_tIlEES8_S8_S8_S8_S8_S8_S8_S8_EEEEPS9_S9_NSD_9__find_if7functorIS9_EEEE10hipError_tPvRmT1_T2_T3_mT4_P12ihipStream_tbEUlT_E0_NS1_11comp_targetILNS1_3genE8ELNS1_11target_archE1030ELNS1_3gpuE2ELNS1_3repE0EEENS1_30default_config_static_selectorELNS0_4arch9wavefront6targetE0EEEvS14_,"axG",@progbits,_ZN7rocprim17ROCPRIM_400000_NS6detail17trampoline_kernelINS0_14default_configENS1_22reduce_config_selectorIN6thrust23THRUST_200600_302600_NS5tupleIblNS6_9null_typeES8_S8_S8_S8_S8_S8_S8_EEEEZNS1_11reduce_implILb1ES3_NS6_12zip_iteratorINS7_INS6_11hip_rocprim26transform_input_iterator_tIbNSD_35transform_pair_of_input_iterators_tIbNS6_6detail15normal_iteratorINS6_10device_ptrIKiEEEESL_NS6_8equal_toIiEEEENSG_9not_fun_tINSD_8identityEEEEENSD_19counting_iterator_tIlEES8_S8_S8_S8_S8_S8_S8_S8_EEEEPS9_S9_NSD_9__find_if7functorIS9_EEEE10hipError_tPvRmT1_T2_T3_mT4_P12ihipStream_tbEUlT_E0_NS1_11comp_targetILNS1_3genE8ELNS1_11target_archE1030ELNS1_3gpuE2ELNS1_3repE0EEENS1_30default_config_static_selectorELNS0_4arch9wavefront6targetE0EEEvS14_,comdat
	.protected	_ZN7rocprim17ROCPRIM_400000_NS6detail17trampoline_kernelINS0_14default_configENS1_22reduce_config_selectorIN6thrust23THRUST_200600_302600_NS5tupleIblNS6_9null_typeES8_S8_S8_S8_S8_S8_S8_EEEEZNS1_11reduce_implILb1ES3_NS6_12zip_iteratorINS7_INS6_11hip_rocprim26transform_input_iterator_tIbNSD_35transform_pair_of_input_iterators_tIbNS6_6detail15normal_iteratorINS6_10device_ptrIKiEEEESL_NS6_8equal_toIiEEEENSG_9not_fun_tINSD_8identityEEEEENSD_19counting_iterator_tIlEES8_S8_S8_S8_S8_S8_S8_S8_EEEEPS9_S9_NSD_9__find_if7functorIS9_EEEE10hipError_tPvRmT1_T2_T3_mT4_P12ihipStream_tbEUlT_E0_NS1_11comp_targetILNS1_3genE8ELNS1_11target_archE1030ELNS1_3gpuE2ELNS1_3repE0EEENS1_30default_config_static_selectorELNS0_4arch9wavefront6targetE0EEEvS14_ ; -- Begin function _ZN7rocprim17ROCPRIM_400000_NS6detail17trampoline_kernelINS0_14default_configENS1_22reduce_config_selectorIN6thrust23THRUST_200600_302600_NS5tupleIblNS6_9null_typeES8_S8_S8_S8_S8_S8_S8_EEEEZNS1_11reduce_implILb1ES3_NS6_12zip_iteratorINS7_INS6_11hip_rocprim26transform_input_iterator_tIbNSD_35transform_pair_of_input_iterators_tIbNS6_6detail15normal_iteratorINS6_10device_ptrIKiEEEESL_NS6_8equal_toIiEEEENSG_9not_fun_tINSD_8identityEEEEENSD_19counting_iterator_tIlEES8_S8_S8_S8_S8_S8_S8_S8_EEEEPS9_S9_NSD_9__find_if7functorIS9_EEEE10hipError_tPvRmT1_T2_T3_mT4_P12ihipStream_tbEUlT_E0_NS1_11comp_targetILNS1_3genE8ELNS1_11target_archE1030ELNS1_3gpuE2ELNS1_3repE0EEENS1_30default_config_static_selectorELNS0_4arch9wavefront6targetE0EEEvS14_
	.globl	_ZN7rocprim17ROCPRIM_400000_NS6detail17trampoline_kernelINS0_14default_configENS1_22reduce_config_selectorIN6thrust23THRUST_200600_302600_NS5tupleIblNS6_9null_typeES8_S8_S8_S8_S8_S8_S8_EEEEZNS1_11reduce_implILb1ES3_NS6_12zip_iteratorINS7_INS6_11hip_rocprim26transform_input_iterator_tIbNSD_35transform_pair_of_input_iterators_tIbNS6_6detail15normal_iteratorINS6_10device_ptrIKiEEEESL_NS6_8equal_toIiEEEENSG_9not_fun_tINSD_8identityEEEEENSD_19counting_iterator_tIlEES8_S8_S8_S8_S8_S8_S8_S8_EEEEPS9_S9_NSD_9__find_if7functorIS9_EEEE10hipError_tPvRmT1_T2_T3_mT4_P12ihipStream_tbEUlT_E0_NS1_11comp_targetILNS1_3genE8ELNS1_11target_archE1030ELNS1_3gpuE2ELNS1_3repE0EEENS1_30default_config_static_selectorELNS0_4arch9wavefront6targetE0EEEvS14_
	.p2align	8
	.type	_ZN7rocprim17ROCPRIM_400000_NS6detail17trampoline_kernelINS0_14default_configENS1_22reduce_config_selectorIN6thrust23THRUST_200600_302600_NS5tupleIblNS6_9null_typeES8_S8_S8_S8_S8_S8_S8_EEEEZNS1_11reduce_implILb1ES3_NS6_12zip_iteratorINS7_INS6_11hip_rocprim26transform_input_iterator_tIbNSD_35transform_pair_of_input_iterators_tIbNS6_6detail15normal_iteratorINS6_10device_ptrIKiEEEESL_NS6_8equal_toIiEEEENSG_9not_fun_tINSD_8identityEEEEENSD_19counting_iterator_tIlEES8_S8_S8_S8_S8_S8_S8_S8_EEEEPS9_S9_NSD_9__find_if7functorIS9_EEEE10hipError_tPvRmT1_T2_T3_mT4_P12ihipStream_tbEUlT_E0_NS1_11comp_targetILNS1_3genE8ELNS1_11target_archE1030ELNS1_3gpuE2ELNS1_3repE0EEENS1_30default_config_static_selectorELNS0_4arch9wavefront6targetE0EEEvS14_,@function
_ZN7rocprim17ROCPRIM_400000_NS6detail17trampoline_kernelINS0_14default_configENS1_22reduce_config_selectorIN6thrust23THRUST_200600_302600_NS5tupleIblNS6_9null_typeES8_S8_S8_S8_S8_S8_S8_EEEEZNS1_11reduce_implILb1ES3_NS6_12zip_iteratorINS7_INS6_11hip_rocprim26transform_input_iterator_tIbNSD_35transform_pair_of_input_iterators_tIbNS6_6detail15normal_iteratorINS6_10device_ptrIKiEEEESL_NS6_8equal_toIiEEEENSG_9not_fun_tINSD_8identityEEEEENSD_19counting_iterator_tIlEES8_S8_S8_S8_S8_S8_S8_S8_EEEEPS9_S9_NSD_9__find_if7functorIS9_EEEE10hipError_tPvRmT1_T2_T3_mT4_P12ihipStream_tbEUlT_E0_NS1_11comp_targetILNS1_3genE8ELNS1_11target_archE1030ELNS1_3gpuE2ELNS1_3repE0EEENS1_30default_config_static_selectorELNS0_4arch9wavefront6targetE0EEEvS14_: ; @_ZN7rocprim17ROCPRIM_400000_NS6detail17trampoline_kernelINS0_14default_configENS1_22reduce_config_selectorIN6thrust23THRUST_200600_302600_NS5tupleIblNS6_9null_typeES8_S8_S8_S8_S8_S8_S8_EEEEZNS1_11reduce_implILb1ES3_NS6_12zip_iteratorINS7_INS6_11hip_rocprim26transform_input_iterator_tIbNSD_35transform_pair_of_input_iterators_tIbNS6_6detail15normal_iteratorINS6_10device_ptrIKiEEEESL_NS6_8equal_toIiEEEENSG_9not_fun_tINSD_8identityEEEEENSD_19counting_iterator_tIlEES8_S8_S8_S8_S8_S8_S8_S8_EEEEPS9_S9_NSD_9__find_if7functorIS9_EEEE10hipError_tPvRmT1_T2_T3_mT4_P12ihipStream_tbEUlT_E0_NS1_11comp_targetILNS1_3genE8ELNS1_11target_archE1030ELNS1_3gpuE2ELNS1_3repE0EEENS1_30default_config_static_selectorELNS0_4arch9wavefront6targetE0EEEvS14_
; %bb.0:
	s_clause 0x2
	s_load_dwordx8 s[8:15], s[4:5], 0x20
	s_load_dwordx4 s[0:3], s[4:5], 0x0
	s_load_dwordx4 s[16:19], s[4:5], 0x40
	s_mov_b32 s23, 0
	v_lshlrev_b32_e32 v9, 2, v0
	v_mbcnt_lo_u32_b32 v7, -1, 0
	s_mov_b32 s7, s23
	s_waitcnt lgkmcnt(0)
	s_lshl_b64 s[20:21], s[10:11], 2
	s_add_u32 s26, s0, s20
	s_addc_u32 s27, s1, s21
	s_add_u32 s20, s2, s20
	s_addc_u32 s21, s3, s21
	s_lshl_b32 s22, s6, 9
	s_lshr_b64 s[24:25], s[12:13], 9
	s_lshl_b64 s[0:1], s[22:23], 2
	s_add_u32 s2, s26, s0
	s_addc_u32 s3, s27, s1
	s_add_u32 s20, s20, s0
	s_addc_u32 s21, s21, s1
	;; [unrolled: 2-line block ×4, first 2 shown]
	s_cmp_lg_u64 s[24:25], s[6:7]
	s_cbranch_scc0 .LBB476_18
; %bb.1:
	s_clause 0x3
	global_load_dword v1, v9, s[2:3]
	global_load_dword v2, v9, s[20:21]
	global_load_dword v3, v9, s[20:21] offset:1024
	global_load_dword v4, v9, s[2:3] offset:1024
	v_add_co_u32 v5, s0, s10, v0
	v_add_co_ci_u32_e64 v6, null, s11, 0, s0
	v_add_co_u32 v8, vcc_lo, 0x100, v5
	v_add_co_ci_u32_e64 v10, null, 0, v6, vcc_lo
	s_waitcnt vmcnt(2)
	v_cmp_ne_u32_e32 vcc_lo, v1, v2
	s_waitcnt vmcnt(0)
	v_cmp_ne_u32_e64 s0, v4, v3
	v_cndmask_b32_e32 v2, v10, v6, vcc_lo
	v_cndmask_b32_e32 v1, v8, v5, vcc_lo
	s_or_b32 s0, vcc_lo, s0
	v_cndmask_b32_e64 v5, 0, 1, s0
	v_mov_b32_dpp v4, v2 quad_perm:[1,0,3,2] row_mask:0xf bank_mask:0xf
	v_mov_b32_dpp v3, v1 quad_perm:[1,0,3,2] row_mask:0xf bank_mask:0xf
	;; [unrolled: 1-line block ×3, first 2 shown]
	v_cmp_lt_i64_e32 vcc_lo, v[1:2], v[3:4]
	v_and_b32_e32 v6, 1, v6
	s_and_b32 vcc_lo, s0, vcc_lo
	v_cndmask_b32_e32 v3, v3, v1, vcc_lo
	v_cndmask_b32_e32 v4, v4, v2, vcc_lo
	v_cmp_eq_u32_e32 vcc_lo, 1, v6
	v_cndmask_b32_e32 v2, v2, v4, vcc_lo
	v_cndmask_b32_e32 v1, v1, v3, vcc_lo
	v_cndmask_b32_e64 v5, v5, 1, vcc_lo
	v_mov_b32_dpp v4, v2 quad_perm:[2,3,0,1] row_mask:0xf bank_mask:0xf
	v_mov_b32_dpp v3, v1 quad_perm:[2,3,0,1] row_mask:0xf bank_mask:0xf
	v_and_b32_e32 v8, 1, v5
	v_mov_b32_dpp v6, v5 quad_perm:[2,3,0,1] row_mask:0xf bank_mask:0xf
	v_cmp_lt_i64_e32 vcc_lo, v[1:2], v[3:4]
	v_cmp_eq_u32_e64 s0, 1, v8
	v_and_b32_e32 v6, 1, v6
	s_and_b32 vcc_lo, s0, vcc_lo
	v_cmp_eq_u32_e64 s1, 1, v6
	v_cndmask_b32_e32 v3, v3, v1, vcc_lo
	v_cndmask_b32_e32 v4, v4, v2, vcc_lo
	v_cndmask_b32_e64 v5, v5, 1, s1
	v_cndmask_b32_e64 v1, v1, v3, s1
	v_cndmask_b32_e64 v2, v2, v4, s1
	v_and_b32_e32 v8, 1, v5
	v_mov_b32_dpp v3, v1 row_ror:4 row_mask:0xf bank_mask:0xf
	v_mov_b32_dpp v4, v2 row_ror:4 row_mask:0xf bank_mask:0xf
	v_mov_b32_dpp v6, v5 row_ror:4 row_mask:0xf bank_mask:0xf
	v_cmp_eq_u32_e64 s0, 1, v8
	v_cmp_lt_i64_e32 vcc_lo, v[1:2], v[3:4]
	v_and_b32_e32 v6, 1, v6
	s_and_b32 vcc_lo, s0, vcc_lo
	v_cmp_eq_u32_e64 s1, 1, v6
	v_cndmask_b32_e32 v3, v3, v1, vcc_lo
	v_cndmask_b32_e32 v4, v4, v2, vcc_lo
	v_cndmask_b32_e64 v5, v5, 1, s1
	v_cndmask_b32_e64 v1, v1, v3, s1
	;; [unrolled: 1-line block ×3, first 2 shown]
	v_and_b32_e32 v8, 1, v5
	v_mov_b32_dpp v3, v1 row_ror:8 row_mask:0xf bank_mask:0xf
	v_mov_b32_dpp v4, v2 row_ror:8 row_mask:0xf bank_mask:0xf
	;; [unrolled: 1-line block ×3, first 2 shown]
	v_cmp_eq_u32_e64 s0, 1, v8
	v_cmp_lt_i64_e32 vcc_lo, v[1:2], v[3:4]
	v_and_b32_e32 v6, 1, v6
	s_and_b32 vcc_lo, s0, vcc_lo
	v_cmp_eq_u32_e64 s1, 1, v6
	v_cndmask_b32_e32 v3, v3, v1, vcc_lo
	v_cndmask_b32_e32 v4, v4, v2, vcc_lo
	v_cndmask_b32_e64 v5, v5, 1, s1
	v_cndmask_b32_e64 v1, v1, v3, s1
	;; [unrolled: 1-line block ×3, first 2 shown]
	ds_swizzle_b32 v6, v5 offset:swizzle(BROADCAST,32,15)
	ds_swizzle_b32 v3, v1 offset:swizzle(BROADCAST,32,15)
	;; [unrolled: 1-line block ×3, first 2 shown]
	v_and_b32_e32 v8, 1, v5
	v_cmp_eq_u32_e64 s0, 1, v8
	s_waitcnt lgkmcnt(2)
	v_and_b32_e32 v6, 1, v6
	s_waitcnt lgkmcnt(0)
	v_cmp_lt_i64_e32 vcc_lo, v[1:2], v[3:4]
	v_cmp_eq_u32_e64 s1, 1, v6
	v_mov_b32_e32 v6, 0
	s_and_b32 vcc_lo, s0, vcc_lo
	s_mov_b32 s0, exec_lo
	v_cndmask_b32_e32 v3, v3, v1, vcc_lo
	v_cndmask_b32_e32 v4, v4, v2, vcc_lo
	v_cndmask_b32_e64 v5, v5, 1, s1
	v_cndmask_b32_e64 v1, v1, v3, s1
	;; [unrolled: 1-line block ×3, first 2 shown]
	ds_bpermute_b32 v8, v6, v5 offset:124
	ds_bpermute_b32 v1, v6, v1 offset:124
	;; [unrolled: 1-line block ×3, first 2 shown]
	v_cmpx_eq_u32_e32 0, v7
	s_cbranch_execz .LBB476_3
; %bb.2:
	v_lshrrev_b32_e32 v3, 1, v0
	v_and_b32_e32 v3, 0x70, v3
	s_waitcnt lgkmcnt(2)
	ds_write_b8 v3, v8
	s_waitcnt lgkmcnt(1)
	ds_write_b64 v3, v[1:2] offset:8
.LBB476_3:
	s_or_b32 exec_lo, exec_lo, s0
	s_mov_b32 s0, exec_lo
	s_waitcnt lgkmcnt(0)
	s_barrier
	buffer_gl0_inv
	v_cmpx_gt_u32_e32 32, v0
	s_cbranch_execz .LBB476_17
; %bb.4:
	v_and_b32_e32 v8, 7, v7
	v_lshlrev_b32_e32 v1, 4, v8
	v_cmp_ne_u32_e32 vcc_lo, 7, v8
	ds_read_u8 v11, v1
	ds_read_b64 v[3:4], v1 offset:8
	v_add_co_ci_u32_e64 v2, null, 0, v7, vcc_lo
	v_lshlrev_b32_e32 v2, 2, v2
	s_waitcnt lgkmcnt(1)
	v_and_b32_e32 v1, 0xff, v11
	s_waitcnt lgkmcnt(0)
	ds_bpermute_b32 v5, v2, v3
	ds_bpermute_b32 v6, v2, v4
	;; [unrolled: 1-line block ×3, first 2 shown]
	s_waitcnt lgkmcnt(0)
	v_and_b32_e32 v1, v11, v12
	v_and_b32_e32 v1, 1, v1
	v_cmp_eq_u32_e32 vcc_lo, 1, v1
                                        ; implicit-def: $vgpr1_vgpr2
	s_and_saveexec_b32 s1, vcc_lo
	s_xor_b32 s1, exec_lo, s1
; %bb.5:
	v_cmp_lt_i64_e32 vcc_lo, v[5:6], v[3:4]
                                        ; implicit-def: $vgpr11
                                        ; implicit-def: $vgpr12
	v_cndmask_b32_e32 v2, v4, v6, vcc_lo
	v_cndmask_b32_e32 v1, v3, v5, vcc_lo
                                        ; implicit-def: $vgpr5_vgpr6
                                        ; implicit-def: $vgpr3_vgpr4
; %bb.6:
	s_or_saveexec_b32 s1, s1
	v_mov_b32_e32 v10, 1
	s_xor_b32 exec_lo, exec_lo, s1
; %bb.7:
	v_and_b32_e32 v1, 1, v11
	v_and_b32_e32 v10, 0xff, v12
	v_cmp_eq_u32_e32 vcc_lo, 1, v1
	v_cndmask_b32_e32 v2, v6, v4, vcc_lo
	v_cndmask_b32_e32 v1, v5, v3, vcc_lo
	v_cndmask_b32_e64 v10, v10, 1, vcc_lo
; %bb.8:
	s_or_b32 exec_lo, exec_lo, s1
	v_cmp_gt_u32_e32 vcc_lo, 6, v8
	v_cndmask_b32_e64 v3, 0, 2, vcc_lo
	v_add_lshl_u32 v3, v3, v7, 2
	ds_bpermute_b32 v8, v3, v10
	ds_bpermute_b32 v5, v3, v1
	;; [unrolled: 1-line block ×3, first 2 shown]
	s_waitcnt lgkmcnt(2)
	v_and_b32_e32 v3, v10, v8
	v_and_b32_e32 v3, 1, v3
	v_cmp_eq_u32_e32 vcc_lo, 1, v3
                                        ; implicit-def: $vgpr3_vgpr4
	s_and_saveexec_b32 s1, vcc_lo
	s_xor_b32 s1, exec_lo, s1
	s_cbranch_execz .LBB476_10
; %bb.9:
	s_waitcnt lgkmcnt(0)
	v_cmp_lt_i64_e32 vcc_lo, v[5:6], v[1:2]
                                        ; implicit-def: $vgpr10
                                        ; implicit-def: $vgpr8
	v_cndmask_b32_e32 v4, v2, v6, vcc_lo
	v_cndmask_b32_e32 v3, v1, v5, vcc_lo
                                        ; implicit-def: $vgpr5_vgpr6
                                        ; implicit-def: $vgpr1_vgpr2
.LBB476_10:
	s_or_saveexec_b32 s1, s1
	v_lshlrev_b32_e32 v12, 2, v7
	v_mov_b32_e32 v11, 1
	s_xor_b32 exec_lo, exec_lo, s1
	s_cbranch_execz .LBB476_12
; %bb.11:
	v_and_b32_e32 v3, 1, v10
	v_and_b32_e32 v8, 0xff, v8
	v_cmp_eq_u32_e32 vcc_lo, 1, v3
	s_waitcnt lgkmcnt(0)
	v_cndmask_b32_e32 v4, v6, v2, vcc_lo
	v_cndmask_b32_e32 v3, v5, v1, vcc_lo
	v_cndmask_b32_e64 v11, v8, 1, vcc_lo
.LBB476_12:
	s_or_b32 exec_lo, exec_lo, s1
	v_or_b32_e32 v1, 16, v12
	ds_bpermute_b32 v10, v1, v11
	s_waitcnt lgkmcnt(2)
	ds_bpermute_b32 v5, v1, v3
	s_waitcnt lgkmcnt(2)
	;; [unrolled: 2-line block ×3, first 2 shown]
	v_and_b32_e32 v1, v11, v10
	v_and_b32_e32 v1, 1, v1
	v_cmp_eq_u32_e32 vcc_lo, 1, v1
                                        ; implicit-def: $vgpr1_vgpr2
	s_and_saveexec_b32 s1, vcc_lo
	s_xor_b32 s1, exec_lo, s1
	s_cbranch_execz .LBB476_14
; %bb.13:
	s_waitcnt lgkmcnt(0)
	v_cmp_lt_i64_e32 vcc_lo, v[5:6], v[3:4]
                                        ; implicit-def: $vgpr11
                                        ; implicit-def: $vgpr10
	v_cndmask_b32_e32 v2, v4, v6, vcc_lo
	v_cndmask_b32_e32 v1, v3, v5, vcc_lo
                                        ; implicit-def: $vgpr5_vgpr6
                                        ; implicit-def: $vgpr3_vgpr4
.LBB476_14:
	s_or_saveexec_b32 s1, s1
	v_mov_b32_e32 v8, 1
	s_xor_b32 exec_lo, exec_lo, s1
	s_cbranch_execz .LBB476_16
; %bb.15:
	v_and_b32_e32 v1, 1, v11
	v_cmp_eq_u32_e32 vcc_lo, 1, v1
	s_waitcnt lgkmcnt(0)
	v_cndmask_b32_e32 v2, v6, v4, vcc_lo
	v_cndmask_b32_e32 v1, v5, v3, vcc_lo
	v_cndmask_b32_e64 v8, v10, 1, vcc_lo
.LBB476_16:
	s_or_b32 exec_lo, exec_lo, s1
.LBB476_17:
	s_or_b32 exec_lo, exec_lo, s0
	s_load_dwordx2 s[8:9], s[4:5], 0x58
	s_branch .LBB476_76
.LBB476_18:
                                        ; implicit-def: $vgpr1_vgpr2
                                        ; implicit-def: $vgpr8
	s_load_dwordx2 s[8:9], s[4:5], 0x58
	s_cbranch_execz .LBB476_76
; %bb.19:
	v_mov_b32_e32 v3, 0
	v_mov_b32_e32 v1, 0
	s_waitcnt lgkmcnt(0)
	v_mov_b32_e32 v5, 0
	v_mov_b32_e32 v4, 0
	;; [unrolled: 1-line block ×4, first 2 shown]
	s_sub_i32 s22, s12, s22
	s_mov_b32 s0, exec_lo
	v_cmpx_gt_u32_e64 s22, v0
	s_cbranch_execz .LBB476_21
; %bb.20:
	s_clause 0x1
	global_load_dword v6, v9, s[2:3]
	global_load_dword v8, v9, s[20:21]
	v_add_co_u32 v1, s1, s10, v0
	v_add_co_ci_u32_e64 v2, null, s11, 0, s1
	s_waitcnt vmcnt(0)
	v_cmp_ne_u32_e32 vcc_lo, v6, v8
	v_cndmask_b32_e64 v6, 0, 1, vcc_lo
.LBB476_21:
	s_or_b32 exec_lo, exec_lo, s0
	v_or_b32_e32 v8, 0x100, v0
	v_cmp_gt_u32_e32 vcc_lo, s22, v8
	s_and_saveexec_b32 s1, vcc_lo
	s_cbranch_execz .LBB476_23
; %bb.22:
	s_clause 0x1
	global_load_dword v5, v9, s[2:3] offset:1024
	global_load_dword v9, v9, s[20:21] offset:1024
	v_add_co_u32 v3, s0, s10, v8
	v_add_co_ci_u32_e64 v4, null, s11, 0, s0
	s_waitcnt vmcnt(0)
	v_cmp_ne_u32_e64 s0, v5, v9
	v_cndmask_b32_e64 v5, 0, 1, s0
.LBB476_23:
	s_or_b32 exec_lo, exec_lo, s1
	v_and_b32_e32 v8, 1, v5
	v_cmp_lt_i64_e64 s0, v[3:4], v[1:2]
	v_and_b32_e32 v9, 1, v6
	v_and_b32_e32 v5, 0xffff, v5
	;; [unrolled: 1-line block ×3, first 2 shown]
	v_cmp_eq_u32_e64 s1, 1, v8
	v_cmp_eq_u32_e64 s2, 1, v9
	s_and_b32 s0, s1, s0
	s_mov_b32 s1, exec_lo
	v_cndmask_b32_e64 v8, v2, v4, s0
	v_cndmask_b32_e64 v9, v1, v3, s0
	v_cmp_ne_u32_e64 s0, 31, v7
	v_cndmask_b32_e64 v5, v5, 1, s2
	v_cndmask_b32_e64 v4, v4, v8, s2
	;; [unrolled: 1-line block ×3, first 2 shown]
	v_add_co_ci_u32_e64 v10, null, 0, v7, s0
	v_cndmask_b32_e32 v8, v6, v5, vcc_lo
	v_cndmask_b32_e32 v2, v2, v4, vcc_lo
	;; [unrolled: 1-line block ×3, first 2 shown]
	v_lshlrev_b32_e32 v9, 2, v10
	v_and_b32_e32 v5, 0xe0, v0
	s_min_u32 s0, s22, 0x100
	ds_bpermute_b32 v6, v9, v8
	ds_bpermute_b32 v3, v9, v1
	;; [unrolled: 1-line block ×3, first 2 shown]
	v_sub_nc_u32_e64 v5, s0, v5 clamp
	v_add_nc_u32_e32 v9, 1, v7
	v_cmpx_lt_u32_e64 v9, v5
	s_cbranch_execz .LBB476_29
; %bb.24:
	s_waitcnt lgkmcnt(2)
	v_and_b32_e32 v9, v8, v6
	s_mov_b32 s2, exec_lo
	v_cmpx_ne_u32_e32 0, v9
	s_xor_b32 s2, exec_lo, s2
	s_cbranch_execz .LBB476_26
; %bb.25:
	s_waitcnt lgkmcnt(0)
	v_cmp_lt_i64_e32 vcc_lo, v[3:4], v[1:2]
                                        ; implicit-def: $vgpr8
                                        ; implicit-def: $vgpr6
	v_cndmask_b32_e32 v2, v2, v4, vcc_lo
	v_cndmask_b32_e32 v1, v1, v3, vcc_lo
                                        ; implicit-def: $vgpr3_vgpr4
.LBB476_26:
	s_or_saveexec_b32 s2, s2
	v_mov_b32_e32 v9, 1
	s_xor_b32 exec_lo, exec_lo, s2
	s_cbranch_execz .LBB476_28
; %bb.27:
	v_and_b32_e32 v8, 1, v8
	v_and_b32_e32 v6, 0xff, v6
	v_cmp_eq_u32_e32 vcc_lo, 1, v8
	s_waitcnt lgkmcnt(0)
	v_cndmask_b32_e32 v2, v4, v2, vcc_lo
	v_cndmask_b32_e32 v1, v3, v1, vcc_lo
	v_cndmask_b32_e64 v9, v6, 1, vcc_lo
.LBB476_28:
	s_or_b32 exec_lo, exec_lo, s2
	v_mov_b32_e32 v8, v9
.LBB476_29:
	s_or_b32 exec_lo, exec_lo, s1
	v_cmp_gt_u32_e32 vcc_lo, 30, v7
	v_add_nc_u32_e32 v9, 2, v7
	s_mov_b32 s1, exec_lo
	s_waitcnt lgkmcnt(1)
	v_cndmask_b32_e64 v3, 0, 2, vcc_lo
	s_waitcnt lgkmcnt(0)
	v_add_lshl_u32 v4, v3, v7, 2
	ds_bpermute_b32 v6, v4, v8
	ds_bpermute_b32 v3, v4, v1
	ds_bpermute_b32 v4, v4, v2
	v_cmpx_lt_u32_e64 v9, v5
	s_cbranch_execz .LBB476_35
; %bb.30:
	s_waitcnt lgkmcnt(2)
	v_and_b32_e32 v9, v8, v6
	s_mov_b32 s2, exec_lo
	v_and_b32_e32 v9, 1, v9
	v_cmpx_eq_u32_e32 1, v9
	s_xor_b32 s2, exec_lo, s2
	s_cbranch_execz .LBB476_32
; %bb.31:
	s_waitcnt lgkmcnt(0)
	v_cmp_lt_i64_e32 vcc_lo, v[3:4], v[1:2]
                                        ; implicit-def: $vgpr8
                                        ; implicit-def: $vgpr6
	v_cndmask_b32_e32 v2, v2, v4, vcc_lo
	v_cndmask_b32_e32 v1, v1, v3, vcc_lo
                                        ; implicit-def: $vgpr3_vgpr4
.LBB476_32:
	s_or_saveexec_b32 s2, s2
	v_mov_b32_e32 v9, 1
	s_xor_b32 exec_lo, exec_lo, s2
	s_cbranch_execz .LBB476_34
; %bb.33:
	v_and_b32_e32 v8, 1, v8
	v_and_b32_e32 v6, 0xff, v6
	v_cmp_eq_u32_e32 vcc_lo, 1, v8
	s_waitcnt lgkmcnt(0)
	v_cndmask_b32_e32 v2, v4, v2, vcc_lo
	v_cndmask_b32_e32 v1, v3, v1, vcc_lo
	v_cndmask_b32_e64 v9, v6, 1, vcc_lo
.LBB476_34:
	s_or_b32 exec_lo, exec_lo, s2
	v_mov_b32_e32 v8, v9
.LBB476_35:
	s_or_b32 exec_lo, exec_lo, s1
	v_cmp_gt_u32_e32 vcc_lo, 28, v7
	v_add_nc_u32_e32 v9, 4, v7
	s_mov_b32 s1, exec_lo
	s_waitcnt lgkmcnt(1)
	v_cndmask_b32_e64 v3, 0, 4, vcc_lo
	s_waitcnt lgkmcnt(0)
	v_add_lshl_u32 v4, v3, v7, 2
	ds_bpermute_b32 v6, v4, v8
	ds_bpermute_b32 v3, v4, v1
	ds_bpermute_b32 v4, v4, v2
	v_cmpx_lt_u32_e64 v9, v5
	s_cbranch_execz .LBB476_41
; %bb.36:
	s_waitcnt lgkmcnt(2)
	v_and_b32_e32 v9, v8, v6
	s_mov_b32 s2, exec_lo
	v_and_b32_e32 v9, 1, v9
	v_cmpx_eq_u32_e32 1, v9
	s_xor_b32 s2, exec_lo, s2
	s_cbranch_execz .LBB476_38
; %bb.37:
	s_waitcnt lgkmcnt(0)
	v_cmp_lt_i64_e32 vcc_lo, v[3:4], v[1:2]
                                        ; implicit-def: $vgpr8
                                        ; implicit-def: $vgpr6
	v_cndmask_b32_e32 v2, v2, v4, vcc_lo
	v_cndmask_b32_e32 v1, v1, v3, vcc_lo
                                        ; implicit-def: $vgpr3_vgpr4
.LBB476_38:
	s_or_saveexec_b32 s2, s2
	v_mov_b32_e32 v9, 1
	s_xor_b32 exec_lo, exec_lo, s2
	s_cbranch_execz .LBB476_40
; %bb.39:
	v_and_b32_e32 v8, 1, v8
	v_and_b32_e32 v6, 0xff, v6
	v_cmp_eq_u32_e32 vcc_lo, 1, v8
	s_waitcnt lgkmcnt(0)
	v_cndmask_b32_e32 v2, v4, v2, vcc_lo
	v_cndmask_b32_e32 v1, v3, v1, vcc_lo
	v_cndmask_b32_e64 v9, v6, 1, vcc_lo
.LBB476_40:
	s_or_b32 exec_lo, exec_lo, s2
	v_mov_b32_e32 v8, v9
.LBB476_41:
	;; [unrolled: 46-line block ×3, first 2 shown]
	s_or_b32 exec_lo, exec_lo, s1
	s_waitcnt lgkmcnt(2)
	v_lshlrev_b32_e32 v6, 2, v7
	v_add_nc_u32_e32 v10, 16, v7
	s_waitcnt lgkmcnt(0)
	v_or_b32_e32 v4, 64, v6
	v_cmp_lt_u32_e32 vcc_lo, v10, v5
	v_mov_b32_e32 v5, v8
	ds_bpermute_b32 v9, v4, v8
	ds_bpermute_b32 v3, v4, v1
	;; [unrolled: 1-line block ×3, first 2 shown]
	s_and_saveexec_b32 s1, vcc_lo
	s_cbranch_execz .LBB476_53
; %bb.48:
	s_waitcnt lgkmcnt(2)
	v_and_b32_e32 v5, v8, v9
	s_mov_b32 s2, exec_lo
	v_and_b32_e32 v5, 1, v5
	v_cmpx_eq_u32_e32 1, v5
	s_xor_b32 s2, exec_lo, s2
	s_cbranch_execz .LBB476_50
; %bb.49:
	s_waitcnt lgkmcnt(0)
	v_cmp_lt_i64_e32 vcc_lo, v[3:4], v[1:2]
                                        ; implicit-def: $vgpr8
                                        ; implicit-def: $vgpr9
	v_cndmask_b32_e32 v2, v2, v4, vcc_lo
	v_cndmask_b32_e32 v1, v1, v3, vcc_lo
                                        ; implicit-def: $vgpr3_vgpr4
.LBB476_50:
	s_or_saveexec_b32 s2, s2
	v_mov_b32_e32 v5, 1
	s_xor_b32 exec_lo, exec_lo, s2
	s_cbranch_execz .LBB476_52
; %bb.51:
	v_and_b32_e32 v5, 1, v8
	v_cmp_eq_u32_e32 vcc_lo, 1, v5
	v_cndmask_b32_e64 v5, v9, 1, vcc_lo
	s_waitcnt lgkmcnt(0)
	v_cndmask_b32_e32 v2, v4, v2, vcc_lo
	v_cndmask_b32_e32 v1, v3, v1, vcc_lo
.LBB476_52:
	s_or_b32 exec_lo, exec_lo, s2
	v_and_b32_e32 v8, 0xff, v5
.LBB476_53:
	s_or_b32 exec_lo, exec_lo, s1
	s_mov_b32 s1, exec_lo
	v_cmpx_eq_u32_e32 0, v7
	s_cbranch_execz .LBB476_55
; %bb.54:
	s_waitcnt lgkmcnt(1)
	v_lshrrev_b32_e32 v3, 1, v0
	v_and_b32_e32 v3, 0x70, v3
	ds_write_b8 v3, v5 offset:128
	ds_write_b64 v3, v[1:2] offset:136
.LBB476_55:
	s_or_b32 exec_lo, exec_lo, s1
	s_mov_b32 s1, exec_lo
	s_waitcnt lgkmcnt(0)
	s_barrier
	buffer_gl0_inv
	v_cmpx_gt_u32_e32 8, v0
	s_cbranch_execz .LBB476_75
; %bb.56:
	v_lshlrev_b32_e32 v1, 4, v7
	v_and_b32_e32 v5, 7, v7
	s_add_i32 s0, s0, 31
	s_mov_b32 s2, exec_lo
	s_lshr_b32 s0, s0, 5
	ds_read_u8 v9, v1 offset:128
	ds_read_b64 v[1:2], v1 offset:136
	v_cmp_ne_u32_e32 vcc_lo, 7, v5
	v_add_nc_u32_e32 v11, 1, v5
	v_add_co_ci_u32_e64 v3, null, 0, v7, vcc_lo
	v_lshlrev_b32_e32 v4, 2, v3
	s_waitcnt lgkmcnt(1)
	v_and_b32_e32 v8, 0xff, v9
	s_waitcnt lgkmcnt(0)
	ds_bpermute_b32 v3, v4, v1
	ds_bpermute_b32 v10, v4, v8
	;; [unrolled: 1-line block ×3, first 2 shown]
	v_cmpx_gt_u32_e64 s0, v11
	s_cbranch_execz .LBB476_62
; %bb.57:
	s_waitcnt lgkmcnt(1)
	v_and_b32_e32 v8, v8, v10
	s_mov_b32 s3, exec_lo
	v_and_b32_e32 v8, 1, v8
	v_cmpx_eq_u32_e32 1, v8
	s_xor_b32 s3, exec_lo, s3
	s_cbranch_execz .LBB476_59
; %bb.58:
	s_waitcnt lgkmcnt(0)
	v_cmp_lt_i64_e32 vcc_lo, v[3:4], v[1:2]
                                        ; implicit-def: $vgpr9
                                        ; implicit-def: $vgpr10
	v_cndmask_b32_e32 v2, v2, v4, vcc_lo
	v_cndmask_b32_e32 v1, v1, v3, vcc_lo
                                        ; implicit-def: $vgpr3_vgpr4
.LBB476_59:
	s_or_saveexec_b32 s3, s3
	v_mov_b32_e32 v8, 1
	s_xor_b32 exec_lo, exec_lo, s3
	s_cbranch_execz .LBB476_61
; %bb.60:
	v_and_b32_e32 v8, 1, v9
	v_cmp_eq_u32_e32 vcc_lo, 1, v8
	v_and_b32_e32 v8, 0xff, v10
	s_waitcnt lgkmcnt(0)
	v_cndmask_b32_e32 v2, v4, v2, vcc_lo
	v_cndmask_b32_e32 v1, v3, v1, vcc_lo
	v_cndmask_b32_e64 v8, v8, 1, vcc_lo
.LBB476_61:
	s_or_b32 exec_lo, exec_lo, s3
.LBB476_62:
	s_or_b32 exec_lo, exec_lo, s2
	v_cmp_gt_u32_e32 vcc_lo, 6, v5
	v_add_nc_u32_e32 v9, 2, v5
	s_mov_b32 s2, exec_lo
	s_waitcnt lgkmcnt(2)
	v_cndmask_b32_e64 v3, 0, 2, vcc_lo
	s_waitcnt lgkmcnt(0)
	v_add_lshl_u32 v4, v3, v7, 2
	ds_bpermute_b32 v7, v4, v8
	ds_bpermute_b32 v3, v4, v1
	;; [unrolled: 1-line block ×3, first 2 shown]
	v_cmpx_gt_u32_e64 s0, v9
	s_cbranch_execz .LBB476_68
; %bb.63:
	s_waitcnt lgkmcnt(2)
	v_and_b32_e32 v9, v8, v7
	s_mov_b32 s3, exec_lo
	v_and_b32_e32 v9, 1, v9
	v_cmpx_eq_u32_e32 1, v9
	s_xor_b32 s3, exec_lo, s3
	s_cbranch_execz .LBB476_65
; %bb.64:
	s_waitcnt lgkmcnt(0)
	v_cmp_lt_i64_e32 vcc_lo, v[3:4], v[1:2]
                                        ; implicit-def: $vgpr8
                                        ; implicit-def: $vgpr7
	v_cndmask_b32_e32 v2, v2, v4, vcc_lo
	v_cndmask_b32_e32 v1, v1, v3, vcc_lo
                                        ; implicit-def: $vgpr3_vgpr4
.LBB476_65:
	s_or_saveexec_b32 s3, s3
	v_mov_b32_e32 v9, 1
	s_xor_b32 exec_lo, exec_lo, s3
	s_cbranch_execz .LBB476_67
; %bb.66:
	v_and_b32_e32 v8, 1, v8
	v_and_b32_e32 v7, 0xff, v7
	v_cmp_eq_u32_e32 vcc_lo, 1, v8
	s_waitcnt lgkmcnt(0)
	v_cndmask_b32_e32 v2, v4, v2, vcc_lo
	v_cndmask_b32_e32 v1, v3, v1, vcc_lo
	v_cndmask_b32_e64 v9, v7, 1, vcc_lo
.LBB476_67:
	s_or_b32 exec_lo, exec_lo, s3
	v_mov_b32_e32 v8, v9
.LBB476_68:
	s_or_b32 exec_lo, exec_lo, s2
	s_waitcnt lgkmcnt(0)
	v_or_b32_e32 v4, 16, v6
	v_add_nc_u32_e32 v5, 4, v5
	ds_bpermute_b32 v6, v4, v8
	ds_bpermute_b32 v3, v4, v1
	;; [unrolled: 1-line block ×3, first 2 shown]
	v_cmp_gt_u32_e32 vcc_lo, s0, v5
	s_and_saveexec_b32 s0, vcc_lo
	s_cbranch_execz .LBB476_74
; %bb.69:
	s_waitcnt lgkmcnt(2)
	v_and_b32_e32 v5, v8, v6
	s_mov_b32 s2, exec_lo
	v_and_b32_e32 v5, 1, v5
	v_cmpx_eq_u32_e32 1, v5
	s_xor_b32 s2, exec_lo, s2
	s_cbranch_execz .LBB476_71
; %bb.70:
	s_waitcnt lgkmcnt(0)
	v_cmp_lt_i64_e32 vcc_lo, v[3:4], v[1:2]
                                        ; implicit-def: $vgpr8
                                        ; implicit-def: $vgpr6
	v_cndmask_b32_e32 v2, v2, v4, vcc_lo
	v_cndmask_b32_e32 v1, v1, v3, vcc_lo
                                        ; implicit-def: $vgpr3_vgpr4
.LBB476_71:
	s_or_saveexec_b32 s2, s2
	v_mov_b32_e32 v5, 1
	s_xor_b32 exec_lo, exec_lo, s2
	s_cbranch_execz .LBB476_73
; %bb.72:
	v_and_b32_e32 v5, 1, v8
	v_cmp_eq_u32_e32 vcc_lo, 1, v5
	s_waitcnt lgkmcnt(0)
	v_cndmask_b32_e32 v2, v4, v2, vcc_lo
	v_cndmask_b32_e32 v1, v3, v1, vcc_lo
	v_cndmask_b32_e64 v5, v6, 1, vcc_lo
.LBB476_73:
	s_or_b32 exec_lo, exec_lo, s2
	v_mov_b32_e32 v8, v5
.LBB476_74:
	s_or_b32 exec_lo, exec_lo, s0
.LBB476_75:
	s_or_b32 exec_lo, exec_lo, s1
.LBB476_76:
	s_load_dword s0, s[4:5], 0x50
	s_mov_b32 s1, exec_lo
	v_cmpx_eq_u32_e32 0, v0
	s_cbranch_execz .LBB476_78
; %bb.77:
	s_mul_i32 s1, s18, s17
	s_mul_hi_u32 s2, s18, s16
	s_mul_i32 s3, s19, s16
	s_add_i32 s1, s2, s1
	s_mul_i32 s2, s18, s16
	s_add_i32 s3, s1, s3
	v_mov_b32_e32 v0, 0
	s_lshl_b64 s[2:3], s[2:3], 4
	s_add_u32 s1, s14, s2
	s_addc_u32 s4, s15, s3
	s_cmp_eq_u64 s[12:13], 0
	s_cselect_b32 s5, -1, 0
	s_lshl_b64 s[2:3], s[6:7], 4
	s_waitcnt lgkmcnt(0)
	v_cndmask_b32_e64 v3, v8, s0, s5
	v_cndmask_b32_e64 v2, v2, s9, s5
	;; [unrolled: 1-line block ×3, first 2 shown]
	s_add_u32 s0, s1, s2
	s_addc_u32 s1, s4, s3
	global_store_byte v0, v3, s[0:1]
	global_store_dwordx2 v0, v[1:2], s[0:1] offset:8
.LBB476_78:
	s_endpgm
	.section	.rodata,"a",@progbits
	.p2align	6, 0x0
	.amdhsa_kernel _ZN7rocprim17ROCPRIM_400000_NS6detail17trampoline_kernelINS0_14default_configENS1_22reduce_config_selectorIN6thrust23THRUST_200600_302600_NS5tupleIblNS6_9null_typeES8_S8_S8_S8_S8_S8_S8_EEEEZNS1_11reduce_implILb1ES3_NS6_12zip_iteratorINS7_INS6_11hip_rocprim26transform_input_iterator_tIbNSD_35transform_pair_of_input_iterators_tIbNS6_6detail15normal_iteratorINS6_10device_ptrIKiEEEESL_NS6_8equal_toIiEEEENSG_9not_fun_tINSD_8identityEEEEENSD_19counting_iterator_tIlEES8_S8_S8_S8_S8_S8_S8_S8_EEEEPS9_S9_NSD_9__find_if7functorIS9_EEEE10hipError_tPvRmT1_T2_T3_mT4_P12ihipStream_tbEUlT_E0_NS1_11comp_targetILNS1_3genE8ELNS1_11target_archE1030ELNS1_3gpuE2ELNS1_3repE0EEENS1_30default_config_static_selectorELNS0_4arch9wavefront6targetE0EEEvS14_
		.amdhsa_group_segment_fixed_size 256
		.amdhsa_private_segment_fixed_size 0
		.amdhsa_kernarg_size 104
		.amdhsa_user_sgpr_count 6
		.amdhsa_user_sgpr_private_segment_buffer 1
		.amdhsa_user_sgpr_dispatch_ptr 0
		.amdhsa_user_sgpr_queue_ptr 0
		.amdhsa_user_sgpr_kernarg_segment_ptr 1
		.amdhsa_user_sgpr_dispatch_id 0
		.amdhsa_user_sgpr_flat_scratch_init 0
		.amdhsa_user_sgpr_private_segment_size 0
		.amdhsa_wavefront_size32 1
		.amdhsa_uses_dynamic_stack 0
		.amdhsa_system_sgpr_private_segment_wavefront_offset 0
		.amdhsa_system_sgpr_workgroup_id_x 1
		.amdhsa_system_sgpr_workgroup_id_y 0
		.amdhsa_system_sgpr_workgroup_id_z 0
		.amdhsa_system_sgpr_workgroup_info 0
		.amdhsa_system_vgpr_workitem_id 0
		.amdhsa_next_free_vgpr 13
		.amdhsa_next_free_sgpr 28
		.amdhsa_reserve_vcc 1
		.amdhsa_reserve_flat_scratch 0
		.amdhsa_float_round_mode_32 0
		.amdhsa_float_round_mode_16_64 0
		.amdhsa_float_denorm_mode_32 3
		.amdhsa_float_denorm_mode_16_64 3
		.amdhsa_dx10_clamp 1
		.amdhsa_ieee_mode 1
		.amdhsa_fp16_overflow 0
		.amdhsa_workgroup_processor_mode 1
		.amdhsa_memory_ordered 1
		.amdhsa_forward_progress 1
		.amdhsa_shared_vgpr_count 0
		.amdhsa_exception_fp_ieee_invalid_op 0
		.amdhsa_exception_fp_denorm_src 0
		.amdhsa_exception_fp_ieee_div_zero 0
		.amdhsa_exception_fp_ieee_overflow 0
		.amdhsa_exception_fp_ieee_underflow 0
		.amdhsa_exception_fp_ieee_inexact 0
		.amdhsa_exception_int_div_zero 0
	.end_amdhsa_kernel
	.section	.text._ZN7rocprim17ROCPRIM_400000_NS6detail17trampoline_kernelINS0_14default_configENS1_22reduce_config_selectorIN6thrust23THRUST_200600_302600_NS5tupleIblNS6_9null_typeES8_S8_S8_S8_S8_S8_S8_EEEEZNS1_11reduce_implILb1ES3_NS6_12zip_iteratorINS7_INS6_11hip_rocprim26transform_input_iterator_tIbNSD_35transform_pair_of_input_iterators_tIbNS6_6detail15normal_iteratorINS6_10device_ptrIKiEEEESL_NS6_8equal_toIiEEEENSG_9not_fun_tINSD_8identityEEEEENSD_19counting_iterator_tIlEES8_S8_S8_S8_S8_S8_S8_S8_EEEEPS9_S9_NSD_9__find_if7functorIS9_EEEE10hipError_tPvRmT1_T2_T3_mT4_P12ihipStream_tbEUlT_E0_NS1_11comp_targetILNS1_3genE8ELNS1_11target_archE1030ELNS1_3gpuE2ELNS1_3repE0EEENS1_30default_config_static_selectorELNS0_4arch9wavefront6targetE0EEEvS14_,"axG",@progbits,_ZN7rocprim17ROCPRIM_400000_NS6detail17trampoline_kernelINS0_14default_configENS1_22reduce_config_selectorIN6thrust23THRUST_200600_302600_NS5tupleIblNS6_9null_typeES8_S8_S8_S8_S8_S8_S8_EEEEZNS1_11reduce_implILb1ES3_NS6_12zip_iteratorINS7_INS6_11hip_rocprim26transform_input_iterator_tIbNSD_35transform_pair_of_input_iterators_tIbNS6_6detail15normal_iteratorINS6_10device_ptrIKiEEEESL_NS6_8equal_toIiEEEENSG_9not_fun_tINSD_8identityEEEEENSD_19counting_iterator_tIlEES8_S8_S8_S8_S8_S8_S8_S8_EEEEPS9_S9_NSD_9__find_if7functorIS9_EEEE10hipError_tPvRmT1_T2_T3_mT4_P12ihipStream_tbEUlT_E0_NS1_11comp_targetILNS1_3genE8ELNS1_11target_archE1030ELNS1_3gpuE2ELNS1_3repE0EEENS1_30default_config_static_selectorELNS0_4arch9wavefront6targetE0EEEvS14_,comdat
.Lfunc_end476:
	.size	_ZN7rocprim17ROCPRIM_400000_NS6detail17trampoline_kernelINS0_14default_configENS1_22reduce_config_selectorIN6thrust23THRUST_200600_302600_NS5tupleIblNS6_9null_typeES8_S8_S8_S8_S8_S8_S8_EEEEZNS1_11reduce_implILb1ES3_NS6_12zip_iteratorINS7_INS6_11hip_rocprim26transform_input_iterator_tIbNSD_35transform_pair_of_input_iterators_tIbNS6_6detail15normal_iteratorINS6_10device_ptrIKiEEEESL_NS6_8equal_toIiEEEENSG_9not_fun_tINSD_8identityEEEEENSD_19counting_iterator_tIlEES8_S8_S8_S8_S8_S8_S8_S8_EEEEPS9_S9_NSD_9__find_if7functorIS9_EEEE10hipError_tPvRmT1_T2_T3_mT4_P12ihipStream_tbEUlT_E0_NS1_11comp_targetILNS1_3genE8ELNS1_11target_archE1030ELNS1_3gpuE2ELNS1_3repE0EEENS1_30default_config_static_selectorELNS0_4arch9wavefront6targetE0EEEvS14_, .Lfunc_end476-_ZN7rocprim17ROCPRIM_400000_NS6detail17trampoline_kernelINS0_14default_configENS1_22reduce_config_selectorIN6thrust23THRUST_200600_302600_NS5tupleIblNS6_9null_typeES8_S8_S8_S8_S8_S8_S8_EEEEZNS1_11reduce_implILb1ES3_NS6_12zip_iteratorINS7_INS6_11hip_rocprim26transform_input_iterator_tIbNSD_35transform_pair_of_input_iterators_tIbNS6_6detail15normal_iteratorINS6_10device_ptrIKiEEEESL_NS6_8equal_toIiEEEENSG_9not_fun_tINSD_8identityEEEEENSD_19counting_iterator_tIlEES8_S8_S8_S8_S8_S8_S8_S8_EEEEPS9_S9_NSD_9__find_if7functorIS9_EEEE10hipError_tPvRmT1_T2_T3_mT4_P12ihipStream_tbEUlT_E0_NS1_11comp_targetILNS1_3genE8ELNS1_11target_archE1030ELNS1_3gpuE2ELNS1_3repE0EEENS1_30default_config_static_selectorELNS0_4arch9wavefront6targetE0EEEvS14_
                                        ; -- End function
	.set _ZN7rocprim17ROCPRIM_400000_NS6detail17trampoline_kernelINS0_14default_configENS1_22reduce_config_selectorIN6thrust23THRUST_200600_302600_NS5tupleIblNS6_9null_typeES8_S8_S8_S8_S8_S8_S8_EEEEZNS1_11reduce_implILb1ES3_NS6_12zip_iteratorINS7_INS6_11hip_rocprim26transform_input_iterator_tIbNSD_35transform_pair_of_input_iterators_tIbNS6_6detail15normal_iteratorINS6_10device_ptrIKiEEEESL_NS6_8equal_toIiEEEENSG_9not_fun_tINSD_8identityEEEEENSD_19counting_iterator_tIlEES8_S8_S8_S8_S8_S8_S8_S8_EEEEPS9_S9_NSD_9__find_if7functorIS9_EEEE10hipError_tPvRmT1_T2_T3_mT4_P12ihipStream_tbEUlT_E0_NS1_11comp_targetILNS1_3genE8ELNS1_11target_archE1030ELNS1_3gpuE2ELNS1_3repE0EEENS1_30default_config_static_selectorELNS0_4arch9wavefront6targetE0EEEvS14_.num_vgpr, 13
	.set _ZN7rocprim17ROCPRIM_400000_NS6detail17trampoline_kernelINS0_14default_configENS1_22reduce_config_selectorIN6thrust23THRUST_200600_302600_NS5tupleIblNS6_9null_typeES8_S8_S8_S8_S8_S8_S8_EEEEZNS1_11reduce_implILb1ES3_NS6_12zip_iteratorINS7_INS6_11hip_rocprim26transform_input_iterator_tIbNSD_35transform_pair_of_input_iterators_tIbNS6_6detail15normal_iteratorINS6_10device_ptrIKiEEEESL_NS6_8equal_toIiEEEENSG_9not_fun_tINSD_8identityEEEEENSD_19counting_iterator_tIlEES8_S8_S8_S8_S8_S8_S8_S8_EEEEPS9_S9_NSD_9__find_if7functorIS9_EEEE10hipError_tPvRmT1_T2_T3_mT4_P12ihipStream_tbEUlT_E0_NS1_11comp_targetILNS1_3genE8ELNS1_11target_archE1030ELNS1_3gpuE2ELNS1_3repE0EEENS1_30default_config_static_selectorELNS0_4arch9wavefront6targetE0EEEvS14_.num_agpr, 0
	.set _ZN7rocprim17ROCPRIM_400000_NS6detail17trampoline_kernelINS0_14default_configENS1_22reduce_config_selectorIN6thrust23THRUST_200600_302600_NS5tupleIblNS6_9null_typeES8_S8_S8_S8_S8_S8_S8_EEEEZNS1_11reduce_implILb1ES3_NS6_12zip_iteratorINS7_INS6_11hip_rocprim26transform_input_iterator_tIbNSD_35transform_pair_of_input_iterators_tIbNS6_6detail15normal_iteratorINS6_10device_ptrIKiEEEESL_NS6_8equal_toIiEEEENSG_9not_fun_tINSD_8identityEEEEENSD_19counting_iterator_tIlEES8_S8_S8_S8_S8_S8_S8_S8_EEEEPS9_S9_NSD_9__find_if7functorIS9_EEEE10hipError_tPvRmT1_T2_T3_mT4_P12ihipStream_tbEUlT_E0_NS1_11comp_targetILNS1_3genE8ELNS1_11target_archE1030ELNS1_3gpuE2ELNS1_3repE0EEENS1_30default_config_static_selectorELNS0_4arch9wavefront6targetE0EEEvS14_.numbered_sgpr, 28
	.set _ZN7rocprim17ROCPRIM_400000_NS6detail17trampoline_kernelINS0_14default_configENS1_22reduce_config_selectorIN6thrust23THRUST_200600_302600_NS5tupleIblNS6_9null_typeES8_S8_S8_S8_S8_S8_S8_EEEEZNS1_11reduce_implILb1ES3_NS6_12zip_iteratorINS7_INS6_11hip_rocprim26transform_input_iterator_tIbNSD_35transform_pair_of_input_iterators_tIbNS6_6detail15normal_iteratorINS6_10device_ptrIKiEEEESL_NS6_8equal_toIiEEEENSG_9not_fun_tINSD_8identityEEEEENSD_19counting_iterator_tIlEES8_S8_S8_S8_S8_S8_S8_S8_EEEEPS9_S9_NSD_9__find_if7functorIS9_EEEE10hipError_tPvRmT1_T2_T3_mT4_P12ihipStream_tbEUlT_E0_NS1_11comp_targetILNS1_3genE8ELNS1_11target_archE1030ELNS1_3gpuE2ELNS1_3repE0EEENS1_30default_config_static_selectorELNS0_4arch9wavefront6targetE0EEEvS14_.num_named_barrier, 0
	.set _ZN7rocprim17ROCPRIM_400000_NS6detail17trampoline_kernelINS0_14default_configENS1_22reduce_config_selectorIN6thrust23THRUST_200600_302600_NS5tupleIblNS6_9null_typeES8_S8_S8_S8_S8_S8_S8_EEEEZNS1_11reduce_implILb1ES3_NS6_12zip_iteratorINS7_INS6_11hip_rocprim26transform_input_iterator_tIbNSD_35transform_pair_of_input_iterators_tIbNS6_6detail15normal_iteratorINS6_10device_ptrIKiEEEESL_NS6_8equal_toIiEEEENSG_9not_fun_tINSD_8identityEEEEENSD_19counting_iterator_tIlEES8_S8_S8_S8_S8_S8_S8_S8_EEEEPS9_S9_NSD_9__find_if7functorIS9_EEEE10hipError_tPvRmT1_T2_T3_mT4_P12ihipStream_tbEUlT_E0_NS1_11comp_targetILNS1_3genE8ELNS1_11target_archE1030ELNS1_3gpuE2ELNS1_3repE0EEENS1_30default_config_static_selectorELNS0_4arch9wavefront6targetE0EEEvS14_.private_seg_size, 0
	.set _ZN7rocprim17ROCPRIM_400000_NS6detail17trampoline_kernelINS0_14default_configENS1_22reduce_config_selectorIN6thrust23THRUST_200600_302600_NS5tupleIblNS6_9null_typeES8_S8_S8_S8_S8_S8_S8_EEEEZNS1_11reduce_implILb1ES3_NS6_12zip_iteratorINS7_INS6_11hip_rocprim26transform_input_iterator_tIbNSD_35transform_pair_of_input_iterators_tIbNS6_6detail15normal_iteratorINS6_10device_ptrIKiEEEESL_NS6_8equal_toIiEEEENSG_9not_fun_tINSD_8identityEEEEENSD_19counting_iterator_tIlEES8_S8_S8_S8_S8_S8_S8_S8_EEEEPS9_S9_NSD_9__find_if7functorIS9_EEEE10hipError_tPvRmT1_T2_T3_mT4_P12ihipStream_tbEUlT_E0_NS1_11comp_targetILNS1_3genE8ELNS1_11target_archE1030ELNS1_3gpuE2ELNS1_3repE0EEENS1_30default_config_static_selectorELNS0_4arch9wavefront6targetE0EEEvS14_.uses_vcc, 1
	.set _ZN7rocprim17ROCPRIM_400000_NS6detail17trampoline_kernelINS0_14default_configENS1_22reduce_config_selectorIN6thrust23THRUST_200600_302600_NS5tupleIblNS6_9null_typeES8_S8_S8_S8_S8_S8_S8_EEEEZNS1_11reduce_implILb1ES3_NS6_12zip_iteratorINS7_INS6_11hip_rocprim26transform_input_iterator_tIbNSD_35transform_pair_of_input_iterators_tIbNS6_6detail15normal_iteratorINS6_10device_ptrIKiEEEESL_NS6_8equal_toIiEEEENSG_9not_fun_tINSD_8identityEEEEENSD_19counting_iterator_tIlEES8_S8_S8_S8_S8_S8_S8_S8_EEEEPS9_S9_NSD_9__find_if7functorIS9_EEEE10hipError_tPvRmT1_T2_T3_mT4_P12ihipStream_tbEUlT_E0_NS1_11comp_targetILNS1_3genE8ELNS1_11target_archE1030ELNS1_3gpuE2ELNS1_3repE0EEENS1_30default_config_static_selectorELNS0_4arch9wavefront6targetE0EEEvS14_.uses_flat_scratch, 0
	.set _ZN7rocprim17ROCPRIM_400000_NS6detail17trampoline_kernelINS0_14default_configENS1_22reduce_config_selectorIN6thrust23THRUST_200600_302600_NS5tupleIblNS6_9null_typeES8_S8_S8_S8_S8_S8_S8_EEEEZNS1_11reduce_implILb1ES3_NS6_12zip_iteratorINS7_INS6_11hip_rocprim26transform_input_iterator_tIbNSD_35transform_pair_of_input_iterators_tIbNS6_6detail15normal_iteratorINS6_10device_ptrIKiEEEESL_NS6_8equal_toIiEEEENSG_9not_fun_tINSD_8identityEEEEENSD_19counting_iterator_tIlEES8_S8_S8_S8_S8_S8_S8_S8_EEEEPS9_S9_NSD_9__find_if7functorIS9_EEEE10hipError_tPvRmT1_T2_T3_mT4_P12ihipStream_tbEUlT_E0_NS1_11comp_targetILNS1_3genE8ELNS1_11target_archE1030ELNS1_3gpuE2ELNS1_3repE0EEENS1_30default_config_static_selectorELNS0_4arch9wavefront6targetE0EEEvS14_.has_dyn_sized_stack, 0
	.set _ZN7rocprim17ROCPRIM_400000_NS6detail17trampoline_kernelINS0_14default_configENS1_22reduce_config_selectorIN6thrust23THRUST_200600_302600_NS5tupleIblNS6_9null_typeES8_S8_S8_S8_S8_S8_S8_EEEEZNS1_11reduce_implILb1ES3_NS6_12zip_iteratorINS7_INS6_11hip_rocprim26transform_input_iterator_tIbNSD_35transform_pair_of_input_iterators_tIbNS6_6detail15normal_iteratorINS6_10device_ptrIKiEEEESL_NS6_8equal_toIiEEEENSG_9not_fun_tINSD_8identityEEEEENSD_19counting_iterator_tIlEES8_S8_S8_S8_S8_S8_S8_S8_EEEEPS9_S9_NSD_9__find_if7functorIS9_EEEE10hipError_tPvRmT1_T2_T3_mT4_P12ihipStream_tbEUlT_E0_NS1_11comp_targetILNS1_3genE8ELNS1_11target_archE1030ELNS1_3gpuE2ELNS1_3repE0EEENS1_30default_config_static_selectorELNS0_4arch9wavefront6targetE0EEEvS14_.has_recursion, 0
	.set _ZN7rocprim17ROCPRIM_400000_NS6detail17trampoline_kernelINS0_14default_configENS1_22reduce_config_selectorIN6thrust23THRUST_200600_302600_NS5tupleIblNS6_9null_typeES8_S8_S8_S8_S8_S8_S8_EEEEZNS1_11reduce_implILb1ES3_NS6_12zip_iteratorINS7_INS6_11hip_rocprim26transform_input_iterator_tIbNSD_35transform_pair_of_input_iterators_tIbNS6_6detail15normal_iteratorINS6_10device_ptrIKiEEEESL_NS6_8equal_toIiEEEENSG_9not_fun_tINSD_8identityEEEEENSD_19counting_iterator_tIlEES8_S8_S8_S8_S8_S8_S8_S8_EEEEPS9_S9_NSD_9__find_if7functorIS9_EEEE10hipError_tPvRmT1_T2_T3_mT4_P12ihipStream_tbEUlT_E0_NS1_11comp_targetILNS1_3genE8ELNS1_11target_archE1030ELNS1_3gpuE2ELNS1_3repE0EEENS1_30default_config_static_selectorELNS0_4arch9wavefront6targetE0EEEvS14_.has_indirect_call, 0
	.section	.AMDGPU.csdata,"",@progbits
; Kernel info:
; codeLenInByte = 3168
; TotalNumSgprs: 30
; NumVgprs: 13
; ScratchSize: 0
; MemoryBound: 0
; FloatMode: 240
; IeeeMode: 1
; LDSByteSize: 256 bytes/workgroup (compile time only)
; SGPRBlocks: 0
; VGPRBlocks: 1
; NumSGPRsForWavesPerEU: 30
; NumVGPRsForWavesPerEU: 13
; Occupancy: 16
; WaveLimiterHint : 0
; COMPUTE_PGM_RSRC2:SCRATCH_EN: 0
; COMPUTE_PGM_RSRC2:USER_SGPR: 6
; COMPUTE_PGM_RSRC2:TRAP_HANDLER: 0
; COMPUTE_PGM_RSRC2:TGID_X_EN: 1
; COMPUTE_PGM_RSRC2:TGID_Y_EN: 0
; COMPUTE_PGM_RSRC2:TGID_Z_EN: 0
; COMPUTE_PGM_RSRC2:TIDIG_COMP_CNT: 0
	.section	.text._ZN7rocprim17ROCPRIM_400000_NS6detail17trampoline_kernelINS0_14default_configENS1_22reduce_config_selectorIN6thrust23THRUST_200600_302600_NS5tupleIblNS6_9null_typeES8_S8_S8_S8_S8_S8_S8_EEEEZNS1_11reduce_implILb1ES3_NS6_12zip_iteratorINS7_INS6_11hip_rocprim26transform_input_iterator_tIbNSD_35transform_pair_of_input_iterators_tIbNS6_6detail15normal_iteratorINS6_10device_ptrIKiEEEESL_NS6_8equal_toIiEEEENSG_9not_fun_tINSD_8identityEEEEENSD_19counting_iterator_tIlEES8_S8_S8_S8_S8_S8_S8_S8_EEEEPS9_S9_NSD_9__find_if7functorIS9_EEEE10hipError_tPvRmT1_T2_T3_mT4_P12ihipStream_tbEUlT_E1_NS1_11comp_targetILNS1_3genE0ELNS1_11target_archE4294967295ELNS1_3gpuE0ELNS1_3repE0EEENS1_30default_config_static_selectorELNS0_4arch9wavefront6targetE0EEEvS14_,"axG",@progbits,_ZN7rocprim17ROCPRIM_400000_NS6detail17trampoline_kernelINS0_14default_configENS1_22reduce_config_selectorIN6thrust23THRUST_200600_302600_NS5tupleIblNS6_9null_typeES8_S8_S8_S8_S8_S8_S8_EEEEZNS1_11reduce_implILb1ES3_NS6_12zip_iteratorINS7_INS6_11hip_rocprim26transform_input_iterator_tIbNSD_35transform_pair_of_input_iterators_tIbNS6_6detail15normal_iteratorINS6_10device_ptrIKiEEEESL_NS6_8equal_toIiEEEENSG_9not_fun_tINSD_8identityEEEEENSD_19counting_iterator_tIlEES8_S8_S8_S8_S8_S8_S8_S8_EEEEPS9_S9_NSD_9__find_if7functorIS9_EEEE10hipError_tPvRmT1_T2_T3_mT4_P12ihipStream_tbEUlT_E1_NS1_11comp_targetILNS1_3genE0ELNS1_11target_archE4294967295ELNS1_3gpuE0ELNS1_3repE0EEENS1_30default_config_static_selectorELNS0_4arch9wavefront6targetE0EEEvS14_,comdat
	.protected	_ZN7rocprim17ROCPRIM_400000_NS6detail17trampoline_kernelINS0_14default_configENS1_22reduce_config_selectorIN6thrust23THRUST_200600_302600_NS5tupleIblNS6_9null_typeES8_S8_S8_S8_S8_S8_S8_EEEEZNS1_11reduce_implILb1ES3_NS6_12zip_iteratorINS7_INS6_11hip_rocprim26transform_input_iterator_tIbNSD_35transform_pair_of_input_iterators_tIbNS6_6detail15normal_iteratorINS6_10device_ptrIKiEEEESL_NS6_8equal_toIiEEEENSG_9not_fun_tINSD_8identityEEEEENSD_19counting_iterator_tIlEES8_S8_S8_S8_S8_S8_S8_S8_EEEEPS9_S9_NSD_9__find_if7functorIS9_EEEE10hipError_tPvRmT1_T2_T3_mT4_P12ihipStream_tbEUlT_E1_NS1_11comp_targetILNS1_3genE0ELNS1_11target_archE4294967295ELNS1_3gpuE0ELNS1_3repE0EEENS1_30default_config_static_selectorELNS0_4arch9wavefront6targetE0EEEvS14_ ; -- Begin function _ZN7rocprim17ROCPRIM_400000_NS6detail17trampoline_kernelINS0_14default_configENS1_22reduce_config_selectorIN6thrust23THRUST_200600_302600_NS5tupleIblNS6_9null_typeES8_S8_S8_S8_S8_S8_S8_EEEEZNS1_11reduce_implILb1ES3_NS6_12zip_iteratorINS7_INS6_11hip_rocprim26transform_input_iterator_tIbNSD_35transform_pair_of_input_iterators_tIbNS6_6detail15normal_iteratorINS6_10device_ptrIKiEEEESL_NS6_8equal_toIiEEEENSG_9not_fun_tINSD_8identityEEEEENSD_19counting_iterator_tIlEES8_S8_S8_S8_S8_S8_S8_S8_EEEEPS9_S9_NSD_9__find_if7functorIS9_EEEE10hipError_tPvRmT1_T2_T3_mT4_P12ihipStream_tbEUlT_E1_NS1_11comp_targetILNS1_3genE0ELNS1_11target_archE4294967295ELNS1_3gpuE0ELNS1_3repE0EEENS1_30default_config_static_selectorELNS0_4arch9wavefront6targetE0EEEvS14_
	.globl	_ZN7rocprim17ROCPRIM_400000_NS6detail17trampoline_kernelINS0_14default_configENS1_22reduce_config_selectorIN6thrust23THRUST_200600_302600_NS5tupleIblNS6_9null_typeES8_S8_S8_S8_S8_S8_S8_EEEEZNS1_11reduce_implILb1ES3_NS6_12zip_iteratorINS7_INS6_11hip_rocprim26transform_input_iterator_tIbNSD_35transform_pair_of_input_iterators_tIbNS6_6detail15normal_iteratorINS6_10device_ptrIKiEEEESL_NS6_8equal_toIiEEEENSG_9not_fun_tINSD_8identityEEEEENSD_19counting_iterator_tIlEES8_S8_S8_S8_S8_S8_S8_S8_EEEEPS9_S9_NSD_9__find_if7functorIS9_EEEE10hipError_tPvRmT1_T2_T3_mT4_P12ihipStream_tbEUlT_E1_NS1_11comp_targetILNS1_3genE0ELNS1_11target_archE4294967295ELNS1_3gpuE0ELNS1_3repE0EEENS1_30default_config_static_selectorELNS0_4arch9wavefront6targetE0EEEvS14_
	.p2align	8
	.type	_ZN7rocprim17ROCPRIM_400000_NS6detail17trampoline_kernelINS0_14default_configENS1_22reduce_config_selectorIN6thrust23THRUST_200600_302600_NS5tupleIblNS6_9null_typeES8_S8_S8_S8_S8_S8_S8_EEEEZNS1_11reduce_implILb1ES3_NS6_12zip_iteratorINS7_INS6_11hip_rocprim26transform_input_iterator_tIbNSD_35transform_pair_of_input_iterators_tIbNS6_6detail15normal_iteratorINS6_10device_ptrIKiEEEESL_NS6_8equal_toIiEEEENSG_9not_fun_tINSD_8identityEEEEENSD_19counting_iterator_tIlEES8_S8_S8_S8_S8_S8_S8_S8_EEEEPS9_S9_NSD_9__find_if7functorIS9_EEEE10hipError_tPvRmT1_T2_T3_mT4_P12ihipStream_tbEUlT_E1_NS1_11comp_targetILNS1_3genE0ELNS1_11target_archE4294967295ELNS1_3gpuE0ELNS1_3repE0EEENS1_30default_config_static_selectorELNS0_4arch9wavefront6targetE0EEEvS14_,@function
_ZN7rocprim17ROCPRIM_400000_NS6detail17trampoline_kernelINS0_14default_configENS1_22reduce_config_selectorIN6thrust23THRUST_200600_302600_NS5tupleIblNS6_9null_typeES8_S8_S8_S8_S8_S8_S8_EEEEZNS1_11reduce_implILb1ES3_NS6_12zip_iteratorINS7_INS6_11hip_rocprim26transform_input_iterator_tIbNSD_35transform_pair_of_input_iterators_tIbNS6_6detail15normal_iteratorINS6_10device_ptrIKiEEEESL_NS6_8equal_toIiEEEENSG_9not_fun_tINSD_8identityEEEEENSD_19counting_iterator_tIlEES8_S8_S8_S8_S8_S8_S8_S8_EEEEPS9_S9_NSD_9__find_if7functorIS9_EEEE10hipError_tPvRmT1_T2_T3_mT4_P12ihipStream_tbEUlT_E1_NS1_11comp_targetILNS1_3genE0ELNS1_11target_archE4294967295ELNS1_3gpuE0ELNS1_3repE0EEENS1_30default_config_static_selectorELNS0_4arch9wavefront6targetE0EEEvS14_: ; @_ZN7rocprim17ROCPRIM_400000_NS6detail17trampoline_kernelINS0_14default_configENS1_22reduce_config_selectorIN6thrust23THRUST_200600_302600_NS5tupleIblNS6_9null_typeES8_S8_S8_S8_S8_S8_S8_EEEEZNS1_11reduce_implILb1ES3_NS6_12zip_iteratorINS7_INS6_11hip_rocprim26transform_input_iterator_tIbNSD_35transform_pair_of_input_iterators_tIbNS6_6detail15normal_iteratorINS6_10device_ptrIKiEEEESL_NS6_8equal_toIiEEEENSG_9not_fun_tINSD_8identityEEEEENSD_19counting_iterator_tIlEES8_S8_S8_S8_S8_S8_S8_S8_EEEEPS9_S9_NSD_9__find_if7functorIS9_EEEE10hipError_tPvRmT1_T2_T3_mT4_P12ihipStream_tbEUlT_E1_NS1_11comp_targetILNS1_3genE0ELNS1_11target_archE4294967295ELNS1_3gpuE0ELNS1_3repE0EEENS1_30default_config_static_selectorELNS0_4arch9wavefront6targetE0EEEvS14_
; %bb.0:
	.section	.rodata,"a",@progbits
	.p2align	6, 0x0
	.amdhsa_kernel _ZN7rocprim17ROCPRIM_400000_NS6detail17trampoline_kernelINS0_14default_configENS1_22reduce_config_selectorIN6thrust23THRUST_200600_302600_NS5tupleIblNS6_9null_typeES8_S8_S8_S8_S8_S8_S8_EEEEZNS1_11reduce_implILb1ES3_NS6_12zip_iteratorINS7_INS6_11hip_rocprim26transform_input_iterator_tIbNSD_35transform_pair_of_input_iterators_tIbNS6_6detail15normal_iteratorINS6_10device_ptrIKiEEEESL_NS6_8equal_toIiEEEENSG_9not_fun_tINSD_8identityEEEEENSD_19counting_iterator_tIlEES8_S8_S8_S8_S8_S8_S8_S8_EEEEPS9_S9_NSD_9__find_if7functorIS9_EEEE10hipError_tPvRmT1_T2_T3_mT4_P12ihipStream_tbEUlT_E1_NS1_11comp_targetILNS1_3genE0ELNS1_11target_archE4294967295ELNS1_3gpuE0ELNS1_3repE0EEENS1_30default_config_static_selectorELNS0_4arch9wavefront6targetE0EEEvS14_
		.amdhsa_group_segment_fixed_size 0
		.amdhsa_private_segment_fixed_size 0
		.amdhsa_kernarg_size 88
		.amdhsa_user_sgpr_count 6
		.amdhsa_user_sgpr_private_segment_buffer 1
		.amdhsa_user_sgpr_dispatch_ptr 0
		.amdhsa_user_sgpr_queue_ptr 0
		.amdhsa_user_sgpr_kernarg_segment_ptr 1
		.amdhsa_user_sgpr_dispatch_id 0
		.amdhsa_user_sgpr_flat_scratch_init 0
		.amdhsa_user_sgpr_private_segment_size 0
		.amdhsa_wavefront_size32 1
		.amdhsa_uses_dynamic_stack 0
		.amdhsa_system_sgpr_private_segment_wavefront_offset 0
		.amdhsa_system_sgpr_workgroup_id_x 1
		.amdhsa_system_sgpr_workgroup_id_y 0
		.amdhsa_system_sgpr_workgroup_id_z 0
		.amdhsa_system_sgpr_workgroup_info 0
		.amdhsa_system_vgpr_workitem_id 0
		.amdhsa_next_free_vgpr 1
		.amdhsa_next_free_sgpr 1
		.amdhsa_reserve_vcc 0
		.amdhsa_reserve_flat_scratch 0
		.amdhsa_float_round_mode_32 0
		.amdhsa_float_round_mode_16_64 0
		.amdhsa_float_denorm_mode_32 3
		.amdhsa_float_denorm_mode_16_64 3
		.amdhsa_dx10_clamp 1
		.amdhsa_ieee_mode 1
		.amdhsa_fp16_overflow 0
		.amdhsa_workgroup_processor_mode 1
		.amdhsa_memory_ordered 1
		.amdhsa_forward_progress 1
		.amdhsa_shared_vgpr_count 0
		.amdhsa_exception_fp_ieee_invalid_op 0
		.amdhsa_exception_fp_denorm_src 0
		.amdhsa_exception_fp_ieee_div_zero 0
		.amdhsa_exception_fp_ieee_overflow 0
		.amdhsa_exception_fp_ieee_underflow 0
		.amdhsa_exception_fp_ieee_inexact 0
		.amdhsa_exception_int_div_zero 0
	.end_amdhsa_kernel
	.section	.text._ZN7rocprim17ROCPRIM_400000_NS6detail17trampoline_kernelINS0_14default_configENS1_22reduce_config_selectorIN6thrust23THRUST_200600_302600_NS5tupleIblNS6_9null_typeES8_S8_S8_S8_S8_S8_S8_EEEEZNS1_11reduce_implILb1ES3_NS6_12zip_iteratorINS7_INS6_11hip_rocprim26transform_input_iterator_tIbNSD_35transform_pair_of_input_iterators_tIbNS6_6detail15normal_iteratorINS6_10device_ptrIKiEEEESL_NS6_8equal_toIiEEEENSG_9not_fun_tINSD_8identityEEEEENSD_19counting_iterator_tIlEES8_S8_S8_S8_S8_S8_S8_S8_EEEEPS9_S9_NSD_9__find_if7functorIS9_EEEE10hipError_tPvRmT1_T2_T3_mT4_P12ihipStream_tbEUlT_E1_NS1_11comp_targetILNS1_3genE0ELNS1_11target_archE4294967295ELNS1_3gpuE0ELNS1_3repE0EEENS1_30default_config_static_selectorELNS0_4arch9wavefront6targetE0EEEvS14_,"axG",@progbits,_ZN7rocprim17ROCPRIM_400000_NS6detail17trampoline_kernelINS0_14default_configENS1_22reduce_config_selectorIN6thrust23THRUST_200600_302600_NS5tupleIblNS6_9null_typeES8_S8_S8_S8_S8_S8_S8_EEEEZNS1_11reduce_implILb1ES3_NS6_12zip_iteratorINS7_INS6_11hip_rocprim26transform_input_iterator_tIbNSD_35transform_pair_of_input_iterators_tIbNS6_6detail15normal_iteratorINS6_10device_ptrIKiEEEESL_NS6_8equal_toIiEEEENSG_9not_fun_tINSD_8identityEEEEENSD_19counting_iterator_tIlEES8_S8_S8_S8_S8_S8_S8_S8_EEEEPS9_S9_NSD_9__find_if7functorIS9_EEEE10hipError_tPvRmT1_T2_T3_mT4_P12ihipStream_tbEUlT_E1_NS1_11comp_targetILNS1_3genE0ELNS1_11target_archE4294967295ELNS1_3gpuE0ELNS1_3repE0EEENS1_30default_config_static_selectorELNS0_4arch9wavefront6targetE0EEEvS14_,comdat
.Lfunc_end477:
	.size	_ZN7rocprim17ROCPRIM_400000_NS6detail17trampoline_kernelINS0_14default_configENS1_22reduce_config_selectorIN6thrust23THRUST_200600_302600_NS5tupleIblNS6_9null_typeES8_S8_S8_S8_S8_S8_S8_EEEEZNS1_11reduce_implILb1ES3_NS6_12zip_iteratorINS7_INS6_11hip_rocprim26transform_input_iterator_tIbNSD_35transform_pair_of_input_iterators_tIbNS6_6detail15normal_iteratorINS6_10device_ptrIKiEEEESL_NS6_8equal_toIiEEEENSG_9not_fun_tINSD_8identityEEEEENSD_19counting_iterator_tIlEES8_S8_S8_S8_S8_S8_S8_S8_EEEEPS9_S9_NSD_9__find_if7functorIS9_EEEE10hipError_tPvRmT1_T2_T3_mT4_P12ihipStream_tbEUlT_E1_NS1_11comp_targetILNS1_3genE0ELNS1_11target_archE4294967295ELNS1_3gpuE0ELNS1_3repE0EEENS1_30default_config_static_selectorELNS0_4arch9wavefront6targetE0EEEvS14_, .Lfunc_end477-_ZN7rocprim17ROCPRIM_400000_NS6detail17trampoline_kernelINS0_14default_configENS1_22reduce_config_selectorIN6thrust23THRUST_200600_302600_NS5tupleIblNS6_9null_typeES8_S8_S8_S8_S8_S8_S8_EEEEZNS1_11reduce_implILb1ES3_NS6_12zip_iteratorINS7_INS6_11hip_rocprim26transform_input_iterator_tIbNSD_35transform_pair_of_input_iterators_tIbNS6_6detail15normal_iteratorINS6_10device_ptrIKiEEEESL_NS6_8equal_toIiEEEENSG_9not_fun_tINSD_8identityEEEEENSD_19counting_iterator_tIlEES8_S8_S8_S8_S8_S8_S8_S8_EEEEPS9_S9_NSD_9__find_if7functorIS9_EEEE10hipError_tPvRmT1_T2_T3_mT4_P12ihipStream_tbEUlT_E1_NS1_11comp_targetILNS1_3genE0ELNS1_11target_archE4294967295ELNS1_3gpuE0ELNS1_3repE0EEENS1_30default_config_static_selectorELNS0_4arch9wavefront6targetE0EEEvS14_
                                        ; -- End function
	.set _ZN7rocprim17ROCPRIM_400000_NS6detail17trampoline_kernelINS0_14default_configENS1_22reduce_config_selectorIN6thrust23THRUST_200600_302600_NS5tupleIblNS6_9null_typeES8_S8_S8_S8_S8_S8_S8_EEEEZNS1_11reduce_implILb1ES3_NS6_12zip_iteratorINS7_INS6_11hip_rocprim26transform_input_iterator_tIbNSD_35transform_pair_of_input_iterators_tIbNS6_6detail15normal_iteratorINS6_10device_ptrIKiEEEESL_NS6_8equal_toIiEEEENSG_9not_fun_tINSD_8identityEEEEENSD_19counting_iterator_tIlEES8_S8_S8_S8_S8_S8_S8_S8_EEEEPS9_S9_NSD_9__find_if7functorIS9_EEEE10hipError_tPvRmT1_T2_T3_mT4_P12ihipStream_tbEUlT_E1_NS1_11comp_targetILNS1_3genE0ELNS1_11target_archE4294967295ELNS1_3gpuE0ELNS1_3repE0EEENS1_30default_config_static_selectorELNS0_4arch9wavefront6targetE0EEEvS14_.num_vgpr, 0
	.set _ZN7rocprim17ROCPRIM_400000_NS6detail17trampoline_kernelINS0_14default_configENS1_22reduce_config_selectorIN6thrust23THRUST_200600_302600_NS5tupleIblNS6_9null_typeES8_S8_S8_S8_S8_S8_S8_EEEEZNS1_11reduce_implILb1ES3_NS6_12zip_iteratorINS7_INS6_11hip_rocprim26transform_input_iterator_tIbNSD_35transform_pair_of_input_iterators_tIbNS6_6detail15normal_iteratorINS6_10device_ptrIKiEEEESL_NS6_8equal_toIiEEEENSG_9not_fun_tINSD_8identityEEEEENSD_19counting_iterator_tIlEES8_S8_S8_S8_S8_S8_S8_S8_EEEEPS9_S9_NSD_9__find_if7functorIS9_EEEE10hipError_tPvRmT1_T2_T3_mT4_P12ihipStream_tbEUlT_E1_NS1_11comp_targetILNS1_3genE0ELNS1_11target_archE4294967295ELNS1_3gpuE0ELNS1_3repE0EEENS1_30default_config_static_selectorELNS0_4arch9wavefront6targetE0EEEvS14_.num_agpr, 0
	.set _ZN7rocprim17ROCPRIM_400000_NS6detail17trampoline_kernelINS0_14default_configENS1_22reduce_config_selectorIN6thrust23THRUST_200600_302600_NS5tupleIblNS6_9null_typeES8_S8_S8_S8_S8_S8_S8_EEEEZNS1_11reduce_implILb1ES3_NS6_12zip_iteratorINS7_INS6_11hip_rocprim26transform_input_iterator_tIbNSD_35transform_pair_of_input_iterators_tIbNS6_6detail15normal_iteratorINS6_10device_ptrIKiEEEESL_NS6_8equal_toIiEEEENSG_9not_fun_tINSD_8identityEEEEENSD_19counting_iterator_tIlEES8_S8_S8_S8_S8_S8_S8_S8_EEEEPS9_S9_NSD_9__find_if7functorIS9_EEEE10hipError_tPvRmT1_T2_T3_mT4_P12ihipStream_tbEUlT_E1_NS1_11comp_targetILNS1_3genE0ELNS1_11target_archE4294967295ELNS1_3gpuE0ELNS1_3repE0EEENS1_30default_config_static_selectorELNS0_4arch9wavefront6targetE0EEEvS14_.numbered_sgpr, 0
	.set _ZN7rocprim17ROCPRIM_400000_NS6detail17trampoline_kernelINS0_14default_configENS1_22reduce_config_selectorIN6thrust23THRUST_200600_302600_NS5tupleIblNS6_9null_typeES8_S8_S8_S8_S8_S8_S8_EEEEZNS1_11reduce_implILb1ES3_NS6_12zip_iteratorINS7_INS6_11hip_rocprim26transform_input_iterator_tIbNSD_35transform_pair_of_input_iterators_tIbNS6_6detail15normal_iteratorINS6_10device_ptrIKiEEEESL_NS6_8equal_toIiEEEENSG_9not_fun_tINSD_8identityEEEEENSD_19counting_iterator_tIlEES8_S8_S8_S8_S8_S8_S8_S8_EEEEPS9_S9_NSD_9__find_if7functorIS9_EEEE10hipError_tPvRmT1_T2_T3_mT4_P12ihipStream_tbEUlT_E1_NS1_11comp_targetILNS1_3genE0ELNS1_11target_archE4294967295ELNS1_3gpuE0ELNS1_3repE0EEENS1_30default_config_static_selectorELNS0_4arch9wavefront6targetE0EEEvS14_.num_named_barrier, 0
	.set _ZN7rocprim17ROCPRIM_400000_NS6detail17trampoline_kernelINS0_14default_configENS1_22reduce_config_selectorIN6thrust23THRUST_200600_302600_NS5tupleIblNS6_9null_typeES8_S8_S8_S8_S8_S8_S8_EEEEZNS1_11reduce_implILb1ES3_NS6_12zip_iteratorINS7_INS6_11hip_rocprim26transform_input_iterator_tIbNSD_35transform_pair_of_input_iterators_tIbNS6_6detail15normal_iteratorINS6_10device_ptrIKiEEEESL_NS6_8equal_toIiEEEENSG_9not_fun_tINSD_8identityEEEEENSD_19counting_iterator_tIlEES8_S8_S8_S8_S8_S8_S8_S8_EEEEPS9_S9_NSD_9__find_if7functorIS9_EEEE10hipError_tPvRmT1_T2_T3_mT4_P12ihipStream_tbEUlT_E1_NS1_11comp_targetILNS1_3genE0ELNS1_11target_archE4294967295ELNS1_3gpuE0ELNS1_3repE0EEENS1_30default_config_static_selectorELNS0_4arch9wavefront6targetE0EEEvS14_.private_seg_size, 0
	.set _ZN7rocprim17ROCPRIM_400000_NS6detail17trampoline_kernelINS0_14default_configENS1_22reduce_config_selectorIN6thrust23THRUST_200600_302600_NS5tupleIblNS6_9null_typeES8_S8_S8_S8_S8_S8_S8_EEEEZNS1_11reduce_implILb1ES3_NS6_12zip_iteratorINS7_INS6_11hip_rocprim26transform_input_iterator_tIbNSD_35transform_pair_of_input_iterators_tIbNS6_6detail15normal_iteratorINS6_10device_ptrIKiEEEESL_NS6_8equal_toIiEEEENSG_9not_fun_tINSD_8identityEEEEENSD_19counting_iterator_tIlEES8_S8_S8_S8_S8_S8_S8_S8_EEEEPS9_S9_NSD_9__find_if7functorIS9_EEEE10hipError_tPvRmT1_T2_T3_mT4_P12ihipStream_tbEUlT_E1_NS1_11comp_targetILNS1_3genE0ELNS1_11target_archE4294967295ELNS1_3gpuE0ELNS1_3repE0EEENS1_30default_config_static_selectorELNS0_4arch9wavefront6targetE0EEEvS14_.uses_vcc, 0
	.set _ZN7rocprim17ROCPRIM_400000_NS6detail17trampoline_kernelINS0_14default_configENS1_22reduce_config_selectorIN6thrust23THRUST_200600_302600_NS5tupleIblNS6_9null_typeES8_S8_S8_S8_S8_S8_S8_EEEEZNS1_11reduce_implILb1ES3_NS6_12zip_iteratorINS7_INS6_11hip_rocprim26transform_input_iterator_tIbNSD_35transform_pair_of_input_iterators_tIbNS6_6detail15normal_iteratorINS6_10device_ptrIKiEEEESL_NS6_8equal_toIiEEEENSG_9not_fun_tINSD_8identityEEEEENSD_19counting_iterator_tIlEES8_S8_S8_S8_S8_S8_S8_S8_EEEEPS9_S9_NSD_9__find_if7functorIS9_EEEE10hipError_tPvRmT1_T2_T3_mT4_P12ihipStream_tbEUlT_E1_NS1_11comp_targetILNS1_3genE0ELNS1_11target_archE4294967295ELNS1_3gpuE0ELNS1_3repE0EEENS1_30default_config_static_selectorELNS0_4arch9wavefront6targetE0EEEvS14_.uses_flat_scratch, 0
	.set _ZN7rocprim17ROCPRIM_400000_NS6detail17trampoline_kernelINS0_14default_configENS1_22reduce_config_selectorIN6thrust23THRUST_200600_302600_NS5tupleIblNS6_9null_typeES8_S8_S8_S8_S8_S8_S8_EEEEZNS1_11reduce_implILb1ES3_NS6_12zip_iteratorINS7_INS6_11hip_rocprim26transform_input_iterator_tIbNSD_35transform_pair_of_input_iterators_tIbNS6_6detail15normal_iteratorINS6_10device_ptrIKiEEEESL_NS6_8equal_toIiEEEENSG_9not_fun_tINSD_8identityEEEEENSD_19counting_iterator_tIlEES8_S8_S8_S8_S8_S8_S8_S8_EEEEPS9_S9_NSD_9__find_if7functorIS9_EEEE10hipError_tPvRmT1_T2_T3_mT4_P12ihipStream_tbEUlT_E1_NS1_11comp_targetILNS1_3genE0ELNS1_11target_archE4294967295ELNS1_3gpuE0ELNS1_3repE0EEENS1_30default_config_static_selectorELNS0_4arch9wavefront6targetE0EEEvS14_.has_dyn_sized_stack, 0
	.set _ZN7rocprim17ROCPRIM_400000_NS6detail17trampoline_kernelINS0_14default_configENS1_22reduce_config_selectorIN6thrust23THRUST_200600_302600_NS5tupleIblNS6_9null_typeES8_S8_S8_S8_S8_S8_S8_EEEEZNS1_11reduce_implILb1ES3_NS6_12zip_iteratorINS7_INS6_11hip_rocprim26transform_input_iterator_tIbNSD_35transform_pair_of_input_iterators_tIbNS6_6detail15normal_iteratorINS6_10device_ptrIKiEEEESL_NS6_8equal_toIiEEEENSG_9not_fun_tINSD_8identityEEEEENSD_19counting_iterator_tIlEES8_S8_S8_S8_S8_S8_S8_S8_EEEEPS9_S9_NSD_9__find_if7functorIS9_EEEE10hipError_tPvRmT1_T2_T3_mT4_P12ihipStream_tbEUlT_E1_NS1_11comp_targetILNS1_3genE0ELNS1_11target_archE4294967295ELNS1_3gpuE0ELNS1_3repE0EEENS1_30default_config_static_selectorELNS0_4arch9wavefront6targetE0EEEvS14_.has_recursion, 0
	.set _ZN7rocprim17ROCPRIM_400000_NS6detail17trampoline_kernelINS0_14default_configENS1_22reduce_config_selectorIN6thrust23THRUST_200600_302600_NS5tupleIblNS6_9null_typeES8_S8_S8_S8_S8_S8_S8_EEEEZNS1_11reduce_implILb1ES3_NS6_12zip_iteratorINS7_INS6_11hip_rocprim26transform_input_iterator_tIbNSD_35transform_pair_of_input_iterators_tIbNS6_6detail15normal_iteratorINS6_10device_ptrIKiEEEESL_NS6_8equal_toIiEEEENSG_9not_fun_tINSD_8identityEEEEENSD_19counting_iterator_tIlEES8_S8_S8_S8_S8_S8_S8_S8_EEEEPS9_S9_NSD_9__find_if7functorIS9_EEEE10hipError_tPvRmT1_T2_T3_mT4_P12ihipStream_tbEUlT_E1_NS1_11comp_targetILNS1_3genE0ELNS1_11target_archE4294967295ELNS1_3gpuE0ELNS1_3repE0EEENS1_30default_config_static_selectorELNS0_4arch9wavefront6targetE0EEEvS14_.has_indirect_call, 0
	.section	.AMDGPU.csdata,"",@progbits
; Kernel info:
; codeLenInByte = 0
; TotalNumSgprs: 0
; NumVgprs: 0
; ScratchSize: 0
; MemoryBound: 0
; FloatMode: 240
; IeeeMode: 1
; LDSByteSize: 0 bytes/workgroup (compile time only)
; SGPRBlocks: 0
; VGPRBlocks: 0
; NumSGPRsForWavesPerEU: 1
; NumVGPRsForWavesPerEU: 1
; Occupancy: 16
; WaveLimiterHint : 0
; COMPUTE_PGM_RSRC2:SCRATCH_EN: 0
; COMPUTE_PGM_RSRC2:USER_SGPR: 6
; COMPUTE_PGM_RSRC2:TRAP_HANDLER: 0
; COMPUTE_PGM_RSRC2:TGID_X_EN: 1
; COMPUTE_PGM_RSRC2:TGID_Y_EN: 0
; COMPUTE_PGM_RSRC2:TGID_Z_EN: 0
; COMPUTE_PGM_RSRC2:TIDIG_COMP_CNT: 0
	.section	.text._ZN7rocprim17ROCPRIM_400000_NS6detail17trampoline_kernelINS0_14default_configENS1_22reduce_config_selectorIN6thrust23THRUST_200600_302600_NS5tupleIblNS6_9null_typeES8_S8_S8_S8_S8_S8_S8_EEEEZNS1_11reduce_implILb1ES3_NS6_12zip_iteratorINS7_INS6_11hip_rocprim26transform_input_iterator_tIbNSD_35transform_pair_of_input_iterators_tIbNS6_6detail15normal_iteratorINS6_10device_ptrIKiEEEESL_NS6_8equal_toIiEEEENSG_9not_fun_tINSD_8identityEEEEENSD_19counting_iterator_tIlEES8_S8_S8_S8_S8_S8_S8_S8_EEEEPS9_S9_NSD_9__find_if7functorIS9_EEEE10hipError_tPvRmT1_T2_T3_mT4_P12ihipStream_tbEUlT_E1_NS1_11comp_targetILNS1_3genE5ELNS1_11target_archE942ELNS1_3gpuE9ELNS1_3repE0EEENS1_30default_config_static_selectorELNS0_4arch9wavefront6targetE0EEEvS14_,"axG",@progbits,_ZN7rocprim17ROCPRIM_400000_NS6detail17trampoline_kernelINS0_14default_configENS1_22reduce_config_selectorIN6thrust23THRUST_200600_302600_NS5tupleIblNS6_9null_typeES8_S8_S8_S8_S8_S8_S8_EEEEZNS1_11reduce_implILb1ES3_NS6_12zip_iteratorINS7_INS6_11hip_rocprim26transform_input_iterator_tIbNSD_35transform_pair_of_input_iterators_tIbNS6_6detail15normal_iteratorINS6_10device_ptrIKiEEEESL_NS6_8equal_toIiEEEENSG_9not_fun_tINSD_8identityEEEEENSD_19counting_iterator_tIlEES8_S8_S8_S8_S8_S8_S8_S8_EEEEPS9_S9_NSD_9__find_if7functorIS9_EEEE10hipError_tPvRmT1_T2_T3_mT4_P12ihipStream_tbEUlT_E1_NS1_11comp_targetILNS1_3genE5ELNS1_11target_archE942ELNS1_3gpuE9ELNS1_3repE0EEENS1_30default_config_static_selectorELNS0_4arch9wavefront6targetE0EEEvS14_,comdat
	.protected	_ZN7rocprim17ROCPRIM_400000_NS6detail17trampoline_kernelINS0_14default_configENS1_22reduce_config_selectorIN6thrust23THRUST_200600_302600_NS5tupleIblNS6_9null_typeES8_S8_S8_S8_S8_S8_S8_EEEEZNS1_11reduce_implILb1ES3_NS6_12zip_iteratorINS7_INS6_11hip_rocprim26transform_input_iterator_tIbNSD_35transform_pair_of_input_iterators_tIbNS6_6detail15normal_iteratorINS6_10device_ptrIKiEEEESL_NS6_8equal_toIiEEEENSG_9not_fun_tINSD_8identityEEEEENSD_19counting_iterator_tIlEES8_S8_S8_S8_S8_S8_S8_S8_EEEEPS9_S9_NSD_9__find_if7functorIS9_EEEE10hipError_tPvRmT1_T2_T3_mT4_P12ihipStream_tbEUlT_E1_NS1_11comp_targetILNS1_3genE5ELNS1_11target_archE942ELNS1_3gpuE9ELNS1_3repE0EEENS1_30default_config_static_selectorELNS0_4arch9wavefront6targetE0EEEvS14_ ; -- Begin function _ZN7rocprim17ROCPRIM_400000_NS6detail17trampoline_kernelINS0_14default_configENS1_22reduce_config_selectorIN6thrust23THRUST_200600_302600_NS5tupleIblNS6_9null_typeES8_S8_S8_S8_S8_S8_S8_EEEEZNS1_11reduce_implILb1ES3_NS6_12zip_iteratorINS7_INS6_11hip_rocprim26transform_input_iterator_tIbNSD_35transform_pair_of_input_iterators_tIbNS6_6detail15normal_iteratorINS6_10device_ptrIKiEEEESL_NS6_8equal_toIiEEEENSG_9not_fun_tINSD_8identityEEEEENSD_19counting_iterator_tIlEES8_S8_S8_S8_S8_S8_S8_S8_EEEEPS9_S9_NSD_9__find_if7functorIS9_EEEE10hipError_tPvRmT1_T2_T3_mT4_P12ihipStream_tbEUlT_E1_NS1_11comp_targetILNS1_3genE5ELNS1_11target_archE942ELNS1_3gpuE9ELNS1_3repE0EEENS1_30default_config_static_selectorELNS0_4arch9wavefront6targetE0EEEvS14_
	.globl	_ZN7rocprim17ROCPRIM_400000_NS6detail17trampoline_kernelINS0_14default_configENS1_22reduce_config_selectorIN6thrust23THRUST_200600_302600_NS5tupleIblNS6_9null_typeES8_S8_S8_S8_S8_S8_S8_EEEEZNS1_11reduce_implILb1ES3_NS6_12zip_iteratorINS7_INS6_11hip_rocprim26transform_input_iterator_tIbNSD_35transform_pair_of_input_iterators_tIbNS6_6detail15normal_iteratorINS6_10device_ptrIKiEEEESL_NS6_8equal_toIiEEEENSG_9not_fun_tINSD_8identityEEEEENSD_19counting_iterator_tIlEES8_S8_S8_S8_S8_S8_S8_S8_EEEEPS9_S9_NSD_9__find_if7functorIS9_EEEE10hipError_tPvRmT1_T2_T3_mT4_P12ihipStream_tbEUlT_E1_NS1_11comp_targetILNS1_3genE5ELNS1_11target_archE942ELNS1_3gpuE9ELNS1_3repE0EEENS1_30default_config_static_selectorELNS0_4arch9wavefront6targetE0EEEvS14_
	.p2align	8
	.type	_ZN7rocprim17ROCPRIM_400000_NS6detail17trampoline_kernelINS0_14default_configENS1_22reduce_config_selectorIN6thrust23THRUST_200600_302600_NS5tupleIblNS6_9null_typeES8_S8_S8_S8_S8_S8_S8_EEEEZNS1_11reduce_implILb1ES3_NS6_12zip_iteratorINS7_INS6_11hip_rocprim26transform_input_iterator_tIbNSD_35transform_pair_of_input_iterators_tIbNS6_6detail15normal_iteratorINS6_10device_ptrIKiEEEESL_NS6_8equal_toIiEEEENSG_9not_fun_tINSD_8identityEEEEENSD_19counting_iterator_tIlEES8_S8_S8_S8_S8_S8_S8_S8_EEEEPS9_S9_NSD_9__find_if7functorIS9_EEEE10hipError_tPvRmT1_T2_T3_mT4_P12ihipStream_tbEUlT_E1_NS1_11comp_targetILNS1_3genE5ELNS1_11target_archE942ELNS1_3gpuE9ELNS1_3repE0EEENS1_30default_config_static_selectorELNS0_4arch9wavefront6targetE0EEEvS14_,@function
_ZN7rocprim17ROCPRIM_400000_NS6detail17trampoline_kernelINS0_14default_configENS1_22reduce_config_selectorIN6thrust23THRUST_200600_302600_NS5tupleIblNS6_9null_typeES8_S8_S8_S8_S8_S8_S8_EEEEZNS1_11reduce_implILb1ES3_NS6_12zip_iteratorINS7_INS6_11hip_rocprim26transform_input_iterator_tIbNSD_35transform_pair_of_input_iterators_tIbNS6_6detail15normal_iteratorINS6_10device_ptrIKiEEEESL_NS6_8equal_toIiEEEENSG_9not_fun_tINSD_8identityEEEEENSD_19counting_iterator_tIlEES8_S8_S8_S8_S8_S8_S8_S8_EEEEPS9_S9_NSD_9__find_if7functorIS9_EEEE10hipError_tPvRmT1_T2_T3_mT4_P12ihipStream_tbEUlT_E1_NS1_11comp_targetILNS1_3genE5ELNS1_11target_archE942ELNS1_3gpuE9ELNS1_3repE0EEENS1_30default_config_static_selectorELNS0_4arch9wavefront6targetE0EEEvS14_: ; @_ZN7rocprim17ROCPRIM_400000_NS6detail17trampoline_kernelINS0_14default_configENS1_22reduce_config_selectorIN6thrust23THRUST_200600_302600_NS5tupleIblNS6_9null_typeES8_S8_S8_S8_S8_S8_S8_EEEEZNS1_11reduce_implILb1ES3_NS6_12zip_iteratorINS7_INS6_11hip_rocprim26transform_input_iterator_tIbNSD_35transform_pair_of_input_iterators_tIbNS6_6detail15normal_iteratorINS6_10device_ptrIKiEEEESL_NS6_8equal_toIiEEEENSG_9not_fun_tINSD_8identityEEEEENSD_19counting_iterator_tIlEES8_S8_S8_S8_S8_S8_S8_S8_EEEEPS9_S9_NSD_9__find_if7functorIS9_EEEE10hipError_tPvRmT1_T2_T3_mT4_P12ihipStream_tbEUlT_E1_NS1_11comp_targetILNS1_3genE5ELNS1_11target_archE942ELNS1_3gpuE9ELNS1_3repE0EEENS1_30default_config_static_selectorELNS0_4arch9wavefront6targetE0EEEvS14_
; %bb.0:
	.section	.rodata,"a",@progbits
	.p2align	6, 0x0
	.amdhsa_kernel _ZN7rocprim17ROCPRIM_400000_NS6detail17trampoline_kernelINS0_14default_configENS1_22reduce_config_selectorIN6thrust23THRUST_200600_302600_NS5tupleIblNS6_9null_typeES8_S8_S8_S8_S8_S8_S8_EEEEZNS1_11reduce_implILb1ES3_NS6_12zip_iteratorINS7_INS6_11hip_rocprim26transform_input_iterator_tIbNSD_35transform_pair_of_input_iterators_tIbNS6_6detail15normal_iteratorINS6_10device_ptrIKiEEEESL_NS6_8equal_toIiEEEENSG_9not_fun_tINSD_8identityEEEEENSD_19counting_iterator_tIlEES8_S8_S8_S8_S8_S8_S8_S8_EEEEPS9_S9_NSD_9__find_if7functorIS9_EEEE10hipError_tPvRmT1_T2_T3_mT4_P12ihipStream_tbEUlT_E1_NS1_11comp_targetILNS1_3genE5ELNS1_11target_archE942ELNS1_3gpuE9ELNS1_3repE0EEENS1_30default_config_static_selectorELNS0_4arch9wavefront6targetE0EEEvS14_
		.amdhsa_group_segment_fixed_size 0
		.amdhsa_private_segment_fixed_size 0
		.amdhsa_kernarg_size 88
		.amdhsa_user_sgpr_count 6
		.amdhsa_user_sgpr_private_segment_buffer 1
		.amdhsa_user_sgpr_dispatch_ptr 0
		.amdhsa_user_sgpr_queue_ptr 0
		.amdhsa_user_sgpr_kernarg_segment_ptr 1
		.amdhsa_user_sgpr_dispatch_id 0
		.amdhsa_user_sgpr_flat_scratch_init 0
		.amdhsa_user_sgpr_private_segment_size 0
		.amdhsa_wavefront_size32 1
		.amdhsa_uses_dynamic_stack 0
		.amdhsa_system_sgpr_private_segment_wavefront_offset 0
		.amdhsa_system_sgpr_workgroup_id_x 1
		.amdhsa_system_sgpr_workgroup_id_y 0
		.amdhsa_system_sgpr_workgroup_id_z 0
		.amdhsa_system_sgpr_workgroup_info 0
		.amdhsa_system_vgpr_workitem_id 0
		.amdhsa_next_free_vgpr 1
		.amdhsa_next_free_sgpr 1
		.amdhsa_reserve_vcc 0
		.amdhsa_reserve_flat_scratch 0
		.amdhsa_float_round_mode_32 0
		.amdhsa_float_round_mode_16_64 0
		.amdhsa_float_denorm_mode_32 3
		.amdhsa_float_denorm_mode_16_64 3
		.amdhsa_dx10_clamp 1
		.amdhsa_ieee_mode 1
		.amdhsa_fp16_overflow 0
		.amdhsa_workgroup_processor_mode 1
		.amdhsa_memory_ordered 1
		.amdhsa_forward_progress 1
		.amdhsa_shared_vgpr_count 0
		.amdhsa_exception_fp_ieee_invalid_op 0
		.amdhsa_exception_fp_denorm_src 0
		.amdhsa_exception_fp_ieee_div_zero 0
		.amdhsa_exception_fp_ieee_overflow 0
		.amdhsa_exception_fp_ieee_underflow 0
		.amdhsa_exception_fp_ieee_inexact 0
		.amdhsa_exception_int_div_zero 0
	.end_amdhsa_kernel
	.section	.text._ZN7rocprim17ROCPRIM_400000_NS6detail17trampoline_kernelINS0_14default_configENS1_22reduce_config_selectorIN6thrust23THRUST_200600_302600_NS5tupleIblNS6_9null_typeES8_S8_S8_S8_S8_S8_S8_EEEEZNS1_11reduce_implILb1ES3_NS6_12zip_iteratorINS7_INS6_11hip_rocprim26transform_input_iterator_tIbNSD_35transform_pair_of_input_iterators_tIbNS6_6detail15normal_iteratorINS6_10device_ptrIKiEEEESL_NS6_8equal_toIiEEEENSG_9not_fun_tINSD_8identityEEEEENSD_19counting_iterator_tIlEES8_S8_S8_S8_S8_S8_S8_S8_EEEEPS9_S9_NSD_9__find_if7functorIS9_EEEE10hipError_tPvRmT1_T2_T3_mT4_P12ihipStream_tbEUlT_E1_NS1_11comp_targetILNS1_3genE5ELNS1_11target_archE942ELNS1_3gpuE9ELNS1_3repE0EEENS1_30default_config_static_selectorELNS0_4arch9wavefront6targetE0EEEvS14_,"axG",@progbits,_ZN7rocprim17ROCPRIM_400000_NS6detail17trampoline_kernelINS0_14default_configENS1_22reduce_config_selectorIN6thrust23THRUST_200600_302600_NS5tupleIblNS6_9null_typeES8_S8_S8_S8_S8_S8_S8_EEEEZNS1_11reduce_implILb1ES3_NS6_12zip_iteratorINS7_INS6_11hip_rocprim26transform_input_iterator_tIbNSD_35transform_pair_of_input_iterators_tIbNS6_6detail15normal_iteratorINS6_10device_ptrIKiEEEESL_NS6_8equal_toIiEEEENSG_9not_fun_tINSD_8identityEEEEENSD_19counting_iterator_tIlEES8_S8_S8_S8_S8_S8_S8_S8_EEEEPS9_S9_NSD_9__find_if7functorIS9_EEEE10hipError_tPvRmT1_T2_T3_mT4_P12ihipStream_tbEUlT_E1_NS1_11comp_targetILNS1_3genE5ELNS1_11target_archE942ELNS1_3gpuE9ELNS1_3repE0EEENS1_30default_config_static_selectorELNS0_4arch9wavefront6targetE0EEEvS14_,comdat
.Lfunc_end478:
	.size	_ZN7rocprim17ROCPRIM_400000_NS6detail17trampoline_kernelINS0_14default_configENS1_22reduce_config_selectorIN6thrust23THRUST_200600_302600_NS5tupleIblNS6_9null_typeES8_S8_S8_S8_S8_S8_S8_EEEEZNS1_11reduce_implILb1ES3_NS6_12zip_iteratorINS7_INS6_11hip_rocprim26transform_input_iterator_tIbNSD_35transform_pair_of_input_iterators_tIbNS6_6detail15normal_iteratorINS6_10device_ptrIKiEEEESL_NS6_8equal_toIiEEEENSG_9not_fun_tINSD_8identityEEEEENSD_19counting_iterator_tIlEES8_S8_S8_S8_S8_S8_S8_S8_EEEEPS9_S9_NSD_9__find_if7functorIS9_EEEE10hipError_tPvRmT1_T2_T3_mT4_P12ihipStream_tbEUlT_E1_NS1_11comp_targetILNS1_3genE5ELNS1_11target_archE942ELNS1_3gpuE9ELNS1_3repE0EEENS1_30default_config_static_selectorELNS0_4arch9wavefront6targetE0EEEvS14_, .Lfunc_end478-_ZN7rocprim17ROCPRIM_400000_NS6detail17trampoline_kernelINS0_14default_configENS1_22reduce_config_selectorIN6thrust23THRUST_200600_302600_NS5tupleIblNS6_9null_typeES8_S8_S8_S8_S8_S8_S8_EEEEZNS1_11reduce_implILb1ES3_NS6_12zip_iteratorINS7_INS6_11hip_rocprim26transform_input_iterator_tIbNSD_35transform_pair_of_input_iterators_tIbNS6_6detail15normal_iteratorINS6_10device_ptrIKiEEEESL_NS6_8equal_toIiEEEENSG_9not_fun_tINSD_8identityEEEEENSD_19counting_iterator_tIlEES8_S8_S8_S8_S8_S8_S8_S8_EEEEPS9_S9_NSD_9__find_if7functorIS9_EEEE10hipError_tPvRmT1_T2_T3_mT4_P12ihipStream_tbEUlT_E1_NS1_11comp_targetILNS1_3genE5ELNS1_11target_archE942ELNS1_3gpuE9ELNS1_3repE0EEENS1_30default_config_static_selectorELNS0_4arch9wavefront6targetE0EEEvS14_
                                        ; -- End function
	.set _ZN7rocprim17ROCPRIM_400000_NS6detail17trampoline_kernelINS0_14default_configENS1_22reduce_config_selectorIN6thrust23THRUST_200600_302600_NS5tupleIblNS6_9null_typeES8_S8_S8_S8_S8_S8_S8_EEEEZNS1_11reduce_implILb1ES3_NS6_12zip_iteratorINS7_INS6_11hip_rocprim26transform_input_iterator_tIbNSD_35transform_pair_of_input_iterators_tIbNS6_6detail15normal_iteratorINS6_10device_ptrIKiEEEESL_NS6_8equal_toIiEEEENSG_9not_fun_tINSD_8identityEEEEENSD_19counting_iterator_tIlEES8_S8_S8_S8_S8_S8_S8_S8_EEEEPS9_S9_NSD_9__find_if7functorIS9_EEEE10hipError_tPvRmT1_T2_T3_mT4_P12ihipStream_tbEUlT_E1_NS1_11comp_targetILNS1_3genE5ELNS1_11target_archE942ELNS1_3gpuE9ELNS1_3repE0EEENS1_30default_config_static_selectorELNS0_4arch9wavefront6targetE0EEEvS14_.num_vgpr, 0
	.set _ZN7rocprim17ROCPRIM_400000_NS6detail17trampoline_kernelINS0_14default_configENS1_22reduce_config_selectorIN6thrust23THRUST_200600_302600_NS5tupleIblNS6_9null_typeES8_S8_S8_S8_S8_S8_S8_EEEEZNS1_11reduce_implILb1ES3_NS6_12zip_iteratorINS7_INS6_11hip_rocprim26transform_input_iterator_tIbNSD_35transform_pair_of_input_iterators_tIbNS6_6detail15normal_iteratorINS6_10device_ptrIKiEEEESL_NS6_8equal_toIiEEEENSG_9not_fun_tINSD_8identityEEEEENSD_19counting_iterator_tIlEES8_S8_S8_S8_S8_S8_S8_S8_EEEEPS9_S9_NSD_9__find_if7functorIS9_EEEE10hipError_tPvRmT1_T2_T3_mT4_P12ihipStream_tbEUlT_E1_NS1_11comp_targetILNS1_3genE5ELNS1_11target_archE942ELNS1_3gpuE9ELNS1_3repE0EEENS1_30default_config_static_selectorELNS0_4arch9wavefront6targetE0EEEvS14_.num_agpr, 0
	.set _ZN7rocprim17ROCPRIM_400000_NS6detail17trampoline_kernelINS0_14default_configENS1_22reduce_config_selectorIN6thrust23THRUST_200600_302600_NS5tupleIblNS6_9null_typeES8_S8_S8_S8_S8_S8_S8_EEEEZNS1_11reduce_implILb1ES3_NS6_12zip_iteratorINS7_INS6_11hip_rocprim26transform_input_iterator_tIbNSD_35transform_pair_of_input_iterators_tIbNS6_6detail15normal_iteratorINS6_10device_ptrIKiEEEESL_NS6_8equal_toIiEEEENSG_9not_fun_tINSD_8identityEEEEENSD_19counting_iterator_tIlEES8_S8_S8_S8_S8_S8_S8_S8_EEEEPS9_S9_NSD_9__find_if7functorIS9_EEEE10hipError_tPvRmT1_T2_T3_mT4_P12ihipStream_tbEUlT_E1_NS1_11comp_targetILNS1_3genE5ELNS1_11target_archE942ELNS1_3gpuE9ELNS1_3repE0EEENS1_30default_config_static_selectorELNS0_4arch9wavefront6targetE0EEEvS14_.numbered_sgpr, 0
	.set _ZN7rocprim17ROCPRIM_400000_NS6detail17trampoline_kernelINS0_14default_configENS1_22reduce_config_selectorIN6thrust23THRUST_200600_302600_NS5tupleIblNS6_9null_typeES8_S8_S8_S8_S8_S8_S8_EEEEZNS1_11reduce_implILb1ES3_NS6_12zip_iteratorINS7_INS6_11hip_rocprim26transform_input_iterator_tIbNSD_35transform_pair_of_input_iterators_tIbNS6_6detail15normal_iteratorINS6_10device_ptrIKiEEEESL_NS6_8equal_toIiEEEENSG_9not_fun_tINSD_8identityEEEEENSD_19counting_iterator_tIlEES8_S8_S8_S8_S8_S8_S8_S8_EEEEPS9_S9_NSD_9__find_if7functorIS9_EEEE10hipError_tPvRmT1_T2_T3_mT4_P12ihipStream_tbEUlT_E1_NS1_11comp_targetILNS1_3genE5ELNS1_11target_archE942ELNS1_3gpuE9ELNS1_3repE0EEENS1_30default_config_static_selectorELNS0_4arch9wavefront6targetE0EEEvS14_.num_named_barrier, 0
	.set _ZN7rocprim17ROCPRIM_400000_NS6detail17trampoline_kernelINS0_14default_configENS1_22reduce_config_selectorIN6thrust23THRUST_200600_302600_NS5tupleIblNS6_9null_typeES8_S8_S8_S8_S8_S8_S8_EEEEZNS1_11reduce_implILb1ES3_NS6_12zip_iteratorINS7_INS6_11hip_rocprim26transform_input_iterator_tIbNSD_35transform_pair_of_input_iterators_tIbNS6_6detail15normal_iteratorINS6_10device_ptrIKiEEEESL_NS6_8equal_toIiEEEENSG_9not_fun_tINSD_8identityEEEEENSD_19counting_iterator_tIlEES8_S8_S8_S8_S8_S8_S8_S8_EEEEPS9_S9_NSD_9__find_if7functorIS9_EEEE10hipError_tPvRmT1_T2_T3_mT4_P12ihipStream_tbEUlT_E1_NS1_11comp_targetILNS1_3genE5ELNS1_11target_archE942ELNS1_3gpuE9ELNS1_3repE0EEENS1_30default_config_static_selectorELNS0_4arch9wavefront6targetE0EEEvS14_.private_seg_size, 0
	.set _ZN7rocprim17ROCPRIM_400000_NS6detail17trampoline_kernelINS0_14default_configENS1_22reduce_config_selectorIN6thrust23THRUST_200600_302600_NS5tupleIblNS6_9null_typeES8_S8_S8_S8_S8_S8_S8_EEEEZNS1_11reduce_implILb1ES3_NS6_12zip_iteratorINS7_INS6_11hip_rocprim26transform_input_iterator_tIbNSD_35transform_pair_of_input_iterators_tIbNS6_6detail15normal_iteratorINS6_10device_ptrIKiEEEESL_NS6_8equal_toIiEEEENSG_9not_fun_tINSD_8identityEEEEENSD_19counting_iterator_tIlEES8_S8_S8_S8_S8_S8_S8_S8_EEEEPS9_S9_NSD_9__find_if7functorIS9_EEEE10hipError_tPvRmT1_T2_T3_mT4_P12ihipStream_tbEUlT_E1_NS1_11comp_targetILNS1_3genE5ELNS1_11target_archE942ELNS1_3gpuE9ELNS1_3repE0EEENS1_30default_config_static_selectorELNS0_4arch9wavefront6targetE0EEEvS14_.uses_vcc, 0
	.set _ZN7rocprim17ROCPRIM_400000_NS6detail17trampoline_kernelINS0_14default_configENS1_22reduce_config_selectorIN6thrust23THRUST_200600_302600_NS5tupleIblNS6_9null_typeES8_S8_S8_S8_S8_S8_S8_EEEEZNS1_11reduce_implILb1ES3_NS6_12zip_iteratorINS7_INS6_11hip_rocprim26transform_input_iterator_tIbNSD_35transform_pair_of_input_iterators_tIbNS6_6detail15normal_iteratorINS6_10device_ptrIKiEEEESL_NS6_8equal_toIiEEEENSG_9not_fun_tINSD_8identityEEEEENSD_19counting_iterator_tIlEES8_S8_S8_S8_S8_S8_S8_S8_EEEEPS9_S9_NSD_9__find_if7functorIS9_EEEE10hipError_tPvRmT1_T2_T3_mT4_P12ihipStream_tbEUlT_E1_NS1_11comp_targetILNS1_3genE5ELNS1_11target_archE942ELNS1_3gpuE9ELNS1_3repE0EEENS1_30default_config_static_selectorELNS0_4arch9wavefront6targetE0EEEvS14_.uses_flat_scratch, 0
	.set _ZN7rocprim17ROCPRIM_400000_NS6detail17trampoline_kernelINS0_14default_configENS1_22reduce_config_selectorIN6thrust23THRUST_200600_302600_NS5tupleIblNS6_9null_typeES8_S8_S8_S8_S8_S8_S8_EEEEZNS1_11reduce_implILb1ES3_NS6_12zip_iteratorINS7_INS6_11hip_rocprim26transform_input_iterator_tIbNSD_35transform_pair_of_input_iterators_tIbNS6_6detail15normal_iteratorINS6_10device_ptrIKiEEEESL_NS6_8equal_toIiEEEENSG_9not_fun_tINSD_8identityEEEEENSD_19counting_iterator_tIlEES8_S8_S8_S8_S8_S8_S8_S8_EEEEPS9_S9_NSD_9__find_if7functorIS9_EEEE10hipError_tPvRmT1_T2_T3_mT4_P12ihipStream_tbEUlT_E1_NS1_11comp_targetILNS1_3genE5ELNS1_11target_archE942ELNS1_3gpuE9ELNS1_3repE0EEENS1_30default_config_static_selectorELNS0_4arch9wavefront6targetE0EEEvS14_.has_dyn_sized_stack, 0
	.set _ZN7rocprim17ROCPRIM_400000_NS6detail17trampoline_kernelINS0_14default_configENS1_22reduce_config_selectorIN6thrust23THRUST_200600_302600_NS5tupleIblNS6_9null_typeES8_S8_S8_S8_S8_S8_S8_EEEEZNS1_11reduce_implILb1ES3_NS6_12zip_iteratorINS7_INS6_11hip_rocprim26transform_input_iterator_tIbNSD_35transform_pair_of_input_iterators_tIbNS6_6detail15normal_iteratorINS6_10device_ptrIKiEEEESL_NS6_8equal_toIiEEEENSG_9not_fun_tINSD_8identityEEEEENSD_19counting_iterator_tIlEES8_S8_S8_S8_S8_S8_S8_S8_EEEEPS9_S9_NSD_9__find_if7functorIS9_EEEE10hipError_tPvRmT1_T2_T3_mT4_P12ihipStream_tbEUlT_E1_NS1_11comp_targetILNS1_3genE5ELNS1_11target_archE942ELNS1_3gpuE9ELNS1_3repE0EEENS1_30default_config_static_selectorELNS0_4arch9wavefront6targetE0EEEvS14_.has_recursion, 0
	.set _ZN7rocprim17ROCPRIM_400000_NS6detail17trampoline_kernelINS0_14default_configENS1_22reduce_config_selectorIN6thrust23THRUST_200600_302600_NS5tupleIblNS6_9null_typeES8_S8_S8_S8_S8_S8_S8_EEEEZNS1_11reduce_implILb1ES3_NS6_12zip_iteratorINS7_INS6_11hip_rocprim26transform_input_iterator_tIbNSD_35transform_pair_of_input_iterators_tIbNS6_6detail15normal_iteratorINS6_10device_ptrIKiEEEESL_NS6_8equal_toIiEEEENSG_9not_fun_tINSD_8identityEEEEENSD_19counting_iterator_tIlEES8_S8_S8_S8_S8_S8_S8_S8_EEEEPS9_S9_NSD_9__find_if7functorIS9_EEEE10hipError_tPvRmT1_T2_T3_mT4_P12ihipStream_tbEUlT_E1_NS1_11comp_targetILNS1_3genE5ELNS1_11target_archE942ELNS1_3gpuE9ELNS1_3repE0EEENS1_30default_config_static_selectorELNS0_4arch9wavefront6targetE0EEEvS14_.has_indirect_call, 0
	.section	.AMDGPU.csdata,"",@progbits
; Kernel info:
; codeLenInByte = 0
; TotalNumSgprs: 0
; NumVgprs: 0
; ScratchSize: 0
; MemoryBound: 0
; FloatMode: 240
; IeeeMode: 1
; LDSByteSize: 0 bytes/workgroup (compile time only)
; SGPRBlocks: 0
; VGPRBlocks: 0
; NumSGPRsForWavesPerEU: 1
; NumVGPRsForWavesPerEU: 1
; Occupancy: 16
; WaveLimiterHint : 0
; COMPUTE_PGM_RSRC2:SCRATCH_EN: 0
; COMPUTE_PGM_RSRC2:USER_SGPR: 6
; COMPUTE_PGM_RSRC2:TRAP_HANDLER: 0
; COMPUTE_PGM_RSRC2:TGID_X_EN: 1
; COMPUTE_PGM_RSRC2:TGID_Y_EN: 0
; COMPUTE_PGM_RSRC2:TGID_Z_EN: 0
; COMPUTE_PGM_RSRC2:TIDIG_COMP_CNT: 0
	.section	.text._ZN7rocprim17ROCPRIM_400000_NS6detail17trampoline_kernelINS0_14default_configENS1_22reduce_config_selectorIN6thrust23THRUST_200600_302600_NS5tupleIblNS6_9null_typeES8_S8_S8_S8_S8_S8_S8_EEEEZNS1_11reduce_implILb1ES3_NS6_12zip_iteratorINS7_INS6_11hip_rocprim26transform_input_iterator_tIbNSD_35transform_pair_of_input_iterators_tIbNS6_6detail15normal_iteratorINS6_10device_ptrIKiEEEESL_NS6_8equal_toIiEEEENSG_9not_fun_tINSD_8identityEEEEENSD_19counting_iterator_tIlEES8_S8_S8_S8_S8_S8_S8_S8_EEEEPS9_S9_NSD_9__find_if7functorIS9_EEEE10hipError_tPvRmT1_T2_T3_mT4_P12ihipStream_tbEUlT_E1_NS1_11comp_targetILNS1_3genE4ELNS1_11target_archE910ELNS1_3gpuE8ELNS1_3repE0EEENS1_30default_config_static_selectorELNS0_4arch9wavefront6targetE0EEEvS14_,"axG",@progbits,_ZN7rocprim17ROCPRIM_400000_NS6detail17trampoline_kernelINS0_14default_configENS1_22reduce_config_selectorIN6thrust23THRUST_200600_302600_NS5tupleIblNS6_9null_typeES8_S8_S8_S8_S8_S8_S8_EEEEZNS1_11reduce_implILb1ES3_NS6_12zip_iteratorINS7_INS6_11hip_rocprim26transform_input_iterator_tIbNSD_35transform_pair_of_input_iterators_tIbNS6_6detail15normal_iteratorINS6_10device_ptrIKiEEEESL_NS6_8equal_toIiEEEENSG_9not_fun_tINSD_8identityEEEEENSD_19counting_iterator_tIlEES8_S8_S8_S8_S8_S8_S8_S8_EEEEPS9_S9_NSD_9__find_if7functorIS9_EEEE10hipError_tPvRmT1_T2_T3_mT4_P12ihipStream_tbEUlT_E1_NS1_11comp_targetILNS1_3genE4ELNS1_11target_archE910ELNS1_3gpuE8ELNS1_3repE0EEENS1_30default_config_static_selectorELNS0_4arch9wavefront6targetE0EEEvS14_,comdat
	.protected	_ZN7rocprim17ROCPRIM_400000_NS6detail17trampoline_kernelINS0_14default_configENS1_22reduce_config_selectorIN6thrust23THRUST_200600_302600_NS5tupleIblNS6_9null_typeES8_S8_S8_S8_S8_S8_S8_EEEEZNS1_11reduce_implILb1ES3_NS6_12zip_iteratorINS7_INS6_11hip_rocprim26transform_input_iterator_tIbNSD_35transform_pair_of_input_iterators_tIbNS6_6detail15normal_iteratorINS6_10device_ptrIKiEEEESL_NS6_8equal_toIiEEEENSG_9not_fun_tINSD_8identityEEEEENSD_19counting_iterator_tIlEES8_S8_S8_S8_S8_S8_S8_S8_EEEEPS9_S9_NSD_9__find_if7functorIS9_EEEE10hipError_tPvRmT1_T2_T3_mT4_P12ihipStream_tbEUlT_E1_NS1_11comp_targetILNS1_3genE4ELNS1_11target_archE910ELNS1_3gpuE8ELNS1_3repE0EEENS1_30default_config_static_selectorELNS0_4arch9wavefront6targetE0EEEvS14_ ; -- Begin function _ZN7rocprim17ROCPRIM_400000_NS6detail17trampoline_kernelINS0_14default_configENS1_22reduce_config_selectorIN6thrust23THRUST_200600_302600_NS5tupleIblNS6_9null_typeES8_S8_S8_S8_S8_S8_S8_EEEEZNS1_11reduce_implILb1ES3_NS6_12zip_iteratorINS7_INS6_11hip_rocprim26transform_input_iterator_tIbNSD_35transform_pair_of_input_iterators_tIbNS6_6detail15normal_iteratorINS6_10device_ptrIKiEEEESL_NS6_8equal_toIiEEEENSG_9not_fun_tINSD_8identityEEEEENSD_19counting_iterator_tIlEES8_S8_S8_S8_S8_S8_S8_S8_EEEEPS9_S9_NSD_9__find_if7functorIS9_EEEE10hipError_tPvRmT1_T2_T3_mT4_P12ihipStream_tbEUlT_E1_NS1_11comp_targetILNS1_3genE4ELNS1_11target_archE910ELNS1_3gpuE8ELNS1_3repE0EEENS1_30default_config_static_selectorELNS0_4arch9wavefront6targetE0EEEvS14_
	.globl	_ZN7rocprim17ROCPRIM_400000_NS6detail17trampoline_kernelINS0_14default_configENS1_22reduce_config_selectorIN6thrust23THRUST_200600_302600_NS5tupleIblNS6_9null_typeES8_S8_S8_S8_S8_S8_S8_EEEEZNS1_11reduce_implILb1ES3_NS6_12zip_iteratorINS7_INS6_11hip_rocprim26transform_input_iterator_tIbNSD_35transform_pair_of_input_iterators_tIbNS6_6detail15normal_iteratorINS6_10device_ptrIKiEEEESL_NS6_8equal_toIiEEEENSG_9not_fun_tINSD_8identityEEEEENSD_19counting_iterator_tIlEES8_S8_S8_S8_S8_S8_S8_S8_EEEEPS9_S9_NSD_9__find_if7functorIS9_EEEE10hipError_tPvRmT1_T2_T3_mT4_P12ihipStream_tbEUlT_E1_NS1_11comp_targetILNS1_3genE4ELNS1_11target_archE910ELNS1_3gpuE8ELNS1_3repE0EEENS1_30default_config_static_selectorELNS0_4arch9wavefront6targetE0EEEvS14_
	.p2align	8
	.type	_ZN7rocprim17ROCPRIM_400000_NS6detail17trampoline_kernelINS0_14default_configENS1_22reduce_config_selectorIN6thrust23THRUST_200600_302600_NS5tupleIblNS6_9null_typeES8_S8_S8_S8_S8_S8_S8_EEEEZNS1_11reduce_implILb1ES3_NS6_12zip_iteratorINS7_INS6_11hip_rocprim26transform_input_iterator_tIbNSD_35transform_pair_of_input_iterators_tIbNS6_6detail15normal_iteratorINS6_10device_ptrIKiEEEESL_NS6_8equal_toIiEEEENSG_9not_fun_tINSD_8identityEEEEENSD_19counting_iterator_tIlEES8_S8_S8_S8_S8_S8_S8_S8_EEEEPS9_S9_NSD_9__find_if7functorIS9_EEEE10hipError_tPvRmT1_T2_T3_mT4_P12ihipStream_tbEUlT_E1_NS1_11comp_targetILNS1_3genE4ELNS1_11target_archE910ELNS1_3gpuE8ELNS1_3repE0EEENS1_30default_config_static_selectorELNS0_4arch9wavefront6targetE0EEEvS14_,@function
_ZN7rocprim17ROCPRIM_400000_NS6detail17trampoline_kernelINS0_14default_configENS1_22reduce_config_selectorIN6thrust23THRUST_200600_302600_NS5tupleIblNS6_9null_typeES8_S8_S8_S8_S8_S8_S8_EEEEZNS1_11reduce_implILb1ES3_NS6_12zip_iteratorINS7_INS6_11hip_rocprim26transform_input_iterator_tIbNSD_35transform_pair_of_input_iterators_tIbNS6_6detail15normal_iteratorINS6_10device_ptrIKiEEEESL_NS6_8equal_toIiEEEENSG_9not_fun_tINSD_8identityEEEEENSD_19counting_iterator_tIlEES8_S8_S8_S8_S8_S8_S8_S8_EEEEPS9_S9_NSD_9__find_if7functorIS9_EEEE10hipError_tPvRmT1_T2_T3_mT4_P12ihipStream_tbEUlT_E1_NS1_11comp_targetILNS1_3genE4ELNS1_11target_archE910ELNS1_3gpuE8ELNS1_3repE0EEENS1_30default_config_static_selectorELNS0_4arch9wavefront6targetE0EEEvS14_: ; @_ZN7rocprim17ROCPRIM_400000_NS6detail17trampoline_kernelINS0_14default_configENS1_22reduce_config_selectorIN6thrust23THRUST_200600_302600_NS5tupleIblNS6_9null_typeES8_S8_S8_S8_S8_S8_S8_EEEEZNS1_11reduce_implILb1ES3_NS6_12zip_iteratorINS7_INS6_11hip_rocprim26transform_input_iterator_tIbNSD_35transform_pair_of_input_iterators_tIbNS6_6detail15normal_iteratorINS6_10device_ptrIKiEEEESL_NS6_8equal_toIiEEEENSG_9not_fun_tINSD_8identityEEEEENSD_19counting_iterator_tIlEES8_S8_S8_S8_S8_S8_S8_S8_EEEEPS9_S9_NSD_9__find_if7functorIS9_EEEE10hipError_tPvRmT1_T2_T3_mT4_P12ihipStream_tbEUlT_E1_NS1_11comp_targetILNS1_3genE4ELNS1_11target_archE910ELNS1_3gpuE8ELNS1_3repE0EEENS1_30default_config_static_selectorELNS0_4arch9wavefront6targetE0EEEvS14_
; %bb.0:
	.section	.rodata,"a",@progbits
	.p2align	6, 0x0
	.amdhsa_kernel _ZN7rocprim17ROCPRIM_400000_NS6detail17trampoline_kernelINS0_14default_configENS1_22reduce_config_selectorIN6thrust23THRUST_200600_302600_NS5tupleIblNS6_9null_typeES8_S8_S8_S8_S8_S8_S8_EEEEZNS1_11reduce_implILb1ES3_NS6_12zip_iteratorINS7_INS6_11hip_rocprim26transform_input_iterator_tIbNSD_35transform_pair_of_input_iterators_tIbNS6_6detail15normal_iteratorINS6_10device_ptrIKiEEEESL_NS6_8equal_toIiEEEENSG_9not_fun_tINSD_8identityEEEEENSD_19counting_iterator_tIlEES8_S8_S8_S8_S8_S8_S8_S8_EEEEPS9_S9_NSD_9__find_if7functorIS9_EEEE10hipError_tPvRmT1_T2_T3_mT4_P12ihipStream_tbEUlT_E1_NS1_11comp_targetILNS1_3genE4ELNS1_11target_archE910ELNS1_3gpuE8ELNS1_3repE0EEENS1_30default_config_static_selectorELNS0_4arch9wavefront6targetE0EEEvS14_
		.amdhsa_group_segment_fixed_size 0
		.amdhsa_private_segment_fixed_size 0
		.amdhsa_kernarg_size 88
		.amdhsa_user_sgpr_count 6
		.amdhsa_user_sgpr_private_segment_buffer 1
		.amdhsa_user_sgpr_dispatch_ptr 0
		.amdhsa_user_sgpr_queue_ptr 0
		.amdhsa_user_sgpr_kernarg_segment_ptr 1
		.amdhsa_user_sgpr_dispatch_id 0
		.amdhsa_user_sgpr_flat_scratch_init 0
		.amdhsa_user_sgpr_private_segment_size 0
		.amdhsa_wavefront_size32 1
		.amdhsa_uses_dynamic_stack 0
		.amdhsa_system_sgpr_private_segment_wavefront_offset 0
		.amdhsa_system_sgpr_workgroup_id_x 1
		.amdhsa_system_sgpr_workgroup_id_y 0
		.amdhsa_system_sgpr_workgroup_id_z 0
		.amdhsa_system_sgpr_workgroup_info 0
		.amdhsa_system_vgpr_workitem_id 0
		.amdhsa_next_free_vgpr 1
		.amdhsa_next_free_sgpr 1
		.amdhsa_reserve_vcc 0
		.amdhsa_reserve_flat_scratch 0
		.amdhsa_float_round_mode_32 0
		.amdhsa_float_round_mode_16_64 0
		.amdhsa_float_denorm_mode_32 3
		.amdhsa_float_denorm_mode_16_64 3
		.amdhsa_dx10_clamp 1
		.amdhsa_ieee_mode 1
		.amdhsa_fp16_overflow 0
		.amdhsa_workgroup_processor_mode 1
		.amdhsa_memory_ordered 1
		.amdhsa_forward_progress 1
		.amdhsa_shared_vgpr_count 0
		.amdhsa_exception_fp_ieee_invalid_op 0
		.amdhsa_exception_fp_denorm_src 0
		.amdhsa_exception_fp_ieee_div_zero 0
		.amdhsa_exception_fp_ieee_overflow 0
		.amdhsa_exception_fp_ieee_underflow 0
		.amdhsa_exception_fp_ieee_inexact 0
		.amdhsa_exception_int_div_zero 0
	.end_amdhsa_kernel
	.section	.text._ZN7rocprim17ROCPRIM_400000_NS6detail17trampoline_kernelINS0_14default_configENS1_22reduce_config_selectorIN6thrust23THRUST_200600_302600_NS5tupleIblNS6_9null_typeES8_S8_S8_S8_S8_S8_S8_EEEEZNS1_11reduce_implILb1ES3_NS6_12zip_iteratorINS7_INS6_11hip_rocprim26transform_input_iterator_tIbNSD_35transform_pair_of_input_iterators_tIbNS6_6detail15normal_iteratorINS6_10device_ptrIKiEEEESL_NS6_8equal_toIiEEEENSG_9not_fun_tINSD_8identityEEEEENSD_19counting_iterator_tIlEES8_S8_S8_S8_S8_S8_S8_S8_EEEEPS9_S9_NSD_9__find_if7functorIS9_EEEE10hipError_tPvRmT1_T2_T3_mT4_P12ihipStream_tbEUlT_E1_NS1_11comp_targetILNS1_3genE4ELNS1_11target_archE910ELNS1_3gpuE8ELNS1_3repE0EEENS1_30default_config_static_selectorELNS0_4arch9wavefront6targetE0EEEvS14_,"axG",@progbits,_ZN7rocprim17ROCPRIM_400000_NS6detail17trampoline_kernelINS0_14default_configENS1_22reduce_config_selectorIN6thrust23THRUST_200600_302600_NS5tupleIblNS6_9null_typeES8_S8_S8_S8_S8_S8_S8_EEEEZNS1_11reduce_implILb1ES3_NS6_12zip_iteratorINS7_INS6_11hip_rocprim26transform_input_iterator_tIbNSD_35transform_pair_of_input_iterators_tIbNS6_6detail15normal_iteratorINS6_10device_ptrIKiEEEESL_NS6_8equal_toIiEEEENSG_9not_fun_tINSD_8identityEEEEENSD_19counting_iterator_tIlEES8_S8_S8_S8_S8_S8_S8_S8_EEEEPS9_S9_NSD_9__find_if7functorIS9_EEEE10hipError_tPvRmT1_T2_T3_mT4_P12ihipStream_tbEUlT_E1_NS1_11comp_targetILNS1_3genE4ELNS1_11target_archE910ELNS1_3gpuE8ELNS1_3repE0EEENS1_30default_config_static_selectorELNS0_4arch9wavefront6targetE0EEEvS14_,comdat
.Lfunc_end479:
	.size	_ZN7rocprim17ROCPRIM_400000_NS6detail17trampoline_kernelINS0_14default_configENS1_22reduce_config_selectorIN6thrust23THRUST_200600_302600_NS5tupleIblNS6_9null_typeES8_S8_S8_S8_S8_S8_S8_EEEEZNS1_11reduce_implILb1ES3_NS6_12zip_iteratorINS7_INS6_11hip_rocprim26transform_input_iterator_tIbNSD_35transform_pair_of_input_iterators_tIbNS6_6detail15normal_iteratorINS6_10device_ptrIKiEEEESL_NS6_8equal_toIiEEEENSG_9not_fun_tINSD_8identityEEEEENSD_19counting_iterator_tIlEES8_S8_S8_S8_S8_S8_S8_S8_EEEEPS9_S9_NSD_9__find_if7functorIS9_EEEE10hipError_tPvRmT1_T2_T3_mT4_P12ihipStream_tbEUlT_E1_NS1_11comp_targetILNS1_3genE4ELNS1_11target_archE910ELNS1_3gpuE8ELNS1_3repE0EEENS1_30default_config_static_selectorELNS0_4arch9wavefront6targetE0EEEvS14_, .Lfunc_end479-_ZN7rocprim17ROCPRIM_400000_NS6detail17trampoline_kernelINS0_14default_configENS1_22reduce_config_selectorIN6thrust23THRUST_200600_302600_NS5tupleIblNS6_9null_typeES8_S8_S8_S8_S8_S8_S8_EEEEZNS1_11reduce_implILb1ES3_NS6_12zip_iteratorINS7_INS6_11hip_rocprim26transform_input_iterator_tIbNSD_35transform_pair_of_input_iterators_tIbNS6_6detail15normal_iteratorINS6_10device_ptrIKiEEEESL_NS6_8equal_toIiEEEENSG_9not_fun_tINSD_8identityEEEEENSD_19counting_iterator_tIlEES8_S8_S8_S8_S8_S8_S8_S8_EEEEPS9_S9_NSD_9__find_if7functorIS9_EEEE10hipError_tPvRmT1_T2_T3_mT4_P12ihipStream_tbEUlT_E1_NS1_11comp_targetILNS1_3genE4ELNS1_11target_archE910ELNS1_3gpuE8ELNS1_3repE0EEENS1_30default_config_static_selectorELNS0_4arch9wavefront6targetE0EEEvS14_
                                        ; -- End function
	.set _ZN7rocprim17ROCPRIM_400000_NS6detail17trampoline_kernelINS0_14default_configENS1_22reduce_config_selectorIN6thrust23THRUST_200600_302600_NS5tupleIblNS6_9null_typeES8_S8_S8_S8_S8_S8_S8_EEEEZNS1_11reduce_implILb1ES3_NS6_12zip_iteratorINS7_INS6_11hip_rocprim26transform_input_iterator_tIbNSD_35transform_pair_of_input_iterators_tIbNS6_6detail15normal_iteratorINS6_10device_ptrIKiEEEESL_NS6_8equal_toIiEEEENSG_9not_fun_tINSD_8identityEEEEENSD_19counting_iterator_tIlEES8_S8_S8_S8_S8_S8_S8_S8_EEEEPS9_S9_NSD_9__find_if7functorIS9_EEEE10hipError_tPvRmT1_T2_T3_mT4_P12ihipStream_tbEUlT_E1_NS1_11comp_targetILNS1_3genE4ELNS1_11target_archE910ELNS1_3gpuE8ELNS1_3repE0EEENS1_30default_config_static_selectorELNS0_4arch9wavefront6targetE0EEEvS14_.num_vgpr, 0
	.set _ZN7rocprim17ROCPRIM_400000_NS6detail17trampoline_kernelINS0_14default_configENS1_22reduce_config_selectorIN6thrust23THRUST_200600_302600_NS5tupleIblNS6_9null_typeES8_S8_S8_S8_S8_S8_S8_EEEEZNS1_11reduce_implILb1ES3_NS6_12zip_iteratorINS7_INS6_11hip_rocprim26transform_input_iterator_tIbNSD_35transform_pair_of_input_iterators_tIbNS6_6detail15normal_iteratorINS6_10device_ptrIKiEEEESL_NS6_8equal_toIiEEEENSG_9not_fun_tINSD_8identityEEEEENSD_19counting_iterator_tIlEES8_S8_S8_S8_S8_S8_S8_S8_EEEEPS9_S9_NSD_9__find_if7functorIS9_EEEE10hipError_tPvRmT1_T2_T3_mT4_P12ihipStream_tbEUlT_E1_NS1_11comp_targetILNS1_3genE4ELNS1_11target_archE910ELNS1_3gpuE8ELNS1_3repE0EEENS1_30default_config_static_selectorELNS0_4arch9wavefront6targetE0EEEvS14_.num_agpr, 0
	.set _ZN7rocprim17ROCPRIM_400000_NS6detail17trampoline_kernelINS0_14default_configENS1_22reduce_config_selectorIN6thrust23THRUST_200600_302600_NS5tupleIblNS6_9null_typeES8_S8_S8_S8_S8_S8_S8_EEEEZNS1_11reduce_implILb1ES3_NS6_12zip_iteratorINS7_INS6_11hip_rocprim26transform_input_iterator_tIbNSD_35transform_pair_of_input_iterators_tIbNS6_6detail15normal_iteratorINS6_10device_ptrIKiEEEESL_NS6_8equal_toIiEEEENSG_9not_fun_tINSD_8identityEEEEENSD_19counting_iterator_tIlEES8_S8_S8_S8_S8_S8_S8_S8_EEEEPS9_S9_NSD_9__find_if7functorIS9_EEEE10hipError_tPvRmT1_T2_T3_mT4_P12ihipStream_tbEUlT_E1_NS1_11comp_targetILNS1_3genE4ELNS1_11target_archE910ELNS1_3gpuE8ELNS1_3repE0EEENS1_30default_config_static_selectorELNS0_4arch9wavefront6targetE0EEEvS14_.numbered_sgpr, 0
	.set _ZN7rocprim17ROCPRIM_400000_NS6detail17trampoline_kernelINS0_14default_configENS1_22reduce_config_selectorIN6thrust23THRUST_200600_302600_NS5tupleIblNS6_9null_typeES8_S8_S8_S8_S8_S8_S8_EEEEZNS1_11reduce_implILb1ES3_NS6_12zip_iteratorINS7_INS6_11hip_rocprim26transform_input_iterator_tIbNSD_35transform_pair_of_input_iterators_tIbNS6_6detail15normal_iteratorINS6_10device_ptrIKiEEEESL_NS6_8equal_toIiEEEENSG_9not_fun_tINSD_8identityEEEEENSD_19counting_iterator_tIlEES8_S8_S8_S8_S8_S8_S8_S8_EEEEPS9_S9_NSD_9__find_if7functorIS9_EEEE10hipError_tPvRmT1_T2_T3_mT4_P12ihipStream_tbEUlT_E1_NS1_11comp_targetILNS1_3genE4ELNS1_11target_archE910ELNS1_3gpuE8ELNS1_3repE0EEENS1_30default_config_static_selectorELNS0_4arch9wavefront6targetE0EEEvS14_.num_named_barrier, 0
	.set _ZN7rocprim17ROCPRIM_400000_NS6detail17trampoline_kernelINS0_14default_configENS1_22reduce_config_selectorIN6thrust23THRUST_200600_302600_NS5tupleIblNS6_9null_typeES8_S8_S8_S8_S8_S8_S8_EEEEZNS1_11reduce_implILb1ES3_NS6_12zip_iteratorINS7_INS6_11hip_rocprim26transform_input_iterator_tIbNSD_35transform_pair_of_input_iterators_tIbNS6_6detail15normal_iteratorINS6_10device_ptrIKiEEEESL_NS6_8equal_toIiEEEENSG_9not_fun_tINSD_8identityEEEEENSD_19counting_iterator_tIlEES8_S8_S8_S8_S8_S8_S8_S8_EEEEPS9_S9_NSD_9__find_if7functorIS9_EEEE10hipError_tPvRmT1_T2_T3_mT4_P12ihipStream_tbEUlT_E1_NS1_11comp_targetILNS1_3genE4ELNS1_11target_archE910ELNS1_3gpuE8ELNS1_3repE0EEENS1_30default_config_static_selectorELNS0_4arch9wavefront6targetE0EEEvS14_.private_seg_size, 0
	.set _ZN7rocprim17ROCPRIM_400000_NS6detail17trampoline_kernelINS0_14default_configENS1_22reduce_config_selectorIN6thrust23THRUST_200600_302600_NS5tupleIblNS6_9null_typeES8_S8_S8_S8_S8_S8_S8_EEEEZNS1_11reduce_implILb1ES3_NS6_12zip_iteratorINS7_INS6_11hip_rocprim26transform_input_iterator_tIbNSD_35transform_pair_of_input_iterators_tIbNS6_6detail15normal_iteratorINS6_10device_ptrIKiEEEESL_NS6_8equal_toIiEEEENSG_9not_fun_tINSD_8identityEEEEENSD_19counting_iterator_tIlEES8_S8_S8_S8_S8_S8_S8_S8_EEEEPS9_S9_NSD_9__find_if7functorIS9_EEEE10hipError_tPvRmT1_T2_T3_mT4_P12ihipStream_tbEUlT_E1_NS1_11comp_targetILNS1_3genE4ELNS1_11target_archE910ELNS1_3gpuE8ELNS1_3repE0EEENS1_30default_config_static_selectorELNS0_4arch9wavefront6targetE0EEEvS14_.uses_vcc, 0
	.set _ZN7rocprim17ROCPRIM_400000_NS6detail17trampoline_kernelINS0_14default_configENS1_22reduce_config_selectorIN6thrust23THRUST_200600_302600_NS5tupleIblNS6_9null_typeES8_S8_S8_S8_S8_S8_S8_EEEEZNS1_11reduce_implILb1ES3_NS6_12zip_iteratorINS7_INS6_11hip_rocprim26transform_input_iterator_tIbNSD_35transform_pair_of_input_iterators_tIbNS6_6detail15normal_iteratorINS6_10device_ptrIKiEEEESL_NS6_8equal_toIiEEEENSG_9not_fun_tINSD_8identityEEEEENSD_19counting_iterator_tIlEES8_S8_S8_S8_S8_S8_S8_S8_EEEEPS9_S9_NSD_9__find_if7functorIS9_EEEE10hipError_tPvRmT1_T2_T3_mT4_P12ihipStream_tbEUlT_E1_NS1_11comp_targetILNS1_3genE4ELNS1_11target_archE910ELNS1_3gpuE8ELNS1_3repE0EEENS1_30default_config_static_selectorELNS0_4arch9wavefront6targetE0EEEvS14_.uses_flat_scratch, 0
	.set _ZN7rocprim17ROCPRIM_400000_NS6detail17trampoline_kernelINS0_14default_configENS1_22reduce_config_selectorIN6thrust23THRUST_200600_302600_NS5tupleIblNS6_9null_typeES8_S8_S8_S8_S8_S8_S8_EEEEZNS1_11reduce_implILb1ES3_NS6_12zip_iteratorINS7_INS6_11hip_rocprim26transform_input_iterator_tIbNSD_35transform_pair_of_input_iterators_tIbNS6_6detail15normal_iteratorINS6_10device_ptrIKiEEEESL_NS6_8equal_toIiEEEENSG_9not_fun_tINSD_8identityEEEEENSD_19counting_iterator_tIlEES8_S8_S8_S8_S8_S8_S8_S8_EEEEPS9_S9_NSD_9__find_if7functorIS9_EEEE10hipError_tPvRmT1_T2_T3_mT4_P12ihipStream_tbEUlT_E1_NS1_11comp_targetILNS1_3genE4ELNS1_11target_archE910ELNS1_3gpuE8ELNS1_3repE0EEENS1_30default_config_static_selectorELNS0_4arch9wavefront6targetE0EEEvS14_.has_dyn_sized_stack, 0
	.set _ZN7rocprim17ROCPRIM_400000_NS6detail17trampoline_kernelINS0_14default_configENS1_22reduce_config_selectorIN6thrust23THRUST_200600_302600_NS5tupleIblNS6_9null_typeES8_S8_S8_S8_S8_S8_S8_EEEEZNS1_11reduce_implILb1ES3_NS6_12zip_iteratorINS7_INS6_11hip_rocprim26transform_input_iterator_tIbNSD_35transform_pair_of_input_iterators_tIbNS6_6detail15normal_iteratorINS6_10device_ptrIKiEEEESL_NS6_8equal_toIiEEEENSG_9not_fun_tINSD_8identityEEEEENSD_19counting_iterator_tIlEES8_S8_S8_S8_S8_S8_S8_S8_EEEEPS9_S9_NSD_9__find_if7functorIS9_EEEE10hipError_tPvRmT1_T2_T3_mT4_P12ihipStream_tbEUlT_E1_NS1_11comp_targetILNS1_3genE4ELNS1_11target_archE910ELNS1_3gpuE8ELNS1_3repE0EEENS1_30default_config_static_selectorELNS0_4arch9wavefront6targetE0EEEvS14_.has_recursion, 0
	.set _ZN7rocprim17ROCPRIM_400000_NS6detail17trampoline_kernelINS0_14default_configENS1_22reduce_config_selectorIN6thrust23THRUST_200600_302600_NS5tupleIblNS6_9null_typeES8_S8_S8_S8_S8_S8_S8_EEEEZNS1_11reduce_implILb1ES3_NS6_12zip_iteratorINS7_INS6_11hip_rocprim26transform_input_iterator_tIbNSD_35transform_pair_of_input_iterators_tIbNS6_6detail15normal_iteratorINS6_10device_ptrIKiEEEESL_NS6_8equal_toIiEEEENSG_9not_fun_tINSD_8identityEEEEENSD_19counting_iterator_tIlEES8_S8_S8_S8_S8_S8_S8_S8_EEEEPS9_S9_NSD_9__find_if7functorIS9_EEEE10hipError_tPvRmT1_T2_T3_mT4_P12ihipStream_tbEUlT_E1_NS1_11comp_targetILNS1_3genE4ELNS1_11target_archE910ELNS1_3gpuE8ELNS1_3repE0EEENS1_30default_config_static_selectorELNS0_4arch9wavefront6targetE0EEEvS14_.has_indirect_call, 0
	.section	.AMDGPU.csdata,"",@progbits
; Kernel info:
; codeLenInByte = 0
; TotalNumSgprs: 0
; NumVgprs: 0
; ScratchSize: 0
; MemoryBound: 0
; FloatMode: 240
; IeeeMode: 1
; LDSByteSize: 0 bytes/workgroup (compile time only)
; SGPRBlocks: 0
; VGPRBlocks: 0
; NumSGPRsForWavesPerEU: 1
; NumVGPRsForWavesPerEU: 1
; Occupancy: 16
; WaveLimiterHint : 0
; COMPUTE_PGM_RSRC2:SCRATCH_EN: 0
; COMPUTE_PGM_RSRC2:USER_SGPR: 6
; COMPUTE_PGM_RSRC2:TRAP_HANDLER: 0
; COMPUTE_PGM_RSRC2:TGID_X_EN: 1
; COMPUTE_PGM_RSRC2:TGID_Y_EN: 0
; COMPUTE_PGM_RSRC2:TGID_Z_EN: 0
; COMPUTE_PGM_RSRC2:TIDIG_COMP_CNT: 0
	.section	.text._ZN7rocprim17ROCPRIM_400000_NS6detail17trampoline_kernelINS0_14default_configENS1_22reduce_config_selectorIN6thrust23THRUST_200600_302600_NS5tupleIblNS6_9null_typeES8_S8_S8_S8_S8_S8_S8_EEEEZNS1_11reduce_implILb1ES3_NS6_12zip_iteratorINS7_INS6_11hip_rocprim26transform_input_iterator_tIbNSD_35transform_pair_of_input_iterators_tIbNS6_6detail15normal_iteratorINS6_10device_ptrIKiEEEESL_NS6_8equal_toIiEEEENSG_9not_fun_tINSD_8identityEEEEENSD_19counting_iterator_tIlEES8_S8_S8_S8_S8_S8_S8_S8_EEEEPS9_S9_NSD_9__find_if7functorIS9_EEEE10hipError_tPvRmT1_T2_T3_mT4_P12ihipStream_tbEUlT_E1_NS1_11comp_targetILNS1_3genE3ELNS1_11target_archE908ELNS1_3gpuE7ELNS1_3repE0EEENS1_30default_config_static_selectorELNS0_4arch9wavefront6targetE0EEEvS14_,"axG",@progbits,_ZN7rocprim17ROCPRIM_400000_NS6detail17trampoline_kernelINS0_14default_configENS1_22reduce_config_selectorIN6thrust23THRUST_200600_302600_NS5tupleIblNS6_9null_typeES8_S8_S8_S8_S8_S8_S8_EEEEZNS1_11reduce_implILb1ES3_NS6_12zip_iteratorINS7_INS6_11hip_rocprim26transform_input_iterator_tIbNSD_35transform_pair_of_input_iterators_tIbNS6_6detail15normal_iteratorINS6_10device_ptrIKiEEEESL_NS6_8equal_toIiEEEENSG_9not_fun_tINSD_8identityEEEEENSD_19counting_iterator_tIlEES8_S8_S8_S8_S8_S8_S8_S8_EEEEPS9_S9_NSD_9__find_if7functorIS9_EEEE10hipError_tPvRmT1_T2_T3_mT4_P12ihipStream_tbEUlT_E1_NS1_11comp_targetILNS1_3genE3ELNS1_11target_archE908ELNS1_3gpuE7ELNS1_3repE0EEENS1_30default_config_static_selectorELNS0_4arch9wavefront6targetE0EEEvS14_,comdat
	.protected	_ZN7rocprim17ROCPRIM_400000_NS6detail17trampoline_kernelINS0_14default_configENS1_22reduce_config_selectorIN6thrust23THRUST_200600_302600_NS5tupleIblNS6_9null_typeES8_S8_S8_S8_S8_S8_S8_EEEEZNS1_11reduce_implILb1ES3_NS6_12zip_iteratorINS7_INS6_11hip_rocprim26transform_input_iterator_tIbNSD_35transform_pair_of_input_iterators_tIbNS6_6detail15normal_iteratorINS6_10device_ptrIKiEEEESL_NS6_8equal_toIiEEEENSG_9not_fun_tINSD_8identityEEEEENSD_19counting_iterator_tIlEES8_S8_S8_S8_S8_S8_S8_S8_EEEEPS9_S9_NSD_9__find_if7functorIS9_EEEE10hipError_tPvRmT1_T2_T3_mT4_P12ihipStream_tbEUlT_E1_NS1_11comp_targetILNS1_3genE3ELNS1_11target_archE908ELNS1_3gpuE7ELNS1_3repE0EEENS1_30default_config_static_selectorELNS0_4arch9wavefront6targetE0EEEvS14_ ; -- Begin function _ZN7rocprim17ROCPRIM_400000_NS6detail17trampoline_kernelINS0_14default_configENS1_22reduce_config_selectorIN6thrust23THRUST_200600_302600_NS5tupleIblNS6_9null_typeES8_S8_S8_S8_S8_S8_S8_EEEEZNS1_11reduce_implILb1ES3_NS6_12zip_iteratorINS7_INS6_11hip_rocprim26transform_input_iterator_tIbNSD_35transform_pair_of_input_iterators_tIbNS6_6detail15normal_iteratorINS6_10device_ptrIKiEEEESL_NS6_8equal_toIiEEEENSG_9not_fun_tINSD_8identityEEEEENSD_19counting_iterator_tIlEES8_S8_S8_S8_S8_S8_S8_S8_EEEEPS9_S9_NSD_9__find_if7functorIS9_EEEE10hipError_tPvRmT1_T2_T3_mT4_P12ihipStream_tbEUlT_E1_NS1_11comp_targetILNS1_3genE3ELNS1_11target_archE908ELNS1_3gpuE7ELNS1_3repE0EEENS1_30default_config_static_selectorELNS0_4arch9wavefront6targetE0EEEvS14_
	.globl	_ZN7rocprim17ROCPRIM_400000_NS6detail17trampoline_kernelINS0_14default_configENS1_22reduce_config_selectorIN6thrust23THRUST_200600_302600_NS5tupleIblNS6_9null_typeES8_S8_S8_S8_S8_S8_S8_EEEEZNS1_11reduce_implILb1ES3_NS6_12zip_iteratorINS7_INS6_11hip_rocprim26transform_input_iterator_tIbNSD_35transform_pair_of_input_iterators_tIbNS6_6detail15normal_iteratorINS6_10device_ptrIKiEEEESL_NS6_8equal_toIiEEEENSG_9not_fun_tINSD_8identityEEEEENSD_19counting_iterator_tIlEES8_S8_S8_S8_S8_S8_S8_S8_EEEEPS9_S9_NSD_9__find_if7functorIS9_EEEE10hipError_tPvRmT1_T2_T3_mT4_P12ihipStream_tbEUlT_E1_NS1_11comp_targetILNS1_3genE3ELNS1_11target_archE908ELNS1_3gpuE7ELNS1_3repE0EEENS1_30default_config_static_selectorELNS0_4arch9wavefront6targetE0EEEvS14_
	.p2align	8
	.type	_ZN7rocprim17ROCPRIM_400000_NS6detail17trampoline_kernelINS0_14default_configENS1_22reduce_config_selectorIN6thrust23THRUST_200600_302600_NS5tupleIblNS6_9null_typeES8_S8_S8_S8_S8_S8_S8_EEEEZNS1_11reduce_implILb1ES3_NS6_12zip_iteratorINS7_INS6_11hip_rocprim26transform_input_iterator_tIbNSD_35transform_pair_of_input_iterators_tIbNS6_6detail15normal_iteratorINS6_10device_ptrIKiEEEESL_NS6_8equal_toIiEEEENSG_9not_fun_tINSD_8identityEEEEENSD_19counting_iterator_tIlEES8_S8_S8_S8_S8_S8_S8_S8_EEEEPS9_S9_NSD_9__find_if7functorIS9_EEEE10hipError_tPvRmT1_T2_T3_mT4_P12ihipStream_tbEUlT_E1_NS1_11comp_targetILNS1_3genE3ELNS1_11target_archE908ELNS1_3gpuE7ELNS1_3repE0EEENS1_30default_config_static_selectorELNS0_4arch9wavefront6targetE0EEEvS14_,@function
_ZN7rocprim17ROCPRIM_400000_NS6detail17trampoline_kernelINS0_14default_configENS1_22reduce_config_selectorIN6thrust23THRUST_200600_302600_NS5tupleIblNS6_9null_typeES8_S8_S8_S8_S8_S8_S8_EEEEZNS1_11reduce_implILb1ES3_NS6_12zip_iteratorINS7_INS6_11hip_rocprim26transform_input_iterator_tIbNSD_35transform_pair_of_input_iterators_tIbNS6_6detail15normal_iteratorINS6_10device_ptrIKiEEEESL_NS6_8equal_toIiEEEENSG_9not_fun_tINSD_8identityEEEEENSD_19counting_iterator_tIlEES8_S8_S8_S8_S8_S8_S8_S8_EEEEPS9_S9_NSD_9__find_if7functorIS9_EEEE10hipError_tPvRmT1_T2_T3_mT4_P12ihipStream_tbEUlT_E1_NS1_11comp_targetILNS1_3genE3ELNS1_11target_archE908ELNS1_3gpuE7ELNS1_3repE0EEENS1_30default_config_static_selectorELNS0_4arch9wavefront6targetE0EEEvS14_: ; @_ZN7rocprim17ROCPRIM_400000_NS6detail17trampoline_kernelINS0_14default_configENS1_22reduce_config_selectorIN6thrust23THRUST_200600_302600_NS5tupleIblNS6_9null_typeES8_S8_S8_S8_S8_S8_S8_EEEEZNS1_11reduce_implILb1ES3_NS6_12zip_iteratorINS7_INS6_11hip_rocprim26transform_input_iterator_tIbNSD_35transform_pair_of_input_iterators_tIbNS6_6detail15normal_iteratorINS6_10device_ptrIKiEEEESL_NS6_8equal_toIiEEEENSG_9not_fun_tINSD_8identityEEEEENSD_19counting_iterator_tIlEES8_S8_S8_S8_S8_S8_S8_S8_EEEEPS9_S9_NSD_9__find_if7functorIS9_EEEE10hipError_tPvRmT1_T2_T3_mT4_P12ihipStream_tbEUlT_E1_NS1_11comp_targetILNS1_3genE3ELNS1_11target_archE908ELNS1_3gpuE7ELNS1_3repE0EEENS1_30default_config_static_selectorELNS0_4arch9wavefront6targetE0EEEvS14_
; %bb.0:
	.section	.rodata,"a",@progbits
	.p2align	6, 0x0
	.amdhsa_kernel _ZN7rocprim17ROCPRIM_400000_NS6detail17trampoline_kernelINS0_14default_configENS1_22reduce_config_selectorIN6thrust23THRUST_200600_302600_NS5tupleIblNS6_9null_typeES8_S8_S8_S8_S8_S8_S8_EEEEZNS1_11reduce_implILb1ES3_NS6_12zip_iteratorINS7_INS6_11hip_rocprim26transform_input_iterator_tIbNSD_35transform_pair_of_input_iterators_tIbNS6_6detail15normal_iteratorINS6_10device_ptrIKiEEEESL_NS6_8equal_toIiEEEENSG_9not_fun_tINSD_8identityEEEEENSD_19counting_iterator_tIlEES8_S8_S8_S8_S8_S8_S8_S8_EEEEPS9_S9_NSD_9__find_if7functorIS9_EEEE10hipError_tPvRmT1_T2_T3_mT4_P12ihipStream_tbEUlT_E1_NS1_11comp_targetILNS1_3genE3ELNS1_11target_archE908ELNS1_3gpuE7ELNS1_3repE0EEENS1_30default_config_static_selectorELNS0_4arch9wavefront6targetE0EEEvS14_
		.amdhsa_group_segment_fixed_size 0
		.amdhsa_private_segment_fixed_size 0
		.amdhsa_kernarg_size 88
		.amdhsa_user_sgpr_count 6
		.amdhsa_user_sgpr_private_segment_buffer 1
		.amdhsa_user_sgpr_dispatch_ptr 0
		.amdhsa_user_sgpr_queue_ptr 0
		.amdhsa_user_sgpr_kernarg_segment_ptr 1
		.amdhsa_user_sgpr_dispatch_id 0
		.amdhsa_user_sgpr_flat_scratch_init 0
		.amdhsa_user_sgpr_private_segment_size 0
		.amdhsa_wavefront_size32 1
		.amdhsa_uses_dynamic_stack 0
		.amdhsa_system_sgpr_private_segment_wavefront_offset 0
		.amdhsa_system_sgpr_workgroup_id_x 1
		.amdhsa_system_sgpr_workgroup_id_y 0
		.amdhsa_system_sgpr_workgroup_id_z 0
		.amdhsa_system_sgpr_workgroup_info 0
		.amdhsa_system_vgpr_workitem_id 0
		.amdhsa_next_free_vgpr 1
		.amdhsa_next_free_sgpr 1
		.amdhsa_reserve_vcc 0
		.amdhsa_reserve_flat_scratch 0
		.amdhsa_float_round_mode_32 0
		.amdhsa_float_round_mode_16_64 0
		.amdhsa_float_denorm_mode_32 3
		.amdhsa_float_denorm_mode_16_64 3
		.amdhsa_dx10_clamp 1
		.amdhsa_ieee_mode 1
		.amdhsa_fp16_overflow 0
		.amdhsa_workgroup_processor_mode 1
		.amdhsa_memory_ordered 1
		.amdhsa_forward_progress 1
		.amdhsa_shared_vgpr_count 0
		.amdhsa_exception_fp_ieee_invalid_op 0
		.amdhsa_exception_fp_denorm_src 0
		.amdhsa_exception_fp_ieee_div_zero 0
		.amdhsa_exception_fp_ieee_overflow 0
		.amdhsa_exception_fp_ieee_underflow 0
		.amdhsa_exception_fp_ieee_inexact 0
		.amdhsa_exception_int_div_zero 0
	.end_amdhsa_kernel
	.section	.text._ZN7rocprim17ROCPRIM_400000_NS6detail17trampoline_kernelINS0_14default_configENS1_22reduce_config_selectorIN6thrust23THRUST_200600_302600_NS5tupleIblNS6_9null_typeES8_S8_S8_S8_S8_S8_S8_EEEEZNS1_11reduce_implILb1ES3_NS6_12zip_iteratorINS7_INS6_11hip_rocprim26transform_input_iterator_tIbNSD_35transform_pair_of_input_iterators_tIbNS6_6detail15normal_iteratorINS6_10device_ptrIKiEEEESL_NS6_8equal_toIiEEEENSG_9not_fun_tINSD_8identityEEEEENSD_19counting_iterator_tIlEES8_S8_S8_S8_S8_S8_S8_S8_EEEEPS9_S9_NSD_9__find_if7functorIS9_EEEE10hipError_tPvRmT1_T2_T3_mT4_P12ihipStream_tbEUlT_E1_NS1_11comp_targetILNS1_3genE3ELNS1_11target_archE908ELNS1_3gpuE7ELNS1_3repE0EEENS1_30default_config_static_selectorELNS0_4arch9wavefront6targetE0EEEvS14_,"axG",@progbits,_ZN7rocprim17ROCPRIM_400000_NS6detail17trampoline_kernelINS0_14default_configENS1_22reduce_config_selectorIN6thrust23THRUST_200600_302600_NS5tupleIblNS6_9null_typeES8_S8_S8_S8_S8_S8_S8_EEEEZNS1_11reduce_implILb1ES3_NS6_12zip_iteratorINS7_INS6_11hip_rocprim26transform_input_iterator_tIbNSD_35transform_pair_of_input_iterators_tIbNS6_6detail15normal_iteratorINS6_10device_ptrIKiEEEESL_NS6_8equal_toIiEEEENSG_9not_fun_tINSD_8identityEEEEENSD_19counting_iterator_tIlEES8_S8_S8_S8_S8_S8_S8_S8_EEEEPS9_S9_NSD_9__find_if7functorIS9_EEEE10hipError_tPvRmT1_T2_T3_mT4_P12ihipStream_tbEUlT_E1_NS1_11comp_targetILNS1_3genE3ELNS1_11target_archE908ELNS1_3gpuE7ELNS1_3repE0EEENS1_30default_config_static_selectorELNS0_4arch9wavefront6targetE0EEEvS14_,comdat
.Lfunc_end480:
	.size	_ZN7rocprim17ROCPRIM_400000_NS6detail17trampoline_kernelINS0_14default_configENS1_22reduce_config_selectorIN6thrust23THRUST_200600_302600_NS5tupleIblNS6_9null_typeES8_S8_S8_S8_S8_S8_S8_EEEEZNS1_11reduce_implILb1ES3_NS6_12zip_iteratorINS7_INS6_11hip_rocprim26transform_input_iterator_tIbNSD_35transform_pair_of_input_iterators_tIbNS6_6detail15normal_iteratorINS6_10device_ptrIKiEEEESL_NS6_8equal_toIiEEEENSG_9not_fun_tINSD_8identityEEEEENSD_19counting_iterator_tIlEES8_S8_S8_S8_S8_S8_S8_S8_EEEEPS9_S9_NSD_9__find_if7functorIS9_EEEE10hipError_tPvRmT1_T2_T3_mT4_P12ihipStream_tbEUlT_E1_NS1_11comp_targetILNS1_3genE3ELNS1_11target_archE908ELNS1_3gpuE7ELNS1_3repE0EEENS1_30default_config_static_selectorELNS0_4arch9wavefront6targetE0EEEvS14_, .Lfunc_end480-_ZN7rocprim17ROCPRIM_400000_NS6detail17trampoline_kernelINS0_14default_configENS1_22reduce_config_selectorIN6thrust23THRUST_200600_302600_NS5tupleIblNS6_9null_typeES8_S8_S8_S8_S8_S8_S8_EEEEZNS1_11reduce_implILb1ES3_NS6_12zip_iteratorINS7_INS6_11hip_rocprim26transform_input_iterator_tIbNSD_35transform_pair_of_input_iterators_tIbNS6_6detail15normal_iteratorINS6_10device_ptrIKiEEEESL_NS6_8equal_toIiEEEENSG_9not_fun_tINSD_8identityEEEEENSD_19counting_iterator_tIlEES8_S8_S8_S8_S8_S8_S8_S8_EEEEPS9_S9_NSD_9__find_if7functorIS9_EEEE10hipError_tPvRmT1_T2_T3_mT4_P12ihipStream_tbEUlT_E1_NS1_11comp_targetILNS1_3genE3ELNS1_11target_archE908ELNS1_3gpuE7ELNS1_3repE0EEENS1_30default_config_static_selectorELNS0_4arch9wavefront6targetE0EEEvS14_
                                        ; -- End function
	.set _ZN7rocprim17ROCPRIM_400000_NS6detail17trampoline_kernelINS0_14default_configENS1_22reduce_config_selectorIN6thrust23THRUST_200600_302600_NS5tupleIblNS6_9null_typeES8_S8_S8_S8_S8_S8_S8_EEEEZNS1_11reduce_implILb1ES3_NS6_12zip_iteratorINS7_INS6_11hip_rocprim26transform_input_iterator_tIbNSD_35transform_pair_of_input_iterators_tIbNS6_6detail15normal_iteratorINS6_10device_ptrIKiEEEESL_NS6_8equal_toIiEEEENSG_9not_fun_tINSD_8identityEEEEENSD_19counting_iterator_tIlEES8_S8_S8_S8_S8_S8_S8_S8_EEEEPS9_S9_NSD_9__find_if7functorIS9_EEEE10hipError_tPvRmT1_T2_T3_mT4_P12ihipStream_tbEUlT_E1_NS1_11comp_targetILNS1_3genE3ELNS1_11target_archE908ELNS1_3gpuE7ELNS1_3repE0EEENS1_30default_config_static_selectorELNS0_4arch9wavefront6targetE0EEEvS14_.num_vgpr, 0
	.set _ZN7rocprim17ROCPRIM_400000_NS6detail17trampoline_kernelINS0_14default_configENS1_22reduce_config_selectorIN6thrust23THRUST_200600_302600_NS5tupleIblNS6_9null_typeES8_S8_S8_S8_S8_S8_S8_EEEEZNS1_11reduce_implILb1ES3_NS6_12zip_iteratorINS7_INS6_11hip_rocprim26transform_input_iterator_tIbNSD_35transform_pair_of_input_iterators_tIbNS6_6detail15normal_iteratorINS6_10device_ptrIKiEEEESL_NS6_8equal_toIiEEEENSG_9not_fun_tINSD_8identityEEEEENSD_19counting_iterator_tIlEES8_S8_S8_S8_S8_S8_S8_S8_EEEEPS9_S9_NSD_9__find_if7functorIS9_EEEE10hipError_tPvRmT1_T2_T3_mT4_P12ihipStream_tbEUlT_E1_NS1_11comp_targetILNS1_3genE3ELNS1_11target_archE908ELNS1_3gpuE7ELNS1_3repE0EEENS1_30default_config_static_selectorELNS0_4arch9wavefront6targetE0EEEvS14_.num_agpr, 0
	.set _ZN7rocprim17ROCPRIM_400000_NS6detail17trampoline_kernelINS0_14default_configENS1_22reduce_config_selectorIN6thrust23THRUST_200600_302600_NS5tupleIblNS6_9null_typeES8_S8_S8_S8_S8_S8_S8_EEEEZNS1_11reduce_implILb1ES3_NS6_12zip_iteratorINS7_INS6_11hip_rocprim26transform_input_iterator_tIbNSD_35transform_pair_of_input_iterators_tIbNS6_6detail15normal_iteratorINS6_10device_ptrIKiEEEESL_NS6_8equal_toIiEEEENSG_9not_fun_tINSD_8identityEEEEENSD_19counting_iterator_tIlEES8_S8_S8_S8_S8_S8_S8_S8_EEEEPS9_S9_NSD_9__find_if7functorIS9_EEEE10hipError_tPvRmT1_T2_T3_mT4_P12ihipStream_tbEUlT_E1_NS1_11comp_targetILNS1_3genE3ELNS1_11target_archE908ELNS1_3gpuE7ELNS1_3repE0EEENS1_30default_config_static_selectorELNS0_4arch9wavefront6targetE0EEEvS14_.numbered_sgpr, 0
	.set _ZN7rocprim17ROCPRIM_400000_NS6detail17trampoline_kernelINS0_14default_configENS1_22reduce_config_selectorIN6thrust23THRUST_200600_302600_NS5tupleIblNS6_9null_typeES8_S8_S8_S8_S8_S8_S8_EEEEZNS1_11reduce_implILb1ES3_NS6_12zip_iteratorINS7_INS6_11hip_rocprim26transform_input_iterator_tIbNSD_35transform_pair_of_input_iterators_tIbNS6_6detail15normal_iteratorINS6_10device_ptrIKiEEEESL_NS6_8equal_toIiEEEENSG_9not_fun_tINSD_8identityEEEEENSD_19counting_iterator_tIlEES8_S8_S8_S8_S8_S8_S8_S8_EEEEPS9_S9_NSD_9__find_if7functorIS9_EEEE10hipError_tPvRmT1_T2_T3_mT4_P12ihipStream_tbEUlT_E1_NS1_11comp_targetILNS1_3genE3ELNS1_11target_archE908ELNS1_3gpuE7ELNS1_3repE0EEENS1_30default_config_static_selectorELNS0_4arch9wavefront6targetE0EEEvS14_.num_named_barrier, 0
	.set _ZN7rocprim17ROCPRIM_400000_NS6detail17trampoline_kernelINS0_14default_configENS1_22reduce_config_selectorIN6thrust23THRUST_200600_302600_NS5tupleIblNS6_9null_typeES8_S8_S8_S8_S8_S8_S8_EEEEZNS1_11reduce_implILb1ES3_NS6_12zip_iteratorINS7_INS6_11hip_rocprim26transform_input_iterator_tIbNSD_35transform_pair_of_input_iterators_tIbNS6_6detail15normal_iteratorINS6_10device_ptrIKiEEEESL_NS6_8equal_toIiEEEENSG_9not_fun_tINSD_8identityEEEEENSD_19counting_iterator_tIlEES8_S8_S8_S8_S8_S8_S8_S8_EEEEPS9_S9_NSD_9__find_if7functorIS9_EEEE10hipError_tPvRmT1_T2_T3_mT4_P12ihipStream_tbEUlT_E1_NS1_11comp_targetILNS1_3genE3ELNS1_11target_archE908ELNS1_3gpuE7ELNS1_3repE0EEENS1_30default_config_static_selectorELNS0_4arch9wavefront6targetE0EEEvS14_.private_seg_size, 0
	.set _ZN7rocprim17ROCPRIM_400000_NS6detail17trampoline_kernelINS0_14default_configENS1_22reduce_config_selectorIN6thrust23THRUST_200600_302600_NS5tupleIblNS6_9null_typeES8_S8_S8_S8_S8_S8_S8_EEEEZNS1_11reduce_implILb1ES3_NS6_12zip_iteratorINS7_INS6_11hip_rocprim26transform_input_iterator_tIbNSD_35transform_pair_of_input_iterators_tIbNS6_6detail15normal_iteratorINS6_10device_ptrIKiEEEESL_NS6_8equal_toIiEEEENSG_9not_fun_tINSD_8identityEEEEENSD_19counting_iterator_tIlEES8_S8_S8_S8_S8_S8_S8_S8_EEEEPS9_S9_NSD_9__find_if7functorIS9_EEEE10hipError_tPvRmT1_T2_T3_mT4_P12ihipStream_tbEUlT_E1_NS1_11comp_targetILNS1_3genE3ELNS1_11target_archE908ELNS1_3gpuE7ELNS1_3repE0EEENS1_30default_config_static_selectorELNS0_4arch9wavefront6targetE0EEEvS14_.uses_vcc, 0
	.set _ZN7rocprim17ROCPRIM_400000_NS6detail17trampoline_kernelINS0_14default_configENS1_22reduce_config_selectorIN6thrust23THRUST_200600_302600_NS5tupleIblNS6_9null_typeES8_S8_S8_S8_S8_S8_S8_EEEEZNS1_11reduce_implILb1ES3_NS6_12zip_iteratorINS7_INS6_11hip_rocprim26transform_input_iterator_tIbNSD_35transform_pair_of_input_iterators_tIbNS6_6detail15normal_iteratorINS6_10device_ptrIKiEEEESL_NS6_8equal_toIiEEEENSG_9not_fun_tINSD_8identityEEEEENSD_19counting_iterator_tIlEES8_S8_S8_S8_S8_S8_S8_S8_EEEEPS9_S9_NSD_9__find_if7functorIS9_EEEE10hipError_tPvRmT1_T2_T3_mT4_P12ihipStream_tbEUlT_E1_NS1_11comp_targetILNS1_3genE3ELNS1_11target_archE908ELNS1_3gpuE7ELNS1_3repE0EEENS1_30default_config_static_selectorELNS0_4arch9wavefront6targetE0EEEvS14_.uses_flat_scratch, 0
	.set _ZN7rocprim17ROCPRIM_400000_NS6detail17trampoline_kernelINS0_14default_configENS1_22reduce_config_selectorIN6thrust23THRUST_200600_302600_NS5tupleIblNS6_9null_typeES8_S8_S8_S8_S8_S8_S8_EEEEZNS1_11reduce_implILb1ES3_NS6_12zip_iteratorINS7_INS6_11hip_rocprim26transform_input_iterator_tIbNSD_35transform_pair_of_input_iterators_tIbNS6_6detail15normal_iteratorINS6_10device_ptrIKiEEEESL_NS6_8equal_toIiEEEENSG_9not_fun_tINSD_8identityEEEEENSD_19counting_iterator_tIlEES8_S8_S8_S8_S8_S8_S8_S8_EEEEPS9_S9_NSD_9__find_if7functorIS9_EEEE10hipError_tPvRmT1_T2_T3_mT4_P12ihipStream_tbEUlT_E1_NS1_11comp_targetILNS1_3genE3ELNS1_11target_archE908ELNS1_3gpuE7ELNS1_3repE0EEENS1_30default_config_static_selectorELNS0_4arch9wavefront6targetE0EEEvS14_.has_dyn_sized_stack, 0
	.set _ZN7rocprim17ROCPRIM_400000_NS6detail17trampoline_kernelINS0_14default_configENS1_22reduce_config_selectorIN6thrust23THRUST_200600_302600_NS5tupleIblNS6_9null_typeES8_S8_S8_S8_S8_S8_S8_EEEEZNS1_11reduce_implILb1ES3_NS6_12zip_iteratorINS7_INS6_11hip_rocprim26transform_input_iterator_tIbNSD_35transform_pair_of_input_iterators_tIbNS6_6detail15normal_iteratorINS6_10device_ptrIKiEEEESL_NS6_8equal_toIiEEEENSG_9not_fun_tINSD_8identityEEEEENSD_19counting_iterator_tIlEES8_S8_S8_S8_S8_S8_S8_S8_EEEEPS9_S9_NSD_9__find_if7functorIS9_EEEE10hipError_tPvRmT1_T2_T3_mT4_P12ihipStream_tbEUlT_E1_NS1_11comp_targetILNS1_3genE3ELNS1_11target_archE908ELNS1_3gpuE7ELNS1_3repE0EEENS1_30default_config_static_selectorELNS0_4arch9wavefront6targetE0EEEvS14_.has_recursion, 0
	.set _ZN7rocprim17ROCPRIM_400000_NS6detail17trampoline_kernelINS0_14default_configENS1_22reduce_config_selectorIN6thrust23THRUST_200600_302600_NS5tupleIblNS6_9null_typeES8_S8_S8_S8_S8_S8_S8_EEEEZNS1_11reduce_implILb1ES3_NS6_12zip_iteratorINS7_INS6_11hip_rocprim26transform_input_iterator_tIbNSD_35transform_pair_of_input_iterators_tIbNS6_6detail15normal_iteratorINS6_10device_ptrIKiEEEESL_NS6_8equal_toIiEEEENSG_9not_fun_tINSD_8identityEEEEENSD_19counting_iterator_tIlEES8_S8_S8_S8_S8_S8_S8_S8_EEEEPS9_S9_NSD_9__find_if7functorIS9_EEEE10hipError_tPvRmT1_T2_T3_mT4_P12ihipStream_tbEUlT_E1_NS1_11comp_targetILNS1_3genE3ELNS1_11target_archE908ELNS1_3gpuE7ELNS1_3repE0EEENS1_30default_config_static_selectorELNS0_4arch9wavefront6targetE0EEEvS14_.has_indirect_call, 0
	.section	.AMDGPU.csdata,"",@progbits
; Kernel info:
; codeLenInByte = 0
; TotalNumSgprs: 0
; NumVgprs: 0
; ScratchSize: 0
; MemoryBound: 0
; FloatMode: 240
; IeeeMode: 1
; LDSByteSize: 0 bytes/workgroup (compile time only)
; SGPRBlocks: 0
; VGPRBlocks: 0
; NumSGPRsForWavesPerEU: 1
; NumVGPRsForWavesPerEU: 1
; Occupancy: 16
; WaveLimiterHint : 0
; COMPUTE_PGM_RSRC2:SCRATCH_EN: 0
; COMPUTE_PGM_RSRC2:USER_SGPR: 6
; COMPUTE_PGM_RSRC2:TRAP_HANDLER: 0
; COMPUTE_PGM_RSRC2:TGID_X_EN: 1
; COMPUTE_PGM_RSRC2:TGID_Y_EN: 0
; COMPUTE_PGM_RSRC2:TGID_Z_EN: 0
; COMPUTE_PGM_RSRC2:TIDIG_COMP_CNT: 0
	.section	.text._ZN7rocprim17ROCPRIM_400000_NS6detail17trampoline_kernelINS0_14default_configENS1_22reduce_config_selectorIN6thrust23THRUST_200600_302600_NS5tupleIblNS6_9null_typeES8_S8_S8_S8_S8_S8_S8_EEEEZNS1_11reduce_implILb1ES3_NS6_12zip_iteratorINS7_INS6_11hip_rocprim26transform_input_iterator_tIbNSD_35transform_pair_of_input_iterators_tIbNS6_6detail15normal_iteratorINS6_10device_ptrIKiEEEESL_NS6_8equal_toIiEEEENSG_9not_fun_tINSD_8identityEEEEENSD_19counting_iterator_tIlEES8_S8_S8_S8_S8_S8_S8_S8_EEEEPS9_S9_NSD_9__find_if7functorIS9_EEEE10hipError_tPvRmT1_T2_T3_mT4_P12ihipStream_tbEUlT_E1_NS1_11comp_targetILNS1_3genE2ELNS1_11target_archE906ELNS1_3gpuE6ELNS1_3repE0EEENS1_30default_config_static_selectorELNS0_4arch9wavefront6targetE0EEEvS14_,"axG",@progbits,_ZN7rocprim17ROCPRIM_400000_NS6detail17trampoline_kernelINS0_14default_configENS1_22reduce_config_selectorIN6thrust23THRUST_200600_302600_NS5tupleIblNS6_9null_typeES8_S8_S8_S8_S8_S8_S8_EEEEZNS1_11reduce_implILb1ES3_NS6_12zip_iteratorINS7_INS6_11hip_rocprim26transform_input_iterator_tIbNSD_35transform_pair_of_input_iterators_tIbNS6_6detail15normal_iteratorINS6_10device_ptrIKiEEEESL_NS6_8equal_toIiEEEENSG_9not_fun_tINSD_8identityEEEEENSD_19counting_iterator_tIlEES8_S8_S8_S8_S8_S8_S8_S8_EEEEPS9_S9_NSD_9__find_if7functorIS9_EEEE10hipError_tPvRmT1_T2_T3_mT4_P12ihipStream_tbEUlT_E1_NS1_11comp_targetILNS1_3genE2ELNS1_11target_archE906ELNS1_3gpuE6ELNS1_3repE0EEENS1_30default_config_static_selectorELNS0_4arch9wavefront6targetE0EEEvS14_,comdat
	.protected	_ZN7rocprim17ROCPRIM_400000_NS6detail17trampoline_kernelINS0_14default_configENS1_22reduce_config_selectorIN6thrust23THRUST_200600_302600_NS5tupleIblNS6_9null_typeES8_S8_S8_S8_S8_S8_S8_EEEEZNS1_11reduce_implILb1ES3_NS6_12zip_iteratorINS7_INS6_11hip_rocprim26transform_input_iterator_tIbNSD_35transform_pair_of_input_iterators_tIbNS6_6detail15normal_iteratorINS6_10device_ptrIKiEEEESL_NS6_8equal_toIiEEEENSG_9not_fun_tINSD_8identityEEEEENSD_19counting_iterator_tIlEES8_S8_S8_S8_S8_S8_S8_S8_EEEEPS9_S9_NSD_9__find_if7functorIS9_EEEE10hipError_tPvRmT1_T2_T3_mT4_P12ihipStream_tbEUlT_E1_NS1_11comp_targetILNS1_3genE2ELNS1_11target_archE906ELNS1_3gpuE6ELNS1_3repE0EEENS1_30default_config_static_selectorELNS0_4arch9wavefront6targetE0EEEvS14_ ; -- Begin function _ZN7rocprim17ROCPRIM_400000_NS6detail17trampoline_kernelINS0_14default_configENS1_22reduce_config_selectorIN6thrust23THRUST_200600_302600_NS5tupleIblNS6_9null_typeES8_S8_S8_S8_S8_S8_S8_EEEEZNS1_11reduce_implILb1ES3_NS6_12zip_iteratorINS7_INS6_11hip_rocprim26transform_input_iterator_tIbNSD_35transform_pair_of_input_iterators_tIbNS6_6detail15normal_iteratorINS6_10device_ptrIKiEEEESL_NS6_8equal_toIiEEEENSG_9not_fun_tINSD_8identityEEEEENSD_19counting_iterator_tIlEES8_S8_S8_S8_S8_S8_S8_S8_EEEEPS9_S9_NSD_9__find_if7functorIS9_EEEE10hipError_tPvRmT1_T2_T3_mT4_P12ihipStream_tbEUlT_E1_NS1_11comp_targetILNS1_3genE2ELNS1_11target_archE906ELNS1_3gpuE6ELNS1_3repE0EEENS1_30default_config_static_selectorELNS0_4arch9wavefront6targetE0EEEvS14_
	.globl	_ZN7rocprim17ROCPRIM_400000_NS6detail17trampoline_kernelINS0_14default_configENS1_22reduce_config_selectorIN6thrust23THRUST_200600_302600_NS5tupleIblNS6_9null_typeES8_S8_S8_S8_S8_S8_S8_EEEEZNS1_11reduce_implILb1ES3_NS6_12zip_iteratorINS7_INS6_11hip_rocprim26transform_input_iterator_tIbNSD_35transform_pair_of_input_iterators_tIbNS6_6detail15normal_iteratorINS6_10device_ptrIKiEEEESL_NS6_8equal_toIiEEEENSG_9not_fun_tINSD_8identityEEEEENSD_19counting_iterator_tIlEES8_S8_S8_S8_S8_S8_S8_S8_EEEEPS9_S9_NSD_9__find_if7functorIS9_EEEE10hipError_tPvRmT1_T2_T3_mT4_P12ihipStream_tbEUlT_E1_NS1_11comp_targetILNS1_3genE2ELNS1_11target_archE906ELNS1_3gpuE6ELNS1_3repE0EEENS1_30default_config_static_selectorELNS0_4arch9wavefront6targetE0EEEvS14_
	.p2align	8
	.type	_ZN7rocprim17ROCPRIM_400000_NS6detail17trampoline_kernelINS0_14default_configENS1_22reduce_config_selectorIN6thrust23THRUST_200600_302600_NS5tupleIblNS6_9null_typeES8_S8_S8_S8_S8_S8_S8_EEEEZNS1_11reduce_implILb1ES3_NS6_12zip_iteratorINS7_INS6_11hip_rocprim26transform_input_iterator_tIbNSD_35transform_pair_of_input_iterators_tIbNS6_6detail15normal_iteratorINS6_10device_ptrIKiEEEESL_NS6_8equal_toIiEEEENSG_9not_fun_tINSD_8identityEEEEENSD_19counting_iterator_tIlEES8_S8_S8_S8_S8_S8_S8_S8_EEEEPS9_S9_NSD_9__find_if7functorIS9_EEEE10hipError_tPvRmT1_T2_T3_mT4_P12ihipStream_tbEUlT_E1_NS1_11comp_targetILNS1_3genE2ELNS1_11target_archE906ELNS1_3gpuE6ELNS1_3repE0EEENS1_30default_config_static_selectorELNS0_4arch9wavefront6targetE0EEEvS14_,@function
_ZN7rocprim17ROCPRIM_400000_NS6detail17trampoline_kernelINS0_14default_configENS1_22reduce_config_selectorIN6thrust23THRUST_200600_302600_NS5tupleIblNS6_9null_typeES8_S8_S8_S8_S8_S8_S8_EEEEZNS1_11reduce_implILb1ES3_NS6_12zip_iteratorINS7_INS6_11hip_rocprim26transform_input_iterator_tIbNSD_35transform_pair_of_input_iterators_tIbNS6_6detail15normal_iteratorINS6_10device_ptrIKiEEEESL_NS6_8equal_toIiEEEENSG_9not_fun_tINSD_8identityEEEEENSD_19counting_iterator_tIlEES8_S8_S8_S8_S8_S8_S8_S8_EEEEPS9_S9_NSD_9__find_if7functorIS9_EEEE10hipError_tPvRmT1_T2_T3_mT4_P12ihipStream_tbEUlT_E1_NS1_11comp_targetILNS1_3genE2ELNS1_11target_archE906ELNS1_3gpuE6ELNS1_3repE0EEENS1_30default_config_static_selectorELNS0_4arch9wavefront6targetE0EEEvS14_: ; @_ZN7rocprim17ROCPRIM_400000_NS6detail17trampoline_kernelINS0_14default_configENS1_22reduce_config_selectorIN6thrust23THRUST_200600_302600_NS5tupleIblNS6_9null_typeES8_S8_S8_S8_S8_S8_S8_EEEEZNS1_11reduce_implILb1ES3_NS6_12zip_iteratorINS7_INS6_11hip_rocprim26transform_input_iterator_tIbNSD_35transform_pair_of_input_iterators_tIbNS6_6detail15normal_iteratorINS6_10device_ptrIKiEEEESL_NS6_8equal_toIiEEEENSG_9not_fun_tINSD_8identityEEEEENSD_19counting_iterator_tIlEES8_S8_S8_S8_S8_S8_S8_S8_EEEEPS9_S9_NSD_9__find_if7functorIS9_EEEE10hipError_tPvRmT1_T2_T3_mT4_P12ihipStream_tbEUlT_E1_NS1_11comp_targetILNS1_3genE2ELNS1_11target_archE906ELNS1_3gpuE6ELNS1_3repE0EEENS1_30default_config_static_selectorELNS0_4arch9wavefront6targetE0EEEvS14_
; %bb.0:
	.section	.rodata,"a",@progbits
	.p2align	6, 0x0
	.amdhsa_kernel _ZN7rocprim17ROCPRIM_400000_NS6detail17trampoline_kernelINS0_14default_configENS1_22reduce_config_selectorIN6thrust23THRUST_200600_302600_NS5tupleIblNS6_9null_typeES8_S8_S8_S8_S8_S8_S8_EEEEZNS1_11reduce_implILb1ES3_NS6_12zip_iteratorINS7_INS6_11hip_rocprim26transform_input_iterator_tIbNSD_35transform_pair_of_input_iterators_tIbNS6_6detail15normal_iteratorINS6_10device_ptrIKiEEEESL_NS6_8equal_toIiEEEENSG_9not_fun_tINSD_8identityEEEEENSD_19counting_iterator_tIlEES8_S8_S8_S8_S8_S8_S8_S8_EEEEPS9_S9_NSD_9__find_if7functorIS9_EEEE10hipError_tPvRmT1_T2_T3_mT4_P12ihipStream_tbEUlT_E1_NS1_11comp_targetILNS1_3genE2ELNS1_11target_archE906ELNS1_3gpuE6ELNS1_3repE0EEENS1_30default_config_static_selectorELNS0_4arch9wavefront6targetE0EEEvS14_
		.amdhsa_group_segment_fixed_size 0
		.amdhsa_private_segment_fixed_size 0
		.amdhsa_kernarg_size 88
		.amdhsa_user_sgpr_count 6
		.amdhsa_user_sgpr_private_segment_buffer 1
		.amdhsa_user_sgpr_dispatch_ptr 0
		.amdhsa_user_sgpr_queue_ptr 0
		.amdhsa_user_sgpr_kernarg_segment_ptr 1
		.amdhsa_user_sgpr_dispatch_id 0
		.amdhsa_user_sgpr_flat_scratch_init 0
		.amdhsa_user_sgpr_private_segment_size 0
		.amdhsa_wavefront_size32 1
		.amdhsa_uses_dynamic_stack 0
		.amdhsa_system_sgpr_private_segment_wavefront_offset 0
		.amdhsa_system_sgpr_workgroup_id_x 1
		.amdhsa_system_sgpr_workgroup_id_y 0
		.amdhsa_system_sgpr_workgroup_id_z 0
		.amdhsa_system_sgpr_workgroup_info 0
		.amdhsa_system_vgpr_workitem_id 0
		.amdhsa_next_free_vgpr 1
		.amdhsa_next_free_sgpr 1
		.amdhsa_reserve_vcc 0
		.amdhsa_reserve_flat_scratch 0
		.amdhsa_float_round_mode_32 0
		.amdhsa_float_round_mode_16_64 0
		.amdhsa_float_denorm_mode_32 3
		.amdhsa_float_denorm_mode_16_64 3
		.amdhsa_dx10_clamp 1
		.amdhsa_ieee_mode 1
		.amdhsa_fp16_overflow 0
		.amdhsa_workgroup_processor_mode 1
		.amdhsa_memory_ordered 1
		.amdhsa_forward_progress 1
		.amdhsa_shared_vgpr_count 0
		.amdhsa_exception_fp_ieee_invalid_op 0
		.amdhsa_exception_fp_denorm_src 0
		.amdhsa_exception_fp_ieee_div_zero 0
		.amdhsa_exception_fp_ieee_overflow 0
		.amdhsa_exception_fp_ieee_underflow 0
		.amdhsa_exception_fp_ieee_inexact 0
		.amdhsa_exception_int_div_zero 0
	.end_amdhsa_kernel
	.section	.text._ZN7rocprim17ROCPRIM_400000_NS6detail17trampoline_kernelINS0_14default_configENS1_22reduce_config_selectorIN6thrust23THRUST_200600_302600_NS5tupleIblNS6_9null_typeES8_S8_S8_S8_S8_S8_S8_EEEEZNS1_11reduce_implILb1ES3_NS6_12zip_iteratorINS7_INS6_11hip_rocprim26transform_input_iterator_tIbNSD_35transform_pair_of_input_iterators_tIbNS6_6detail15normal_iteratorINS6_10device_ptrIKiEEEESL_NS6_8equal_toIiEEEENSG_9not_fun_tINSD_8identityEEEEENSD_19counting_iterator_tIlEES8_S8_S8_S8_S8_S8_S8_S8_EEEEPS9_S9_NSD_9__find_if7functorIS9_EEEE10hipError_tPvRmT1_T2_T3_mT4_P12ihipStream_tbEUlT_E1_NS1_11comp_targetILNS1_3genE2ELNS1_11target_archE906ELNS1_3gpuE6ELNS1_3repE0EEENS1_30default_config_static_selectorELNS0_4arch9wavefront6targetE0EEEvS14_,"axG",@progbits,_ZN7rocprim17ROCPRIM_400000_NS6detail17trampoline_kernelINS0_14default_configENS1_22reduce_config_selectorIN6thrust23THRUST_200600_302600_NS5tupleIblNS6_9null_typeES8_S8_S8_S8_S8_S8_S8_EEEEZNS1_11reduce_implILb1ES3_NS6_12zip_iteratorINS7_INS6_11hip_rocprim26transform_input_iterator_tIbNSD_35transform_pair_of_input_iterators_tIbNS6_6detail15normal_iteratorINS6_10device_ptrIKiEEEESL_NS6_8equal_toIiEEEENSG_9not_fun_tINSD_8identityEEEEENSD_19counting_iterator_tIlEES8_S8_S8_S8_S8_S8_S8_S8_EEEEPS9_S9_NSD_9__find_if7functorIS9_EEEE10hipError_tPvRmT1_T2_T3_mT4_P12ihipStream_tbEUlT_E1_NS1_11comp_targetILNS1_3genE2ELNS1_11target_archE906ELNS1_3gpuE6ELNS1_3repE0EEENS1_30default_config_static_selectorELNS0_4arch9wavefront6targetE0EEEvS14_,comdat
.Lfunc_end481:
	.size	_ZN7rocprim17ROCPRIM_400000_NS6detail17trampoline_kernelINS0_14default_configENS1_22reduce_config_selectorIN6thrust23THRUST_200600_302600_NS5tupleIblNS6_9null_typeES8_S8_S8_S8_S8_S8_S8_EEEEZNS1_11reduce_implILb1ES3_NS6_12zip_iteratorINS7_INS6_11hip_rocprim26transform_input_iterator_tIbNSD_35transform_pair_of_input_iterators_tIbNS6_6detail15normal_iteratorINS6_10device_ptrIKiEEEESL_NS6_8equal_toIiEEEENSG_9not_fun_tINSD_8identityEEEEENSD_19counting_iterator_tIlEES8_S8_S8_S8_S8_S8_S8_S8_EEEEPS9_S9_NSD_9__find_if7functorIS9_EEEE10hipError_tPvRmT1_T2_T3_mT4_P12ihipStream_tbEUlT_E1_NS1_11comp_targetILNS1_3genE2ELNS1_11target_archE906ELNS1_3gpuE6ELNS1_3repE0EEENS1_30default_config_static_selectorELNS0_4arch9wavefront6targetE0EEEvS14_, .Lfunc_end481-_ZN7rocprim17ROCPRIM_400000_NS6detail17trampoline_kernelINS0_14default_configENS1_22reduce_config_selectorIN6thrust23THRUST_200600_302600_NS5tupleIblNS6_9null_typeES8_S8_S8_S8_S8_S8_S8_EEEEZNS1_11reduce_implILb1ES3_NS6_12zip_iteratorINS7_INS6_11hip_rocprim26transform_input_iterator_tIbNSD_35transform_pair_of_input_iterators_tIbNS6_6detail15normal_iteratorINS6_10device_ptrIKiEEEESL_NS6_8equal_toIiEEEENSG_9not_fun_tINSD_8identityEEEEENSD_19counting_iterator_tIlEES8_S8_S8_S8_S8_S8_S8_S8_EEEEPS9_S9_NSD_9__find_if7functorIS9_EEEE10hipError_tPvRmT1_T2_T3_mT4_P12ihipStream_tbEUlT_E1_NS1_11comp_targetILNS1_3genE2ELNS1_11target_archE906ELNS1_3gpuE6ELNS1_3repE0EEENS1_30default_config_static_selectorELNS0_4arch9wavefront6targetE0EEEvS14_
                                        ; -- End function
	.set _ZN7rocprim17ROCPRIM_400000_NS6detail17trampoline_kernelINS0_14default_configENS1_22reduce_config_selectorIN6thrust23THRUST_200600_302600_NS5tupleIblNS6_9null_typeES8_S8_S8_S8_S8_S8_S8_EEEEZNS1_11reduce_implILb1ES3_NS6_12zip_iteratorINS7_INS6_11hip_rocprim26transform_input_iterator_tIbNSD_35transform_pair_of_input_iterators_tIbNS6_6detail15normal_iteratorINS6_10device_ptrIKiEEEESL_NS6_8equal_toIiEEEENSG_9not_fun_tINSD_8identityEEEEENSD_19counting_iterator_tIlEES8_S8_S8_S8_S8_S8_S8_S8_EEEEPS9_S9_NSD_9__find_if7functorIS9_EEEE10hipError_tPvRmT1_T2_T3_mT4_P12ihipStream_tbEUlT_E1_NS1_11comp_targetILNS1_3genE2ELNS1_11target_archE906ELNS1_3gpuE6ELNS1_3repE0EEENS1_30default_config_static_selectorELNS0_4arch9wavefront6targetE0EEEvS14_.num_vgpr, 0
	.set _ZN7rocprim17ROCPRIM_400000_NS6detail17trampoline_kernelINS0_14default_configENS1_22reduce_config_selectorIN6thrust23THRUST_200600_302600_NS5tupleIblNS6_9null_typeES8_S8_S8_S8_S8_S8_S8_EEEEZNS1_11reduce_implILb1ES3_NS6_12zip_iteratorINS7_INS6_11hip_rocprim26transform_input_iterator_tIbNSD_35transform_pair_of_input_iterators_tIbNS6_6detail15normal_iteratorINS6_10device_ptrIKiEEEESL_NS6_8equal_toIiEEEENSG_9not_fun_tINSD_8identityEEEEENSD_19counting_iterator_tIlEES8_S8_S8_S8_S8_S8_S8_S8_EEEEPS9_S9_NSD_9__find_if7functorIS9_EEEE10hipError_tPvRmT1_T2_T3_mT4_P12ihipStream_tbEUlT_E1_NS1_11comp_targetILNS1_3genE2ELNS1_11target_archE906ELNS1_3gpuE6ELNS1_3repE0EEENS1_30default_config_static_selectorELNS0_4arch9wavefront6targetE0EEEvS14_.num_agpr, 0
	.set _ZN7rocprim17ROCPRIM_400000_NS6detail17trampoline_kernelINS0_14default_configENS1_22reduce_config_selectorIN6thrust23THRUST_200600_302600_NS5tupleIblNS6_9null_typeES8_S8_S8_S8_S8_S8_S8_EEEEZNS1_11reduce_implILb1ES3_NS6_12zip_iteratorINS7_INS6_11hip_rocprim26transform_input_iterator_tIbNSD_35transform_pair_of_input_iterators_tIbNS6_6detail15normal_iteratorINS6_10device_ptrIKiEEEESL_NS6_8equal_toIiEEEENSG_9not_fun_tINSD_8identityEEEEENSD_19counting_iterator_tIlEES8_S8_S8_S8_S8_S8_S8_S8_EEEEPS9_S9_NSD_9__find_if7functorIS9_EEEE10hipError_tPvRmT1_T2_T3_mT4_P12ihipStream_tbEUlT_E1_NS1_11comp_targetILNS1_3genE2ELNS1_11target_archE906ELNS1_3gpuE6ELNS1_3repE0EEENS1_30default_config_static_selectorELNS0_4arch9wavefront6targetE0EEEvS14_.numbered_sgpr, 0
	.set _ZN7rocprim17ROCPRIM_400000_NS6detail17trampoline_kernelINS0_14default_configENS1_22reduce_config_selectorIN6thrust23THRUST_200600_302600_NS5tupleIblNS6_9null_typeES8_S8_S8_S8_S8_S8_S8_EEEEZNS1_11reduce_implILb1ES3_NS6_12zip_iteratorINS7_INS6_11hip_rocprim26transform_input_iterator_tIbNSD_35transform_pair_of_input_iterators_tIbNS6_6detail15normal_iteratorINS6_10device_ptrIKiEEEESL_NS6_8equal_toIiEEEENSG_9not_fun_tINSD_8identityEEEEENSD_19counting_iterator_tIlEES8_S8_S8_S8_S8_S8_S8_S8_EEEEPS9_S9_NSD_9__find_if7functorIS9_EEEE10hipError_tPvRmT1_T2_T3_mT4_P12ihipStream_tbEUlT_E1_NS1_11comp_targetILNS1_3genE2ELNS1_11target_archE906ELNS1_3gpuE6ELNS1_3repE0EEENS1_30default_config_static_selectorELNS0_4arch9wavefront6targetE0EEEvS14_.num_named_barrier, 0
	.set _ZN7rocprim17ROCPRIM_400000_NS6detail17trampoline_kernelINS0_14default_configENS1_22reduce_config_selectorIN6thrust23THRUST_200600_302600_NS5tupleIblNS6_9null_typeES8_S8_S8_S8_S8_S8_S8_EEEEZNS1_11reduce_implILb1ES3_NS6_12zip_iteratorINS7_INS6_11hip_rocprim26transform_input_iterator_tIbNSD_35transform_pair_of_input_iterators_tIbNS6_6detail15normal_iteratorINS6_10device_ptrIKiEEEESL_NS6_8equal_toIiEEEENSG_9not_fun_tINSD_8identityEEEEENSD_19counting_iterator_tIlEES8_S8_S8_S8_S8_S8_S8_S8_EEEEPS9_S9_NSD_9__find_if7functorIS9_EEEE10hipError_tPvRmT1_T2_T3_mT4_P12ihipStream_tbEUlT_E1_NS1_11comp_targetILNS1_3genE2ELNS1_11target_archE906ELNS1_3gpuE6ELNS1_3repE0EEENS1_30default_config_static_selectorELNS0_4arch9wavefront6targetE0EEEvS14_.private_seg_size, 0
	.set _ZN7rocprim17ROCPRIM_400000_NS6detail17trampoline_kernelINS0_14default_configENS1_22reduce_config_selectorIN6thrust23THRUST_200600_302600_NS5tupleIblNS6_9null_typeES8_S8_S8_S8_S8_S8_S8_EEEEZNS1_11reduce_implILb1ES3_NS6_12zip_iteratorINS7_INS6_11hip_rocprim26transform_input_iterator_tIbNSD_35transform_pair_of_input_iterators_tIbNS6_6detail15normal_iteratorINS6_10device_ptrIKiEEEESL_NS6_8equal_toIiEEEENSG_9not_fun_tINSD_8identityEEEEENSD_19counting_iterator_tIlEES8_S8_S8_S8_S8_S8_S8_S8_EEEEPS9_S9_NSD_9__find_if7functorIS9_EEEE10hipError_tPvRmT1_T2_T3_mT4_P12ihipStream_tbEUlT_E1_NS1_11comp_targetILNS1_3genE2ELNS1_11target_archE906ELNS1_3gpuE6ELNS1_3repE0EEENS1_30default_config_static_selectorELNS0_4arch9wavefront6targetE0EEEvS14_.uses_vcc, 0
	.set _ZN7rocprim17ROCPRIM_400000_NS6detail17trampoline_kernelINS0_14default_configENS1_22reduce_config_selectorIN6thrust23THRUST_200600_302600_NS5tupleIblNS6_9null_typeES8_S8_S8_S8_S8_S8_S8_EEEEZNS1_11reduce_implILb1ES3_NS6_12zip_iteratorINS7_INS6_11hip_rocprim26transform_input_iterator_tIbNSD_35transform_pair_of_input_iterators_tIbNS6_6detail15normal_iteratorINS6_10device_ptrIKiEEEESL_NS6_8equal_toIiEEEENSG_9not_fun_tINSD_8identityEEEEENSD_19counting_iterator_tIlEES8_S8_S8_S8_S8_S8_S8_S8_EEEEPS9_S9_NSD_9__find_if7functorIS9_EEEE10hipError_tPvRmT1_T2_T3_mT4_P12ihipStream_tbEUlT_E1_NS1_11comp_targetILNS1_3genE2ELNS1_11target_archE906ELNS1_3gpuE6ELNS1_3repE0EEENS1_30default_config_static_selectorELNS0_4arch9wavefront6targetE0EEEvS14_.uses_flat_scratch, 0
	.set _ZN7rocprim17ROCPRIM_400000_NS6detail17trampoline_kernelINS0_14default_configENS1_22reduce_config_selectorIN6thrust23THRUST_200600_302600_NS5tupleIblNS6_9null_typeES8_S8_S8_S8_S8_S8_S8_EEEEZNS1_11reduce_implILb1ES3_NS6_12zip_iteratorINS7_INS6_11hip_rocprim26transform_input_iterator_tIbNSD_35transform_pair_of_input_iterators_tIbNS6_6detail15normal_iteratorINS6_10device_ptrIKiEEEESL_NS6_8equal_toIiEEEENSG_9not_fun_tINSD_8identityEEEEENSD_19counting_iterator_tIlEES8_S8_S8_S8_S8_S8_S8_S8_EEEEPS9_S9_NSD_9__find_if7functorIS9_EEEE10hipError_tPvRmT1_T2_T3_mT4_P12ihipStream_tbEUlT_E1_NS1_11comp_targetILNS1_3genE2ELNS1_11target_archE906ELNS1_3gpuE6ELNS1_3repE0EEENS1_30default_config_static_selectorELNS0_4arch9wavefront6targetE0EEEvS14_.has_dyn_sized_stack, 0
	.set _ZN7rocprim17ROCPRIM_400000_NS6detail17trampoline_kernelINS0_14default_configENS1_22reduce_config_selectorIN6thrust23THRUST_200600_302600_NS5tupleIblNS6_9null_typeES8_S8_S8_S8_S8_S8_S8_EEEEZNS1_11reduce_implILb1ES3_NS6_12zip_iteratorINS7_INS6_11hip_rocprim26transform_input_iterator_tIbNSD_35transform_pair_of_input_iterators_tIbNS6_6detail15normal_iteratorINS6_10device_ptrIKiEEEESL_NS6_8equal_toIiEEEENSG_9not_fun_tINSD_8identityEEEEENSD_19counting_iterator_tIlEES8_S8_S8_S8_S8_S8_S8_S8_EEEEPS9_S9_NSD_9__find_if7functorIS9_EEEE10hipError_tPvRmT1_T2_T3_mT4_P12ihipStream_tbEUlT_E1_NS1_11comp_targetILNS1_3genE2ELNS1_11target_archE906ELNS1_3gpuE6ELNS1_3repE0EEENS1_30default_config_static_selectorELNS0_4arch9wavefront6targetE0EEEvS14_.has_recursion, 0
	.set _ZN7rocprim17ROCPRIM_400000_NS6detail17trampoline_kernelINS0_14default_configENS1_22reduce_config_selectorIN6thrust23THRUST_200600_302600_NS5tupleIblNS6_9null_typeES8_S8_S8_S8_S8_S8_S8_EEEEZNS1_11reduce_implILb1ES3_NS6_12zip_iteratorINS7_INS6_11hip_rocprim26transform_input_iterator_tIbNSD_35transform_pair_of_input_iterators_tIbNS6_6detail15normal_iteratorINS6_10device_ptrIKiEEEESL_NS6_8equal_toIiEEEENSG_9not_fun_tINSD_8identityEEEEENSD_19counting_iterator_tIlEES8_S8_S8_S8_S8_S8_S8_S8_EEEEPS9_S9_NSD_9__find_if7functorIS9_EEEE10hipError_tPvRmT1_T2_T3_mT4_P12ihipStream_tbEUlT_E1_NS1_11comp_targetILNS1_3genE2ELNS1_11target_archE906ELNS1_3gpuE6ELNS1_3repE0EEENS1_30default_config_static_selectorELNS0_4arch9wavefront6targetE0EEEvS14_.has_indirect_call, 0
	.section	.AMDGPU.csdata,"",@progbits
; Kernel info:
; codeLenInByte = 0
; TotalNumSgprs: 0
; NumVgprs: 0
; ScratchSize: 0
; MemoryBound: 0
; FloatMode: 240
; IeeeMode: 1
; LDSByteSize: 0 bytes/workgroup (compile time only)
; SGPRBlocks: 0
; VGPRBlocks: 0
; NumSGPRsForWavesPerEU: 1
; NumVGPRsForWavesPerEU: 1
; Occupancy: 16
; WaveLimiterHint : 0
; COMPUTE_PGM_RSRC2:SCRATCH_EN: 0
; COMPUTE_PGM_RSRC2:USER_SGPR: 6
; COMPUTE_PGM_RSRC2:TRAP_HANDLER: 0
; COMPUTE_PGM_RSRC2:TGID_X_EN: 1
; COMPUTE_PGM_RSRC2:TGID_Y_EN: 0
; COMPUTE_PGM_RSRC2:TGID_Z_EN: 0
; COMPUTE_PGM_RSRC2:TIDIG_COMP_CNT: 0
	.section	.text._ZN7rocprim17ROCPRIM_400000_NS6detail17trampoline_kernelINS0_14default_configENS1_22reduce_config_selectorIN6thrust23THRUST_200600_302600_NS5tupleIblNS6_9null_typeES8_S8_S8_S8_S8_S8_S8_EEEEZNS1_11reduce_implILb1ES3_NS6_12zip_iteratorINS7_INS6_11hip_rocprim26transform_input_iterator_tIbNSD_35transform_pair_of_input_iterators_tIbNS6_6detail15normal_iteratorINS6_10device_ptrIKiEEEESL_NS6_8equal_toIiEEEENSG_9not_fun_tINSD_8identityEEEEENSD_19counting_iterator_tIlEES8_S8_S8_S8_S8_S8_S8_S8_EEEEPS9_S9_NSD_9__find_if7functorIS9_EEEE10hipError_tPvRmT1_T2_T3_mT4_P12ihipStream_tbEUlT_E1_NS1_11comp_targetILNS1_3genE10ELNS1_11target_archE1201ELNS1_3gpuE5ELNS1_3repE0EEENS1_30default_config_static_selectorELNS0_4arch9wavefront6targetE0EEEvS14_,"axG",@progbits,_ZN7rocprim17ROCPRIM_400000_NS6detail17trampoline_kernelINS0_14default_configENS1_22reduce_config_selectorIN6thrust23THRUST_200600_302600_NS5tupleIblNS6_9null_typeES8_S8_S8_S8_S8_S8_S8_EEEEZNS1_11reduce_implILb1ES3_NS6_12zip_iteratorINS7_INS6_11hip_rocprim26transform_input_iterator_tIbNSD_35transform_pair_of_input_iterators_tIbNS6_6detail15normal_iteratorINS6_10device_ptrIKiEEEESL_NS6_8equal_toIiEEEENSG_9not_fun_tINSD_8identityEEEEENSD_19counting_iterator_tIlEES8_S8_S8_S8_S8_S8_S8_S8_EEEEPS9_S9_NSD_9__find_if7functorIS9_EEEE10hipError_tPvRmT1_T2_T3_mT4_P12ihipStream_tbEUlT_E1_NS1_11comp_targetILNS1_3genE10ELNS1_11target_archE1201ELNS1_3gpuE5ELNS1_3repE0EEENS1_30default_config_static_selectorELNS0_4arch9wavefront6targetE0EEEvS14_,comdat
	.protected	_ZN7rocprim17ROCPRIM_400000_NS6detail17trampoline_kernelINS0_14default_configENS1_22reduce_config_selectorIN6thrust23THRUST_200600_302600_NS5tupleIblNS6_9null_typeES8_S8_S8_S8_S8_S8_S8_EEEEZNS1_11reduce_implILb1ES3_NS6_12zip_iteratorINS7_INS6_11hip_rocprim26transform_input_iterator_tIbNSD_35transform_pair_of_input_iterators_tIbNS6_6detail15normal_iteratorINS6_10device_ptrIKiEEEESL_NS6_8equal_toIiEEEENSG_9not_fun_tINSD_8identityEEEEENSD_19counting_iterator_tIlEES8_S8_S8_S8_S8_S8_S8_S8_EEEEPS9_S9_NSD_9__find_if7functorIS9_EEEE10hipError_tPvRmT1_T2_T3_mT4_P12ihipStream_tbEUlT_E1_NS1_11comp_targetILNS1_3genE10ELNS1_11target_archE1201ELNS1_3gpuE5ELNS1_3repE0EEENS1_30default_config_static_selectorELNS0_4arch9wavefront6targetE0EEEvS14_ ; -- Begin function _ZN7rocprim17ROCPRIM_400000_NS6detail17trampoline_kernelINS0_14default_configENS1_22reduce_config_selectorIN6thrust23THRUST_200600_302600_NS5tupleIblNS6_9null_typeES8_S8_S8_S8_S8_S8_S8_EEEEZNS1_11reduce_implILb1ES3_NS6_12zip_iteratorINS7_INS6_11hip_rocprim26transform_input_iterator_tIbNSD_35transform_pair_of_input_iterators_tIbNS6_6detail15normal_iteratorINS6_10device_ptrIKiEEEESL_NS6_8equal_toIiEEEENSG_9not_fun_tINSD_8identityEEEEENSD_19counting_iterator_tIlEES8_S8_S8_S8_S8_S8_S8_S8_EEEEPS9_S9_NSD_9__find_if7functorIS9_EEEE10hipError_tPvRmT1_T2_T3_mT4_P12ihipStream_tbEUlT_E1_NS1_11comp_targetILNS1_3genE10ELNS1_11target_archE1201ELNS1_3gpuE5ELNS1_3repE0EEENS1_30default_config_static_selectorELNS0_4arch9wavefront6targetE0EEEvS14_
	.globl	_ZN7rocprim17ROCPRIM_400000_NS6detail17trampoline_kernelINS0_14default_configENS1_22reduce_config_selectorIN6thrust23THRUST_200600_302600_NS5tupleIblNS6_9null_typeES8_S8_S8_S8_S8_S8_S8_EEEEZNS1_11reduce_implILb1ES3_NS6_12zip_iteratorINS7_INS6_11hip_rocprim26transform_input_iterator_tIbNSD_35transform_pair_of_input_iterators_tIbNS6_6detail15normal_iteratorINS6_10device_ptrIKiEEEESL_NS6_8equal_toIiEEEENSG_9not_fun_tINSD_8identityEEEEENSD_19counting_iterator_tIlEES8_S8_S8_S8_S8_S8_S8_S8_EEEEPS9_S9_NSD_9__find_if7functorIS9_EEEE10hipError_tPvRmT1_T2_T3_mT4_P12ihipStream_tbEUlT_E1_NS1_11comp_targetILNS1_3genE10ELNS1_11target_archE1201ELNS1_3gpuE5ELNS1_3repE0EEENS1_30default_config_static_selectorELNS0_4arch9wavefront6targetE0EEEvS14_
	.p2align	8
	.type	_ZN7rocprim17ROCPRIM_400000_NS6detail17trampoline_kernelINS0_14default_configENS1_22reduce_config_selectorIN6thrust23THRUST_200600_302600_NS5tupleIblNS6_9null_typeES8_S8_S8_S8_S8_S8_S8_EEEEZNS1_11reduce_implILb1ES3_NS6_12zip_iteratorINS7_INS6_11hip_rocprim26transform_input_iterator_tIbNSD_35transform_pair_of_input_iterators_tIbNS6_6detail15normal_iteratorINS6_10device_ptrIKiEEEESL_NS6_8equal_toIiEEEENSG_9not_fun_tINSD_8identityEEEEENSD_19counting_iterator_tIlEES8_S8_S8_S8_S8_S8_S8_S8_EEEEPS9_S9_NSD_9__find_if7functorIS9_EEEE10hipError_tPvRmT1_T2_T3_mT4_P12ihipStream_tbEUlT_E1_NS1_11comp_targetILNS1_3genE10ELNS1_11target_archE1201ELNS1_3gpuE5ELNS1_3repE0EEENS1_30default_config_static_selectorELNS0_4arch9wavefront6targetE0EEEvS14_,@function
_ZN7rocprim17ROCPRIM_400000_NS6detail17trampoline_kernelINS0_14default_configENS1_22reduce_config_selectorIN6thrust23THRUST_200600_302600_NS5tupleIblNS6_9null_typeES8_S8_S8_S8_S8_S8_S8_EEEEZNS1_11reduce_implILb1ES3_NS6_12zip_iteratorINS7_INS6_11hip_rocprim26transform_input_iterator_tIbNSD_35transform_pair_of_input_iterators_tIbNS6_6detail15normal_iteratorINS6_10device_ptrIKiEEEESL_NS6_8equal_toIiEEEENSG_9not_fun_tINSD_8identityEEEEENSD_19counting_iterator_tIlEES8_S8_S8_S8_S8_S8_S8_S8_EEEEPS9_S9_NSD_9__find_if7functorIS9_EEEE10hipError_tPvRmT1_T2_T3_mT4_P12ihipStream_tbEUlT_E1_NS1_11comp_targetILNS1_3genE10ELNS1_11target_archE1201ELNS1_3gpuE5ELNS1_3repE0EEENS1_30default_config_static_selectorELNS0_4arch9wavefront6targetE0EEEvS14_: ; @_ZN7rocprim17ROCPRIM_400000_NS6detail17trampoline_kernelINS0_14default_configENS1_22reduce_config_selectorIN6thrust23THRUST_200600_302600_NS5tupleIblNS6_9null_typeES8_S8_S8_S8_S8_S8_S8_EEEEZNS1_11reduce_implILb1ES3_NS6_12zip_iteratorINS7_INS6_11hip_rocprim26transform_input_iterator_tIbNSD_35transform_pair_of_input_iterators_tIbNS6_6detail15normal_iteratorINS6_10device_ptrIKiEEEESL_NS6_8equal_toIiEEEENSG_9not_fun_tINSD_8identityEEEEENSD_19counting_iterator_tIlEES8_S8_S8_S8_S8_S8_S8_S8_EEEEPS9_S9_NSD_9__find_if7functorIS9_EEEE10hipError_tPvRmT1_T2_T3_mT4_P12ihipStream_tbEUlT_E1_NS1_11comp_targetILNS1_3genE10ELNS1_11target_archE1201ELNS1_3gpuE5ELNS1_3repE0EEENS1_30default_config_static_selectorELNS0_4arch9wavefront6targetE0EEEvS14_
; %bb.0:
	.section	.rodata,"a",@progbits
	.p2align	6, 0x0
	.amdhsa_kernel _ZN7rocprim17ROCPRIM_400000_NS6detail17trampoline_kernelINS0_14default_configENS1_22reduce_config_selectorIN6thrust23THRUST_200600_302600_NS5tupleIblNS6_9null_typeES8_S8_S8_S8_S8_S8_S8_EEEEZNS1_11reduce_implILb1ES3_NS6_12zip_iteratorINS7_INS6_11hip_rocprim26transform_input_iterator_tIbNSD_35transform_pair_of_input_iterators_tIbNS6_6detail15normal_iteratorINS6_10device_ptrIKiEEEESL_NS6_8equal_toIiEEEENSG_9not_fun_tINSD_8identityEEEEENSD_19counting_iterator_tIlEES8_S8_S8_S8_S8_S8_S8_S8_EEEEPS9_S9_NSD_9__find_if7functorIS9_EEEE10hipError_tPvRmT1_T2_T3_mT4_P12ihipStream_tbEUlT_E1_NS1_11comp_targetILNS1_3genE10ELNS1_11target_archE1201ELNS1_3gpuE5ELNS1_3repE0EEENS1_30default_config_static_selectorELNS0_4arch9wavefront6targetE0EEEvS14_
		.amdhsa_group_segment_fixed_size 0
		.amdhsa_private_segment_fixed_size 0
		.amdhsa_kernarg_size 88
		.amdhsa_user_sgpr_count 6
		.amdhsa_user_sgpr_private_segment_buffer 1
		.amdhsa_user_sgpr_dispatch_ptr 0
		.amdhsa_user_sgpr_queue_ptr 0
		.amdhsa_user_sgpr_kernarg_segment_ptr 1
		.amdhsa_user_sgpr_dispatch_id 0
		.amdhsa_user_sgpr_flat_scratch_init 0
		.amdhsa_user_sgpr_private_segment_size 0
		.amdhsa_wavefront_size32 1
		.amdhsa_uses_dynamic_stack 0
		.amdhsa_system_sgpr_private_segment_wavefront_offset 0
		.amdhsa_system_sgpr_workgroup_id_x 1
		.amdhsa_system_sgpr_workgroup_id_y 0
		.amdhsa_system_sgpr_workgroup_id_z 0
		.amdhsa_system_sgpr_workgroup_info 0
		.amdhsa_system_vgpr_workitem_id 0
		.amdhsa_next_free_vgpr 1
		.amdhsa_next_free_sgpr 1
		.amdhsa_reserve_vcc 0
		.amdhsa_reserve_flat_scratch 0
		.amdhsa_float_round_mode_32 0
		.amdhsa_float_round_mode_16_64 0
		.amdhsa_float_denorm_mode_32 3
		.amdhsa_float_denorm_mode_16_64 3
		.amdhsa_dx10_clamp 1
		.amdhsa_ieee_mode 1
		.amdhsa_fp16_overflow 0
		.amdhsa_workgroup_processor_mode 1
		.amdhsa_memory_ordered 1
		.amdhsa_forward_progress 1
		.amdhsa_shared_vgpr_count 0
		.amdhsa_exception_fp_ieee_invalid_op 0
		.amdhsa_exception_fp_denorm_src 0
		.amdhsa_exception_fp_ieee_div_zero 0
		.amdhsa_exception_fp_ieee_overflow 0
		.amdhsa_exception_fp_ieee_underflow 0
		.amdhsa_exception_fp_ieee_inexact 0
		.amdhsa_exception_int_div_zero 0
	.end_amdhsa_kernel
	.section	.text._ZN7rocprim17ROCPRIM_400000_NS6detail17trampoline_kernelINS0_14default_configENS1_22reduce_config_selectorIN6thrust23THRUST_200600_302600_NS5tupleIblNS6_9null_typeES8_S8_S8_S8_S8_S8_S8_EEEEZNS1_11reduce_implILb1ES3_NS6_12zip_iteratorINS7_INS6_11hip_rocprim26transform_input_iterator_tIbNSD_35transform_pair_of_input_iterators_tIbNS6_6detail15normal_iteratorINS6_10device_ptrIKiEEEESL_NS6_8equal_toIiEEEENSG_9not_fun_tINSD_8identityEEEEENSD_19counting_iterator_tIlEES8_S8_S8_S8_S8_S8_S8_S8_EEEEPS9_S9_NSD_9__find_if7functorIS9_EEEE10hipError_tPvRmT1_T2_T3_mT4_P12ihipStream_tbEUlT_E1_NS1_11comp_targetILNS1_3genE10ELNS1_11target_archE1201ELNS1_3gpuE5ELNS1_3repE0EEENS1_30default_config_static_selectorELNS0_4arch9wavefront6targetE0EEEvS14_,"axG",@progbits,_ZN7rocprim17ROCPRIM_400000_NS6detail17trampoline_kernelINS0_14default_configENS1_22reduce_config_selectorIN6thrust23THRUST_200600_302600_NS5tupleIblNS6_9null_typeES8_S8_S8_S8_S8_S8_S8_EEEEZNS1_11reduce_implILb1ES3_NS6_12zip_iteratorINS7_INS6_11hip_rocprim26transform_input_iterator_tIbNSD_35transform_pair_of_input_iterators_tIbNS6_6detail15normal_iteratorINS6_10device_ptrIKiEEEESL_NS6_8equal_toIiEEEENSG_9not_fun_tINSD_8identityEEEEENSD_19counting_iterator_tIlEES8_S8_S8_S8_S8_S8_S8_S8_EEEEPS9_S9_NSD_9__find_if7functorIS9_EEEE10hipError_tPvRmT1_T2_T3_mT4_P12ihipStream_tbEUlT_E1_NS1_11comp_targetILNS1_3genE10ELNS1_11target_archE1201ELNS1_3gpuE5ELNS1_3repE0EEENS1_30default_config_static_selectorELNS0_4arch9wavefront6targetE0EEEvS14_,comdat
.Lfunc_end482:
	.size	_ZN7rocprim17ROCPRIM_400000_NS6detail17trampoline_kernelINS0_14default_configENS1_22reduce_config_selectorIN6thrust23THRUST_200600_302600_NS5tupleIblNS6_9null_typeES8_S8_S8_S8_S8_S8_S8_EEEEZNS1_11reduce_implILb1ES3_NS6_12zip_iteratorINS7_INS6_11hip_rocprim26transform_input_iterator_tIbNSD_35transform_pair_of_input_iterators_tIbNS6_6detail15normal_iteratorINS6_10device_ptrIKiEEEESL_NS6_8equal_toIiEEEENSG_9not_fun_tINSD_8identityEEEEENSD_19counting_iterator_tIlEES8_S8_S8_S8_S8_S8_S8_S8_EEEEPS9_S9_NSD_9__find_if7functorIS9_EEEE10hipError_tPvRmT1_T2_T3_mT4_P12ihipStream_tbEUlT_E1_NS1_11comp_targetILNS1_3genE10ELNS1_11target_archE1201ELNS1_3gpuE5ELNS1_3repE0EEENS1_30default_config_static_selectorELNS0_4arch9wavefront6targetE0EEEvS14_, .Lfunc_end482-_ZN7rocprim17ROCPRIM_400000_NS6detail17trampoline_kernelINS0_14default_configENS1_22reduce_config_selectorIN6thrust23THRUST_200600_302600_NS5tupleIblNS6_9null_typeES8_S8_S8_S8_S8_S8_S8_EEEEZNS1_11reduce_implILb1ES3_NS6_12zip_iteratorINS7_INS6_11hip_rocprim26transform_input_iterator_tIbNSD_35transform_pair_of_input_iterators_tIbNS6_6detail15normal_iteratorINS6_10device_ptrIKiEEEESL_NS6_8equal_toIiEEEENSG_9not_fun_tINSD_8identityEEEEENSD_19counting_iterator_tIlEES8_S8_S8_S8_S8_S8_S8_S8_EEEEPS9_S9_NSD_9__find_if7functorIS9_EEEE10hipError_tPvRmT1_T2_T3_mT4_P12ihipStream_tbEUlT_E1_NS1_11comp_targetILNS1_3genE10ELNS1_11target_archE1201ELNS1_3gpuE5ELNS1_3repE0EEENS1_30default_config_static_selectorELNS0_4arch9wavefront6targetE0EEEvS14_
                                        ; -- End function
	.set _ZN7rocprim17ROCPRIM_400000_NS6detail17trampoline_kernelINS0_14default_configENS1_22reduce_config_selectorIN6thrust23THRUST_200600_302600_NS5tupleIblNS6_9null_typeES8_S8_S8_S8_S8_S8_S8_EEEEZNS1_11reduce_implILb1ES3_NS6_12zip_iteratorINS7_INS6_11hip_rocprim26transform_input_iterator_tIbNSD_35transform_pair_of_input_iterators_tIbNS6_6detail15normal_iteratorINS6_10device_ptrIKiEEEESL_NS6_8equal_toIiEEEENSG_9not_fun_tINSD_8identityEEEEENSD_19counting_iterator_tIlEES8_S8_S8_S8_S8_S8_S8_S8_EEEEPS9_S9_NSD_9__find_if7functorIS9_EEEE10hipError_tPvRmT1_T2_T3_mT4_P12ihipStream_tbEUlT_E1_NS1_11comp_targetILNS1_3genE10ELNS1_11target_archE1201ELNS1_3gpuE5ELNS1_3repE0EEENS1_30default_config_static_selectorELNS0_4arch9wavefront6targetE0EEEvS14_.num_vgpr, 0
	.set _ZN7rocprim17ROCPRIM_400000_NS6detail17trampoline_kernelINS0_14default_configENS1_22reduce_config_selectorIN6thrust23THRUST_200600_302600_NS5tupleIblNS6_9null_typeES8_S8_S8_S8_S8_S8_S8_EEEEZNS1_11reduce_implILb1ES3_NS6_12zip_iteratorINS7_INS6_11hip_rocprim26transform_input_iterator_tIbNSD_35transform_pair_of_input_iterators_tIbNS6_6detail15normal_iteratorINS6_10device_ptrIKiEEEESL_NS6_8equal_toIiEEEENSG_9not_fun_tINSD_8identityEEEEENSD_19counting_iterator_tIlEES8_S8_S8_S8_S8_S8_S8_S8_EEEEPS9_S9_NSD_9__find_if7functorIS9_EEEE10hipError_tPvRmT1_T2_T3_mT4_P12ihipStream_tbEUlT_E1_NS1_11comp_targetILNS1_3genE10ELNS1_11target_archE1201ELNS1_3gpuE5ELNS1_3repE0EEENS1_30default_config_static_selectorELNS0_4arch9wavefront6targetE0EEEvS14_.num_agpr, 0
	.set _ZN7rocprim17ROCPRIM_400000_NS6detail17trampoline_kernelINS0_14default_configENS1_22reduce_config_selectorIN6thrust23THRUST_200600_302600_NS5tupleIblNS6_9null_typeES8_S8_S8_S8_S8_S8_S8_EEEEZNS1_11reduce_implILb1ES3_NS6_12zip_iteratorINS7_INS6_11hip_rocprim26transform_input_iterator_tIbNSD_35transform_pair_of_input_iterators_tIbNS6_6detail15normal_iteratorINS6_10device_ptrIKiEEEESL_NS6_8equal_toIiEEEENSG_9not_fun_tINSD_8identityEEEEENSD_19counting_iterator_tIlEES8_S8_S8_S8_S8_S8_S8_S8_EEEEPS9_S9_NSD_9__find_if7functorIS9_EEEE10hipError_tPvRmT1_T2_T3_mT4_P12ihipStream_tbEUlT_E1_NS1_11comp_targetILNS1_3genE10ELNS1_11target_archE1201ELNS1_3gpuE5ELNS1_3repE0EEENS1_30default_config_static_selectorELNS0_4arch9wavefront6targetE0EEEvS14_.numbered_sgpr, 0
	.set _ZN7rocprim17ROCPRIM_400000_NS6detail17trampoline_kernelINS0_14default_configENS1_22reduce_config_selectorIN6thrust23THRUST_200600_302600_NS5tupleIblNS6_9null_typeES8_S8_S8_S8_S8_S8_S8_EEEEZNS1_11reduce_implILb1ES3_NS6_12zip_iteratorINS7_INS6_11hip_rocprim26transform_input_iterator_tIbNSD_35transform_pair_of_input_iterators_tIbNS6_6detail15normal_iteratorINS6_10device_ptrIKiEEEESL_NS6_8equal_toIiEEEENSG_9not_fun_tINSD_8identityEEEEENSD_19counting_iterator_tIlEES8_S8_S8_S8_S8_S8_S8_S8_EEEEPS9_S9_NSD_9__find_if7functorIS9_EEEE10hipError_tPvRmT1_T2_T3_mT4_P12ihipStream_tbEUlT_E1_NS1_11comp_targetILNS1_3genE10ELNS1_11target_archE1201ELNS1_3gpuE5ELNS1_3repE0EEENS1_30default_config_static_selectorELNS0_4arch9wavefront6targetE0EEEvS14_.num_named_barrier, 0
	.set _ZN7rocprim17ROCPRIM_400000_NS6detail17trampoline_kernelINS0_14default_configENS1_22reduce_config_selectorIN6thrust23THRUST_200600_302600_NS5tupleIblNS6_9null_typeES8_S8_S8_S8_S8_S8_S8_EEEEZNS1_11reduce_implILb1ES3_NS6_12zip_iteratorINS7_INS6_11hip_rocprim26transform_input_iterator_tIbNSD_35transform_pair_of_input_iterators_tIbNS6_6detail15normal_iteratorINS6_10device_ptrIKiEEEESL_NS6_8equal_toIiEEEENSG_9not_fun_tINSD_8identityEEEEENSD_19counting_iterator_tIlEES8_S8_S8_S8_S8_S8_S8_S8_EEEEPS9_S9_NSD_9__find_if7functorIS9_EEEE10hipError_tPvRmT1_T2_T3_mT4_P12ihipStream_tbEUlT_E1_NS1_11comp_targetILNS1_3genE10ELNS1_11target_archE1201ELNS1_3gpuE5ELNS1_3repE0EEENS1_30default_config_static_selectorELNS0_4arch9wavefront6targetE0EEEvS14_.private_seg_size, 0
	.set _ZN7rocprim17ROCPRIM_400000_NS6detail17trampoline_kernelINS0_14default_configENS1_22reduce_config_selectorIN6thrust23THRUST_200600_302600_NS5tupleIblNS6_9null_typeES8_S8_S8_S8_S8_S8_S8_EEEEZNS1_11reduce_implILb1ES3_NS6_12zip_iteratorINS7_INS6_11hip_rocprim26transform_input_iterator_tIbNSD_35transform_pair_of_input_iterators_tIbNS6_6detail15normal_iteratorINS6_10device_ptrIKiEEEESL_NS6_8equal_toIiEEEENSG_9not_fun_tINSD_8identityEEEEENSD_19counting_iterator_tIlEES8_S8_S8_S8_S8_S8_S8_S8_EEEEPS9_S9_NSD_9__find_if7functorIS9_EEEE10hipError_tPvRmT1_T2_T3_mT4_P12ihipStream_tbEUlT_E1_NS1_11comp_targetILNS1_3genE10ELNS1_11target_archE1201ELNS1_3gpuE5ELNS1_3repE0EEENS1_30default_config_static_selectorELNS0_4arch9wavefront6targetE0EEEvS14_.uses_vcc, 0
	.set _ZN7rocprim17ROCPRIM_400000_NS6detail17trampoline_kernelINS0_14default_configENS1_22reduce_config_selectorIN6thrust23THRUST_200600_302600_NS5tupleIblNS6_9null_typeES8_S8_S8_S8_S8_S8_S8_EEEEZNS1_11reduce_implILb1ES3_NS6_12zip_iteratorINS7_INS6_11hip_rocprim26transform_input_iterator_tIbNSD_35transform_pair_of_input_iterators_tIbNS6_6detail15normal_iteratorINS6_10device_ptrIKiEEEESL_NS6_8equal_toIiEEEENSG_9not_fun_tINSD_8identityEEEEENSD_19counting_iterator_tIlEES8_S8_S8_S8_S8_S8_S8_S8_EEEEPS9_S9_NSD_9__find_if7functorIS9_EEEE10hipError_tPvRmT1_T2_T3_mT4_P12ihipStream_tbEUlT_E1_NS1_11comp_targetILNS1_3genE10ELNS1_11target_archE1201ELNS1_3gpuE5ELNS1_3repE0EEENS1_30default_config_static_selectorELNS0_4arch9wavefront6targetE0EEEvS14_.uses_flat_scratch, 0
	.set _ZN7rocprim17ROCPRIM_400000_NS6detail17trampoline_kernelINS0_14default_configENS1_22reduce_config_selectorIN6thrust23THRUST_200600_302600_NS5tupleIblNS6_9null_typeES8_S8_S8_S8_S8_S8_S8_EEEEZNS1_11reduce_implILb1ES3_NS6_12zip_iteratorINS7_INS6_11hip_rocprim26transform_input_iterator_tIbNSD_35transform_pair_of_input_iterators_tIbNS6_6detail15normal_iteratorINS6_10device_ptrIKiEEEESL_NS6_8equal_toIiEEEENSG_9not_fun_tINSD_8identityEEEEENSD_19counting_iterator_tIlEES8_S8_S8_S8_S8_S8_S8_S8_EEEEPS9_S9_NSD_9__find_if7functorIS9_EEEE10hipError_tPvRmT1_T2_T3_mT4_P12ihipStream_tbEUlT_E1_NS1_11comp_targetILNS1_3genE10ELNS1_11target_archE1201ELNS1_3gpuE5ELNS1_3repE0EEENS1_30default_config_static_selectorELNS0_4arch9wavefront6targetE0EEEvS14_.has_dyn_sized_stack, 0
	.set _ZN7rocprim17ROCPRIM_400000_NS6detail17trampoline_kernelINS0_14default_configENS1_22reduce_config_selectorIN6thrust23THRUST_200600_302600_NS5tupleIblNS6_9null_typeES8_S8_S8_S8_S8_S8_S8_EEEEZNS1_11reduce_implILb1ES3_NS6_12zip_iteratorINS7_INS6_11hip_rocprim26transform_input_iterator_tIbNSD_35transform_pair_of_input_iterators_tIbNS6_6detail15normal_iteratorINS6_10device_ptrIKiEEEESL_NS6_8equal_toIiEEEENSG_9not_fun_tINSD_8identityEEEEENSD_19counting_iterator_tIlEES8_S8_S8_S8_S8_S8_S8_S8_EEEEPS9_S9_NSD_9__find_if7functorIS9_EEEE10hipError_tPvRmT1_T2_T3_mT4_P12ihipStream_tbEUlT_E1_NS1_11comp_targetILNS1_3genE10ELNS1_11target_archE1201ELNS1_3gpuE5ELNS1_3repE0EEENS1_30default_config_static_selectorELNS0_4arch9wavefront6targetE0EEEvS14_.has_recursion, 0
	.set _ZN7rocprim17ROCPRIM_400000_NS6detail17trampoline_kernelINS0_14default_configENS1_22reduce_config_selectorIN6thrust23THRUST_200600_302600_NS5tupleIblNS6_9null_typeES8_S8_S8_S8_S8_S8_S8_EEEEZNS1_11reduce_implILb1ES3_NS6_12zip_iteratorINS7_INS6_11hip_rocprim26transform_input_iterator_tIbNSD_35transform_pair_of_input_iterators_tIbNS6_6detail15normal_iteratorINS6_10device_ptrIKiEEEESL_NS6_8equal_toIiEEEENSG_9not_fun_tINSD_8identityEEEEENSD_19counting_iterator_tIlEES8_S8_S8_S8_S8_S8_S8_S8_EEEEPS9_S9_NSD_9__find_if7functorIS9_EEEE10hipError_tPvRmT1_T2_T3_mT4_P12ihipStream_tbEUlT_E1_NS1_11comp_targetILNS1_3genE10ELNS1_11target_archE1201ELNS1_3gpuE5ELNS1_3repE0EEENS1_30default_config_static_selectorELNS0_4arch9wavefront6targetE0EEEvS14_.has_indirect_call, 0
	.section	.AMDGPU.csdata,"",@progbits
; Kernel info:
; codeLenInByte = 0
; TotalNumSgprs: 0
; NumVgprs: 0
; ScratchSize: 0
; MemoryBound: 0
; FloatMode: 240
; IeeeMode: 1
; LDSByteSize: 0 bytes/workgroup (compile time only)
; SGPRBlocks: 0
; VGPRBlocks: 0
; NumSGPRsForWavesPerEU: 1
; NumVGPRsForWavesPerEU: 1
; Occupancy: 16
; WaveLimiterHint : 0
; COMPUTE_PGM_RSRC2:SCRATCH_EN: 0
; COMPUTE_PGM_RSRC2:USER_SGPR: 6
; COMPUTE_PGM_RSRC2:TRAP_HANDLER: 0
; COMPUTE_PGM_RSRC2:TGID_X_EN: 1
; COMPUTE_PGM_RSRC2:TGID_Y_EN: 0
; COMPUTE_PGM_RSRC2:TGID_Z_EN: 0
; COMPUTE_PGM_RSRC2:TIDIG_COMP_CNT: 0
	.section	.text._ZN7rocprim17ROCPRIM_400000_NS6detail17trampoline_kernelINS0_14default_configENS1_22reduce_config_selectorIN6thrust23THRUST_200600_302600_NS5tupleIblNS6_9null_typeES8_S8_S8_S8_S8_S8_S8_EEEEZNS1_11reduce_implILb1ES3_NS6_12zip_iteratorINS7_INS6_11hip_rocprim26transform_input_iterator_tIbNSD_35transform_pair_of_input_iterators_tIbNS6_6detail15normal_iteratorINS6_10device_ptrIKiEEEESL_NS6_8equal_toIiEEEENSG_9not_fun_tINSD_8identityEEEEENSD_19counting_iterator_tIlEES8_S8_S8_S8_S8_S8_S8_S8_EEEEPS9_S9_NSD_9__find_if7functorIS9_EEEE10hipError_tPvRmT1_T2_T3_mT4_P12ihipStream_tbEUlT_E1_NS1_11comp_targetILNS1_3genE10ELNS1_11target_archE1200ELNS1_3gpuE4ELNS1_3repE0EEENS1_30default_config_static_selectorELNS0_4arch9wavefront6targetE0EEEvS14_,"axG",@progbits,_ZN7rocprim17ROCPRIM_400000_NS6detail17trampoline_kernelINS0_14default_configENS1_22reduce_config_selectorIN6thrust23THRUST_200600_302600_NS5tupleIblNS6_9null_typeES8_S8_S8_S8_S8_S8_S8_EEEEZNS1_11reduce_implILb1ES3_NS6_12zip_iteratorINS7_INS6_11hip_rocprim26transform_input_iterator_tIbNSD_35transform_pair_of_input_iterators_tIbNS6_6detail15normal_iteratorINS6_10device_ptrIKiEEEESL_NS6_8equal_toIiEEEENSG_9not_fun_tINSD_8identityEEEEENSD_19counting_iterator_tIlEES8_S8_S8_S8_S8_S8_S8_S8_EEEEPS9_S9_NSD_9__find_if7functorIS9_EEEE10hipError_tPvRmT1_T2_T3_mT4_P12ihipStream_tbEUlT_E1_NS1_11comp_targetILNS1_3genE10ELNS1_11target_archE1200ELNS1_3gpuE4ELNS1_3repE0EEENS1_30default_config_static_selectorELNS0_4arch9wavefront6targetE0EEEvS14_,comdat
	.protected	_ZN7rocprim17ROCPRIM_400000_NS6detail17trampoline_kernelINS0_14default_configENS1_22reduce_config_selectorIN6thrust23THRUST_200600_302600_NS5tupleIblNS6_9null_typeES8_S8_S8_S8_S8_S8_S8_EEEEZNS1_11reduce_implILb1ES3_NS6_12zip_iteratorINS7_INS6_11hip_rocprim26transform_input_iterator_tIbNSD_35transform_pair_of_input_iterators_tIbNS6_6detail15normal_iteratorINS6_10device_ptrIKiEEEESL_NS6_8equal_toIiEEEENSG_9not_fun_tINSD_8identityEEEEENSD_19counting_iterator_tIlEES8_S8_S8_S8_S8_S8_S8_S8_EEEEPS9_S9_NSD_9__find_if7functorIS9_EEEE10hipError_tPvRmT1_T2_T3_mT4_P12ihipStream_tbEUlT_E1_NS1_11comp_targetILNS1_3genE10ELNS1_11target_archE1200ELNS1_3gpuE4ELNS1_3repE0EEENS1_30default_config_static_selectorELNS0_4arch9wavefront6targetE0EEEvS14_ ; -- Begin function _ZN7rocprim17ROCPRIM_400000_NS6detail17trampoline_kernelINS0_14default_configENS1_22reduce_config_selectorIN6thrust23THRUST_200600_302600_NS5tupleIblNS6_9null_typeES8_S8_S8_S8_S8_S8_S8_EEEEZNS1_11reduce_implILb1ES3_NS6_12zip_iteratorINS7_INS6_11hip_rocprim26transform_input_iterator_tIbNSD_35transform_pair_of_input_iterators_tIbNS6_6detail15normal_iteratorINS6_10device_ptrIKiEEEESL_NS6_8equal_toIiEEEENSG_9not_fun_tINSD_8identityEEEEENSD_19counting_iterator_tIlEES8_S8_S8_S8_S8_S8_S8_S8_EEEEPS9_S9_NSD_9__find_if7functorIS9_EEEE10hipError_tPvRmT1_T2_T3_mT4_P12ihipStream_tbEUlT_E1_NS1_11comp_targetILNS1_3genE10ELNS1_11target_archE1200ELNS1_3gpuE4ELNS1_3repE0EEENS1_30default_config_static_selectorELNS0_4arch9wavefront6targetE0EEEvS14_
	.globl	_ZN7rocprim17ROCPRIM_400000_NS6detail17trampoline_kernelINS0_14default_configENS1_22reduce_config_selectorIN6thrust23THRUST_200600_302600_NS5tupleIblNS6_9null_typeES8_S8_S8_S8_S8_S8_S8_EEEEZNS1_11reduce_implILb1ES3_NS6_12zip_iteratorINS7_INS6_11hip_rocprim26transform_input_iterator_tIbNSD_35transform_pair_of_input_iterators_tIbNS6_6detail15normal_iteratorINS6_10device_ptrIKiEEEESL_NS6_8equal_toIiEEEENSG_9not_fun_tINSD_8identityEEEEENSD_19counting_iterator_tIlEES8_S8_S8_S8_S8_S8_S8_S8_EEEEPS9_S9_NSD_9__find_if7functorIS9_EEEE10hipError_tPvRmT1_T2_T3_mT4_P12ihipStream_tbEUlT_E1_NS1_11comp_targetILNS1_3genE10ELNS1_11target_archE1200ELNS1_3gpuE4ELNS1_3repE0EEENS1_30default_config_static_selectorELNS0_4arch9wavefront6targetE0EEEvS14_
	.p2align	8
	.type	_ZN7rocprim17ROCPRIM_400000_NS6detail17trampoline_kernelINS0_14default_configENS1_22reduce_config_selectorIN6thrust23THRUST_200600_302600_NS5tupleIblNS6_9null_typeES8_S8_S8_S8_S8_S8_S8_EEEEZNS1_11reduce_implILb1ES3_NS6_12zip_iteratorINS7_INS6_11hip_rocprim26transform_input_iterator_tIbNSD_35transform_pair_of_input_iterators_tIbNS6_6detail15normal_iteratorINS6_10device_ptrIKiEEEESL_NS6_8equal_toIiEEEENSG_9not_fun_tINSD_8identityEEEEENSD_19counting_iterator_tIlEES8_S8_S8_S8_S8_S8_S8_S8_EEEEPS9_S9_NSD_9__find_if7functorIS9_EEEE10hipError_tPvRmT1_T2_T3_mT4_P12ihipStream_tbEUlT_E1_NS1_11comp_targetILNS1_3genE10ELNS1_11target_archE1200ELNS1_3gpuE4ELNS1_3repE0EEENS1_30default_config_static_selectorELNS0_4arch9wavefront6targetE0EEEvS14_,@function
_ZN7rocprim17ROCPRIM_400000_NS6detail17trampoline_kernelINS0_14default_configENS1_22reduce_config_selectorIN6thrust23THRUST_200600_302600_NS5tupleIblNS6_9null_typeES8_S8_S8_S8_S8_S8_S8_EEEEZNS1_11reduce_implILb1ES3_NS6_12zip_iteratorINS7_INS6_11hip_rocprim26transform_input_iterator_tIbNSD_35transform_pair_of_input_iterators_tIbNS6_6detail15normal_iteratorINS6_10device_ptrIKiEEEESL_NS6_8equal_toIiEEEENSG_9not_fun_tINSD_8identityEEEEENSD_19counting_iterator_tIlEES8_S8_S8_S8_S8_S8_S8_S8_EEEEPS9_S9_NSD_9__find_if7functorIS9_EEEE10hipError_tPvRmT1_T2_T3_mT4_P12ihipStream_tbEUlT_E1_NS1_11comp_targetILNS1_3genE10ELNS1_11target_archE1200ELNS1_3gpuE4ELNS1_3repE0EEENS1_30default_config_static_selectorELNS0_4arch9wavefront6targetE0EEEvS14_: ; @_ZN7rocprim17ROCPRIM_400000_NS6detail17trampoline_kernelINS0_14default_configENS1_22reduce_config_selectorIN6thrust23THRUST_200600_302600_NS5tupleIblNS6_9null_typeES8_S8_S8_S8_S8_S8_S8_EEEEZNS1_11reduce_implILb1ES3_NS6_12zip_iteratorINS7_INS6_11hip_rocprim26transform_input_iterator_tIbNSD_35transform_pair_of_input_iterators_tIbNS6_6detail15normal_iteratorINS6_10device_ptrIKiEEEESL_NS6_8equal_toIiEEEENSG_9not_fun_tINSD_8identityEEEEENSD_19counting_iterator_tIlEES8_S8_S8_S8_S8_S8_S8_S8_EEEEPS9_S9_NSD_9__find_if7functorIS9_EEEE10hipError_tPvRmT1_T2_T3_mT4_P12ihipStream_tbEUlT_E1_NS1_11comp_targetILNS1_3genE10ELNS1_11target_archE1200ELNS1_3gpuE4ELNS1_3repE0EEENS1_30default_config_static_selectorELNS0_4arch9wavefront6targetE0EEEvS14_
; %bb.0:
	.section	.rodata,"a",@progbits
	.p2align	6, 0x0
	.amdhsa_kernel _ZN7rocprim17ROCPRIM_400000_NS6detail17trampoline_kernelINS0_14default_configENS1_22reduce_config_selectorIN6thrust23THRUST_200600_302600_NS5tupleIblNS6_9null_typeES8_S8_S8_S8_S8_S8_S8_EEEEZNS1_11reduce_implILb1ES3_NS6_12zip_iteratorINS7_INS6_11hip_rocprim26transform_input_iterator_tIbNSD_35transform_pair_of_input_iterators_tIbNS6_6detail15normal_iteratorINS6_10device_ptrIKiEEEESL_NS6_8equal_toIiEEEENSG_9not_fun_tINSD_8identityEEEEENSD_19counting_iterator_tIlEES8_S8_S8_S8_S8_S8_S8_S8_EEEEPS9_S9_NSD_9__find_if7functorIS9_EEEE10hipError_tPvRmT1_T2_T3_mT4_P12ihipStream_tbEUlT_E1_NS1_11comp_targetILNS1_3genE10ELNS1_11target_archE1200ELNS1_3gpuE4ELNS1_3repE0EEENS1_30default_config_static_selectorELNS0_4arch9wavefront6targetE0EEEvS14_
		.amdhsa_group_segment_fixed_size 0
		.amdhsa_private_segment_fixed_size 0
		.amdhsa_kernarg_size 88
		.amdhsa_user_sgpr_count 6
		.amdhsa_user_sgpr_private_segment_buffer 1
		.amdhsa_user_sgpr_dispatch_ptr 0
		.amdhsa_user_sgpr_queue_ptr 0
		.amdhsa_user_sgpr_kernarg_segment_ptr 1
		.amdhsa_user_sgpr_dispatch_id 0
		.amdhsa_user_sgpr_flat_scratch_init 0
		.amdhsa_user_sgpr_private_segment_size 0
		.amdhsa_wavefront_size32 1
		.amdhsa_uses_dynamic_stack 0
		.amdhsa_system_sgpr_private_segment_wavefront_offset 0
		.amdhsa_system_sgpr_workgroup_id_x 1
		.amdhsa_system_sgpr_workgroup_id_y 0
		.amdhsa_system_sgpr_workgroup_id_z 0
		.amdhsa_system_sgpr_workgroup_info 0
		.amdhsa_system_vgpr_workitem_id 0
		.amdhsa_next_free_vgpr 1
		.amdhsa_next_free_sgpr 1
		.amdhsa_reserve_vcc 0
		.amdhsa_reserve_flat_scratch 0
		.amdhsa_float_round_mode_32 0
		.amdhsa_float_round_mode_16_64 0
		.amdhsa_float_denorm_mode_32 3
		.amdhsa_float_denorm_mode_16_64 3
		.amdhsa_dx10_clamp 1
		.amdhsa_ieee_mode 1
		.amdhsa_fp16_overflow 0
		.amdhsa_workgroup_processor_mode 1
		.amdhsa_memory_ordered 1
		.amdhsa_forward_progress 1
		.amdhsa_shared_vgpr_count 0
		.amdhsa_exception_fp_ieee_invalid_op 0
		.amdhsa_exception_fp_denorm_src 0
		.amdhsa_exception_fp_ieee_div_zero 0
		.amdhsa_exception_fp_ieee_overflow 0
		.amdhsa_exception_fp_ieee_underflow 0
		.amdhsa_exception_fp_ieee_inexact 0
		.amdhsa_exception_int_div_zero 0
	.end_amdhsa_kernel
	.section	.text._ZN7rocprim17ROCPRIM_400000_NS6detail17trampoline_kernelINS0_14default_configENS1_22reduce_config_selectorIN6thrust23THRUST_200600_302600_NS5tupleIblNS6_9null_typeES8_S8_S8_S8_S8_S8_S8_EEEEZNS1_11reduce_implILb1ES3_NS6_12zip_iteratorINS7_INS6_11hip_rocprim26transform_input_iterator_tIbNSD_35transform_pair_of_input_iterators_tIbNS6_6detail15normal_iteratorINS6_10device_ptrIKiEEEESL_NS6_8equal_toIiEEEENSG_9not_fun_tINSD_8identityEEEEENSD_19counting_iterator_tIlEES8_S8_S8_S8_S8_S8_S8_S8_EEEEPS9_S9_NSD_9__find_if7functorIS9_EEEE10hipError_tPvRmT1_T2_T3_mT4_P12ihipStream_tbEUlT_E1_NS1_11comp_targetILNS1_3genE10ELNS1_11target_archE1200ELNS1_3gpuE4ELNS1_3repE0EEENS1_30default_config_static_selectorELNS0_4arch9wavefront6targetE0EEEvS14_,"axG",@progbits,_ZN7rocprim17ROCPRIM_400000_NS6detail17trampoline_kernelINS0_14default_configENS1_22reduce_config_selectorIN6thrust23THRUST_200600_302600_NS5tupleIblNS6_9null_typeES8_S8_S8_S8_S8_S8_S8_EEEEZNS1_11reduce_implILb1ES3_NS6_12zip_iteratorINS7_INS6_11hip_rocprim26transform_input_iterator_tIbNSD_35transform_pair_of_input_iterators_tIbNS6_6detail15normal_iteratorINS6_10device_ptrIKiEEEESL_NS6_8equal_toIiEEEENSG_9not_fun_tINSD_8identityEEEEENSD_19counting_iterator_tIlEES8_S8_S8_S8_S8_S8_S8_S8_EEEEPS9_S9_NSD_9__find_if7functorIS9_EEEE10hipError_tPvRmT1_T2_T3_mT4_P12ihipStream_tbEUlT_E1_NS1_11comp_targetILNS1_3genE10ELNS1_11target_archE1200ELNS1_3gpuE4ELNS1_3repE0EEENS1_30default_config_static_selectorELNS0_4arch9wavefront6targetE0EEEvS14_,comdat
.Lfunc_end483:
	.size	_ZN7rocprim17ROCPRIM_400000_NS6detail17trampoline_kernelINS0_14default_configENS1_22reduce_config_selectorIN6thrust23THRUST_200600_302600_NS5tupleIblNS6_9null_typeES8_S8_S8_S8_S8_S8_S8_EEEEZNS1_11reduce_implILb1ES3_NS6_12zip_iteratorINS7_INS6_11hip_rocprim26transform_input_iterator_tIbNSD_35transform_pair_of_input_iterators_tIbNS6_6detail15normal_iteratorINS6_10device_ptrIKiEEEESL_NS6_8equal_toIiEEEENSG_9not_fun_tINSD_8identityEEEEENSD_19counting_iterator_tIlEES8_S8_S8_S8_S8_S8_S8_S8_EEEEPS9_S9_NSD_9__find_if7functorIS9_EEEE10hipError_tPvRmT1_T2_T3_mT4_P12ihipStream_tbEUlT_E1_NS1_11comp_targetILNS1_3genE10ELNS1_11target_archE1200ELNS1_3gpuE4ELNS1_3repE0EEENS1_30default_config_static_selectorELNS0_4arch9wavefront6targetE0EEEvS14_, .Lfunc_end483-_ZN7rocprim17ROCPRIM_400000_NS6detail17trampoline_kernelINS0_14default_configENS1_22reduce_config_selectorIN6thrust23THRUST_200600_302600_NS5tupleIblNS6_9null_typeES8_S8_S8_S8_S8_S8_S8_EEEEZNS1_11reduce_implILb1ES3_NS6_12zip_iteratorINS7_INS6_11hip_rocprim26transform_input_iterator_tIbNSD_35transform_pair_of_input_iterators_tIbNS6_6detail15normal_iteratorINS6_10device_ptrIKiEEEESL_NS6_8equal_toIiEEEENSG_9not_fun_tINSD_8identityEEEEENSD_19counting_iterator_tIlEES8_S8_S8_S8_S8_S8_S8_S8_EEEEPS9_S9_NSD_9__find_if7functorIS9_EEEE10hipError_tPvRmT1_T2_T3_mT4_P12ihipStream_tbEUlT_E1_NS1_11comp_targetILNS1_3genE10ELNS1_11target_archE1200ELNS1_3gpuE4ELNS1_3repE0EEENS1_30default_config_static_selectorELNS0_4arch9wavefront6targetE0EEEvS14_
                                        ; -- End function
	.set _ZN7rocprim17ROCPRIM_400000_NS6detail17trampoline_kernelINS0_14default_configENS1_22reduce_config_selectorIN6thrust23THRUST_200600_302600_NS5tupleIblNS6_9null_typeES8_S8_S8_S8_S8_S8_S8_EEEEZNS1_11reduce_implILb1ES3_NS6_12zip_iteratorINS7_INS6_11hip_rocprim26transform_input_iterator_tIbNSD_35transform_pair_of_input_iterators_tIbNS6_6detail15normal_iteratorINS6_10device_ptrIKiEEEESL_NS6_8equal_toIiEEEENSG_9not_fun_tINSD_8identityEEEEENSD_19counting_iterator_tIlEES8_S8_S8_S8_S8_S8_S8_S8_EEEEPS9_S9_NSD_9__find_if7functorIS9_EEEE10hipError_tPvRmT1_T2_T3_mT4_P12ihipStream_tbEUlT_E1_NS1_11comp_targetILNS1_3genE10ELNS1_11target_archE1200ELNS1_3gpuE4ELNS1_3repE0EEENS1_30default_config_static_selectorELNS0_4arch9wavefront6targetE0EEEvS14_.num_vgpr, 0
	.set _ZN7rocprim17ROCPRIM_400000_NS6detail17trampoline_kernelINS0_14default_configENS1_22reduce_config_selectorIN6thrust23THRUST_200600_302600_NS5tupleIblNS6_9null_typeES8_S8_S8_S8_S8_S8_S8_EEEEZNS1_11reduce_implILb1ES3_NS6_12zip_iteratorINS7_INS6_11hip_rocprim26transform_input_iterator_tIbNSD_35transform_pair_of_input_iterators_tIbNS6_6detail15normal_iteratorINS6_10device_ptrIKiEEEESL_NS6_8equal_toIiEEEENSG_9not_fun_tINSD_8identityEEEEENSD_19counting_iterator_tIlEES8_S8_S8_S8_S8_S8_S8_S8_EEEEPS9_S9_NSD_9__find_if7functorIS9_EEEE10hipError_tPvRmT1_T2_T3_mT4_P12ihipStream_tbEUlT_E1_NS1_11comp_targetILNS1_3genE10ELNS1_11target_archE1200ELNS1_3gpuE4ELNS1_3repE0EEENS1_30default_config_static_selectorELNS0_4arch9wavefront6targetE0EEEvS14_.num_agpr, 0
	.set _ZN7rocprim17ROCPRIM_400000_NS6detail17trampoline_kernelINS0_14default_configENS1_22reduce_config_selectorIN6thrust23THRUST_200600_302600_NS5tupleIblNS6_9null_typeES8_S8_S8_S8_S8_S8_S8_EEEEZNS1_11reduce_implILb1ES3_NS6_12zip_iteratorINS7_INS6_11hip_rocprim26transform_input_iterator_tIbNSD_35transform_pair_of_input_iterators_tIbNS6_6detail15normal_iteratorINS6_10device_ptrIKiEEEESL_NS6_8equal_toIiEEEENSG_9not_fun_tINSD_8identityEEEEENSD_19counting_iterator_tIlEES8_S8_S8_S8_S8_S8_S8_S8_EEEEPS9_S9_NSD_9__find_if7functorIS9_EEEE10hipError_tPvRmT1_T2_T3_mT4_P12ihipStream_tbEUlT_E1_NS1_11comp_targetILNS1_3genE10ELNS1_11target_archE1200ELNS1_3gpuE4ELNS1_3repE0EEENS1_30default_config_static_selectorELNS0_4arch9wavefront6targetE0EEEvS14_.numbered_sgpr, 0
	.set _ZN7rocprim17ROCPRIM_400000_NS6detail17trampoline_kernelINS0_14default_configENS1_22reduce_config_selectorIN6thrust23THRUST_200600_302600_NS5tupleIblNS6_9null_typeES8_S8_S8_S8_S8_S8_S8_EEEEZNS1_11reduce_implILb1ES3_NS6_12zip_iteratorINS7_INS6_11hip_rocprim26transform_input_iterator_tIbNSD_35transform_pair_of_input_iterators_tIbNS6_6detail15normal_iteratorINS6_10device_ptrIKiEEEESL_NS6_8equal_toIiEEEENSG_9not_fun_tINSD_8identityEEEEENSD_19counting_iterator_tIlEES8_S8_S8_S8_S8_S8_S8_S8_EEEEPS9_S9_NSD_9__find_if7functorIS9_EEEE10hipError_tPvRmT1_T2_T3_mT4_P12ihipStream_tbEUlT_E1_NS1_11comp_targetILNS1_3genE10ELNS1_11target_archE1200ELNS1_3gpuE4ELNS1_3repE0EEENS1_30default_config_static_selectorELNS0_4arch9wavefront6targetE0EEEvS14_.num_named_barrier, 0
	.set _ZN7rocprim17ROCPRIM_400000_NS6detail17trampoline_kernelINS0_14default_configENS1_22reduce_config_selectorIN6thrust23THRUST_200600_302600_NS5tupleIblNS6_9null_typeES8_S8_S8_S8_S8_S8_S8_EEEEZNS1_11reduce_implILb1ES3_NS6_12zip_iteratorINS7_INS6_11hip_rocprim26transform_input_iterator_tIbNSD_35transform_pair_of_input_iterators_tIbNS6_6detail15normal_iteratorINS6_10device_ptrIKiEEEESL_NS6_8equal_toIiEEEENSG_9not_fun_tINSD_8identityEEEEENSD_19counting_iterator_tIlEES8_S8_S8_S8_S8_S8_S8_S8_EEEEPS9_S9_NSD_9__find_if7functorIS9_EEEE10hipError_tPvRmT1_T2_T3_mT4_P12ihipStream_tbEUlT_E1_NS1_11comp_targetILNS1_3genE10ELNS1_11target_archE1200ELNS1_3gpuE4ELNS1_3repE0EEENS1_30default_config_static_selectorELNS0_4arch9wavefront6targetE0EEEvS14_.private_seg_size, 0
	.set _ZN7rocprim17ROCPRIM_400000_NS6detail17trampoline_kernelINS0_14default_configENS1_22reduce_config_selectorIN6thrust23THRUST_200600_302600_NS5tupleIblNS6_9null_typeES8_S8_S8_S8_S8_S8_S8_EEEEZNS1_11reduce_implILb1ES3_NS6_12zip_iteratorINS7_INS6_11hip_rocprim26transform_input_iterator_tIbNSD_35transform_pair_of_input_iterators_tIbNS6_6detail15normal_iteratorINS6_10device_ptrIKiEEEESL_NS6_8equal_toIiEEEENSG_9not_fun_tINSD_8identityEEEEENSD_19counting_iterator_tIlEES8_S8_S8_S8_S8_S8_S8_S8_EEEEPS9_S9_NSD_9__find_if7functorIS9_EEEE10hipError_tPvRmT1_T2_T3_mT4_P12ihipStream_tbEUlT_E1_NS1_11comp_targetILNS1_3genE10ELNS1_11target_archE1200ELNS1_3gpuE4ELNS1_3repE0EEENS1_30default_config_static_selectorELNS0_4arch9wavefront6targetE0EEEvS14_.uses_vcc, 0
	.set _ZN7rocprim17ROCPRIM_400000_NS6detail17trampoline_kernelINS0_14default_configENS1_22reduce_config_selectorIN6thrust23THRUST_200600_302600_NS5tupleIblNS6_9null_typeES8_S8_S8_S8_S8_S8_S8_EEEEZNS1_11reduce_implILb1ES3_NS6_12zip_iteratorINS7_INS6_11hip_rocprim26transform_input_iterator_tIbNSD_35transform_pair_of_input_iterators_tIbNS6_6detail15normal_iteratorINS6_10device_ptrIKiEEEESL_NS6_8equal_toIiEEEENSG_9not_fun_tINSD_8identityEEEEENSD_19counting_iterator_tIlEES8_S8_S8_S8_S8_S8_S8_S8_EEEEPS9_S9_NSD_9__find_if7functorIS9_EEEE10hipError_tPvRmT1_T2_T3_mT4_P12ihipStream_tbEUlT_E1_NS1_11comp_targetILNS1_3genE10ELNS1_11target_archE1200ELNS1_3gpuE4ELNS1_3repE0EEENS1_30default_config_static_selectorELNS0_4arch9wavefront6targetE0EEEvS14_.uses_flat_scratch, 0
	.set _ZN7rocprim17ROCPRIM_400000_NS6detail17trampoline_kernelINS0_14default_configENS1_22reduce_config_selectorIN6thrust23THRUST_200600_302600_NS5tupleIblNS6_9null_typeES8_S8_S8_S8_S8_S8_S8_EEEEZNS1_11reduce_implILb1ES3_NS6_12zip_iteratorINS7_INS6_11hip_rocprim26transform_input_iterator_tIbNSD_35transform_pair_of_input_iterators_tIbNS6_6detail15normal_iteratorINS6_10device_ptrIKiEEEESL_NS6_8equal_toIiEEEENSG_9not_fun_tINSD_8identityEEEEENSD_19counting_iterator_tIlEES8_S8_S8_S8_S8_S8_S8_S8_EEEEPS9_S9_NSD_9__find_if7functorIS9_EEEE10hipError_tPvRmT1_T2_T3_mT4_P12ihipStream_tbEUlT_E1_NS1_11comp_targetILNS1_3genE10ELNS1_11target_archE1200ELNS1_3gpuE4ELNS1_3repE0EEENS1_30default_config_static_selectorELNS0_4arch9wavefront6targetE0EEEvS14_.has_dyn_sized_stack, 0
	.set _ZN7rocprim17ROCPRIM_400000_NS6detail17trampoline_kernelINS0_14default_configENS1_22reduce_config_selectorIN6thrust23THRUST_200600_302600_NS5tupleIblNS6_9null_typeES8_S8_S8_S8_S8_S8_S8_EEEEZNS1_11reduce_implILb1ES3_NS6_12zip_iteratorINS7_INS6_11hip_rocprim26transform_input_iterator_tIbNSD_35transform_pair_of_input_iterators_tIbNS6_6detail15normal_iteratorINS6_10device_ptrIKiEEEESL_NS6_8equal_toIiEEEENSG_9not_fun_tINSD_8identityEEEEENSD_19counting_iterator_tIlEES8_S8_S8_S8_S8_S8_S8_S8_EEEEPS9_S9_NSD_9__find_if7functorIS9_EEEE10hipError_tPvRmT1_T2_T3_mT4_P12ihipStream_tbEUlT_E1_NS1_11comp_targetILNS1_3genE10ELNS1_11target_archE1200ELNS1_3gpuE4ELNS1_3repE0EEENS1_30default_config_static_selectorELNS0_4arch9wavefront6targetE0EEEvS14_.has_recursion, 0
	.set _ZN7rocprim17ROCPRIM_400000_NS6detail17trampoline_kernelINS0_14default_configENS1_22reduce_config_selectorIN6thrust23THRUST_200600_302600_NS5tupleIblNS6_9null_typeES8_S8_S8_S8_S8_S8_S8_EEEEZNS1_11reduce_implILb1ES3_NS6_12zip_iteratorINS7_INS6_11hip_rocprim26transform_input_iterator_tIbNSD_35transform_pair_of_input_iterators_tIbNS6_6detail15normal_iteratorINS6_10device_ptrIKiEEEESL_NS6_8equal_toIiEEEENSG_9not_fun_tINSD_8identityEEEEENSD_19counting_iterator_tIlEES8_S8_S8_S8_S8_S8_S8_S8_EEEEPS9_S9_NSD_9__find_if7functorIS9_EEEE10hipError_tPvRmT1_T2_T3_mT4_P12ihipStream_tbEUlT_E1_NS1_11comp_targetILNS1_3genE10ELNS1_11target_archE1200ELNS1_3gpuE4ELNS1_3repE0EEENS1_30default_config_static_selectorELNS0_4arch9wavefront6targetE0EEEvS14_.has_indirect_call, 0
	.section	.AMDGPU.csdata,"",@progbits
; Kernel info:
; codeLenInByte = 0
; TotalNumSgprs: 0
; NumVgprs: 0
; ScratchSize: 0
; MemoryBound: 0
; FloatMode: 240
; IeeeMode: 1
; LDSByteSize: 0 bytes/workgroup (compile time only)
; SGPRBlocks: 0
; VGPRBlocks: 0
; NumSGPRsForWavesPerEU: 1
; NumVGPRsForWavesPerEU: 1
; Occupancy: 16
; WaveLimiterHint : 0
; COMPUTE_PGM_RSRC2:SCRATCH_EN: 0
; COMPUTE_PGM_RSRC2:USER_SGPR: 6
; COMPUTE_PGM_RSRC2:TRAP_HANDLER: 0
; COMPUTE_PGM_RSRC2:TGID_X_EN: 1
; COMPUTE_PGM_RSRC2:TGID_Y_EN: 0
; COMPUTE_PGM_RSRC2:TGID_Z_EN: 0
; COMPUTE_PGM_RSRC2:TIDIG_COMP_CNT: 0
	.section	.text._ZN7rocprim17ROCPRIM_400000_NS6detail17trampoline_kernelINS0_14default_configENS1_22reduce_config_selectorIN6thrust23THRUST_200600_302600_NS5tupleIblNS6_9null_typeES8_S8_S8_S8_S8_S8_S8_EEEEZNS1_11reduce_implILb1ES3_NS6_12zip_iteratorINS7_INS6_11hip_rocprim26transform_input_iterator_tIbNSD_35transform_pair_of_input_iterators_tIbNS6_6detail15normal_iteratorINS6_10device_ptrIKiEEEESL_NS6_8equal_toIiEEEENSG_9not_fun_tINSD_8identityEEEEENSD_19counting_iterator_tIlEES8_S8_S8_S8_S8_S8_S8_S8_EEEEPS9_S9_NSD_9__find_if7functorIS9_EEEE10hipError_tPvRmT1_T2_T3_mT4_P12ihipStream_tbEUlT_E1_NS1_11comp_targetILNS1_3genE9ELNS1_11target_archE1100ELNS1_3gpuE3ELNS1_3repE0EEENS1_30default_config_static_selectorELNS0_4arch9wavefront6targetE0EEEvS14_,"axG",@progbits,_ZN7rocprim17ROCPRIM_400000_NS6detail17trampoline_kernelINS0_14default_configENS1_22reduce_config_selectorIN6thrust23THRUST_200600_302600_NS5tupleIblNS6_9null_typeES8_S8_S8_S8_S8_S8_S8_EEEEZNS1_11reduce_implILb1ES3_NS6_12zip_iteratorINS7_INS6_11hip_rocprim26transform_input_iterator_tIbNSD_35transform_pair_of_input_iterators_tIbNS6_6detail15normal_iteratorINS6_10device_ptrIKiEEEESL_NS6_8equal_toIiEEEENSG_9not_fun_tINSD_8identityEEEEENSD_19counting_iterator_tIlEES8_S8_S8_S8_S8_S8_S8_S8_EEEEPS9_S9_NSD_9__find_if7functorIS9_EEEE10hipError_tPvRmT1_T2_T3_mT4_P12ihipStream_tbEUlT_E1_NS1_11comp_targetILNS1_3genE9ELNS1_11target_archE1100ELNS1_3gpuE3ELNS1_3repE0EEENS1_30default_config_static_selectorELNS0_4arch9wavefront6targetE0EEEvS14_,comdat
	.protected	_ZN7rocprim17ROCPRIM_400000_NS6detail17trampoline_kernelINS0_14default_configENS1_22reduce_config_selectorIN6thrust23THRUST_200600_302600_NS5tupleIblNS6_9null_typeES8_S8_S8_S8_S8_S8_S8_EEEEZNS1_11reduce_implILb1ES3_NS6_12zip_iteratorINS7_INS6_11hip_rocprim26transform_input_iterator_tIbNSD_35transform_pair_of_input_iterators_tIbNS6_6detail15normal_iteratorINS6_10device_ptrIKiEEEESL_NS6_8equal_toIiEEEENSG_9not_fun_tINSD_8identityEEEEENSD_19counting_iterator_tIlEES8_S8_S8_S8_S8_S8_S8_S8_EEEEPS9_S9_NSD_9__find_if7functorIS9_EEEE10hipError_tPvRmT1_T2_T3_mT4_P12ihipStream_tbEUlT_E1_NS1_11comp_targetILNS1_3genE9ELNS1_11target_archE1100ELNS1_3gpuE3ELNS1_3repE0EEENS1_30default_config_static_selectorELNS0_4arch9wavefront6targetE0EEEvS14_ ; -- Begin function _ZN7rocprim17ROCPRIM_400000_NS6detail17trampoline_kernelINS0_14default_configENS1_22reduce_config_selectorIN6thrust23THRUST_200600_302600_NS5tupleIblNS6_9null_typeES8_S8_S8_S8_S8_S8_S8_EEEEZNS1_11reduce_implILb1ES3_NS6_12zip_iteratorINS7_INS6_11hip_rocprim26transform_input_iterator_tIbNSD_35transform_pair_of_input_iterators_tIbNS6_6detail15normal_iteratorINS6_10device_ptrIKiEEEESL_NS6_8equal_toIiEEEENSG_9not_fun_tINSD_8identityEEEEENSD_19counting_iterator_tIlEES8_S8_S8_S8_S8_S8_S8_S8_EEEEPS9_S9_NSD_9__find_if7functorIS9_EEEE10hipError_tPvRmT1_T2_T3_mT4_P12ihipStream_tbEUlT_E1_NS1_11comp_targetILNS1_3genE9ELNS1_11target_archE1100ELNS1_3gpuE3ELNS1_3repE0EEENS1_30default_config_static_selectorELNS0_4arch9wavefront6targetE0EEEvS14_
	.globl	_ZN7rocprim17ROCPRIM_400000_NS6detail17trampoline_kernelINS0_14default_configENS1_22reduce_config_selectorIN6thrust23THRUST_200600_302600_NS5tupleIblNS6_9null_typeES8_S8_S8_S8_S8_S8_S8_EEEEZNS1_11reduce_implILb1ES3_NS6_12zip_iteratorINS7_INS6_11hip_rocprim26transform_input_iterator_tIbNSD_35transform_pair_of_input_iterators_tIbNS6_6detail15normal_iteratorINS6_10device_ptrIKiEEEESL_NS6_8equal_toIiEEEENSG_9not_fun_tINSD_8identityEEEEENSD_19counting_iterator_tIlEES8_S8_S8_S8_S8_S8_S8_S8_EEEEPS9_S9_NSD_9__find_if7functorIS9_EEEE10hipError_tPvRmT1_T2_T3_mT4_P12ihipStream_tbEUlT_E1_NS1_11comp_targetILNS1_3genE9ELNS1_11target_archE1100ELNS1_3gpuE3ELNS1_3repE0EEENS1_30default_config_static_selectorELNS0_4arch9wavefront6targetE0EEEvS14_
	.p2align	8
	.type	_ZN7rocprim17ROCPRIM_400000_NS6detail17trampoline_kernelINS0_14default_configENS1_22reduce_config_selectorIN6thrust23THRUST_200600_302600_NS5tupleIblNS6_9null_typeES8_S8_S8_S8_S8_S8_S8_EEEEZNS1_11reduce_implILb1ES3_NS6_12zip_iteratorINS7_INS6_11hip_rocprim26transform_input_iterator_tIbNSD_35transform_pair_of_input_iterators_tIbNS6_6detail15normal_iteratorINS6_10device_ptrIKiEEEESL_NS6_8equal_toIiEEEENSG_9not_fun_tINSD_8identityEEEEENSD_19counting_iterator_tIlEES8_S8_S8_S8_S8_S8_S8_S8_EEEEPS9_S9_NSD_9__find_if7functorIS9_EEEE10hipError_tPvRmT1_T2_T3_mT4_P12ihipStream_tbEUlT_E1_NS1_11comp_targetILNS1_3genE9ELNS1_11target_archE1100ELNS1_3gpuE3ELNS1_3repE0EEENS1_30default_config_static_selectorELNS0_4arch9wavefront6targetE0EEEvS14_,@function
_ZN7rocprim17ROCPRIM_400000_NS6detail17trampoline_kernelINS0_14default_configENS1_22reduce_config_selectorIN6thrust23THRUST_200600_302600_NS5tupleIblNS6_9null_typeES8_S8_S8_S8_S8_S8_S8_EEEEZNS1_11reduce_implILb1ES3_NS6_12zip_iteratorINS7_INS6_11hip_rocprim26transform_input_iterator_tIbNSD_35transform_pair_of_input_iterators_tIbNS6_6detail15normal_iteratorINS6_10device_ptrIKiEEEESL_NS6_8equal_toIiEEEENSG_9not_fun_tINSD_8identityEEEEENSD_19counting_iterator_tIlEES8_S8_S8_S8_S8_S8_S8_S8_EEEEPS9_S9_NSD_9__find_if7functorIS9_EEEE10hipError_tPvRmT1_T2_T3_mT4_P12ihipStream_tbEUlT_E1_NS1_11comp_targetILNS1_3genE9ELNS1_11target_archE1100ELNS1_3gpuE3ELNS1_3repE0EEENS1_30default_config_static_selectorELNS0_4arch9wavefront6targetE0EEEvS14_: ; @_ZN7rocprim17ROCPRIM_400000_NS6detail17trampoline_kernelINS0_14default_configENS1_22reduce_config_selectorIN6thrust23THRUST_200600_302600_NS5tupleIblNS6_9null_typeES8_S8_S8_S8_S8_S8_S8_EEEEZNS1_11reduce_implILb1ES3_NS6_12zip_iteratorINS7_INS6_11hip_rocprim26transform_input_iterator_tIbNSD_35transform_pair_of_input_iterators_tIbNS6_6detail15normal_iteratorINS6_10device_ptrIKiEEEESL_NS6_8equal_toIiEEEENSG_9not_fun_tINSD_8identityEEEEENSD_19counting_iterator_tIlEES8_S8_S8_S8_S8_S8_S8_S8_EEEEPS9_S9_NSD_9__find_if7functorIS9_EEEE10hipError_tPvRmT1_T2_T3_mT4_P12ihipStream_tbEUlT_E1_NS1_11comp_targetILNS1_3genE9ELNS1_11target_archE1100ELNS1_3gpuE3ELNS1_3repE0EEENS1_30default_config_static_selectorELNS0_4arch9wavefront6targetE0EEEvS14_
; %bb.0:
	.section	.rodata,"a",@progbits
	.p2align	6, 0x0
	.amdhsa_kernel _ZN7rocprim17ROCPRIM_400000_NS6detail17trampoline_kernelINS0_14default_configENS1_22reduce_config_selectorIN6thrust23THRUST_200600_302600_NS5tupleIblNS6_9null_typeES8_S8_S8_S8_S8_S8_S8_EEEEZNS1_11reduce_implILb1ES3_NS6_12zip_iteratorINS7_INS6_11hip_rocprim26transform_input_iterator_tIbNSD_35transform_pair_of_input_iterators_tIbNS6_6detail15normal_iteratorINS6_10device_ptrIKiEEEESL_NS6_8equal_toIiEEEENSG_9not_fun_tINSD_8identityEEEEENSD_19counting_iterator_tIlEES8_S8_S8_S8_S8_S8_S8_S8_EEEEPS9_S9_NSD_9__find_if7functorIS9_EEEE10hipError_tPvRmT1_T2_T3_mT4_P12ihipStream_tbEUlT_E1_NS1_11comp_targetILNS1_3genE9ELNS1_11target_archE1100ELNS1_3gpuE3ELNS1_3repE0EEENS1_30default_config_static_selectorELNS0_4arch9wavefront6targetE0EEEvS14_
		.amdhsa_group_segment_fixed_size 0
		.amdhsa_private_segment_fixed_size 0
		.amdhsa_kernarg_size 88
		.amdhsa_user_sgpr_count 6
		.amdhsa_user_sgpr_private_segment_buffer 1
		.amdhsa_user_sgpr_dispatch_ptr 0
		.amdhsa_user_sgpr_queue_ptr 0
		.amdhsa_user_sgpr_kernarg_segment_ptr 1
		.amdhsa_user_sgpr_dispatch_id 0
		.amdhsa_user_sgpr_flat_scratch_init 0
		.amdhsa_user_sgpr_private_segment_size 0
		.amdhsa_wavefront_size32 1
		.amdhsa_uses_dynamic_stack 0
		.amdhsa_system_sgpr_private_segment_wavefront_offset 0
		.amdhsa_system_sgpr_workgroup_id_x 1
		.amdhsa_system_sgpr_workgroup_id_y 0
		.amdhsa_system_sgpr_workgroup_id_z 0
		.amdhsa_system_sgpr_workgroup_info 0
		.amdhsa_system_vgpr_workitem_id 0
		.amdhsa_next_free_vgpr 1
		.amdhsa_next_free_sgpr 1
		.amdhsa_reserve_vcc 0
		.amdhsa_reserve_flat_scratch 0
		.amdhsa_float_round_mode_32 0
		.amdhsa_float_round_mode_16_64 0
		.amdhsa_float_denorm_mode_32 3
		.amdhsa_float_denorm_mode_16_64 3
		.amdhsa_dx10_clamp 1
		.amdhsa_ieee_mode 1
		.amdhsa_fp16_overflow 0
		.amdhsa_workgroup_processor_mode 1
		.amdhsa_memory_ordered 1
		.amdhsa_forward_progress 1
		.amdhsa_shared_vgpr_count 0
		.amdhsa_exception_fp_ieee_invalid_op 0
		.amdhsa_exception_fp_denorm_src 0
		.amdhsa_exception_fp_ieee_div_zero 0
		.amdhsa_exception_fp_ieee_overflow 0
		.amdhsa_exception_fp_ieee_underflow 0
		.amdhsa_exception_fp_ieee_inexact 0
		.amdhsa_exception_int_div_zero 0
	.end_amdhsa_kernel
	.section	.text._ZN7rocprim17ROCPRIM_400000_NS6detail17trampoline_kernelINS0_14default_configENS1_22reduce_config_selectorIN6thrust23THRUST_200600_302600_NS5tupleIblNS6_9null_typeES8_S8_S8_S8_S8_S8_S8_EEEEZNS1_11reduce_implILb1ES3_NS6_12zip_iteratorINS7_INS6_11hip_rocprim26transform_input_iterator_tIbNSD_35transform_pair_of_input_iterators_tIbNS6_6detail15normal_iteratorINS6_10device_ptrIKiEEEESL_NS6_8equal_toIiEEEENSG_9not_fun_tINSD_8identityEEEEENSD_19counting_iterator_tIlEES8_S8_S8_S8_S8_S8_S8_S8_EEEEPS9_S9_NSD_9__find_if7functorIS9_EEEE10hipError_tPvRmT1_T2_T3_mT4_P12ihipStream_tbEUlT_E1_NS1_11comp_targetILNS1_3genE9ELNS1_11target_archE1100ELNS1_3gpuE3ELNS1_3repE0EEENS1_30default_config_static_selectorELNS0_4arch9wavefront6targetE0EEEvS14_,"axG",@progbits,_ZN7rocprim17ROCPRIM_400000_NS6detail17trampoline_kernelINS0_14default_configENS1_22reduce_config_selectorIN6thrust23THRUST_200600_302600_NS5tupleIblNS6_9null_typeES8_S8_S8_S8_S8_S8_S8_EEEEZNS1_11reduce_implILb1ES3_NS6_12zip_iteratorINS7_INS6_11hip_rocprim26transform_input_iterator_tIbNSD_35transform_pair_of_input_iterators_tIbNS6_6detail15normal_iteratorINS6_10device_ptrIKiEEEESL_NS6_8equal_toIiEEEENSG_9not_fun_tINSD_8identityEEEEENSD_19counting_iterator_tIlEES8_S8_S8_S8_S8_S8_S8_S8_EEEEPS9_S9_NSD_9__find_if7functorIS9_EEEE10hipError_tPvRmT1_T2_T3_mT4_P12ihipStream_tbEUlT_E1_NS1_11comp_targetILNS1_3genE9ELNS1_11target_archE1100ELNS1_3gpuE3ELNS1_3repE0EEENS1_30default_config_static_selectorELNS0_4arch9wavefront6targetE0EEEvS14_,comdat
.Lfunc_end484:
	.size	_ZN7rocprim17ROCPRIM_400000_NS6detail17trampoline_kernelINS0_14default_configENS1_22reduce_config_selectorIN6thrust23THRUST_200600_302600_NS5tupleIblNS6_9null_typeES8_S8_S8_S8_S8_S8_S8_EEEEZNS1_11reduce_implILb1ES3_NS6_12zip_iteratorINS7_INS6_11hip_rocprim26transform_input_iterator_tIbNSD_35transform_pair_of_input_iterators_tIbNS6_6detail15normal_iteratorINS6_10device_ptrIKiEEEESL_NS6_8equal_toIiEEEENSG_9not_fun_tINSD_8identityEEEEENSD_19counting_iterator_tIlEES8_S8_S8_S8_S8_S8_S8_S8_EEEEPS9_S9_NSD_9__find_if7functorIS9_EEEE10hipError_tPvRmT1_T2_T3_mT4_P12ihipStream_tbEUlT_E1_NS1_11comp_targetILNS1_3genE9ELNS1_11target_archE1100ELNS1_3gpuE3ELNS1_3repE0EEENS1_30default_config_static_selectorELNS0_4arch9wavefront6targetE0EEEvS14_, .Lfunc_end484-_ZN7rocprim17ROCPRIM_400000_NS6detail17trampoline_kernelINS0_14default_configENS1_22reduce_config_selectorIN6thrust23THRUST_200600_302600_NS5tupleIblNS6_9null_typeES8_S8_S8_S8_S8_S8_S8_EEEEZNS1_11reduce_implILb1ES3_NS6_12zip_iteratorINS7_INS6_11hip_rocprim26transform_input_iterator_tIbNSD_35transform_pair_of_input_iterators_tIbNS6_6detail15normal_iteratorINS6_10device_ptrIKiEEEESL_NS6_8equal_toIiEEEENSG_9not_fun_tINSD_8identityEEEEENSD_19counting_iterator_tIlEES8_S8_S8_S8_S8_S8_S8_S8_EEEEPS9_S9_NSD_9__find_if7functorIS9_EEEE10hipError_tPvRmT1_T2_T3_mT4_P12ihipStream_tbEUlT_E1_NS1_11comp_targetILNS1_3genE9ELNS1_11target_archE1100ELNS1_3gpuE3ELNS1_3repE0EEENS1_30default_config_static_selectorELNS0_4arch9wavefront6targetE0EEEvS14_
                                        ; -- End function
	.set _ZN7rocprim17ROCPRIM_400000_NS6detail17trampoline_kernelINS0_14default_configENS1_22reduce_config_selectorIN6thrust23THRUST_200600_302600_NS5tupleIblNS6_9null_typeES8_S8_S8_S8_S8_S8_S8_EEEEZNS1_11reduce_implILb1ES3_NS6_12zip_iteratorINS7_INS6_11hip_rocprim26transform_input_iterator_tIbNSD_35transform_pair_of_input_iterators_tIbNS6_6detail15normal_iteratorINS6_10device_ptrIKiEEEESL_NS6_8equal_toIiEEEENSG_9not_fun_tINSD_8identityEEEEENSD_19counting_iterator_tIlEES8_S8_S8_S8_S8_S8_S8_S8_EEEEPS9_S9_NSD_9__find_if7functorIS9_EEEE10hipError_tPvRmT1_T2_T3_mT4_P12ihipStream_tbEUlT_E1_NS1_11comp_targetILNS1_3genE9ELNS1_11target_archE1100ELNS1_3gpuE3ELNS1_3repE0EEENS1_30default_config_static_selectorELNS0_4arch9wavefront6targetE0EEEvS14_.num_vgpr, 0
	.set _ZN7rocprim17ROCPRIM_400000_NS6detail17trampoline_kernelINS0_14default_configENS1_22reduce_config_selectorIN6thrust23THRUST_200600_302600_NS5tupleIblNS6_9null_typeES8_S8_S8_S8_S8_S8_S8_EEEEZNS1_11reduce_implILb1ES3_NS6_12zip_iteratorINS7_INS6_11hip_rocprim26transform_input_iterator_tIbNSD_35transform_pair_of_input_iterators_tIbNS6_6detail15normal_iteratorINS6_10device_ptrIKiEEEESL_NS6_8equal_toIiEEEENSG_9not_fun_tINSD_8identityEEEEENSD_19counting_iterator_tIlEES8_S8_S8_S8_S8_S8_S8_S8_EEEEPS9_S9_NSD_9__find_if7functorIS9_EEEE10hipError_tPvRmT1_T2_T3_mT4_P12ihipStream_tbEUlT_E1_NS1_11comp_targetILNS1_3genE9ELNS1_11target_archE1100ELNS1_3gpuE3ELNS1_3repE0EEENS1_30default_config_static_selectorELNS0_4arch9wavefront6targetE0EEEvS14_.num_agpr, 0
	.set _ZN7rocprim17ROCPRIM_400000_NS6detail17trampoline_kernelINS0_14default_configENS1_22reduce_config_selectorIN6thrust23THRUST_200600_302600_NS5tupleIblNS6_9null_typeES8_S8_S8_S8_S8_S8_S8_EEEEZNS1_11reduce_implILb1ES3_NS6_12zip_iteratorINS7_INS6_11hip_rocprim26transform_input_iterator_tIbNSD_35transform_pair_of_input_iterators_tIbNS6_6detail15normal_iteratorINS6_10device_ptrIKiEEEESL_NS6_8equal_toIiEEEENSG_9not_fun_tINSD_8identityEEEEENSD_19counting_iterator_tIlEES8_S8_S8_S8_S8_S8_S8_S8_EEEEPS9_S9_NSD_9__find_if7functorIS9_EEEE10hipError_tPvRmT1_T2_T3_mT4_P12ihipStream_tbEUlT_E1_NS1_11comp_targetILNS1_3genE9ELNS1_11target_archE1100ELNS1_3gpuE3ELNS1_3repE0EEENS1_30default_config_static_selectorELNS0_4arch9wavefront6targetE0EEEvS14_.numbered_sgpr, 0
	.set _ZN7rocprim17ROCPRIM_400000_NS6detail17trampoline_kernelINS0_14default_configENS1_22reduce_config_selectorIN6thrust23THRUST_200600_302600_NS5tupleIblNS6_9null_typeES8_S8_S8_S8_S8_S8_S8_EEEEZNS1_11reduce_implILb1ES3_NS6_12zip_iteratorINS7_INS6_11hip_rocprim26transform_input_iterator_tIbNSD_35transform_pair_of_input_iterators_tIbNS6_6detail15normal_iteratorINS6_10device_ptrIKiEEEESL_NS6_8equal_toIiEEEENSG_9not_fun_tINSD_8identityEEEEENSD_19counting_iterator_tIlEES8_S8_S8_S8_S8_S8_S8_S8_EEEEPS9_S9_NSD_9__find_if7functorIS9_EEEE10hipError_tPvRmT1_T2_T3_mT4_P12ihipStream_tbEUlT_E1_NS1_11comp_targetILNS1_3genE9ELNS1_11target_archE1100ELNS1_3gpuE3ELNS1_3repE0EEENS1_30default_config_static_selectorELNS0_4arch9wavefront6targetE0EEEvS14_.num_named_barrier, 0
	.set _ZN7rocprim17ROCPRIM_400000_NS6detail17trampoline_kernelINS0_14default_configENS1_22reduce_config_selectorIN6thrust23THRUST_200600_302600_NS5tupleIblNS6_9null_typeES8_S8_S8_S8_S8_S8_S8_EEEEZNS1_11reduce_implILb1ES3_NS6_12zip_iteratorINS7_INS6_11hip_rocprim26transform_input_iterator_tIbNSD_35transform_pair_of_input_iterators_tIbNS6_6detail15normal_iteratorINS6_10device_ptrIKiEEEESL_NS6_8equal_toIiEEEENSG_9not_fun_tINSD_8identityEEEEENSD_19counting_iterator_tIlEES8_S8_S8_S8_S8_S8_S8_S8_EEEEPS9_S9_NSD_9__find_if7functorIS9_EEEE10hipError_tPvRmT1_T2_T3_mT4_P12ihipStream_tbEUlT_E1_NS1_11comp_targetILNS1_3genE9ELNS1_11target_archE1100ELNS1_3gpuE3ELNS1_3repE0EEENS1_30default_config_static_selectorELNS0_4arch9wavefront6targetE0EEEvS14_.private_seg_size, 0
	.set _ZN7rocprim17ROCPRIM_400000_NS6detail17trampoline_kernelINS0_14default_configENS1_22reduce_config_selectorIN6thrust23THRUST_200600_302600_NS5tupleIblNS6_9null_typeES8_S8_S8_S8_S8_S8_S8_EEEEZNS1_11reduce_implILb1ES3_NS6_12zip_iteratorINS7_INS6_11hip_rocprim26transform_input_iterator_tIbNSD_35transform_pair_of_input_iterators_tIbNS6_6detail15normal_iteratorINS6_10device_ptrIKiEEEESL_NS6_8equal_toIiEEEENSG_9not_fun_tINSD_8identityEEEEENSD_19counting_iterator_tIlEES8_S8_S8_S8_S8_S8_S8_S8_EEEEPS9_S9_NSD_9__find_if7functorIS9_EEEE10hipError_tPvRmT1_T2_T3_mT4_P12ihipStream_tbEUlT_E1_NS1_11comp_targetILNS1_3genE9ELNS1_11target_archE1100ELNS1_3gpuE3ELNS1_3repE0EEENS1_30default_config_static_selectorELNS0_4arch9wavefront6targetE0EEEvS14_.uses_vcc, 0
	.set _ZN7rocprim17ROCPRIM_400000_NS6detail17trampoline_kernelINS0_14default_configENS1_22reduce_config_selectorIN6thrust23THRUST_200600_302600_NS5tupleIblNS6_9null_typeES8_S8_S8_S8_S8_S8_S8_EEEEZNS1_11reduce_implILb1ES3_NS6_12zip_iteratorINS7_INS6_11hip_rocprim26transform_input_iterator_tIbNSD_35transform_pair_of_input_iterators_tIbNS6_6detail15normal_iteratorINS6_10device_ptrIKiEEEESL_NS6_8equal_toIiEEEENSG_9not_fun_tINSD_8identityEEEEENSD_19counting_iterator_tIlEES8_S8_S8_S8_S8_S8_S8_S8_EEEEPS9_S9_NSD_9__find_if7functorIS9_EEEE10hipError_tPvRmT1_T2_T3_mT4_P12ihipStream_tbEUlT_E1_NS1_11comp_targetILNS1_3genE9ELNS1_11target_archE1100ELNS1_3gpuE3ELNS1_3repE0EEENS1_30default_config_static_selectorELNS0_4arch9wavefront6targetE0EEEvS14_.uses_flat_scratch, 0
	.set _ZN7rocprim17ROCPRIM_400000_NS6detail17trampoline_kernelINS0_14default_configENS1_22reduce_config_selectorIN6thrust23THRUST_200600_302600_NS5tupleIblNS6_9null_typeES8_S8_S8_S8_S8_S8_S8_EEEEZNS1_11reduce_implILb1ES3_NS6_12zip_iteratorINS7_INS6_11hip_rocprim26transform_input_iterator_tIbNSD_35transform_pair_of_input_iterators_tIbNS6_6detail15normal_iteratorINS6_10device_ptrIKiEEEESL_NS6_8equal_toIiEEEENSG_9not_fun_tINSD_8identityEEEEENSD_19counting_iterator_tIlEES8_S8_S8_S8_S8_S8_S8_S8_EEEEPS9_S9_NSD_9__find_if7functorIS9_EEEE10hipError_tPvRmT1_T2_T3_mT4_P12ihipStream_tbEUlT_E1_NS1_11comp_targetILNS1_3genE9ELNS1_11target_archE1100ELNS1_3gpuE3ELNS1_3repE0EEENS1_30default_config_static_selectorELNS0_4arch9wavefront6targetE0EEEvS14_.has_dyn_sized_stack, 0
	.set _ZN7rocprim17ROCPRIM_400000_NS6detail17trampoline_kernelINS0_14default_configENS1_22reduce_config_selectorIN6thrust23THRUST_200600_302600_NS5tupleIblNS6_9null_typeES8_S8_S8_S8_S8_S8_S8_EEEEZNS1_11reduce_implILb1ES3_NS6_12zip_iteratorINS7_INS6_11hip_rocprim26transform_input_iterator_tIbNSD_35transform_pair_of_input_iterators_tIbNS6_6detail15normal_iteratorINS6_10device_ptrIKiEEEESL_NS6_8equal_toIiEEEENSG_9not_fun_tINSD_8identityEEEEENSD_19counting_iterator_tIlEES8_S8_S8_S8_S8_S8_S8_S8_EEEEPS9_S9_NSD_9__find_if7functorIS9_EEEE10hipError_tPvRmT1_T2_T3_mT4_P12ihipStream_tbEUlT_E1_NS1_11comp_targetILNS1_3genE9ELNS1_11target_archE1100ELNS1_3gpuE3ELNS1_3repE0EEENS1_30default_config_static_selectorELNS0_4arch9wavefront6targetE0EEEvS14_.has_recursion, 0
	.set _ZN7rocprim17ROCPRIM_400000_NS6detail17trampoline_kernelINS0_14default_configENS1_22reduce_config_selectorIN6thrust23THRUST_200600_302600_NS5tupleIblNS6_9null_typeES8_S8_S8_S8_S8_S8_S8_EEEEZNS1_11reduce_implILb1ES3_NS6_12zip_iteratorINS7_INS6_11hip_rocprim26transform_input_iterator_tIbNSD_35transform_pair_of_input_iterators_tIbNS6_6detail15normal_iteratorINS6_10device_ptrIKiEEEESL_NS6_8equal_toIiEEEENSG_9not_fun_tINSD_8identityEEEEENSD_19counting_iterator_tIlEES8_S8_S8_S8_S8_S8_S8_S8_EEEEPS9_S9_NSD_9__find_if7functorIS9_EEEE10hipError_tPvRmT1_T2_T3_mT4_P12ihipStream_tbEUlT_E1_NS1_11comp_targetILNS1_3genE9ELNS1_11target_archE1100ELNS1_3gpuE3ELNS1_3repE0EEENS1_30default_config_static_selectorELNS0_4arch9wavefront6targetE0EEEvS14_.has_indirect_call, 0
	.section	.AMDGPU.csdata,"",@progbits
; Kernel info:
; codeLenInByte = 0
; TotalNumSgprs: 0
; NumVgprs: 0
; ScratchSize: 0
; MemoryBound: 0
; FloatMode: 240
; IeeeMode: 1
; LDSByteSize: 0 bytes/workgroup (compile time only)
; SGPRBlocks: 0
; VGPRBlocks: 0
; NumSGPRsForWavesPerEU: 1
; NumVGPRsForWavesPerEU: 1
; Occupancy: 16
; WaveLimiterHint : 0
; COMPUTE_PGM_RSRC2:SCRATCH_EN: 0
; COMPUTE_PGM_RSRC2:USER_SGPR: 6
; COMPUTE_PGM_RSRC2:TRAP_HANDLER: 0
; COMPUTE_PGM_RSRC2:TGID_X_EN: 1
; COMPUTE_PGM_RSRC2:TGID_Y_EN: 0
; COMPUTE_PGM_RSRC2:TGID_Z_EN: 0
; COMPUTE_PGM_RSRC2:TIDIG_COMP_CNT: 0
	.section	.text._ZN7rocprim17ROCPRIM_400000_NS6detail17trampoline_kernelINS0_14default_configENS1_22reduce_config_selectorIN6thrust23THRUST_200600_302600_NS5tupleIblNS6_9null_typeES8_S8_S8_S8_S8_S8_S8_EEEEZNS1_11reduce_implILb1ES3_NS6_12zip_iteratorINS7_INS6_11hip_rocprim26transform_input_iterator_tIbNSD_35transform_pair_of_input_iterators_tIbNS6_6detail15normal_iteratorINS6_10device_ptrIKiEEEESL_NS6_8equal_toIiEEEENSG_9not_fun_tINSD_8identityEEEEENSD_19counting_iterator_tIlEES8_S8_S8_S8_S8_S8_S8_S8_EEEEPS9_S9_NSD_9__find_if7functorIS9_EEEE10hipError_tPvRmT1_T2_T3_mT4_P12ihipStream_tbEUlT_E1_NS1_11comp_targetILNS1_3genE8ELNS1_11target_archE1030ELNS1_3gpuE2ELNS1_3repE0EEENS1_30default_config_static_selectorELNS0_4arch9wavefront6targetE0EEEvS14_,"axG",@progbits,_ZN7rocprim17ROCPRIM_400000_NS6detail17trampoline_kernelINS0_14default_configENS1_22reduce_config_selectorIN6thrust23THRUST_200600_302600_NS5tupleIblNS6_9null_typeES8_S8_S8_S8_S8_S8_S8_EEEEZNS1_11reduce_implILb1ES3_NS6_12zip_iteratorINS7_INS6_11hip_rocprim26transform_input_iterator_tIbNSD_35transform_pair_of_input_iterators_tIbNS6_6detail15normal_iteratorINS6_10device_ptrIKiEEEESL_NS6_8equal_toIiEEEENSG_9not_fun_tINSD_8identityEEEEENSD_19counting_iterator_tIlEES8_S8_S8_S8_S8_S8_S8_S8_EEEEPS9_S9_NSD_9__find_if7functorIS9_EEEE10hipError_tPvRmT1_T2_T3_mT4_P12ihipStream_tbEUlT_E1_NS1_11comp_targetILNS1_3genE8ELNS1_11target_archE1030ELNS1_3gpuE2ELNS1_3repE0EEENS1_30default_config_static_selectorELNS0_4arch9wavefront6targetE0EEEvS14_,comdat
	.protected	_ZN7rocprim17ROCPRIM_400000_NS6detail17trampoline_kernelINS0_14default_configENS1_22reduce_config_selectorIN6thrust23THRUST_200600_302600_NS5tupleIblNS6_9null_typeES8_S8_S8_S8_S8_S8_S8_EEEEZNS1_11reduce_implILb1ES3_NS6_12zip_iteratorINS7_INS6_11hip_rocprim26transform_input_iterator_tIbNSD_35transform_pair_of_input_iterators_tIbNS6_6detail15normal_iteratorINS6_10device_ptrIKiEEEESL_NS6_8equal_toIiEEEENSG_9not_fun_tINSD_8identityEEEEENSD_19counting_iterator_tIlEES8_S8_S8_S8_S8_S8_S8_S8_EEEEPS9_S9_NSD_9__find_if7functorIS9_EEEE10hipError_tPvRmT1_T2_T3_mT4_P12ihipStream_tbEUlT_E1_NS1_11comp_targetILNS1_3genE8ELNS1_11target_archE1030ELNS1_3gpuE2ELNS1_3repE0EEENS1_30default_config_static_selectorELNS0_4arch9wavefront6targetE0EEEvS14_ ; -- Begin function _ZN7rocprim17ROCPRIM_400000_NS6detail17trampoline_kernelINS0_14default_configENS1_22reduce_config_selectorIN6thrust23THRUST_200600_302600_NS5tupleIblNS6_9null_typeES8_S8_S8_S8_S8_S8_S8_EEEEZNS1_11reduce_implILb1ES3_NS6_12zip_iteratorINS7_INS6_11hip_rocprim26transform_input_iterator_tIbNSD_35transform_pair_of_input_iterators_tIbNS6_6detail15normal_iteratorINS6_10device_ptrIKiEEEESL_NS6_8equal_toIiEEEENSG_9not_fun_tINSD_8identityEEEEENSD_19counting_iterator_tIlEES8_S8_S8_S8_S8_S8_S8_S8_EEEEPS9_S9_NSD_9__find_if7functorIS9_EEEE10hipError_tPvRmT1_T2_T3_mT4_P12ihipStream_tbEUlT_E1_NS1_11comp_targetILNS1_3genE8ELNS1_11target_archE1030ELNS1_3gpuE2ELNS1_3repE0EEENS1_30default_config_static_selectorELNS0_4arch9wavefront6targetE0EEEvS14_
	.globl	_ZN7rocprim17ROCPRIM_400000_NS6detail17trampoline_kernelINS0_14default_configENS1_22reduce_config_selectorIN6thrust23THRUST_200600_302600_NS5tupleIblNS6_9null_typeES8_S8_S8_S8_S8_S8_S8_EEEEZNS1_11reduce_implILb1ES3_NS6_12zip_iteratorINS7_INS6_11hip_rocprim26transform_input_iterator_tIbNSD_35transform_pair_of_input_iterators_tIbNS6_6detail15normal_iteratorINS6_10device_ptrIKiEEEESL_NS6_8equal_toIiEEEENSG_9not_fun_tINSD_8identityEEEEENSD_19counting_iterator_tIlEES8_S8_S8_S8_S8_S8_S8_S8_EEEEPS9_S9_NSD_9__find_if7functorIS9_EEEE10hipError_tPvRmT1_T2_T3_mT4_P12ihipStream_tbEUlT_E1_NS1_11comp_targetILNS1_3genE8ELNS1_11target_archE1030ELNS1_3gpuE2ELNS1_3repE0EEENS1_30default_config_static_selectorELNS0_4arch9wavefront6targetE0EEEvS14_
	.p2align	8
	.type	_ZN7rocprim17ROCPRIM_400000_NS6detail17trampoline_kernelINS0_14default_configENS1_22reduce_config_selectorIN6thrust23THRUST_200600_302600_NS5tupleIblNS6_9null_typeES8_S8_S8_S8_S8_S8_S8_EEEEZNS1_11reduce_implILb1ES3_NS6_12zip_iteratorINS7_INS6_11hip_rocprim26transform_input_iterator_tIbNSD_35transform_pair_of_input_iterators_tIbNS6_6detail15normal_iteratorINS6_10device_ptrIKiEEEESL_NS6_8equal_toIiEEEENSG_9not_fun_tINSD_8identityEEEEENSD_19counting_iterator_tIlEES8_S8_S8_S8_S8_S8_S8_S8_EEEEPS9_S9_NSD_9__find_if7functorIS9_EEEE10hipError_tPvRmT1_T2_T3_mT4_P12ihipStream_tbEUlT_E1_NS1_11comp_targetILNS1_3genE8ELNS1_11target_archE1030ELNS1_3gpuE2ELNS1_3repE0EEENS1_30default_config_static_selectorELNS0_4arch9wavefront6targetE0EEEvS14_,@function
_ZN7rocprim17ROCPRIM_400000_NS6detail17trampoline_kernelINS0_14default_configENS1_22reduce_config_selectorIN6thrust23THRUST_200600_302600_NS5tupleIblNS6_9null_typeES8_S8_S8_S8_S8_S8_S8_EEEEZNS1_11reduce_implILb1ES3_NS6_12zip_iteratorINS7_INS6_11hip_rocprim26transform_input_iterator_tIbNSD_35transform_pair_of_input_iterators_tIbNS6_6detail15normal_iteratorINS6_10device_ptrIKiEEEESL_NS6_8equal_toIiEEEENSG_9not_fun_tINSD_8identityEEEEENSD_19counting_iterator_tIlEES8_S8_S8_S8_S8_S8_S8_S8_EEEEPS9_S9_NSD_9__find_if7functorIS9_EEEE10hipError_tPvRmT1_T2_T3_mT4_P12ihipStream_tbEUlT_E1_NS1_11comp_targetILNS1_3genE8ELNS1_11target_archE1030ELNS1_3gpuE2ELNS1_3repE0EEENS1_30default_config_static_selectorELNS0_4arch9wavefront6targetE0EEEvS14_: ; @_ZN7rocprim17ROCPRIM_400000_NS6detail17trampoline_kernelINS0_14default_configENS1_22reduce_config_selectorIN6thrust23THRUST_200600_302600_NS5tupleIblNS6_9null_typeES8_S8_S8_S8_S8_S8_S8_EEEEZNS1_11reduce_implILb1ES3_NS6_12zip_iteratorINS7_INS6_11hip_rocprim26transform_input_iterator_tIbNSD_35transform_pair_of_input_iterators_tIbNS6_6detail15normal_iteratorINS6_10device_ptrIKiEEEESL_NS6_8equal_toIiEEEENSG_9not_fun_tINSD_8identityEEEEENSD_19counting_iterator_tIlEES8_S8_S8_S8_S8_S8_S8_S8_EEEEPS9_S9_NSD_9__find_if7functorIS9_EEEE10hipError_tPvRmT1_T2_T3_mT4_P12ihipStream_tbEUlT_E1_NS1_11comp_targetILNS1_3genE8ELNS1_11target_archE1030ELNS1_3gpuE2ELNS1_3repE0EEENS1_30default_config_static_selectorELNS0_4arch9wavefront6targetE0EEEvS14_
; %bb.0:
	s_clause 0x4
	s_load_dword s25, s[4:5], 0x4
	s_load_dwordx4 s[16:19], s[4:5], 0x8
	s_load_dwordx4 s[12:15], s[4:5], 0x28
	s_load_dword s24, s[4:5], 0x40
	s_load_dwordx2 s[20:21], s[4:5], 0x48
	s_waitcnt lgkmcnt(0)
	s_cmp_lt_i32 s25, 4
	s_cbranch_scc1 .LBB485_21
; %bb.1:
	s_cmp_gt_i32 s25, 7
	s_cbranch_scc0 .LBB485_22
; %bb.2:
	s_cmp_eq_u32 s25, 8
	s_mov_b32 s26, 0
	s_cbranch_scc0 .LBB485_23
; %bb.3:
	s_mov_b32 s7, 0
	s_lshl_b32 s8, s6, 11
	s_mov_b32 s9, s7
	s_lshr_b64 s[2:3], s[14:15], 11
	s_lshl_b64 s[0:1], s[8:9], 2
	s_add_u32 s10, s16, s0
	s_addc_u32 s11, s17, s1
	s_add_u32 s22, s18, s0
	s_addc_u32 s23, s19, s1
	;; [unrolled: 2-line block ×3, first 2 shown]
	s_cmp_lg_u64 s[2:3], s[6:7]
	s_cbranch_scc0 .LBB485_44
; %bb.4:
	v_lshlrev_b32_e32 v1, 2, v0
	s_clause 0x3
	global_load_dword v13, v1, s[10:11]
	global_load_dword v14, v1, s[22:23]
	global_load_dword v15, v1, s[22:23] offset:1024
	global_load_dword v16, v1, s[10:11] offset:1024
	v_add_co_u32 v9, s0, s10, v1
	v_add_co_ci_u32_e64 v10, null, s11, 0, s0
	v_add_co_u32 v11, s0, s22, v1
	v_add_co_u32 v1, vcc_lo, 0x800, v9
	v_add_co_ci_u32_e64 v12, null, s23, 0, s0
	v_add_co_ci_u32_e64 v2, null, 0, v10, vcc_lo
	v_add_co_u32 v3, vcc_lo, v9, 0x1000
	v_add_co_ci_u32_e64 v4, null, 0, v10, vcc_lo
	v_add_co_u32 v5, vcc_lo, 0x800, v11
	;; [unrolled: 2-line block ×3, first 2 shown]
	global_load_dword v17, v[1:2], off offset:1024
	global_load_dword v18, v[5:6], off offset:1024
	v_add_co_ci_u32_e64 v8, null, 0, v12, vcc_lo
	v_add_co_u32 v1, vcc_lo, 0x1000, v9
	v_add_co_ci_u32_e64 v2, null, 0, v10, vcc_lo
	v_add_co_u32 v5, vcc_lo, 0x1000, v11
	v_add_co_ci_u32_e64 v6, null, 0, v12, vcc_lo
	s_clause 0x1
	global_load_dword v19, v[3:4], off offset:-2048
	global_load_dword v20, v[3:4], off
	s_clause 0x1
	global_load_dword v21, v[7:8], off offset:-2048
	global_load_dword v7, v[7:8], off
	global_load_dword v8, v[1:2], off offset:1024
	global_load_dword v5, v[5:6], off offset:1024
	v_add_co_u32 v1, vcc_lo, 0x1800, v11
	v_add_co_ci_u32_e64 v2, null, 0, v12, vcc_lo
	v_add_co_u32 v3, vcc_lo, 0x1800, v9
	v_add_co_ci_u32_e64 v4, null, 0, v10, vcc_lo
	global_load_dword v6, v[1:2], off
	s_clause 0x1
	global_load_dword v9, v[3:4], off
	global_load_dword v3, v[3:4], off offset:1024
	global_load_dword v1, v[1:2], off offset:1024
	v_mov_b32_e32 v2, 0x100
	v_mov_b32_e32 v4, 0x300
	;; [unrolled: 1-line block ×3, first 2 shown]
	s_waitcnt vmcnt(14)
	v_cmp_ne_u32_e64 s0, v13, v14
	s_waitcnt vmcnt(12)
	v_cmp_ne_u32_e32 vcc_lo, v16, v15
	v_cndmask_b32_e32 v2, 0x200, v2, vcc_lo
	s_or_b32 s3, s0, vcc_lo
	v_cndmask_b32_e64 v2, v2, 0, s0
	s_waitcnt vmcnt(10)
	v_cmp_ne_u32_e64 s0, v17, v18
	v_cndmask_b32_e64 v4, 0x400, v4, s0
	s_waitcnt vmcnt(7)
	v_cmp_ne_u32_e32 vcc_lo, v19, v21
	s_waitcnt vmcnt(6)
	v_cmp_ne_u32_e64 s1, v20, v7
	s_waitcnt vmcnt(4)
	v_cmp_ne_u32_e64 s2, v8, v5
	s_or_b32 vcc_lo, s3, vcc_lo
	v_cndmask_b32_e32 v2, v4, v2, vcc_lo
	v_cndmask_b32_e64 v5, 0x600, v10, s2
	s_or_b32 s0, vcc_lo, s0
	s_or_b32 s0, s0, s1
	s_waitcnt vmcnt(2)
	v_cmp_ne_u32_e32 vcc_lo, v9, v6
	v_cndmask_b32_e64 v2, v5, v2, s0
	s_or_b32 s0, s0, s2
	s_or_b32 vcc_lo, s0, vcc_lo
	v_add_co_u32 v4, s0, s28, v0
	v_cndmask_b32_e32 v2, 0x700, v2, vcc_lo
	v_add_co_ci_u32_e64 v5, null, s29, 0, s0
	s_waitcnt vmcnt(0)
	v_cmp_ne_u32_e64 s0, v3, v1
	v_add_co_u32 v1, s1, v4, v2
	v_add_co_ci_u32_e64 v2, null, 0, v5, s1
	s_or_b32 s0, vcc_lo, s0
	v_mov_b32_dpp v3, v1 quad_perm:[1,0,3,2] row_mask:0xf bank_mask:0xf
	v_cndmask_b32_e64 v5, 0, 1, s0
	v_mov_b32_dpp v4, v2 quad_perm:[1,0,3,2] row_mask:0xf bank_mask:0xf
	v_mov_b32_dpp v6, v5 quad_perm:[1,0,3,2] row_mask:0xf bank_mask:0xf
	v_cmp_lt_i64_e32 vcc_lo, v[1:2], v[3:4]
	v_and_b32_e32 v6, 1, v6
	s_and_b32 vcc_lo, s0, vcc_lo
	v_cndmask_b32_e32 v3, v3, v1, vcc_lo
	v_cndmask_b32_e32 v4, v4, v2, vcc_lo
	v_cmp_eq_u32_e32 vcc_lo, 1, v6
	v_cndmask_b32_e32 v2, v2, v4, vcc_lo
	v_cndmask_b32_e32 v1, v1, v3, vcc_lo
	v_cndmask_b32_e64 v5, v5, 1, vcc_lo
	v_mov_b32_dpp v4, v2 quad_perm:[2,3,0,1] row_mask:0xf bank_mask:0xf
	v_mov_b32_dpp v3, v1 quad_perm:[2,3,0,1] row_mask:0xf bank_mask:0xf
	v_and_b32_e32 v7, 1, v5
	v_mov_b32_dpp v6, v5 quad_perm:[2,3,0,1] row_mask:0xf bank_mask:0xf
	v_cmp_lt_i64_e32 vcc_lo, v[1:2], v[3:4]
	v_cmp_eq_u32_e64 s0, 1, v7
	v_and_b32_e32 v6, 1, v6
	s_and_b32 vcc_lo, s0, vcc_lo
	v_cmp_eq_u32_e64 s1, 1, v6
	v_cndmask_b32_e32 v3, v3, v1, vcc_lo
	v_cndmask_b32_e32 v4, v4, v2, vcc_lo
	v_cndmask_b32_e64 v5, v5, 1, s1
	v_cndmask_b32_e64 v1, v1, v3, s1
	;; [unrolled: 1-line block ×3, first 2 shown]
	v_and_b32_e32 v7, 1, v5
	v_mov_b32_dpp v3, v1 row_ror:4 row_mask:0xf bank_mask:0xf
	v_mov_b32_dpp v4, v2 row_ror:4 row_mask:0xf bank_mask:0xf
	;; [unrolled: 1-line block ×3, first 2 shown]
	v_cmp_eq_u32_e64 s0, 1, v7
	v_cmp_lt_i64_e32 vcc_lo, v[1:2], v[3:4]
	v_and_b32_e32 v6, 1, v6
	s_and_b32 vcc_lo, s0, vcc_lo
	v_cmp_eq_u32_e64 s1, 1, v6
	v_cndmask_b32_e32 v3, v3, v1, vcc_lo
	v_cndmask_b32_e32 v4, v4, v2, vcc_lo
	v_cndmask_b32_e64 v5, v5, 1, s1
	v_cndmask_b32_e64 v1, v1, v3, s1
	;; [unrolled: 1-line block ×3, first 2 shown]
	v_and_b32_e32 v7, 1, v5
	v_mov_b32_dpp v3, v1 row_ror:8 row_mask:0xf bank_mask:0xf
	v_mov_b32_dpp v4, v2 row_ror:8 row_mask:0xf bank_mask:0xf
	;; [unrolled: 1-line block ×3, first 2 shown]
	v_cmp_eq_u32_e64 s0, 1, v7
	v_cmp_lt_i64_e32 vcc_lo, v[1:2], v[3:4]
	v_and_b32_e32 v6, 1, v6
	s_and_b32 vcc_lo, s0, vcc_lo
	v_cmp_eq_u32_e64 s1, 1, v6
	v_cndmask_b32_e32 v3, v3, v1, vcc_lo
	v_cndmask_b32_e32 v4, v4, v2, vcc_lo
	v_cndmask_b32_e64 v5, v5, 1, s1
	v_cndmask_b32_e64 v1, v1, v3, s1
	;; [unrolled: 1-line block ×3, first 2 shown]
	ds_swizzle_b32 v6, v5 offset:swizzle(BROADCAST,32,15)
	ds_swizzle_b32 v3, v1 offset:swizzle(BROADCAST,32,15)
	ds_swizzle_b32 v4, v2 offset:swizzle(BROADCAST,32,15)
	v_and_b32_e32 v7, 1, v5
	v_cmp_eq_u32_e64 s0, 1, v7
	v_mbcnt_lo_u32_b32 v7, -1, 0
	s_waitcnt lgkmcnt(2)
	v_and_b32_e32 v6, 1, v6
	s_waitcnt lgkmcnt(0)
	v_cmp_lt_i64_e32 vcc_lo, v[1:2], v[3:4]
	v_cmp_eq_u32_e64 s1, 1, v6
	v_mov_b32_e32 v6, 0
	s_and_b32 vcc_lo, s0, vcc_lo
	s_mov_b32 s0, exec_lo
	v_cndmask_b32_e32 v3, v3, v1, vcc_lo
	v_cndmask_b32_e32 v4, v4, v2, vcc_lo
	v_cndmask_b32_e64 v5, v5, 1, s1
	v_cndmask_b32_e64 v1, v1, v3, s1
	;; [unrolled: 1-line block ×3, first 2 shown]
	ds_bpermute_b32 v17, v6, v5 offset:124
	ds_bpermute_b32 v1, v6, v1 offset:124
	;; [unrolled: 1-line block ×3, first 2 shown]
	v_cmpx_eq_u32_e32 0, v7
	s_cbranch_execz .LBB485_6
; %bb.5:
	v_lshrrev_b32_e32 v3, 1, v0
	v_and_b32_e32 v3, 0x70, v3
	s_waitcnt lgkmcnt(2)
	ds_write_b8 v3, v17 offset:384
	s_waitcnt lgkmcnt(1)
	ds_write_b64 v3, v[1:2] offset:392
.LBB485_6:
	s_or_b32 exec_lo, exec_lo, s0
	s_mov_b32 s0, exec_lo
	s_waitcnt lgkmcnt(0)
	s_barrier
	buffer_gl0_inv
	v_cmpx_gt_u32_e32 32, v0
	s_cbranch_execz .LBB485_20
; %bb.7:
	v_and_b32_e32 v8, 7, v7
	v_lshlrev_b32_e32 v1, 4, v8
	v_cmp_ne_u32_e32 vcc_lo, 7, v8
	ds_read_u8 v10, v1 offset:384
	ds_read_b64 v[3:4], v1 offset:392
	v_add_co_ci_u32_e64 v2, null, 0, v7, vcc_lo
	v_lshlrev_b32_e32 v2, 2, v2
	s_waitcnt lgkmcnt(1)
	v_and_b32_e32 v1, 0xff, v10
	s_waitcnt lgkmcnt(0)
	ds_bpermute_b32 v5, v2, v3
	ds_bpermute_b32 v6, v2, v4
	;; [unrolled: 1-line block ×3, first 2 shown]
	s_waitcnt lgkmcnt(0)
	v_and_b32_e32 v1, v10, v11
	v_and_b32_e32 v1, 1, v1
	v_cmp_eq_u32_e32 vcc_lo, 1, v1
                                        ; implicit-def: $vgpr1_vgpr2
	s_and_saveexec_b32 s1, vcc_lo
	s_xor_b32 s1, exec_lo, s1
; %bb.8:
	v_cmp_lt_i64_e32 vcc_lo, v[5:6], v[3:4]
                                        ; implicit-def: $vgpr10
                                        ; implicit-def: $vgpr11
	v_cndmask_b32_e32 v2, v4, v6, vcc_lo
	v_cndmask_b32_e32 v1, v3, v5, vcc_lo
                                        ; implicit-def: $vgpr5_vgpr6
                                        ; implicit-def: $vgpr3_vgpr4
; %bb.9:
	s_or_saveexec_b32 s1, s1
	v_mov_b32_e32 v9, 1
	s_xor_b32 exec_lo, exec_lo, s1
; %bb.10:
	v_and_b32_e32 v1, 1, v10
	v_and_b32_e32 v9, 0xff, v11
	v_cmp_eq_u32_e32 vcc_lo, 1, v1
	v_cndmask_b32_e32 v2, v6, v4, vcc_lo
	v_cndmask_b32_e32 v1, v5, v3, vcc_lo
	v_cndmask_b32_e64 v9, v9, 1, vcc_lo
; %bb.11:
	s_or_b32 exec_lo, exec_lo, s1
	v_cmp_gt_u32_e32 vcc_lo, 6, v8
	v_cndmask_b32_e64 v3, 0, 2, vcc_lo
	v_add_lshl_u32 v3, v3, v7, 2
	ds_bpermute_b32 v8, v3, v9
	ds_bpermute_b32 v5, v3, v1
	;; [unrolled: 1-line block ×3, first 2 shown]
	s_waitcnt lgkmcnt(2)
	v_and_b32_e32 v3, v9, v8
	v_and_b32_e32 v3, 1, v3
	v_cmp_eq_u32_e32 vcc_lo, 1, v3
                                        ; implicit-def: $vgpr3_vgpr4
	s_and_saveexec_b32 s1, vcc_lo
	s_xor_b32 s1, exec_lo, s1
	s_cbranch_execz .LBB485_13
; %bb.12:
	s_waitcnt lgkmcnt(0)
	v_cmp_lt_i64_e32 vcc_lo, v[5:6], v[1:2]
                                        ; implicit-def: $vgpr9
                                        ; implicit-def: $vgpr8
	v_cndmask_b32_e32 v4, v2, v6, vcc_lo
	v_cndmask_b32_e32 v3, v1, v5, vcc_lo
                                        ; implicit-def: $vgpr5_vgpr6
                                        ; implicit-def: $vgpr1_vgpr2
.LBB485_13:
	s_or_saveexec_b32 s1, s1
	v_lshlrev_b32_e32 v10, 2, v7
	v_mov_b32_e32 v7, 1
	s_xor_b32 exec_lo, exec_lo, s1
	s_cbranch_execz .LBB485_15
; %bb.14:
	v_and_b32_e32 v3, 1, v9
	v_and_b32_e32 v7, 0xff, v8
	v_cmp_eq_u32_e32 vcc_lo, 1, v3
	s_waitcnt lgkmcnt(0)
	v_cndmask_b32_e32 v4, v6, v2, vcc_lo
	v_cndmask_b32_e32 v3, v5, v1, vcc_lo
	v_cndmask_b32_e64 v7, v7, 1, vcc_lo
.LBB485_15:
	s_or_b32 exec_lo, exec_lo, s1
	v_or_b32_e32 v1, 16, v10
	ds_bpermute_b32 v8, v1, v7
	s_waitcnt lgkmcnt(2)
	ds_bpermute_b32 v5, v1, v3
	s_waitcnt lgkmcnt(2)
	;; [unrolled: 2-line block ×3, first 2 shown]
	v_and_b32_e32 v1, v7, v8
	v_and_b32_e32 v1, 1, v1
	v_cmp_eq_u32_e32 vcc_lo, 1, v1
                                        ; implicit-def: $vgpr1_vgpr2
	s_and_saveexec_b32 s1, vcc_lo
	s_xor_b32 s1, exec_lo, s1
	s_cbranch_execz .LBB485_17
; %bb.16:
	s_waitcnt lgkmcnt(0)
	v_cmp_lt_i64_e32 vcc_lo, v[5:6], v[3:4]
                                        ; implicit-def: $vgpr7
                                        ; implicit-def: $vgpr8
	v_cndmask_b32_e32 v2, v4, v6, vcc_lo
	v_cndmask_b32_e32 v1, v3, v5, vcc_lo
                                        ; implicit-def: $vgpr5_vgpr6
                                        ; implicit-def: $vgpr3_vgpr4
.LBB485_17:
	s_or_saveexec_b32 s1, s1
	v_mov_b32_e32 v17, 1
	s_xor_b32 exec_lo, exec_lo, s1
	s_cbranch_execz .LBB485_19
; %bb.18:
	v_and_b32_e32 v1, 1, v7
	v_cmp_eq_u32_e32 vcc_lo, 1, v1
	s_waitcnt lgkmcnt(0)
	v_cndmask_b32_e32 v2, v6, v4, vcc_lo
	v_cndmask_b32_e32 v1, v5, v3, vcc_lo
	v_cndmask_b32_e64 v17, v8, 1, vcc_lo
.LBB485_19:
	s_or_b32 exec_lo, exec_lo, s1
.LBB485_20:
	s_or_b32 exec_lo, exec_lo, s0
	s_branch .LBB485_167
.LBB485_21:
	s_mov_b32 s22, 0
                                        ; implicit-def: $vgpr3_vgpr4
                                        ; implicit-def: $vgpr5
                                        ; implicit-def: $vgpr1_vgpr2
	s_cbranch_execnz .LBB485_247
	s_branch .LBB485_356
.LBB485_22:
	s_mov_b32 s26, -1
.LBB485_23:
	s_mov_b32 s22, 0
                                        ; implicit-def: $vgpr3_vgpr4
                                        ; implicit-def: $vgpr5
                                        ; implicit-def: $vgpr1_vgpr2
	s_and_b32 vcc_lo, exec_lo, s26
	s_cbranch_vccz .LBB485_172
.LBB485_24:
	s_cmp_eq_u32 s25, 4
	s_cbranch_scc0 .LBB485_43
; %bb.25:
	s_mov_b32 s7, 0
	s_lshl_b32 s10, s6, 10
	s_mov_b32 s11, s7
	s_lshr_b64 s[26:27], s[14:15], 10
	s_lshl_b64 s[0:1], s[10:11], 2
	s_add_u32 s2, s16, s0
	s_addc_u32 s3, s17, s1
	s_add_u32 s8, s18, s0
	s_addc_u32 s9, s19, s1
	;; [unrolled: 2-line block ×3, first 2 shown]
	s_cmp_lg_u64 s[26:27], s[6:7]
	s_cbranch_scc0 .LBB485_67
; %bb.26:
	s_waitcnt lgkmcnt(1)
	v_lshlrev_b32_e32 v5, 2, v0
	v_add_co_u32 v1, s0, s2, v5
	v_add_co_ci_u32_e64 v2, null, s3, 0, s0
	v_add_co_u32 v3, s0, s8, v5
	s_waitcnt lgkmcnt(0)
	v_add_co_ci_u32_e64 v4, null, s9, 0, s0
	v_add_co_u32 v1, vcc_lo, 0x800, v1
	v_add_co_ci_u32_e64 v2, null, 0, v2, vcc_lo
	v_add_co_u32 v3, vcc_lo, 0x800, v3
	v_add_co_ci_u32_e64 v4, null, 0, v4, vcc_lo
	s_clause 0x3
	global_load_dword v6, v5, s[8:9] offset:1024
	global_load_dword v7, v5, s[2:3] offset:1024
	global_load_dword v8, v5, s[8:9]
	global_load_dword v5, v5, s[2:3]
	global_load_dword v9, v[3:4], off
	s_clause 0x1
	global_load_dword v10, v[1:2], off
	global_load_dword v1, v[1:2], off offset:1024
	global_load_dword v2, v[3:4], off offset:1024
	v_mov_b32_e32 v3, 0x100
	s_waitcnt vmcnt(6)
	v_cmp_ne_u32_e32 vcc_lo, v7, v6
	s_waitcnt vmcnt(4)
	v_cmp_ne_u32_e64 s0, v5, v8
	s_waitcnt vmcnt(2)
	v_cmp_ne_u32_e64 s1, v10, v9
	v_cndmask_b32_e32 v3, 0x200, v3, vcc_lo
	v_cndmask_b32_e64 v3, v3, 0, s0
	s_or_b32 s0, s0, vcc_lo
	s_or_b32 vcc_lo, s0, s1
	v_add_co_u32 v4, s0, s11, v0
	v_cndmask_b32_e32 v3, 0x300, v3, vcc_lo
	v_add_co_ci_u32_e64 v5, null, s23, 0, s0
	s_waitcnt vmcnt(0)
	v_cmp_ne_u32_e64 s0, v1, v2
	v_add_co_u32 v1, s1, v4, v3
	v_add_co_ci_u32_e64 v2, null, 0, v5, s1
	s_or_b32 s0, vcc_lo, s0
	v_mov_b32_dpp v3, v1 quad_perm:[1,0,3,2] row_mask:0xf bank_mask:0xf
	v_cndmask_b32_e64 v5, 0, 1, s0
	v_mov_b32_dpp v4, v2 quad_perm:[1,0,3,2] row_mask:0xf bank_mask:0xf
	v_mov_b32_dpp v6, v5 quad_perm:[1,0,3,2] row_mask:0xf bank_mask:0xf
	v_cmp_lt_i64_e32 vcc_lo, v[1:2], v[3:4]
	v_and_b32_e32 v6, 1, v6
	s_and_b32 vcc_lo, s0, vcc_lo
	v_cndmask_b32_e32 v3, v3, v1, vcc_lo
	v_cndmask_b32_e32 v4, v4, v2, vcc_lo
	v_cmp_eq_u32_e32 vcc_lo, 1, v6
	v_cndmask_b32_e32 v2, v2, v4, vcc_lo
	v_cndmask_b32_e32 v1, v1, v3, vcc_lo
	v_cndmask_b32_e64 v5, v5, 1, vcc_lo
	v_mov_b32_dpp v4, v2 quad_perm:[2,3,0,1] row_mask:0xf bank_mask:0xf
	v_mov_b32_dpp v3, v1 quad_perm:[2,3,0,1] row_mask:0xf bank_mask:0xf
	v_and_b32_e32 v7, 1, v5
	v_mov_b32_dpp v6, v5 quad_perm:[2,3,0,1] row_mask:0xf bank_mask:0xf
	v_cmp_lt_i64_e32 vcc_lo, v[1:2], v[3:4]
	v_cmp_eq_u32_e64 s0, 1, v7
	v_and_b32_e32 v6, 1, v6
	s_and_b32 vcc_lo, s0, vcc_lo
	v_cmp_eq_u32_e64 s1, 1, v6
	v_cndmask_b32_e32 v3, v3, v1, vcc_lo
	v_cndmask_b32_e32 v4, v4, v2, vcc_lo
	v_cndmask_b32_e64 v5, v5, 1, s1
	v_cndmask_b32_e64 v1, v1, v3, s1
	;; [unrolled: 1-line block ×3, first 2 shown]
	v_and_b32_e32 v7, 1, v5
	v_mov_b32_dpp v3, v1 row_ror:4 row_mask:0xf bank_mask:0xf
	v_mov_b32_dpp v4, v2 row_ror:4 row_mask:0xf bank_mask:0xf
	v_mov_b32_dpp v6, v5 row_ror:4 row_mask:0xf bank_mask:0xf
	v_cmp_eq_u32_e64 s0, 1, v7
	v_cmp_lt_i64_e32 vcc_lo, v[1:2], v[3:4]
	v_and_b32_e32 v6, 1, v6
	s_and_b32 vcc_lo, s0, vcc_lo
	v_cmp_eq_u32_e64 s1, 1, v6
	v_cndmask_b32_e32 v3, v3, v1, vcc_lo
	v_cndmask_b32_e32 v4, v4, v2, vcc_lo
	v_cndmask_b32_e64 v5, v5, 1, s1
	v_cndmask_b32_e64 v1, v1, v3, s1
	;; [unrolled: 1-line block ×3, first 2 shown]
	v_and_b32_e32 v7, 1, v5
	v_mov_b32_dpp v3, v1 row_ror:8 row_mask:0xf bank_mask:0xf
	v_mov_b32_dpp v4, v2 row_ror:8 row_mask:0xf bank_mask:0xf
	v_mov_b32_dpp v6, v5 row_ror:8 row_mask:0xf bank_mask:0xf
	v_cmp_eq_u32_e64 s0, 1, v7
	v_cmp_lt_i64_e32 vcc_lo, v[1:2], v[3:4]
	v_and_b32_e32 v6, 1, v6
	s_and_b32 vcc_lo, s0, vcc_lo
	v_cmp_eq_u32_e64 s1, 1, v6
	v_cndmask_b32_e32 v3, v3, v1, vcc_lo
	v_cndmask_b32_e32 v4, v4, v2, vcc_lo
	v_cndmask_b32_e64 v5, v5, 1, s1
	v_cndmask_b32_e64 v1, v1, v3, s1
	;; [unrolled: 1-line block ×3, first 2 shown]
	ds_swizzle_b32 v6, v5 offset:swizzle(BROADCAST,32,15)
	ds_swizzle_b32 v3, v1 offset:swizzle(BROADCAST,32,15)
	;; [unrolled: 1-line block ×3, first 2 shown]
	v_and_b32_e32 v7, 1, v5
	v_cmp_eq_u32_e64 s0, 1, v7
	v_mbcnt_lo_u32_b32 v7, -1, 0
	s_waitcnt lgkmcnt(2)
	v_and_b32_e32 v6, 1, v6
	s_waitcnt lgkmcnt(0)
	v_cmp_lt_i64_e32 vcc_lo, v[1:2], v[3:4]
	v_cmp_eq_u32_e64 s1, 1, v6
	v_mov_b32_e32 v6, 0
	s_and_b32 vcc_lo, s0, vcc_lo
	s_mov_b32 s0, exec_lo
	v_cndmask_b32_e32 v3, v3, v1, vcc_lo
	v_cndmask_b32_e32 v4, v4, v2, vcc_lo
	v_cndmask_b32_e64 v5, v5, 1, s1
	v_cndmask_b32_e64 v1, v1, v3, s1
	;; [unrolled: 1-line block ×3, first 2 shown]
	ds_bpermute_b32 v9, v6, v5 offset:124
	ds_bpermute_b32 v1, v6, v1 offset:124
	;; [unrolled: 1-line block ×3, first 2 shown]
	v_cmpx_eq_u32_e32 0, v7
	s_cbranch_execz .LBB485_28
; %bb.27:
	v_lshrrev_b32_e32 v3, 1, v0
	v_and_b32_e32 v3, 0x70, v3
	s_waitcnt lgkmcnt(2)
	ds_write_b8 v3, v9 offset:256
	s_waitcnt lgkmcnt(1)
	ds_write_b64 v3, v[1:2] offset:264
.LBB485_28:
	s_or_b32 exec_lo, exec_lo, s0
	s_mov_b32 s0, exec_lo
	s_waitcnt lgkmcnt(0)
	s_barrier
	buffer_gl0_inv
	v_cmpx_gt_u32_e32 32, v0
	s_cbranch_execz .LBB485_42
; %bb.29:
	v_and_b32_e32 v8, 7, v7
	v_lshlrev_b32_e32 v1, 4, v8
	v_cmp_ne_u32_e32 vcc_lo, 7, v8
	ds_read_u8 v10, v1 offset:256
	ds_read_b64 v[3:4], v1 offset:264
	v_add_co_ci_u32_e64 v2, null, 0, v7, vcc_lo
	v_lshlrev_b32_e32 v2, 2, v2
	s_waitcnt lgkmcnt(1)
	v_and_b32_e32 v1, 0xff, v10
	s_waitcnt lgkmcnt(0)
	ds_bpermute_b32 v5, v2, v3
	ds_bpermute_b32 v6, v2, v4
	;; [unrolled: 1-line block ×3, first 2 shown]
	s_waitcnt lgkmcnt(0)
	v_and_b32_e32 v1, v10, v11
	v_and_b32_e32 v1, 1, v1
	v_cmp_eq_u32_e32 vcc_lo, 1, v1
                                        ; implicit-def: $vgpr1_vgpr2
	s_and_saveexec_b32 s1, vcc_lo
	s_xor_b32 s1, exec_lo, s1
; %bb.30:
	v_cmp_lt_i64_e32 vcc_lo, v[5:6], v[3:4]
                                        ; implicit-def: $vgpr10
                                        ; implicit-def: $vgpr11
	v_cndmask_b32_e32 v2, v4, v6, vcc_lo
	v_cndmask_b32_e32 v1, v3, v5, vcc_lo
                                        ; implicit-def: $vgpr5_vgpr6
                                        ; implicit-def: $vgpr3_vgpr4
; %bb.31:
	s_or_saveexec_b32 s1, s1
	v_mov_b32_e32 v9, 1
	s_xor_b32 exec_lo, exec_lo, s1
; %bb.32:
	v_and_b32_e32 v1, 1, v10
	v_and_b32_e32 v9, 0xff, v11
	v_cmp_eq_u32_e32 vcc_lo, 1, v1
	v_cndmask_b32_e32 v2, v6, v4, vcc_lo
	v_cndmask_b32_e32 v1, v5, v3, vcc_lo
	v_cndmask_b32_e64 v9, v9, 1, vcc_lo
; %bb.33:
	s_or_b32 exec_lo, exec_lo, s1
	v_cmp_gt_u32_e32 vcc_lo, 6, v8
	v_cndmask_b32_e64 v3, 0, 2, vcc_lo
	v_add_lshl_u32 v3, v3, v7, 2
	ds_bpermute_b32 v8, v3, v9
	ds_bpermute_b32 v5, v3, v1
	;; [unrolled: 1-line block ×3, first 2 shown]
	s_waitcnt lgkmcnt(2)
	v_and_b32_e32 v3, v9, v8
	v_and_b32_e32 v3, 1, v3
	v_cmp_eq_u32_e32 vcc_lo, 1, v3
                                        ; implicit-def: $vgpr3_vgpr4
	s_and_saveexec_b32 s1, vcc_lo
	s_xor_b32 s1, exec_lo, s1
	s_cbranch_execz .LBB485_35
; %bb.34:
	s_waitcnt lgkmcnt(0)
	v_cmp_lt_i64_e32 vcc_lo, v[5:6], v[1:2]
                                        ; implicit-def: $vgpr9
                                        ; implicit-def: $vgpr8
	v_cndmask_b32_e32 v4, v2, v6, vcc_lo
	v_cndmask_b32_e32 v3, v1, v5, vcc_lo
                                        ; implicit-def: $vgpr5_vgpr6
                                        ; implicit-def: $vgpr1_vgpr2
.LBB485_35:
	s_or_saveexec_b32 s1, s1
	v_lshlrev_b32_e32 v10, 2, v7
	v_mov_b32_e32 v7, 1
	s_xor_b32 exec_lo, exec_lo, s1
	s_cbranch_execz .LBB485_37
; %bb.36:
	v_and_b32_e32 v3, 1, v9
	v_and_b32_e32 v7, 0xff, v8
	v_cmp_eq_u32_e32 vcc_lo, 1, v3
	s_waitcnt lgkmcnt(0)
	v_cndmask_b32_e32 v4, v6, v2, vcc_lo
	v_cndmask_b32_e32 v3, v5, v1, vcc_lo
	v_cndmask_b32_e64 v7, v7, 1, vcc_lo
.LBB485_37:
	s_or_b32 exec_lo, exec_lo, s1
	v_or_b32_e32 v1, 16, v10
	ds_bpermute_b32 v8, v1, v7
	s_waitcnt lgkmcnt(2)
	ds_bpermute_b32 v5, v1, v3
	s_waitcnt lgkmcnt(2)
	;; [unrolled: 2-line block ×3, first 2 shown]
	v_and_b32_e32 v1, v7, v8
	v_and_b32_e32 v1, 1, v1
	v_cmp_eq_u32_e32 vcc_lo, 1, v1
                                        ; implicit-def: $vgpr1_vgpr2
	s_and_saveexec_b32 s1, vcc_lo
	s_xor_b32 s1, exec_lo, s1
	s_cbranch_execz .LBB485_39
; %bb.38:
	s_waitcnt lgkmcnt(0)
	v_cmp_lt_i64_e32 vcc_lo, v[5:6], v[3:4]
                                        ; implicit-def: $vgpr7
                                        ; implicit-def: $vgpr8
	v_cndmask_b32_e32 v2, v4, v6, vcc_lo
	v_cndmask_b32_e32 v1, v3, v5, vcc_lo
                                        ; implicit-def: $vgpr5_vgpr6
                                        ; implicit-def: $vgpr3_vgpr4
.LBB485_39:
	s_or_saveexec_b32 s1, s1
	v_mov_b32_e32 v9, 1
	s_xor_b32 exec_lo, exec_lo, s1
	s_cbranch_execz .LBB485_41
; %bb.40:
	v_and_b32_e32 v1, 1, v7
	v_cmp_eq_u32_e32 vcc_lo, 1, v1
	s_waitcnt lgkmcnt(0)
	v_cndmask_b32_e32 v2, v6, v4, vcc_lo
	v_cndmask_b32_e32 v1, v5, v3, vcc_lo
	v_cndmask_b32_e64 v9, v8, 1, vcc_lo
.LBB485_41:
	s_or_b32 exec_lo, exec_lo, s1
.LBB485_42:
	s_or_b32 exec_lo, exec_lo, s0
	s_branch .LBB485_242
.LBB485_43:
                                        ; implicit-def: $vgpr3_vgpr4
                                        ; implicit-def: $vgpr5
                                        ; implicit-def: $vgpr1_vgpr2
	s_branch .LBB485_356
.LBB485_44:
                                        ; implicit-def: $vgpr1_vgpr2
                                        ; implicit-def: $vgpr17
	s_cbranch_execz .LBB485_167
; %bb.45:
	v_mov_b32_e32 v15, 0
	v_mov_b32_e32 v1, 0
	;; [unrolled: 1-line block ×6, first 2 shown]
	s_sub_i32 s27, s14, s8
	s_mov_b32 s0, exec_lo
	v_cmpx_gt_u32_e64 s27, v0
	s_cbranch_execz .LBB485_47
; %bb.46:
	v_lshlrev_b32_e32 v1, 2, v0
	s_clause 0x1
	global_load_dword v3, v1, s[10:11]
	global_load_dword v4, v1, s[22:23]
	v_add_co_u32 v1, s1, s28, v0
	v_add_co_ci_u32_e64 v2, null, s29, 0, s1
	s_waitcnt vmcnt(0)
	v_cmp_ne_u32_e32 vcc_lo, v3, v4
	v_cndmask_b32_e64 v17, 0, 1, vcc_lo
.LBB485_47:
	s_or_b32 exec_lo, exec_lo, s0
	v_or_b32_e32 v3, 0x100, v0
	v_cmp_gt_u32_e64 s9, s27, v3
	s_and_saveexec_b32 s0, s9
	s_cbranch_execz .LBB485_49
; %bb.48:
	v_lshlrev_b32_e32 v4, 2, v0
	v_add_co_u32 v15, s1, s28, v3
	v_add_co_ci_u32_e64 v16, null, s29, 0, s1
	s_waitcnt lgkmcnt(1)
	s_clause 0x1
	global_load_dword v5, v4, s[10:11] offset:1024
	global_load_dword v4, v4, s[22:23] offset:1024
	s_waitcnt vmcnt(0)
	v_cmp_ne_u32_e32 vcc_lo, v5, v4
	v_cndmask_b32_e64 v24, 0, 1, vcc_lo
.LBB485_49:
	s_or_b32 exec_lo, exec_lo, s0
	v_or_b32_e32 v3, 0x200, v0
	v_mov_b32_e32 v11, 0
	v_mov_b32_e32 v13, 0
	;; [unrolled: 1-line block ×5, first 2 shown]
	v_cmp_gt_u32_e64 s8, s27, v3
	v_mov_b32_e32 v23, 0
	s_and_saveexec_b32 s0, s8
	s_cbranch_execz .LBB485_51
; %bb.50:
	v_lshlrev_b32_e32 v4, 2, v3
	v_add_co_u32 v13, s1, s28, v3
	v_add_co_ci_u32_e64 v14, null, s29, 0, s1
	s_waitcnt lgkmcnt(1)
	s_clause 0x1
	global_load_dword v5, v4, s[10:11]
	global_load_dword v4, v4, s[22:23]
	s_waitcnt vmcnt(0)
	v_cmp_ne_u32_e32 vcc_lo, v5, v4
	v_cndmask_b32_e64 v23, 0, 1, vcc_lo
.LBB485_51:
	s_or_b32 exec_lo, exec_lo, s0
	v_or_b32_e32 v3, 0x300, v0
	v_cmp_gt_u32_e64 s3, s27, v3
	s_and_saveexec_b32 s0, s3
	s_cbranch_execz .LBB485_53
; %bb.52:
	v_lshlrev_b32_e32 v4, 2, v3
	v_add_co_u32 v11, s1, s28, v3
	v_add_co_ci_u32_e64 v12, null, s29, 0, s1
	s_waitcnt lgkmcnt(1)
	s_clause 0x1
	global_load_dword v5, v4, s[10:11]
	global_load_dword v4, v4, s[22:23]
	s_waitcnt vmcnt(0)
	v_cmp_ne_u32_e32 vcc_lo, v5, v4
	v_cndmask_b32_e64 v22, 0, 1, vcc_lo
.LBB485_53:
	s_or_b32 exec_lo, exec_lo, s0
	v_or_b32_e32 v3, 0x400, v0
	v_mov_b32_e32 v7, 0
	v_mov_b32_e32 v9, 0
	;; [unrolled: 1-line block ×5, first 2 shown]
	v_cmp_gt_u32_e64 s2, s27, v3
	v_mov_b32_e32 v21, 0
	s_and_saveexec_b32 s0, s2
	s_cbranch_execz .LBB485_55
; %bb.54:
	v_lshlrev_b32_e32 v4, 2, v3
	v_add_co_u32 v9, s1, s28, v3
	v_add_co_ci_u32_e64 v10, null, s29, 0, s1
	s_waitcnt lgkmcnt(1)
	s_clause 0x1
	global_load_dword v5, v4, s[10:11]
	global_load_dword v4, v4, s[22:23]
	s_waitcnt vmcnt(0)
	v_cmp_ne_u32_e32 vcc_lo, v5, v4
	v_cndmask_b32_e64 v21, 0, 1, vcc_lo
.LBB485_55:
	s_or_b32 exec_lo, exec_lo, s0
	v_or_b32_e32 v3, 0x500, v0
	v_cmp_gt_u32_e64 s1, s27, v3
	s_and_saveexec_b32 s0, s1
	s_cbranch_execz .LBB485_57
; %bb.56:
	v_lshlrev_b32_e32 v4, 2, v3
	v_add_co_u32 v7, s30, s28, v3
	v_add_co_ci_u32_e64 v8, null, s29, 0, s30
	s_waitcnt lgkmcnt(1)
	s_clause 0x1
	global_load_dword v5, v4, s[10:11]
	global_load_dword v4, v4, s[22:23]
	s_waitcnt vmcnt(0)
	v_cmp_ne_u32_e32 vcc_lo, v5, v4
	v_cndmask_b32_e64 v20, 0, 1, vcc_lo
.LBB485_57:
	s_or_b32 exec_lo, exec_lo, s0
	v_or_b32_e32 v25, 0x600, v0
	v_mov_b32_e32 v3, 0
	s_waitcnt lgkmcnt(0)
	v_mov_b32_e32 v5, 0
	v_mov_b32_e32 v4, 0
	;; [unrolled: 1-line block ×4, first 2 shown]
	v_cmp_gt_u32_e64 s0, s27, v25
	v_mov_b32_e32 v19, 0
	s_and_saveexec_b32 s30, s0
	s_cbranch_execz .LBB485_59
; %bb.58:
	v_lshlrev_b32_e32 v5, 2, v25
	s_clause 0x1
	global_load_dword v19, v5, s[10:11]
	global_load_dword v26, v5, s[22:23]
	v_add_co_u32 v5, s31, s28, v25
	v_add_co_ci_u32_e64 v6, null, s29, 0, s31
	s_waitcnt vmcnt(0)
	v_cmp_ne_u32_e32 vcc_lo, v19, v26
	v_cndmask_b32_e64 v19, 0, 1, vcc_lo
.LBB485_59:
	s_or_b32 exec_lo, exec_lo, s30
	v_or_b32_e32 v25, 0x700, v0
	v_cmp_gt_u32_e32 vcc_lo, s27, v25
	s_and_saveexec_b32 s30, vcc_lo
	s_cbranch_execnz .LBB485_78
; %bb.60:
	s_or_b32 exec_lo, exec_lo, s30
	s_and_saveexec_b32 s11, s9
	s_cbranch_execnz .LBB485_79
.LBB485_61:
	s_or_b32 exec_lo, exec_lo, s11
	s_and_saveexec_b32 s10, s8
	s_cbranch_execnz .LBB485_84
.LBB485_62:
	s_or_b32 exec_lo, exec_lo, s10
	s_and_saveexec_b32 s9, s3
	s_cbranch_execnz .LBB485_89
.LBB485_63:
	s_or_b32 exec_lo, exec_lo, s9
	s_and_saveexec_b32 s8, s2
	s_cbranch_execnz .LBB485_94
.LBB485_64:
	s_or_b32 exec_lo, exec_lo, s8
	s_and_saveexec_b32 s3, s1
	s_cbranch_execnz .LBB485_99
.LBB485_65:
	s_or_b32 exec_lo, exec_lo, s3
	s_and_saveexec_b32 s2, s0
	s_cbranch_execnz .LBB485_104
.LBB485_66:
	s_or_b32 exec_lo, exec_lo, s2
	s_and_saveexec_b32 s1, vcc_lo
	s_cbranch_execnz .LBB485_109
	s_branch .LBB485_114
.LBB485_67:
                                        ; implicit-def: $vgpr1_vgpr2
                                        ; implicit-def: $vgpr9
	s_cbranch_execz .LBB485_242
; %bb.68:
	v_mov_b32_e32 v7, 0
	v_mov_b32_e32 v1, 0
	;; [unrolled: 1-line block ×6, first 2 shown]
	s_sub_i32 s10, s14, s10
	s_mov_b32 s0, exec_lo
	v_cmpx_gt_u32_e64 s10, v0
	s_cbranch_execz .LBB485_70
; %bb.69:
	v_lshlrev_b32_e32 v1, 2, v0
	s_waitcnt lgkmcnt(1)
	global_load_dword v3, v1, s[2:3]
	s_waitcnt lgkmcnt(0)
	global_load_dword v4, v1, s[8:9]
	v_add_co_u32 v1, s1, s11, v0
	v_add_co_ci_u32_e64 v2, null, s23, 0, s1
	s_waitcnt vmcnt(0)
	v_cmp_ne_u32_e32 vcc_lo, v3, v4
	v_cndmask_b32_e64 v9, 0, 1, vcc_lo
.LBB485_70:
	s_or_b32 exec_lo, exec_lo, s0
	s_waitcnt lgkmcnt(1)
	v_or_b32_e32 v3, 0x100, v0
	v_cmp_gt_u32_e64 s1, s10, v3
	s_and_saveexec_b32 s0, s1
	s_cbranch_execz .LBB485_72
; %bb.71:
	s_waitcnt lgkmcnt(0)
	v_lshlrev_b32_e32 v4, 2, v0
	v_add_co_u32 v7, s26, s11, v3
	v_add_co_ci_u32_e64 v8, null, s23, 0, s26
	s_clause 0x1
	global_load_dword v5, v4, s[2:3] offset:1024
	global_load_dword v4, v4, s[8:9] offset:1024
	s_waitcnt vmcnt(0)
	v_cmp_ne_u32_e32 vcc_lo, v5, v4
	v_cndmask_b32_e64 v12, 0, 1, vcc_lo
.LBB485_72:
	s_or_b32 exec_lo, exec_lo, s0
	v_or_b32_e32 v13, 0x200, v0
	s_waitcnt lgkmcnt(0)
	v_mov_b32_e32 v3, 0
	v_mov_b32_e32 v5, 0
	;; [unrolled: 1-line block ×5, first 2 shown]
	v_cmp_gt_u32_e64 s0, s10, v13
	v_mov_b32_e32 v11, 0
	s_and_saveexec_b32 s26, s0
	s_cbranch_execz .LBB485_74
; %bb.73:
	v_lshlrev_b32_e32 v5, 2, v13
	s_clause 0x1
	global_load_dword v11, v5, s[2:3]
	global_load_dword v14, v5, s[8:9]
	v_add_co_u32 v5, s27, s11, v13
	v_add_co_ci_u32_e64 v6, null, s23, 0, s27
	s_waitcnt vmcnt(0)
	v_cmp_ne_u32_e32 vcc_lo, v11, v14
	v_cndmask_b32_e64 v11, 0, 1, vcc_lo
.LBB485_74:
	s_or_b32 exec_lo, exec_lo, s26
	v_or_b32_e32 v13, 0x300, v0
	v_cmp_gt_u32_e32 vcc_lo, s10, v13
	s_and_saveexec_b32 s26, vcc_lo
	s_cbranch_execnz .LBB485_173
; %bb.75:
	s_or_b32 exec_lo, exec_lo, s26
	s_and_saveexec_b32 s3, s1
	s_cbranch_execnz .LBB485_174
.LBB485_76:
	s_or_b32 exec_lo, exec_lo, s3
	s_and_saveexec_b32 s2, s0
	s_cbranch_execnz .LBB485_179
.LBB485_77:
	s_or_b32 exec_lo, exec_lo, s2
	s_and_saveexec_b32 s1, vcc_lo
	s_cbranch_execnz .LBB485_184
	s_branch .LBB485_189
.LBB485_78:
	v_lshlrev_b32_e32 v3, 2, v25
	s_clause 0x1
	global_load_dword v18, v3, s[10:11]
	global_load_dword v26, v3, s[22:23]
	v_add_co_u32 v3, s10, s28, v25
	v_add_co_ci_u32_e64 v4, null, s29, 0, s10
	s_waitcnt vmcnt(0)
	v_cmp_ne_u32_e64 s10, v18, v26
	v_cndmask_b32_e64 v18, 0, 1, s10
	s_or_b32 exec_lo, exec_lo, s30
	s_and_saveexec_b32 s11, s9
	s_cbranch_execz .LBB485_61
.LBB485_79:
	v_and_b32_e32 v17, 1, v17
	v_and_b32_e32 v25, 1, v24
	v_cmp_eq_u32_e64 s9, 1, v17
	v_cmp_eq_u32_e64 s10, 1, v25
                                        ; implicit-def: $vgpr17
	s_and_b32 s10, s9, s10
	s_xor_b32 s10, s10, -1
	s_and_saveexec_b32 s22, s10
	s_xor_b32 s10, exec_lo, s22
; %bb.80:
	v_and_b32_e32 v17, 0xffff, v24
	v_cndmask_b32_e64 v2, v16, v2, s9
	v_cndmask_b32_e64 v1, v15, v1, s9
                                        ; implicit-def: $vgpr15_vgpr16
	v_cndmask_b32_e64 v17, v17, 1, s9
; %bb.81:
	s_andn2_saveexec_b32 s10, s10
; %bb.82:
	v_cmp_lt_i64_e64 s9, v[15:16], v[1:2]
	v_mov_b32_e32 v17, 1
	v_cndmask_b32_e64 v2, v2, v16, s9
	v_cndmask_b32_e64 v1, v1, v15, s9
; %bb.83:
	s_or_b32 exec_lo, exec_lo, s10
	s_or_b32 exec_lo, exec_lo, s11
	s_and_saveexec_b32 s10, s8
	s_cbranch_execz .LBB485_62
.LBB485_84:
	v_and_b32_e32 v15, 1, v17
	v_and_b32_e32 v16, 1, v23
                                        ; implicit-def: $vgpr17
	v_cmp_eq_u32_e64 s8, 1, v15
	v_cmp_eq_u32_e64 s9, 1, v16
	s_and_b32 s9, s8, s9
	s_xor_b32 s9, s9, -1
	s_and_saveexec_b32 s11, s9
	s_xor_b32 s9, exec_lo, s11
; %bb.85:
	v_and_b32_e32 v15, 0xffff, v23
	v_cndmask_b32_e64 v2, v14, v2, s8
	v_cndmask_b32_e64 v1, v13, v1, s8
                                        ; implicit-def: $vgpr13_vgpr14
	v_cndmask_b32_e64 v17, v15, 1, s8
; %bb.86:
	s_andn2_saveexec_b32 s9, s9
; %bb.87:
	v_cmp_lt_i64_e64 s8, v[13:14], v[1:2]
	v_mov_b32_e32 v17, 1
	v_cndmask_b32_e64 v2, v2, v14, s8
	v_cndmask_b32_e64 v1, v1, v13, s8
; %bb.88:
	s_or_b32 exec_lo, exec_lo, s9
	s_or_b32 exec_lo, exec_lo, s10
	s_and_saveexec_b32 s9, s3
	s_cbranch_execz .LBB485_63
.LBB485_89:
	v_and_b32_e32 v13, 1, v17
	v_and_b32_e32 v14, 1, v22
                                        ; implicit-def: $vgpr17
	v_cmp_eq_u32_e64 s3, 1, v13
	v_cmp_eq_u32_e64 s8, 1, v14
	s_and_b32 s8, s3, s8
	s_xor_b32 s8, s8, -1
	s_and_saveexec_b32 s10, s8
	s_xor_b32 s8, exec_lo, s10
; %bb.90:
	v_and_b32_e32 v13, 0xffff, v22
	v_cndmask_b32_e64 v2, v12, v2, s3
	v_cndmask_b32_e64 v1, v11, v1, s3
                                        ; implicit-def: $vgpr11_vgpr12
	v_cndmask_b32_e64 v17, v13, 1, s3
; %bb.91:
	s_andn2_saveexec_b32 s8, s8
; %bb.92:
	v_cmp_lt_i64_e64 s3, v[11:12], v[1:2]
	v_mov_b32_e32 v17, 1
	v_cndmask_b32_e64 v2, v2, v12, s3
	v_cndmask_b32_e64 v1, v1, v11, s3
; %bb.93:
	s_or_b32 exec_lo, exec_lo, s8
	s_or_b32 exec_lo, exec_lo, s9
	s_and_saveexec_b32 s8, s2
	s_cbranch_execz .LBB485_64
.LBB485_94:
	v_and_b32_e32 v11, 1, v17
	v_and_b32_e32 v12, 1, v21
                                        ; implicit-def: $vgpr17
	v_cmp_eq_u32_e64 s2, 1, v11
	v_cmp_eq_u32_e64 s3, 1, v12
	s_and_b32 s3, s2, s3
	s_xor_b32 s3, s3, -1
	s_and_saveexec_b32 s9, s3
	s_xor_b32 s3, exec_lo, s9
; %bb.95:
	v_and_b32_e32 v11, 0xffff, v21
	v_cndmask_b32_e64 v2, v10, v2, s2
	v_cndmask_b32_e64 v1, v9, v1, s2
                                        ; implicit-def: $vgpr9_vgpr10
	v_cndmask_b32_e64 v17, v11, 1, s2
; %bb.96:
	s_andn2_saveexec_b32 s3, s3
; %bb.97:
	v_cmp_lt_i64_e64 s2, v[9:10], v[1:2]
	v_mov_b32_e32 v17, 1
	v_cndmask_b32_e64 v2, v2, v10, s2
	v_cndmask_b32_e64 v1, v1, v9, s2
; %bb.98:
	s_or_b32 exec_lo, exec_lo, s3
	s_or_b32 exec_lo, exec_lo, s8
	s_and_saveexec_b32 s3, s1
	s_cbranch_execz .LBB485_65
.LBB485_99:
	v_and_b32_e32 v9, 1, v17
	v_and_b32_e32 v10, 1, v20
                                        ; implicit-def: $vgpr17
	v_cmp_eq_u32_e64 s1, 1, v9
	v_cmp_eq_u32_e64 s2, 1, v10
	s_and_b32 s2, s1, s2
	s_xor_b32 s2, s2, -1
	s_and_saveexec_b32 s8, s2
	s_xor_b32 s2, exec_lo, s8
; %bb.100:
	v_and_b32_e32 v9, 0xffff, v20
	v_cndmask_b32_e64 v2, v8, v2, s1
	v_cndmask_b32_e64 v1, v7, v1, s1
                                        ; implicit-def: $vgpr7_vgpr8
	v_cndmask_b32_e64 v17, v9, 1, s1
; %bb.101:
	s_andn2_saveexec_b32 s2, s2
; %bb.102:
	v_cmp_lt_i64_e64 s1, v[7:8], v[1:2]
	v_mov_b32_e32 v17, 1
	v_cndmask_b32_e64 v2, v2, v8, s1
	v_cndmask_b32_e64 v1, v1, v7, s1
; %bb.103:
	s_or_b32 exec_lo, exec_lo, s2
	s_or_b32 exec_lo, exec_lo, s3
	s_and_saveexec_b32 s2, s0
	s_cbranch_execz .LBB485_66
.LBB485_104:
	v_and_b32_e32 v7, 1, v17
	v_and_b32_e32 v8, 1, v19
                                        ; implicit-def: $vgpr17
	v_cmp_eq_u32_e64 s0, 1, v7
	v_cmp_eq_u32_e64 s1, 1, v8
	s_and_b32 s1, s0, s1
	s_xor_b32 s1, s1, -1
	s_and_saveexec_b32 s3, s1
	s_xor_b32 s1, exec_lo, s3
; %bb.105:
	v_and_b32_e32 v7, 0xffff, v19
	v_cndmask_b32_e64 v2, v6, v2, s0
	v_cndmask_b32_e64 v1, v5, v1, s0
                                        ; implicit-def: $vgpr5_vgpr6
	v_cndmask_b32_e64 v17, v7, 1, s0
; %bb.106:
	s_andn2_saveexec_b32 s1, s1
; %bb.107:
	v_cmp_lt_i64_e64 s0, v[5:6], v[1:2]
	v_mov_b32_e32 v17, 1
	v_cndmask_b32_e64 v2, v2, v6, s0
	v_cndmask_b32_e64 v1, v1, v5, s0
; %bb.108:
	s_or_b32 exec_lo, exec_lo, s1
	s_or_b32 exec_lo, exec_lo, s2
	s_and_saveexec_b32 s1, vcc_lo
	s_cbranch_execz .LBB485_114
.LBB485_109:
	v_and_b32_e32 v5, 1, v17
	v_and_b32_e32 v6, 1, v18
                                        ; implicit-def: $vgpr17
	v_cmp_eq_u32_e32 vcc_lo, 1, v5
	v_cmp_eq_u32_e64 s0, 1, v6
	s_and_b32 s0, vcc_lo, s0
	s_xor_b32 s0, s0, -1
	s_and_saveexec_b32 s2, s0
	s_xor_b32 s0, exec_lo, s2
; %bb.110:
	v_and_b32_e32 v5, 0xffff, v18
	v_cndmask_b32_e32 v2, v4, v2, vcc_lo
	v_cndmask_b32_e32 v1, v3, v1, vcc_lo
                                        ; implicit-def: $vgpr3_vgpr4
	v_cndmask_b32_e64 v17, v5, 1, vcc_lo
; %bb.111:
	s_andn2_saveexec_b32 s0, s0
; %bb.112:
	v_cmp_lt_i64_e32 vcc_lo, v[3:4], v[1:2]
	v_mov_b32_e32 v17, 1
	v_cndmask_b32_e32 v2, v2, v4, vcc_lo
	v_cndmask_b32_e32 v1, v1, v3, vcc_lo
; %bb.113:
	s_or_b32 exec_lo, exec_lo, s0
.LBB485_114:
	s_or_b32 exec_lo, exec_lo, s1
	v_mbcnt_lo_u32_b32 v5, -1, 0
	v_and_b32_e32 v6, 0xe0, v0
	s_min_u32 s0, s27, 0x100
	s_mov_b32 s1, exec_lo
	v_cmp_ne_u32_e32 vcc_lo, 31, v5
	v_sub_nc_u32_e64 v6, s0, v6 clamp
	v_add_nc_u32_e32 v8, 1, v5
	v_add_co_ci_u32_e64 v3, null, 0, v5, vcc_lo
	v_lshlrev_b32_e32 v4, 2, v3
	ds_bpermute_b32 v7, v4, v17
	ds_bpermute_b32 v3, v4, v1
	;; [unrolled: 1-line block ×3, first 2 shown]
	v_cmpx_lt_u32_e64 v8, v6
	s_xor_b32 s1, exec_lo, s1
	s_cbranch_execz .LBB485_120
; %bb.115:
	s_waitcnt lgkmcnt(2)
	v_and_b32_e32 v8, v7, v17
	s_mov_b32 s2, exec_lo
	v_cmpx_ne_u32_e32 0, v8
	s_xor_b32 s2, exec_lo, s2
	s_cbranch_execz .LBB485_117
; %bb.116:
	s_waitcnt lgkmcnt(0)
	v_cmp_lt_i64_e32 vcc_lo, v[3:4], v[1:2]
                                        ; implicit-def: $vgpr17
                                        ; implicit-def: $vgpr7
	v_cndmask_b32_e32 v2, v2, v4, vcc_lo
	v_cndmask_b32_e32 v1, v1, v3, vcc_lo
                                        ; implicit-def: $vgpr3_vgpr4
.LBB485_117:
	s_or_saveexec_b32 s2, s2
	v_mov_b32_e32 v8, 1
	s_xor_b32 exec_lo, exec_lo, s2
	s_cbranch_execz .LBB485_119
; %bb.118:
	v_and_b32_e32 v8, 1, v17
	v_and_b32_e32 v7, 0xff, v7
	v_cmp_eq_u32_e32 vcc_lo, 1, v8
	s_waitcnt lgkmcnt(0)
	v_cndmask_b32_e32 v2, v4, v2, vcc_lo
	v_cndmask_b32_e32 v1, v3, v1, vcc_lo
	v_cndmask_b32_e64 v8, v7, 1, vcc_lo
.LBB485_119:
	s_or_b32 exec_lo, exec_lo, s2
	v_mov_b32_e32 v17, v8
.LBB485_120:
	s_or_b32 exec_lo, exec_lo, s1
	v_cmp_gt_u32_e32 vcc_lo, 30, v5
	v_add_nc_u32_e32 v8, 2, v5
	s_mov_b32 s1, exec_lo
	s_waitcnt lgkmcnt(1)
	v_cndmask_b32_e64 v3, 0, 2, vcc_lo
	s_waitcnt lgkmcnt(0)
	v_add_lshl_u32 v4, v3, v5, 2
	ds_bpermute_b32 v7, v4, v17
	ds_bpermute_b32 v3, v4, v1
	ds_bpermute_b32 v4, v4, v2
	v_cmpx_lt_u32_e64 v8, v6
	s_cbranch_execz .LBB485_126
; %bb.121:
	s_waitcnt lgkmcnt(2)
	v_and_b32_e32 v8, v17, v7
	s_mov_b32 s2, exec_lo
	v_and_b32_e32 v8, 1, v8
	v_cmpx_eq_u32_e32 1, v8
	s_xor_b32 s2, exec_lo, s2
	s_cbranch_execz .LBB485_123
; %bb.122:
	s_waitcnt lgkmcnt(0)
	v_cmp_lt_i64_e32 vcc_lo, v[3:4], v[1:2]
                                        ; implicit-def: $vgpr17
                                        ; implicit-def: $vgpr7
	v_cndmask_b32_e32 v2, v2, v4, vcc_lo
	v_cndmask_b32_e32 v1, v1, v3, vcc_lo
                                        ; implicit-def: $vgpr3_vgpr4
.LBB485_123:
	s_or_saveexec_b32 s2, s2
	v_mov_b32_e32 v8, 1
	s_xor_b32 exec_lo, exec_lo, s2
	s_cbranch_execz .LBB485_125
; %bb.124:
	v_and_b32_e32 v8, 1, v17
	v_and_b32_e32 v7, 0xff, v7
	v_cmp_eq_u32_e32 vcc_lo, 1, v8
	s_waitcnt lgkmcnt(0)
	v_cndmask_b32_e32 v2, v4, v2, vcc_lo
	v_cndmask_b32_e32 v1, v3, v1, vcc_lo
	v_cndmask_b32_e64 v8, v7, 1, vcc_lo
.LBB485_125:
	s_or_b32 exec_lo, exec_lo, s2
	v_mov_b32_e32 v17, v8
.LBB485_126:
	s_or_b32 exec_lo, exec_lo, s1
	v_cmp_gt_u32_e32 vcc_lo, 28, v5
	v_add_nc_u32_e32 v8, 4, v5
	s_mov_b32 s1, exec_lo
	s_waitcnt lgkmcnt(1)
	v_cndmask_b32_e64 v3, 0, 4, vcc_lo
	s_waitcnt lgkmcnt(0)
	v_add_lshl_u32 v4, v3, v5, 2
	ds_bpermute_b32 v7, v4, v17
	ds_bpermute_b32 v3, v4, v1
	ds_bpermute_b32 v4, v4, v2
	v_cmpx_lt_u32_e64 v8, v6
	s_cbranch_execz .LBB485_132
; %bb.127:
	s_waitcnt lgkmcnt(2)
	v_and_b32_e32 v8, v17, v7
	s_mov_b32 s2, exec_lo
	v_and_b32_e32 v8, 1, v8
	v_cmpx_eq_u32_e32 1, v8
	s_xor_b32 s2, exec_lo, s2
	s_cbranch_execz .LBB485_129
; %bb.128:
	s_waitcnt lgkmcnt(0)
	v_cmp_lt_i64_e32 vcc_lo, v[3:4], v[1:2]
                                        ; implicit-def: $vgpr17
                                        ; implicit-def: $vgpr7
	v_cndmask_b32_e32 v2, v2, v4, vcc_lo
	v_cndmask_b32_e32 v1, v1, v3, vcc_lo
                                        ; implicit-def: $vgpr3_vgpr4
.LBB485_129:
	s_or_saveexec_b32 s2, s2
	v_mov_b32_e32 v8, 1
	s_xor_b32 exec_lo, exec_lo, s2
	s_cbranch_execz .LBB485_131
; %bb.130:
	v_and_b32_e32 v8, 1, v17
	v_and_b32_e32 v7, 0xff, v7
	v_cmp_eq_u32_e32 vcc_lo, 1, v8
	s_waitcnt lgkmcnt(0)
	v_cndmask_b32_e32 v2, v4, v2, vcc_lo
	v_cndmask_b32_e32 v1, v3, v1, vcc_lo
	v_cndmask_b32_e64 v8, v7, 1, vcc_lo
.LBB485_131:
	s_or_b32 exec_lo, exec_lo, s2
	v_mov_b32_e32 v17, v8
.LBB485_132:
	;; [unrolled: 46-line block ×3, first 2 shown]
	s_or_b32 exec_lo, exec_lo, s1
	s_waitcnt lgkmcnt(2)
	v_lshlrev_b32_e32 v7, 2, v5
	v_add_nc_u32_e32 v9, 16, v5
	s_waitcnt lgkmcnt(0)
	v_or_b32_e32 v4, 64, v7
	v_cmp_lt_u32_e32 vcc_lo, v9, v6
	v_mov_b32_e32 v6, v17
	ds_bpermute_b32 v8, v4, v17
	ds_bpermute_b32 v3, v4, v1
	;; [unrolled: 1-line block ×3, first 2 shown]
	s_and_saveexec_b32 s1, vcc_lo
	s_cbranch_execz .LBB485_144
; %bb.139:
	s_waitcnt lgkmcnt(2)
	v_and_b32_e32 v6, v17, v8
	s_mov_b32 s2, exec_lo
	v_and_b32_e32 v6, 1, v6
	v_cmpx_eq_u32_e32 1, v6
	s_xor_b32 s2, exec_lo, s2
	s_cbranch_execz .LBB485_141
; %bb.140:
	s_waitcnt lgkmcnt(0)
	v_cmp_lt_i64_e32 vcc_lo, v[3:4], v[1:2]
                                        ; implicit-def: $vgpr17
                                        ; implicit-def: $vgpr8
	v_cndmask_b32_e32 v2, v2, v4, vcc_lo
	v_cndmask_b32_e32 v1, v1, v3, vcc_lo
                                        ; implicit-def: $vgpr3_vgpr4
.LBB485_141:
	s_or_saveexec_b32 s2, s2
	v_mov_b32_e32 v6, 1
	s_xor_b32 exec_lo, exec_lo, s2
	s_cbranch_execz .LBB485_143
; %bb.142:
	v_and_b32_e32 v6, 1, v17
	v_cmp_eq_u32_e32 vcc_lo, 1, v6
	v_cndmask_b32_e64 v6, v8, 1, vcc_lo
	s_waitcnt lgkmcnt(0)
	v_cndmask_b32_e32 v2, v4, v2, vcc_lo
	v_cndmask_b32_e32 v1, v3, v1, vcc_lo
.LBB485_143:
	s_or_b32 exec_lo, exec_lo, s2
	v_and_b32_e32 v17, 0xff, v6
.LBB485_144:
	s_or_b32 exec_lo, exec_lo, s1
	s_mov_b32 s1, exec_lo
	v_cmpx_eq_u32_e32 0, v5
	s_cbranch_execz .LBB485_146
; %bb.145:
	s_waitcnt lgkmcnt(1)
	v_lshrrev_b32_e32 v3, 1, v0
	v_and_b32_e32 v3, 0x70, v3
	ds_write_b8 v3, v6 offset:512
	ds_write_b64 v3, v[1:2] offset:520
.LBB485_146:
	s_or_b32 exec_lo, exec_lo, s1
	s_mov_b32 s1, exec_lo
	s_waitcnt lgkmcnt(0)
	s_barrier
	buffer_gl0_inv
	v_cmpx_gt_u32_e32 8, v0
	s_cbranch_execz .LBB485_166
; %bb.147:
	v_lshlrev_b32_e32 v1, 4, v5
	v_and_b32_e32 v6, 7, v5
	s_add_i32 s0, s0, 31
	s_mov_b32 s2, exec_lo
	s_lshr_b32 s0, s0, 5
	ds_read_u8 v8, v1 offset:512
	ds_read_b64 v[1:2], v1 offset:520
	v_cmp_ne_u32_e32 vcc_lo, 7, v6
	v_add_nc_u32_e32 v10, 1, v6
	v_add_co_ci_u32_e64 v3, null, 0, v5, vcc_lo
	v_lshlrev_b32_e32 v4, 2, v3
	s_waitcnt lgkmcnt(1)
	v_and_b32_e32 v17, 0xff, v8
	s_waitcnt lgkmcnt(0)
	ds_bpermute_b32 v3, v4, v1
	ds_bpermute_b32 v9, v4, v17
	;; [unrolled: 1-line block ×3, first 2 shown]
	v_cmpx_gt_u32_e64 s0, v10
	s_cbranch_execz .LBB485_153
; %bb.148:
	s_waitcnt lgkmcnt(1)
	v_and_b32_e32 v10, v17, v9
	s_mov_b32 s3, exec_lo
	v_and_b32_e32 v10, 1, v10
	v_cmpx_eq_u32_e32 1, v10
	s_xor_b32 s3, exec_lo, s3
	s_cbranch_execz .LBB485_150
; %bb.149:
	s_waitcnt lgkmcnt(0)
	v_cmp_lt_i64_e32 vcc_lo, v[3:4], v[1:2]
                                        ; implicit-def: $vgpr8
                                        ; implicit-def: $vgpr9
	v_cndmask_b32_e32 v2, v2, v4, vcc_lo
	v_cndmask_b32_e32 v1, v1, v3, vcc_lo
                                        ; implicit-def: $vgpr3_vgpr4
.LBB485_150:
	s_or_saveexec_b32 s3, s3
	v_mov_b32_e32 v17, 1
	s_xor_b32 exec_lo, exec_lo, s3
	s_cbranch_execz .LBB485_152
; %bb.151:
	v_and_b32_e32 v8, 1, v8
	v_cmp_eq_u32_e32 vcc_lo, 1, v8
	v_and_b32_e32 v8, 0xff, v9
	s_waitcnt lgkmcnt(0)
	v_cndmask_b32_e32 v2, v4, v2, vcc_lo
	v_cndmask_b32_e32 v1, v3, v1, vcc_lo
	v_cndmask_b32_e64 v17, v8, 1, vcc_lo
.LBB485_152:
	s_or_b32 exec_lo, exec_lo, s3
.LBB485_153:
	s_or_b32 exec_lo, exec_lo, s2
	v_cmp_gt_u32_e32 vcc_lo, 6, v6
	v_add_nc_u32_e32 v8, 2, v6
	s_mov_b32 s2, exec_lo
	s_waitcnt lgkmcnt(2)
	v_cndmask_b32_e64 v3, 0, 2, vcc_lo
	s_waitcnt lgkmcnt(0)
	v_add_lshl_u32 v4, v3, v5, 2
	ds_bpermute_b32 v5, v4, v17
	ds_bpermute_b32 v3, v4, v1
	ds_bpermute_b32 v4, v4, v2
	v_cmpx_gt_u32_e64 s0, v8
	s_cbranch_execz .LBB485_159
; %bb.154:
	s_waitcnt lgkmcnt(2)
	v_and_b32_e32 v8, v17, v5
	s_mov_b32 s3, exec_lo
	v_and_b32_e32 v8, 1, v8
	v_cmpx_eq_u32_e32 1, v8
	s_xor_b32 s3, exec_lo, s3
	s_cbranch_execz .LBB485_156
; %bb.155:
	s_waitcnt lgkmcnt(0)
	v_cmp_lt_i64_e32 vcc_lo, v[3:4], v[1:2]
                                        ; implicit-def: $vgpr17
                                        ; implicit-def: $vgpr5
	v_cndmask_b32_e32 v2, v2, v4, vcc_lo
	v_cndmask_b32_e32 v1, v1, v3, vcc_lo
                                        ; implicit-def: $vgpr3_vgpr4
.LBB485_156:
	s_or_saveexec_b32 s3, s3
	v_mov_b32_e32 v8, 1
	s_xor_b32 exec_lo, exec_lo, s3
	s_cbranch_execz .LBB485_158
; %bb.157:
	v_and_b32_e32 v8, 1, v17
	v_and_b32_e32 v5, 0xff, v5
	v_cmp_eq_u32_e32 vcc_lo, 1, v8
	s_waitcnt lgkmcnt(0)
	v_cndmask_b32_e32 v2, v4, v2, vcc_lo
	v_cndmask_b32_e32 v1, v3, v1, vcc_lo
	v_cndmask_b32_e64 v8, v5, 1, vcc_lo
.LBB485_158:
	s_or_b32 exec_lo, exec_lo, s3
	v_mov_b32_e32 v17, v8
.LBB485_159:
	s_or_b32 exec_lo, exec_lo, s2
	s_waitcnt lgkmcnt(0)
	v_or_b32_e32 v4, 16, v7
	v_add_nc_u32_e32 v6, 4, v6
	ds_bpermute_b32 v5, v4, v17
	ds_bpermute_b32 v3, v4, v1
	;; [unrolled: 1-line block ×3, first 2 shown]
	v_cmp_gt_u32_e32 vcc_lo, s0, v6
	s_and_saveexec_b32 s0, vcc_lo
	s_cbranch_execz .LBB485_165
; %bb.160:
	s_waitcnt lgkmcnt(2)
	v_and_b32_e32 v6, v17, v5
	s_mov_b32 s2, exec_lo
	v_and_b32_e32 v6, 1, v6
	v_cmpx_eq_u32_e32 1, v6
	s_xor_b32 s2, exec_lo, s2
	s_cbranch_execz .LBB485_162
; %bb.161:
	s_waitcnt lgkmcnt(0)
	v_cmp_lt_i64_e32 vcc_lo, v[3:4], v[1:2]
                                        ; implicit-def: $vgpr17
                                        ; implicit-def: $vgpr5
	v_cndmask_b32_e32 v2, v2, v4, vcc_lo
	v_cndmask_b32_e32 v1, v1, v3, vcc_lo
                                        ; implicit-def: $vgpr3_vgpr4
.LBB485_162:
	s_or_saveexec_b32 s2, s2
	v_mov_b32_e32 v6, 1
	s_xor_b32 exec_lo, exec_lo, s2
	s_cbranch_execz .LBB485_164
; %bb.163:
	v_and_b32_e32 v6, 1, v17
	v_cmp_eq_u32_e32 vcc_lo, 1, v6
	s_waitcnt lgkmcnt(0)
	v_cndmask_b32_e32 v2, v4, v2, vcc_lo
	v_cndmask_b32_e32 v1, v3, v1, vcc_lo
	v_cndmask_b32_e64 v6, v5, 1, vcc_lo
.LBB485_164:
	s_or_b32 exec_lo, exec_lo, s2
	v_mov_b32_e32 v17, v6
.LBB485_165:
	s_or_b32 exec_lo, exec_lo, s0
.LBB485_166:
	s_or_b32 exec_lo, exec_lo, s1
.LBB485_167:
	s_mov_b32 s22, 0
                                        ; implicit-def: $vgpr3_vgpr4
                                        ; implicit-def: $vgpr5
	s_mov_b32 s0, exec_lo
	v_cmpx_eq_u32_e32 0, v0
	s_xor_b32 s2, exec_lo, s0
	s_cbranch_execz .LBB485_171
; %bb.168:
	s_waitcnt lgkmcnt(0)
	v_mov_b32_e32 v3, s20
	v_mov_b32_e32 v4, s21
	;; [unrolled: 1-line block ×3, first 2 shown]
	s_cmp_eq_u64 s[14:15], 0
	s_cbranch_scc1 .LBB485_170
; %bb.169:
	v_and_b32_e32 v3, 1, v17
	v_cmp_gt_i64_e32 vcc_lo, s[20:21], v[1:2]
	s_bitcmp1_b32 s24, 0
	s_cselect_b32 s1, -1, 0
	v_cmp_eq_u32_e64 s0, 1, v3
	v_cndmask_b32_e64 v5, v17, 1, s1
	s_and_b32 vcc_lo, s0, vcc_lo
	v_cndmask_b32_e32 v3, s20, v1, vcc_lo
	v_cndmask_b32_e32 v4, s21, v2, vcc_lo
	v_cndmask_b32_e64 v3, v1, v3, s1
	v_cndmask_b32_e64 v4, v2, v4, s1
.LBB485_170:
	s_mov_b32 s22, exec_lo
.LBB485_171:
	s_or_b32 exec_lo, exec_lo, s2
	v_mov_b32_e32 v1, s6
	v_mov_b32_e32 v2, s7
	s_and_b32 vcc_lo, exec_lo, s26
	s_cbranch_vccnz .LBB485_24
.LBB485_172:
	s_branch .LBB485_356
.LBB485_173:
	v_lshlrev_b32_e32 v3, 2, v13
	s_clause 0x1
	global_load_dword v10, v3, s[2:3]
	global_load_dword v14, v3, s[8:9]
	v_add_co_u32 v3, s2, s11, v13
	v_add_co_ci_u32_e64 v4, null, s23, 0, s2
	s_waitcnt vmcnt(0)
	v_cmp_ne_u32_e64 s2, v10, v14
	v_cndmask_b32_e64 v10, 0, 1, s2
	s_or_b32 exec_lo, exec_lo, s26
	s_and_saveexec_b32 s3, s1
	s_cbranch_execz .LBB485_76
.LBB485_174:
	v_and_b32_e32 v9, 1, v9
	v_and_b32_e32 v13, 1, v12
	v_cmp_eq_u32_e64 s1, 1, v9
	v_cmp_eq_u32_e64 s2, 1, v13
                                        ; implicit-def: $vgpr9
	s_and_b32 s2, s1, s2
	s_xor_b32 s2, s2, -1
	s_and_saveexec_b32 s8, s2
	s_xor_b32 s2, exec_lo, s8
; %bb.175:
	v_and_b32_e32 v9, 0xffff, v12
	v_cndmask_b32_e64 v2, v8, v2, s1
	v_cndmask_b32_e64 v1, v7, v1, s1
                                        ; implicit-def: $vgpr7_vgpr8
	v_cndmask_b32_e64 v9, v9, 1, s1
; %bb.176:
	s_andn2_saveexec_b32 s2, s2
; %bb.177:
	v_cmp_lt_i64_e64 s1, v[7:8], v[1:2]
	v_mov_b32_e32 v9, 1
	v_cndmask_b32_e64 v2, v2, v8, s1
	v_cndmask_b32_e64 v1, v1, v7, s1
; %bb.178:
	s_or_b32 exec_lo, exec_lo, s2
	s_or_b32 exec_lo, exec_lo, s3
	s_and_saveexec_b32 s2, s0
	s_cbranch_execz .LBB485_77
.LBB485_179:
	v_and_b32_e32 v7, 1, v9
	v_and_b32_e32 v8, 1, v11
                                        ; implicit-def: $vgpr9
	v_cmp_eq_u32_e64 s0, 1, v7
	v_cmp_eq_u32_e64 s1, 1, v8
	s_and_b32 s1, s0, s1
	s_xor_b32 s1, s1, -1
	s_and_saveexec_b32 s3, s1
	s_xor_b32 s1, exec_lo, s3
; %bb.180:
	v_and_b32_e32 v7, 0xffff, v11
	v_cndmask_b32_e64 v2, v6, v2, s0
	v_cndmask_b32_e64 v1, v5, v1, s0
                                        ; implicit-def: $vgpr5_vgpr6
	v_cndmask_b32_e64 v9, v7, 1, s0
; %bb.181:
	s_andn2_saveexec_b32 s1, s1
; %bb.182:
	v_cmp_lt_i64_e64 s0, v[5:6], v[1:2]
	v_mov_b32_e32 v9, 1
	v_cndmask_b32_e64 v2, v2, v6, s0
	v_cndmask_b32_e64 v1, v1, v5, s0
; %bb.183:
	s_or_b32 exec_lo, exec_lo, s1
	s_or_b32 exec_lo, exec_lo, s2
	s_and_saveexec_b32 s1, vcc_lo
	s_cbranch_execz .LBB485_189
.LBB485_184:
	v_and_b32_e32 v5, 1, v9
	v_and_b32_e32 v6, 1, v10
                                        ; implicit-def: $vgpr9
	v_cmp_eq_u32_e32 vcc_lo, 1, v5
	v_cmp_eq_u32_e64 s0, 1, v6
	s_and_b32 s0, vcc_lo, s0
	s_xor_b32 s0, s0, -1
	s_and_saveexec_b32 s2, s0
	s_xor_b32 s0, exec_lo, s2
; %bb.185:
	v_and_b32_e32 v5, 0xffff, v10
	v_cndmask_b32_e32 v2, v4, v2, vcc_lo
	v_cndmask_b32_e32 v1, v3, v1, vcc_lo
                                        ; implicit-def: $vgpr3_vgpr4
	v_cndmask_b32_e64 v9, v5, 1, vcc_lo
; %bb.186:
	s_andn2_saveexec_b32 s0, s0
; %bb.187:
	v_cmp_lt_i64_e32 vcc_lo, v[3:4], v[1:2]
	v_mov_b32_e32 v9, 1
	v_cndmask_b32_e32 v2, v2, v4, vcc_lo
	v_cndmask_b32_e32 v1, v1, v3, vcc_lo
; %bb.188:
	s_or_b32 exec_lo, exec_lo, s0
.LBB485_189:
	s_or_b32 exec_lo, exec_lo, s1
	v_mbcnt_lo_u32_b32 v5, -1, 0
	v_and_b32_e32 v6, 0xe0, v0
	s_min_u32 s0, s10, 0x100
	s_mov_b32 s1, exec_lo
	v_cmp_ne_u32_e32 vcc_lo, 31, v5
	v_sub_nc_u32_e64 v6, s0, v6 clamp
	v_add_nc_u32_e32 v8, 1, v5
	v_add_co_ci_u32_e64 v3, null, 0, v5, vcc_lo
	v_lshlrev_b32_e32 v4, 2, v3
	ds_bpermute_b32 v7, v4, v9
	ds_bpermute_b32 v3, v4, v1
	;; [unrolled: 1-line block ×3, first 2 shown]
	v_cmpx_lt_u32_e64 v8, v6
	s_xor_b32 s1, exec_lo, s1
	s_cbranch_execz .LBB485_195
; %bb.190:
	s_waitcnt lgkmcnt(2)
	v_and_b32_e32 v8, v7, v9
	s_mov_b32 s2, exec_lo
	v_cmpx_ne_u32_e32 0, v8
	s_xor_b32 s2, exec_lo, s2
	s_cbranch_execz .LBB485_192
; %bb.191:
	s_waitcnt lgkmcnt(0)
	v_cmp_lt_i64_e32 vcc_lo, v[3:4], v[1:2]
                                        ; implicit-def: $vgpr9
                                        ; implicit-def: $vgpr7
	v_cndmask_b32_e32 v2, v2, v4, vcc_lo
	v_cndmask_b32_e32 v1, v1, v3, vcc_lo
                                        ; implicit-def: $vgpr3_vgpr4
.LBB485_192:
	s_or_saveexec_b32 s2, s2
	v_mov_b32_e32 v8, 1
	s_xor_b32 exec_lo, exec_lo, s2
	s_cbranch_execz .LBB485_194
; %bb.193:
	v_and_b32_e32 v8, 1, v9
	v_and_b32_e32 v7, 0xff, v7
	v_cmp_eq_u32_e32 vcc_lo, 1, v8
	s_waitcnt lgkmcnt(0)
	v_cndmask_b32_e32 v2, v4, v2, vcc_lo
	v_cndmask_b32_e32 v1, v3, v1, vcc_lo
	v_cndmask_b32_e64 v8, v7, 1, vcc_lo
.LBB485_194:
	s_or_b32 exec_lo, exec_lo, s2
	v_mov_b32_e32 v9, v8
.LBB485_195:
	s_or_b32 exec_lo, exec_lo, s1
	v_cmp_gt_u32_e32 vcc_lo, 30, v5
	v_add_nc_u32_e32 v8, 2, v5
	s_mov_b32 s1, exec_lo
	s_waitcnt lgkmcnt(1)
	v_cndmask_b32_e64 v3, 0, 2, vcc_lo
	s_waitcnt lgkmcnt(0)
	v_add_lshl_u32 v4, v3, v5, 2
	ds_bpermute_b32 v7, v4, v9
	ds_bpermute_b32 v3, v4, v1
	ds_bpermute_b32 v4, v4, v2
	v_cmpx_lt_u32_e64 v8, v6
	s_cbranch_execz .LBB485_201
; %bb.196:
	s_waitcnt lgkmcnt(2)
	v_and_b32_e32 v8, v9, v7
	s_mov_b32 s2, exec_lo
	v_and_b32_e32 v8, 1, v8
	v_cmpx_eq_u32_e32 1, v8
	s_xor_b32 s2, exec_lo, s2
	s_cbranch_execz .LBB485_198
; %bb.197:
	s_waitcnt lgkmcnt(0)
	v_cmp_lt_i64_e32 vcc_lo, v[3:4], v[1:2]
                                        ; implicit-def: $vgpr9
                                        ; implicit-def: $vgpr7
	v_cndmask_b32_e32 v2, v2, v4, vcc_lo
	v_cndmask_b32_e32 v1, v1, v3, vcc_lo
                                        ; implicit-def: $vgpr3_vgpr4
.LBB485_198:
	s_or_saveexec_b32 s2, s2
	v_mov_b32_e32 v8, 1
	s_xor_b32 exec_lo, exec_lo, s2
	s_cbranch_execz .LBB485_200
; %bb.199:
	v_and_b32_e32 v8, 1, v9
	v_and_b32_e32 v7, 0xff, v7
	v_cmp_eq_u32_e32 vcc_lo, 1, v8
	s_waitcnt lgkmcnt(0)
	v_cndmask_b32_e32 v2, v4, v2, vcc_lo
	v_cndmask_b32_e32 v1, v3, v1, vcc_lo
	v_cndmask_b32_e64 v8, v7, 1, vcc_lo
.LBB485_200:
	s_or_b32 exec_lo, exec_lo, s2
	v_mov_b32_e32 v9, v8
.LBB485_201:
	s_or_b32 exec_lo, exec_lo, s1
	v_cmp_gt_u32_e32 vcc_lo, 28, v5
	v_add_nc_u32_e32 v8, 4, v5
	s_mov_b32 s1, exec_lo
	s_waitcnt lgkmcnt(1)
	v_cndmask_b32_e64 v3, 0, 4, vcc_lo
	s_waitcnt lgkmcnt(0)
	v_add_lshl_u32 v4, v3, v5, 2
	ds_bpermute_b32 v7, v4, v9
	ds_bpermute_b32 v3, v4, v1
	ds_bpermute_b32 v4, v4, v2
	v_cmpx_lt_u32_e64 v8, v6
	s_cbranch_execz .LBB485_207
; %bb.202:
	s_waitcnt lgkmcnt(2)
	v_and_b32_e32 v8, v9, v7
	s_mov_b32 s2, exec_lo
	v_and_b32_e32 v8, 1, v8
	v_cmpx_eq_u32_e32 1, v8
	s_xor_b32 s2, exec_lo, s2
	s_cbranch_execz .LBB485_204
; %bb.203:
	s_waitcnt lgkmcnt(0)
	v_cmp_lt_i64_e32 vcc_lo, v[3:4], v[1:2]
                                        ; implicit-def: $vgpr9
                                        ; implicit-def: $vgpr7
	v_cndmask_b32_e32 v2, v2, v4, vcc_lo
	v_cndmask_b32_e32 v1, v1, v3, vcc_lo
                                        ; implicit-def: $vgpr3_vgpr4
.LBB485_204:
	s_or_saveexec_b32 s2, s2
	v_mov_b32_e32 v8, 1
	s_xor_b32 exec_lo, exec_lo, s2
	s_cbranch_execz .LBB485_206
; %bb.205:
	v_and_b32_e32 v8, 1, v9
	v_and_b32_e32 v7, 0xff, v7
	v_cmp_eq_u32_e32 vcc_lo, 1, v8
	s_waitcnt lgkmcnt(0)
	v_cndmask_b32_e32 v2, v4, v2, vcc_lo
	v_cndmask_b32_e32 v1, v3, v1, vcc_lo
	v_cndmask_b32_e64 v8, v7, 1, vcc_lo
.LBB485_206:
	s_or_b32 exec_lo, exec_lo, s2
	v_mov_b32_e32 v9, v8
.LBB485_207:
	;; [unrolled: 46-line block ×3, first 2 shown]
	s_or_b32 exec_lo, exec_lo, s1
	s_waitcnt lgkmcnt(2)
	v_lshlrev_b32_e32 v7, 2, v5
	v_add_nc_u32_e32 v10, 16, v5
	s_waitcnt lgkmcnt(0)
	v_or_b32_e32 v4, 64, v7
	v_cmp_lt_u32_e32 vcc_lo, v10, v6
	v_mov_b32_e32 v6, v9
	ds_bpermute_b32 v8, v4, v9
	ds_bpermute_b32 v3, v4, v1
	;; [unrolled: 1-line block ×3, first 2 shown]
	s_and_saveexec_b32 s1, vcc_lo
	s_cbranch_execz .LBB485_219
; %bb.214:
	s_waitcnt lgkmcnt(2)
	v_and_b32_e32 v6, v9, v8
	s_mov_b32 s2, exec_lo
	v_and_b32_e32 v6, 1, v6
	v_cmpx_eq_u32_e32 1, v6
	s_xor_b32 s2, exec_lo, s2
	s_cbranch_execz .LBB485_216
; %bb.215:
	s_waitcnt lgkmcnt(0)
	v_cmp_lt_i64_e32 vcc_lo, v[3:4], v[1:2]
                                        ; implicit-def: $vgpr9
                                        ; implicit-def: $vgpr8
	v_cndmask_b32_e32 v2, v2, v4, vcc_lo
	v_cndmask_b32_e32 v1, v1, v3, vcc_lo
                                        ; implicit-def: $vgpr3_vgpr4
.LBB485_216:
	s_or_saveexec_b32 s2, s2
	v_mov_b32_e32 v6, 1
	s_xor_b32 exec_lo, exec_lo, s2
	s_cbranch_execz .LBB485_218
; %bb.217:
	v_and_b32_e32 v6, 1, v9
	v_cmp_eq_u32_e32 vcc_lo, 1, v6
	v_cndmask_b32_e64 v6, v8, 1, vcc_lo
	s_waitcnt lgkmcnt(0)
	v_cndmask_b32_e32 v2, v4, v2, vcc_lo
	v_cndmask_b32_e32 v1, v3, v1, vcc_lo
.LBB485_218:
	s_or_b32 exec_lo, exec_lo, s2
	v_and_b32_e32 v9, 0xff, v6
.LBB485_219:
	s_or_b32 exec_lo, exec_lo, s1
	s_mov_b32 s1, exec_lo
	v_cmpx_eq_u32_e32 0, v5
	s_cbranch_execz .LBB485_221
; %bb.220:
	s_waitcnt lgkmcnt(1)
	v_lshrrev_b32_e32 v3, 1, v0
	v_and_b32_e32 v3, 0x70, v3
	ds_write_b8 v3, v6 offset:512
	ds_write_b64 v3, v[1:2] offset:520
.LBB485_221:
	s_or_b32 exec_lo, exec_lo, s1
	s_mov_b32 s1, exec_lo
	s_waitcnt lgkmcnt(0)
	s_barrier
	buffer_gl0_inv
	v_cmpx_gt_u32_e32 8, v0
	s_cbranch_execz .LBB485_241
; %bb.222:
	v_lshlrev_b32_e32 v1, 4, v5
	v_and_b32_e32 v6, 7, v5
	s_add_i32 s0, s0, 31
	s_mov_b32 s2, exec_lo
	s_lshr_b32 s0, s0, 5
	ds_read_u8 v8, v1 offset:512
	ds_read_b64 v[1:2], v1 offset:520
	v_cmp_ne_u32_e32 vcc_lo, 7, v6
	v_add_nc_u32_e32 v11, 1, v6
	v_add_co_ci_u32_e64 v3, null, 0, v5, vcc_lo
	v_lshlrev_b32_e32 v4, 2, v3
	s_waitcnt lgkmcnt(1)
	v_and_b32_e32 v9, 0xff, v8
	s_waitcnt lgkmcnt(0)
	ds_bpermute_b32 v3, v4, v1
	ds_bpermute_b32 v10, v4, v9
	;; [unrolled: 1-line block ×3, first 2 shown]
	v_cmpx_gt_u32_e64 s0, v11
	s_cbranch_execz .LBB485_228
; %bb.223:
	s_waitcnt lgkmcnt(1)
	v_and_b32_e32 v9, v9, v10
	s_mov_b32 s3, exec_lo
	v_and_b32_e32 v9, 1, v9
	v_cmpx_eq_u32_e32 1, v9
	s_xor_b32 s3, exec_lo, s3
	s_cbranch_execz .LBB485_225
; %bb.224:
	s_waitcnt lgkmcnt(0)
	v_cmp_lt_i64_e32 vcc_lo, v[3:4], v[1:2]
                                        ; implicit-def: $vgpr8
                                        ; implicit-def: $vgpr10
	v_cndmask_b32_e32 v2, v2, v4, vcc_lo
	v_cndmask_b32_e32 v1, v1, v3, vcc_lo
                                        ; implicit-def: $vgpr3_vgpr4
.LBB485_225:
	s_or_saveexec_b32 s3, s3
	v_mov_b32_e32 v9, 1
	s_xor_b32 exec_lo, exec_lo, s3
	s_cbranch_execz .LBB485_227
; %bb.226:
	v_and_b32_e32 v8, 1, v8
	v_cmp_eq_u32_e32 vcc_lo, 1, v8
	v_and_b32_e32 v8, 0xff, v10
	s_waitcnt lgkmcnt(0)
	v_cndmask_b32_e32 v2, v4, v2, vcc_lo
	v_cndmask_b32_e32 v1, v3, v1, vcc_lo
	v_cndmask_b32_e64 v9, v8, 1, vcc_lo
.LBB485_227:
	s_or_b32 exec_lo, exec_lo, s3
.LBB485_228:
	s_or_b32 exec_lo, exec_lo, s2
	v_cmp_gt_u32_e32 vcc_lo, 6, v6
	v_add_nc_u32_e32 v8, 2, v6
	s_mov_b32 s2, exec_lo
	s_waitcnt lgkmcnt(2)
	v_cndmask_b32_e64 v3, 0, 2, vcc_lo
	s_waitcnt lgkmcnt(0)
	v_add_lshl_u32 v4, v3, v5, 2
	ds_bpermute_b32 v5, v4, v9
	ds_bpermute_b32 v3, v4, v1
	;; [unrolled: 1-line block ×3, first 2 shown]
	v_cmpx_gt_u32_e64 s0, v8
	s_cbranch_execz .LBB485_234
; %bb.229:
	s_waitcnt lgkmcnt(2)
	v_and_b32_e32 v8, v9, v5
	s_mov_b32 s3, exec_lo
	v_and_b32_e32 v8, 1, v8
	v_cmpx_eq_u32_e32 1, v8
	s_xor_b32 s3, exec_lo, s3
	s_cbranch_execz .LBB485_231
; %bb.230:
	s_waitcnt lgkmcnt(0)
	v_cmp_lt_i64_e32 vcc_lo, v[3:4], v[1:2]
                                        ; implicit-def: $vgpr9
                                        ; implicit-def: $vgpr5
	v_cndmask_b32_e32 v2, v2, v4, vcc_lo
	v_cndmask_b32_e32 v1, v1, v3, vcc_lo
                                        ; implicit-def: $vgpr3_vgpr4
.LBB485_231:
	s_or_saveexec_b32 s3, s3
	v_mov_b32_e32 v8, 1
	s_xor_b32 exec_lo, exec_lo, s3
	s_cbranch_execz .LBB485_233
; %bb.232:
	v_and_b32_e32 v8, 1, v9
	v_and_b32_e32 v5, 0xff, v5
	v_cmp_eq_u32_e32 vcc_lo, 1, v8
	s_waitcnt lgkmcnt(0)
	v_cndmask_b32_e32 v2, v4, v2, vcc_lo
	v_cndmask_b32_e32 v1, v3, v1, vcc_lo
	v_cndmask_b32_e64 v8, v5, 1, vcc_lo
.LBB485_233:
	s_or_b32 exec_lo, exec_lo, s3
	v_mov_b32_e32 v9, v8
.LBB485_234:
	s_or_b32 exec_lo, exec_lo, s2
	s_waitcnt lgkmcnt(0)
	v_or_b32_e32 v4, 16, v7
	v_add_nc_u32_e32 v6, 4, v6
	ds_bpermute_b32 v5, v4, v9
	ds_bpermute_b32 v3, v4, v1
	;; [unrolled: 1-line block ×3, first 2 shown]
	v_cmp_gt_u32_e32 vcc_lo, s0, v6
	s_and_saveexec_b32 s0, vcc_lo
	s_cbranch_execz .LBB485_240
; %bb.235:
	s_waitcnt lgkmcnt(2)
	v_and_b32_e32 v6, v9, v5
	s_mov_b32 s2, exec_lo
	v_and_b32_e32 v6, 1, v6
	v_cmpx_eq_u32_e32 1, v6
	s_xor_b32 s2, exec_lo, s2
	s_cbranch_execz .LBB485_237
; %bb.236:
	s_waitcnt lgkmcnt(0)
	v_cmp_lt_i64_e32 vcc_lo, v[3:4], v[1:2]
                                        ; implicit-def: $vgpr9
                                        ; implicit-def: $vgpr5
	v_cndmask_b32_e32 v2, v2, v4, vcc_lo
	v_cndmask_b32_e32 v1, v1, v3, vcc_lo
                                        ; implicit-def: $vgpr3_vgpr4
.LBB485_237:
	s_or_saveexec_b32 s2, s2
	v_mov_b32_e32 v6, 1
	s_xor_b32 exec_lo, exec_lo, s2
	s_cbranch_execz .LBB485_239
; %bb.238:
	v_and_b32_e32 v6, 1, v9
	v_cmp_eq_u32_e32 vcc_lo, 1, v6
	s_waitcnt lgkmcnt(0)
	v_cndmask_b32_e32 v2, v4, v2, vcc_lo
	v_cndmask_b32_e32 v1, v3, v1, vcc_lo
	v_cndmask_b32_e64 v6, v5, 1, vcc_lo
.LBB485_239:
	s_or_b32 exec_lo, exec_lo, s2
	v_mov_b32_e32 v9, v6
.LBB485_240:
	s_or_b32 exec_lo, exec_lo, s0
.LBB485_241:
	s_or_b32 exec_lo, exec_lo, s1
.LBB485_242:
                                        ; implicit-def: $vgpr3_vgpr4
                                        ; implicit-def: $vgpr5
	s_mov_b32 s0, exec_lo
	v_cmpx_eq_u32_e32 0, v0
	s_xor_b32 s2, exec_lo, s0
	s_cbranch_execz .LBB485_246
; %bb.243:
	s_waitcnt lgkmcnt(0)
	v_mov_b32_e32 v3, s20
	v_mov_b32_e32 v4, s21
	;; [unrolled: 1-line block ×3, first 2 shown]
	s_cmp_eq_u64 s[14:15], 0
	s_cbranch_scc1 .LBB485_245
; %bb.244:
	v_and_b32_e32 v3, 1, v9
	v_cmp_gt_i64_e32 vcc_lo, s[20:21], v[1:2]
	s_bitcmp1_b32 s24, 0
	s_cselect_b32 s1, -1, 0
	v_cmp_eq_u32_e64 s0, 1, v3
	v_cndmask_b32_e64 v5, v9, 1, s1
	s_and_b32 vcc_lo, s0, vcc_lo
	v_cndmask_b32_e32 v3, s20, v1, vcc_lo
	v_cndmask_b32_e32 v4, s21, v2, vcc_lo
	v_cndmask_b32_e64 v3, v1, v3, s1
	v_cndmask_b32_e64 v4, v2, v4, s1
.LBB485_245:
	s_or_b32 s22, s22, exec_lo
.LBB485_246:
	s_or_b32 exec_lo, exec_lo, s2
	v_mov_b32_e32 v1, s6
	v_mov_b32_e32 v2, s7
	s_branch .LBB485_356
.LBB485_247:
	s_cmp_gt_i32 s25, 1
	s_cbranch_scc0 .LBB485_267
; %bb.248:
	s_cmp_eq_u32 s25, 2
	s_cbranch_scc0 .LBB485_268
; %bb.249:
	s_mov_b32 s7, 0
	s_lshl_b32 s10, s6, 9
	s_mov_b32 s11, s7
	s_lshr_b64 s[26:27], s[14:15], 9
	s_lshl_b64 s[0:1], s[10:11], 2
	s_add_u32 s2, s16, s0
	s_addc_u32 s3, s17, s1
	s_add_u32 s8, s18, s0
	s_addc_u32 s9, s19, s1
	;; [unrolled: 2-line block ×3, first 2 shown]
	s_cmp_lg_u64 s[26:27], s[6:7]
	s_cbranch_scc0 .LBB485_269
; %bb.250:
	v_lshlrev_b32_e32 v1, 2, v0
	s_waitcnt lgkmcnt(1)
	v_add_co_u32 v5, s0, s11, v0
	s_waitcnt lgkmcnt(0)
	v_add_co_ci_u32_e64 v6, null, s23, 0, s0
	s_clause 0x3
	global_load_dword v2, v1, s[2:3]
	global_load_dword v3, v1, s[8:9]
	global_load_dword v4, v1, s[8:9] offset:1024
	global_load_dword v1, v1, s[2:3] offset:1024
	v_add_co_u32 v7, vcc_lo, 0x100, v5
	v_add_co_ci_u32_e64 v8, null, 0, v6, vcc_lo
	s_waitcnt vmcnt(2)
	v_cmp_ne_u32_e32 vcc_lo, v2, v3
	s_waitcnt vmcnt(0)
	v_cmp_ne_u32_e64 s0, v1, v4
	v_cndmask_b32_e32 v2, v8, v6, vcc_lo
	v_cndmask_b32_e32 v1, v7, v5, vcc_lo
	s_or_b32 s0, vcc_lo, s0
	v_mbcnt_lo_u32_b32 v8, -1, 0
	v_cndmask_b32_e64 v5, 0, 1, s0
	v_mov_b32_dpp v4, v2 quad_perm:[1,0,3,2] row_mask:0xf bank_mask:0xf
	v_mov_b32_dpp v3, v1 quad_perm:[1,0,3,2] row_mask:0xf bank_mask:0xf
	;; [unrolled: 1-line block ×3, first 2 shown]
	v_cmp_lt_i64_e32 vcc_lo, v[1:2], v[3:4]
	v_and_b32_e32 v6, 1, v6
	s_and_b32 vcc_lo, s0, vcc_lo
	v_cndmask_b32_e32 v3, v3, v1, vcc_lo
	v_cndmask_b32_e32 v4, v4, v2, vcc_lo
	v_cmp_eq_u32_e32 vcc_lo, 1, v6
	v_cndmask_b32_e32 v2, v2, v4, vcc_lo
	v_cndmask_b32_e32 v1, v1, v3, vcc_lo
	v_cndmask_b32_e64 v5, v5, 1, vcc_lo
	v_mov_b32_dpp v4, v2 quad_perm:[2,3,0,1] row_mask:0xf bank_mask:0xf
	v_mov_b32_dpp v3, v1 quad_perm:[2,3,0,1] row_mask:0xf bank_mask:0xf
	v_and_b32_e32 v7, 1, v5
	v_mov_b32_dpp v6, v5 quad_perm:[2,3,0,1] row_mask:0xf bank_mask:0xf
	v_cmp_lt_i64_e32 vcc_lo, v[1:2], v[3:4]
	v_cmp_eq_u32_e64 s0, 1, v7
	v_and_b32_e32 v6, 1, v6
	s_and_b32 vcc_lo, s0, vcc_lo
	v_cmp_eq_u32_e64 s1, 1, v6
	v_cndmask_b32_e32 v3, v3, v1, vcc_lo
	v_cndmask_b32_e32 v4, v4, v2, vcc_lo
	v_cndmask_b32_e64 v5, v5, 1, s1
	v_cndmask_b32_e64 v1, v1, v3, s1
	;; [unrolled: 1-line block ×3, first 2 shown]
	v_and_b32_e32 v7, 1, v5
	v_mov_b32_dpp v3, v1 row_ror:4 row_mask:0xf bank_mask:0xf
	v_mov_b32_dpp v4, v2 row_ror:4 row_mask:0xf bank_mask:0xf
	;; [unrolled: 1-line block ×3, first 2 shown]
	v_cmp_eq_u32_e64 s0, 1, v7
	v_cmp_lt_i64_e32 vcc_lo, v[1:2], v[3:4]
	v_and_b32_e32 v6, 1, v6
	s_and_b32 vcc_lo, s0, vcc_lo
	v_cmp_eq_u32_e64 s1, 1, v6
	v_cndmask_b32_e32 v3, v3, v1, vcc_lo
	v_cndmask_b32_e32 v4, v4, v2, vcc_lo
	v_cndmask_b32_e64 v5, v5, 1, s1
	v_cndmask_b32_e64 v1, v1, v3, s1
	;; [unrolled: 1-line block ×3, first 2 shown]
	v_and_b32_e32 v7, 1, v5
	v_mov_b32_dpp v3, v1 row_ror:8 row_mask:0xf bank_mask:0xf
	v_mov_b32_dpp v4, v2 row_ror:8 row_mask:0xf bank_mask:0xf
	;; [unrolled: 1-line block ×3, first 2 shown]
	v_cmp_eq_u32_e64 s0, 1, v7
	v_cmp_lt_i64_e32 vcc_lo, v[1:2], v[3:4]
	v_and_b32_e32 v6, 1, v6
	s_and_b32 vcc_lo, s0, vcc_lo
	v_cmp_eq_u32_e64 s1, 1, v6
	v_cndmask_b32_e32 v3, v3, v1, vcc_lo
	v_cndmask_b32_e32 v4, v4, v2, vcc_lo
	v_cndmask_b32_e64 v5, v5, 1, s1
	v_cndmask_b32_e64 v1, v1, v3, s1
	;; [unrolled: 1-line block ×3, first 2 shown]
	ds_swizzle_b32 v6, v5 offset:swizzle(BROADCAST,32,15)
	ds_swizzle_b32 v3, v1 offset:swizzle(BROADCAST,32,15)
	;; [unrolled: 1-line block ×3, first 2 shown]
	v_and_b32_e32 v7, 1, v5
	v_cmp_eq_u32_e64 s0, 1, v7
	s_waitcnt lgkmcnt(2)
	v_and_b32_e32 v6, 1, v6
	s_waitcnt lgkmcnt(0)
	v_cmp_lt_i64_e32 vcc_lo, v[1:2], v[3:4]
	v_cmp_eq_u32_e64 s1, 1, v6
	v_mov_b32_e32 v6, 0
	s_and_b32 vcc_lo, s0, vcc_lo
	s_mov_b32 s0, exec_lo
	v_cndmask_b32_e32 v3, v3, v1, vcc_lo
	v_cndmask_b32_e32 v4, v4, v2, vcc_lo
	v_cndmask_b32_e64 v5, v5, 1, s1
	v_cndmask_b32_e64 v1, v1, v3, s1
	;; [unrolled: 1-line block ×3, first 2 shown]
	ds_bpermute_b32 v7, v6, v5 offset:124
	ds_bpermute_b32 v1, v6, v1 offset:124
	;; [unrolled: 1-line block ×3, first 2 shown]
	v_cmpx_eq_u32_e32 0, v8
	s_cbranch_execz .LBB485_252
; %bb.251:
	v_lshrrev_b32_e32 v3, 1, v0
	v_and_b32_e32 v3, 0x70, v3
	s_waitcnt lgkmcnt(2)
	ds_write_b8 v3, v7 offset:128
	s_waitcnt lgkmcnt(1)
	ds_write_b64 v3, v[1:2] offset:136
.LBB485_252:
	s_or_b32 exec_lo, exec_lo, s0
	s_mov_b32 s0, exec_lo
	s_waitcnt lgkmcnt(0)
	s_barrier
	buffer_gl0_inv
	v_cmpx_gt_u32_e32 32, v0
	s_cbranch_execz .LBB485_266
; %bb.253:
	v_and_b32_e32 v7, 7, v8
	v_lshlrev_b32_e32 v1, 4, v7
	v_cmp_ne_u32_e32 vcc_lo, 7, v7
	ds_read_u8 v10, v1 offset:128
	ds_read_b64 v[3:4], v1 offset:136
	v_add_co_ci_u32_e64 v2, null, 0, v8, vcc_lo
	v_lshlrev_b32_e32 v2, 2, v2
	s_waitcnt lgkmcnt(1)
	v_and_b32_e32 v1, 0xff, v10
	s_waitcnt lgkmcnt(0)
	ds_bpermute_b32 v5, v2, v3
	ds_bpermute_b32 v6, v2, v4
	;; [unrolled: 1-line block ×3, first 2 shown]
	s_waitcnt lgkmcnt(0)
	v_and_b32_e32 v1, v10, v11
	v_and_b32_e32 v1, 1, v1
	v_cmp_eq_u32_e32 vcc_lo, 1, v1
                                        ; implicit-def: $vgpr1_vgpr2
	s_and_saveexec_b32 s1, vcc_lo
	s_xor_b32 s1, exec_lo, s1
; %bb.254:
	v_cmp_lt_i64_e32 vcc_lo, v[5:6], v[3:4]
                                        ; implicit-def: $vgpr10
                                        ; implicit-def: $vgpr11
	v_cndmask_b32_e32 v2, v4, v6, vcc_lo
	v_cndmask_b32_e32 v1, v3, v5, vcc_lo
                                        ; implicit-def: $vgpr5_vgpr6
                                        ; implicit-def: $vgpr3_vgpr4
; %bb.255:
	s_or_saveexec_b32 s1, s1
	v_mov_b32_e32 v9, 1
	s_xor_b32 exec_lo, exec_lo, s1
; %bb.256:
	v_and_b32_e32 v1, 1, v10
	v_and_b32_e32 v9, 0xff, v11
	v_cmp_eq_u32_e32 vcc_lo, 1, v1
	v_cndmask_b32_e32 v2, v6, v4, vcc_lo
	v_cndmask_b32_e32 v1, v5, v3, vcc_lo
	v_cndmask_b32_e64 v9, v9, 1, vcc_lo
; %bb.257:
	s_or_b32 exec_lo, exec_lo, s1
	v_cmp_gt_u32_e32 vcc_lo, 6, v7
	v_cndmask_b32_e64 v3, 0, 2, vcc_lo
	v_add_lshl_u32 v3, v3, v8, 2
	ds_bpermute_b32 v7, v3, v9
	ds_bpermute_b32 v5, v3, v1
	;; [unrolled: 1-line block ×3, first 2 shown]
	s_waitcnt lgkmcnt(2)
	v_and_b32_e32 v3, v9, v7
	v_and_b32_e32 v3, 1, v3
	v_cmp_eq_u32_e32 vcc_lo, 1, v3
                                        ; implicit-def: $vgpr3_vgpr4
	s_and_saveexec_b32 s1, vcc_lo
	s_xor_b32 s1, exec_lo, s1
	s_cbranch_execz .LBB485_259
; %bb.258:
	s_waitcnt lgkmcnt(0)
	v_cmp_lt_i64_e32 vcc_lo, v[5:6], v[1:2]
                                        ; implicit-def: $vgpr9
                                        ; implicit-def: $vgpr7
	v_cndmask_b32_e32 v4, v2, v6, vcc_lo
	v_cndmask_b32_e32 v3, v1, v5, vcc_lo
                                        ; implicit-def: $vgpr5_vgpr6
                                        ; implicit-def: $vgpr1_vgpr2
.LBB485_259:
	s_or_saveexec_b32 s1, s1
	v_lshlrev_b32_e32 v10, 2, v8
	v_mov_b32_e32 v8, 1
	s_xor_b32 exec_lo, exec_lo, s1
	s_cbranch_execz .LBB485_261
; %bb.260:
	v_and_b32_e32 v3, 1, v9
	v_and_b32_e32 v7, 0xff, v7
	v_cmp_eq_u32_e32 vcc_lo, 1, v3
	s_waitcnt lgkmcnt(0)
	v_cndmask_b32_e32 v4, v6, v2, vcc_lo
	v_cndmask_b32_e32 v3, v5, v1, vcc_lo
	v_cndmask_b32_e64 v8, v7, 1, vcc_lo
.LBB485_261:
	s_or_b32 exec_lo, exec_lo, s1
	v_or_b32_e32 v1, 16, v10
	ds_bpermute_b32 v9, v1, v8
	s_waitcnt lgkmcnt(2)
	ds_bpermute_b32 v5, v1, v3
	s_waitcnt lgkmcnt(2)
	;; [unrolled: 2-line block ×3, first 2 shown]
	v_and_b32_e32 v1, v8, v9
	v_and_b32_e32 v1, 1, v1
	v_cmp_eq_u32_e32 vcc_lo, 1, v1
                                        ; implicit-def: $vgpr1_vgpr2
	s_and_saveexec_b32 s1, vcc_lo
	s_xor_b32 s1, exec_lo, s1
	s_cbranch_execz .LBB485_263
; %bb.262:
	s_waitcnt lgkmcnt(0)
	v_cmp_lt_i64_e32 vcc_lo, v[5:6], v[3:4]
                                        ; implicit-def: $vgpr8
                                        ; implicit-def: $vgpr9
	v_cndmask_b32_e32 v2, v4, v6, vcc_lo
	v_cndmask_b32_e32 v1, v3, v5, vcc_lo
                                        ; implicit-def: $vgpr5_vgpr6
                                        ; implicit-def: $vgpr3_vgpr4
.LBB485_263:
	s_or_saveexec_b32 s1, s1
	v_mov_b32_e32 v7, 1
	s_xor_b32 exec_lo, exec_lo, s1
	s_cbranch_execz .LBB485_265
; %bb.264:
	v_and_b32_e32 v1, 1, v8
	v_cmp_eq_u32_e32 vcc_lo, 1, v1
	s_waitcnt lgkmcnt(0)
	v_cndmask_b32_e32 v2, v6, v4, vcc_lo
	v_cndmask_b32_e32 v1, v5, v3, vcc_lo
	v_cndmask_b32_e64 v7, v9, 1, vcc_lo
.LBB485_265:
	s_or_b32 exec_lo, exec_lo, s1
.LBB485_266:
	s_or_b32 exec_lo, exec_lo, s0
	s_branch .LBB485_327
.LBB485_267:
                                        ; implicit-def: $vgpr3_vgpr4
                                        ; implicit-def: $vgpr5
                                        ; implicit-def: $vgpr1_vgpr2
	s_cbranch_execnz .LBB485_332
	s_branch .LBB485_356
.LBB485_268:
                                        ; implicit-def: $vgpr3_vgpr4
                                        ; implicit-def: $vgpr5
                                        ; implicit-def: $vgpr1_vgpr2
	s_branch .LBB485_356
.LBB485_269:
                                        ; implicit-def: $vgpr1_vgpr2
                                        ; implicit-def: $vgpr7
	s_cbranch_execz .LBB485_327
; %bb.270:
	s_waitcnt lgkmcnt(0)
	v_mov_b32_e32 v3, 0
	v_mov_b32_e32 v1, 0
	;; [unrolled: 1-line block ×6, first 2 shown]
	s_sub_i32 s10, s14, s10
	s_mov_b32 s0, exec_lo
	v_cmpx_gt_u32_e64 s10, v0
	s_cbranch_execz .LBB485_272
; %bb.271:
	v_lshlrev_b32_e32 v1, 2, v0
	s_clause 0x1
	global_load_dword v6, v1, s[2:3]
	global_load_dword v7, v1, s[8:9]
	v_add_co_u32 v1, s1, s11, v0
	v_add_co_ci_u32_e64 v2, null, s23, 0, s1
	s_waitcnt vmcnt(0)
	v_cmp_ne_u32_e32 vcc_lo, v6, v7
	v_cndmask_b32_e64 v6, 0, 1, vcc_lo
.LBB485_272:
	s_or_b32 exec_lo, exec_lo, s0
	v_or_b32_e32 v7, 0x100, v0
	v_cmp_gt_u32_e32 vcc_lo, s10, v7
	s_and_saveexec_b32 s1, vcc_lo
	s_cbranch_execz .LBB485_274
; %bb.273:
	v_lshlrev_b32_e32 v3, 2, v0
	s_clause 0x1
	global_load_dword v5, v3, s[2:3] offset:1024
	global_load_dword v8, v3, s[8:9] offset:1024
	v_add_co_u32 v3, s0, s11, v7
	v_add_co_ci_u32_e64 v4, null, s23, 0, s0
	s_waitcnt vmcnt(0)
	v_cmp_ne_u32_e64 s0, v5, v8
	v_cndmask_b32_e64 v5, 0, 1, s0
.LBB485_274:
	s_or_b32 exec_lo, exec_lo, s1
	v_and_b32_e32 v7, 1, v5
	v_cmp_lt_i64_e64 s0, v[3:4], v[1:2]
	v_and_b32_e32 v8, 0xffff, v5
	v_mbcnt_lo_u32_b32 v5, -1, 0
	v_cmp_eq_u32_e64 s1, 1, v7
	v_and_b32_e32 v7, 0xffff, v6
	v_and_b32_e32 v6, 1, v6
	s_and_b32 s0, s1, s0
	v_cmp_ne_u32_e64 s1, 31, v5
	v_cndmask_b32_e64 v9, v2, v4, s0
	v_cndmask_b32_e64 v10, v1, v3, s0
	v_cmp_eq_u32_e64 s0, 1, v6
	v_cndmask_b32_e64 v6, v8, 1, s0
	v_add_co_ci_u32_e64 v8, null, 0, v5, s1
	v_cndmask_b32_e64 v3, v3, v10, s0
	v_cndmask_b32_e64 v4, v4, v9, s0
	v_cndmask_b32_e32 v7, v7, v6, vcc_lo
	v_lshlrev_b32_e32 v6, 2, v8
	s_min_u32 s0, s10, 0x100
	v_cndmask_b32_e32 v1, v1, v3, vcc_lo
	v_cndmask_b32_e32 v2, v2, v4, vcc_lo
	v_add_nc_u32_e32 v9, 1, v5
	ds_bpermute_b32 v8, v6, v7
	s_mov_b32 s1, exec_lo
	ds_bpermute_b32 v3, v6, v1
	ds_bpermute_b32 v4, v6, v2
	v_and_b32_e32 v6, 0xe0, v0
	v_sub_nc_u32_e64 v6, s0, v6 clamp
	v_cmpx_lt_u32_e64 v9, v6
	s_cbranch_execz .LBB485_280
; %bb.275:
	s_waitcnt lgkmcnt(2)
	v_and_b32_e32 v9, v7, v8
	s_mov_b32 s2, exec_lo
	v_cmpx_ne_u32_e32 0, v9
	s_xor_b32 s2, exec_lo, s2
	s_cbranch_execz .LBB485_277
; %bb.276:
	s_waitcnt lgkmcnt(0)
	v_cmp_lt_i64_e32 vcc_lo, v[3:4], v[1:2]
                                        ; implicit-def: $vgpr7
                                        ; implicit-def: $vgpr8
	v_cndmask_b32_e32 v2, v2, v4, vcc_lo
	v_cndmask_b32_e32 v1, v1, v3, vcc_lo
                                        ; implicit-def: $vgpr3_vgpr4
.LBB485_277:
	s_or_saveexec_b32 s2, s2
	v_mov_b32_e32 v9, 1
	s_xor_b32 exec_lo, exec_lo, s2
	s_cbranch_execz .LBB485_279
; %bb.278:
	v_and_b32_e32 v7, 1, v7
	v_cmp_eq_u32_e32 vcc_lo, 1, v7
	v_and_b32_e32 v7, 0xff, v8
	s_waitcnt lgkmcnt(0)
	v_cndmask_b32_e32 v2, v4, v2, vcc_lo
	v_cndmask_b32_e32 v1, v3, v1, vcc_lo
	v_cndmask_b32_e64 v9, v7, 1, vcc_lo
.LBB485_279:
	s_or_b32 exec_lo, exec_lo, s2
	v_mov_b32_e32 v7, v9
.LBB485_280:
	s_or_b32 exec_lo, exec_lo, s1
	v_cmp_gt_u32_e32 vcc_lo, 30, v5
	v_add_nc_u32_e32 v9, 2, v5
	s_mov_b32 s1, exec_lo
	s_waitcnt lgkmcnt(1)
	v_cndmask_b32_e64 v3, 0, 2, vcc_lo
	s_waitcnt lgkmcnt(0)
	v_add_lshl_u32 v4, v3, v5, 2
	ds_bpermute_b32 v8, v4, v7
	ds_bpermute_b32 v3, v4, v1
	ds_bpermute_b32 v4, v4, v2
	v_cmpx_lt_u32_e64 v9, v6
	s_cbranch_execz .LBB485_286
; %bb.281:
	s_waitcnt lgkmcnt(2)
	v_and_b32_e32 v9, v7, v8
	s_mov_b32 s2, exec_lo
	v_and_b32_e32 v9, 1, v9
	v_cmpx_eq_u32_e32 1, v9
	s_xor_b32 s2, exec_lo, s2
	s_cbranch_execz .LBB485_283
; %bb.282:
	s_waitcnt lgkmcnt(0)
	v_cmp_lt_i64_e32 vcc_lo, v[3:4], v[1:2]
                                        ; implicit-def: $vgpr7
                                        ; implicit-def: $vgpr8
	v_cndmask_b32_e32 v2, v2, v4, vcc_lo
	v_cndmask_b32_e32 v1, v1, v3, vcc_lo
                                        ; implicit-def: $vgpr3_vgpr4
.LBB485_283:
	s_or_saveexec_b32 s2, s2
	v_mov_b32_e32 v9, 1
	s_xor_b32 exec_lo, exec_lo, s2
	s_cbranch_execz .LBB485_285
; %bb.284:
	v_and_b32_e32 v7, 1, v7
	v_cmp_eq_u32_e32 vcc_lo, 1, v7
	v_and_b32_e32 v7, 0xff, v8
	s_waitcnt lgkmcnt(0)
	v_cndmask_b32_e32 v2, v4, v2, vcc_lo
	v_cndmask_b32_e32 v1, v3, v1, vcc_lo
	v_cndmask_b32_e64 v9, v7, 1, vcc_lo
.LBB485_285:
	s_or_b32 exec_lo, exec_lo, s2
	v_mov_b32_e32 v7, v9
.LBB485_286:
	s_or_b32 exec_lo, exec_lo, s1
	v_cmp_gt_u32_e32 vcc_lo, 28, v5
	v_add_nc_u32_e32 v9, 4, v5
	s_mov_b32 s1, exec_lo
	s_waitcnt lgkmcnt(1)
	v_cndmask_b32_e64 v3, 0, 4, vcc_lo
	s_waitcnt lgkmcnt(0)
	v_add_lshl_u32 v4, v3, v5, 2
	ds_bpermute_b32 v8, v4, v7
	ds_bpermute_b32 v3, v4, v1
	ds_bpermute_b32 v4, v4, v2
	v_cmpx_lt_u32_e64 v9, v6
	s_cbranch_execz .LBB485_292
; %bb.287:
	s_waitcnt lgkmcnt(2)
	v_and_b32_e32 v9, v7, v8
	s_mov_b32 s2, exec_lo
	v_and_b32_e32 v9, 1, v9
	v_cmpx_eq_u32_e32 1, v9
	s_xor_b32 s2, exec_lo, s2
	s_cbranch_execz .LBB485_289
; %bb.288:
	s_waitcnt lgkmcnt(0)
	v_cmp_lt_i64_e32 vcc_lo, v[3:4], v[1:2]
                                        ; implicit-def: $vgpr7
                                        ; implicit-def: $vgpr8
	v_cndmask_b32_e32 v2, v2, v4, vcc_lo
	v_cndmask_b32_e32 v1, v1, v3, vcc_lo
                                        ; implicit-def: $vgpr3_vgpr4
.LBB485_289:
	s_or_saveexec_b32 s2, s2
	v_mov_b32_e32 v9, 1
	s_xor_b32 exec_lo, exec_lo, s2
	s_cbranch_execz .LBB485_291
; %bb.290:
	v_and_b32_e32 v7, 1, v7
	v_cmp_eq_u32_e32 vcc_lo, 1, v7
	v_and_b32_e32 v7, 0xff, v8
	s_waitcnt lgkmcnt(0)
	v_cndmask_b32_e32 v2, v4, v2, vcc_lo
	v_cndmask_b32_e32 v1, v3, v1, vcc_lo
	v_cndmask_b32_e64 v9, v7, 1, vcc_lo
.LBB485_291:
	s_or_b32 exec_lo, exec_lo, s2
	v_mov_b32_e32 v7, v9
.LBB485_292:
	;; [unrolled: 46-line block ×3, first 2 shown]
	s_or_b32 exec_lo, exec_lo, s1
	s_waitcnt lgkmcnt(2)
	v_lshlrev_b32_e32 v8, 2, v5
	v_add_nc_u32_e32 v10, 16, v5
	s_waitcnt lgkmcnt(0)
	v_or_b32_e32 v4, 64, v8
	v_cmp_lt_u32_e32 vcc_lo, v10, v6
	v_mov_b32_e32 v6, v7
	ds_bpermute_b32 v9, v4, v7
	ds_bpermute_b32 v3, v4, v1
	;; [unrolled: 1-line block ×3, first 2 shown]
	s_and_saveexec_b32 s1, vcc_lo
	s_cbranch_execz .LBB485_304
; %bb.299:
	s_waitcnt lgkmcnt(2)
	v_and_b32_e32 v6, v7, v9
	s_mov_b32 s2, exec_lo
	v_and_b32_e32 v6, 1, v6
	v_cmpx_eq_u32_e32 1, v6
	s_xor_b32 s2, exec_lo, s2
	s_cbranch_execz .LBB485_301
; %bb.300:
	s_waitcnt lgkmcnt(0)
	v_cmp_lt_i64_e32 vcc_lo, v[3:4], v[1:2]
                                        ; implicit-def: $vgpr7
                                        ; implicit-def: $vgpr9
	v_cndmask_b32_e32 v2, v2, v4, vcc_lo
	v_cndmask_b32_e32 v1, v1, v3, vcc_lo
                                        ; implicit-def: $vgpr3_vgpr4
.LBB485_301:
	s_or_saveexec_b32 s2, s2
	v_mov_b32_e32 v6, 1
	s_xor_b32 exec_lo, exec_lo, s2
	s_cbranch_execz .LBB485_303
; %bb.302:
	v_and_b32_e32 v6, 1, v7
	v_cmp_eq_u32_e32 vcc_lo, 1, v6
	v_cndmask_b32_e64 v6, v9, 1, vcc_lo
	s_waitcnt lgkmcnt(0)
	v_cndmask_b32_e32 v2, v4, v2, vcc_lo
	v_cndmask_b32_e32 v1, v3, v1, vcc_lo
.LBB485_303:
	s_or_b32 exec_lo, exec_lo, s2
	v_and_b32_e32 v7, 0xff, v6
.LBB485_304:
	s_or_b32 exec_lo, exec_lo, s1
	s_mov_b32 s1, exec_lo
	v_cmpx_eq_u32_e32 0, v5
	s_cbranch_execz .LBB485_306
; %bb.305:
	s_waitcnt lgkmcnt(1)
	v_lshrrev_b32_e32 v3, 1, v0
	v_and_b32_e32 v3, 0x70, v3
	ds_write_b8 v3, v6 offset:512
	ds_write_b64 v3, v[1:2] offset:520
.LBB485_306:
	s_or_b32 exec_lo, exec_lo, s1
	s_mov_b32 s1, exec_lo
	s_waitcnt lgkmcnt(0)
	s_barrier
	buffer_gl0_inv
	v_cmpx_gt_u32_e32 8, v0
	s_cbranch_execz .LBB485_326
; %bb.307:
	v_lshlrev_b32_e32 v1, 4, v5
	v_and_b32_e32 v6, 7, v5
	s_add_i32 s0, s0, 31
	s_mov_b32 s2, exec_lo
	s_lshr_b32 s0, s0, 5
	ds_read_u8 v9, v1 offset:512
	ds_read_b64 v[1:2], v1 offset:520
	v_cmp_ne_u32_e32 vcc_lo, 7, v6
	v_add_nc_u32_e32 v11, 1, v6
	v_add_co_ci_u32_e64 v3, null, 0, v5, vcc_lo
	v_lshlrev_b32_e32 v4, 2, v3
	s_waitcnt lgkmcnt(1)
	v_and_b32_e32 v7, 0xff, v9
	s_waitcnt lgkmcnt(0)
	ds_bpermute_b32 v3, v4, v1
	ds_bpermute_b32 v10, v4, v7
	;; [unrolled: 1-line block ×3, first 2 shown]
	v_cmpx_gt_u32_e64 s0, v11
	s_cbranch_execz .LBB485_313
; %bb.308:
	s_waitcnt lgkmcnt(1)
	v_and_b32_e32 v7, v7, v10
	s_mov_b32 s3, exec_lo
	v_and_b32_e32 v7, 1, v7
	v_cmpx_eq_u32_e32 1, v7
	s_xor_b32 s3, exec_lo, s3
	s_cbranch_execz .LBB485_310
; %bb.309:
	s_waitcnt lgkmcnt(0)
	v_cmp_lt_i64_e32 vcc_lo, v[3:4], v[1:2]
                                        ; implicit-def: $vgpr9
                                        ; implicit-def: $vgpr10
	v_cndmask_b32_e32 v2, v2, v4, vcc_lo
	v_cndmask_b32_e32 v1, v1, v3, vcc_lo
                                        ; implicit-def: $vgpr3_vgpr4
.LBB485_310:
	s_or_saveexec_b32 s3, s3
	v_mov_b32_e32 v7, 1
	s_xor_b32 exec_lo, exec_lo, s3
	s_cbranch_execz .LBB485_312
; %bb.311:
	v_and_b32_e32 v7, 1, v9
	v_cmp_eq_u32_e32 vcc_lo, 1, v7
	v_and_b32_e32 v7, 0xff, v10
	s_waitcnt lgkmcnt(0)
	v_cndmask_b32_e32 v2, v4, v2, vcc_lo
	v_cndmask_b32_e32 v1, v3, v1, vcc_lo
	v_cndmask_b32_e64 v7, v7, 1, vcc_lo
.LBB485_312:
	s_or_b32 exec_lo, exec_lo, s3
.LBB485_313:
	s_or_b32 exec_lo, exec_lo, s2
	v_cmp_gt_u32_e32 vcc_lo, 6, v6
	v_add_nc_u32_e32 v9, 2, v6
	s_mov_b32 s2, exec_lo
	s_waitcnt lgkmcnt(2)
	v_cndmask_b32_e64 v3, 0, 2, vcc_lo
	s_waitcnt lgkmcnt(0)
	v_add_lshl_u32 v4, v3, v5, 2
	ds_bpermute_b32 v5, v4, v7
	ds_bpermute_b32 v3, v4, v1
	;; [unrolled: 1-line block ×3, first 2 shown]
	v_cmpx_gt_u32_e64 s0, v9
	s_cbranch_execz .LBB485_319
; %bb.314:
	s_waitcnt lgkmcnt(2)
	v_and_b32_e32 v9, v7, v5
	s_mov_b32 s3, exec_lo
	v_and_b32_e32 v9, 1, v9
	v_cmpx_eq_u32_e32 1, v9
	s_xor_b32 s3, exec_lo, s3
	s_cbranch_execz .LBB485_316
; %bb.315:
	s_waitcnt lgkmcnt(0)
	v_cmp_lt_i64_e32 vcc_lo, v[3:4], v[1:2]
                                        ; implicit-def: $vgpr7
                                        ; implicit-def: $vgpr5
	v_cndmask_b32_e32 v2, v2, v4, vcc_lo
	v_cndmask_b32_e32 v1, v1, v3, vcc_lo
                                        ; implicit-def: $vgpr3_vgpr4
.LBB485_316:
	s_or_saveexec_b32 s3, s3
	v_mov_b32_e32 v9, 1
	s_xor_b32 exec_lo, exec_lo, s3
	s_cbranch_execz .LBB485_318
; %bb.317:
	v_and_b32_e32 v7, 1, v7
	v_and_b32_e32 v5, 0xff, v5
	v_cmp_eq_u32_e32 vcc_lo, 1, v7
	s_waitcnt lgkmcnt(0)
	v_cndmask_b32_e32 v2, v4, v2, vcc_lo
	v_cndmask_b32_e32 v1, v3, v1, vcc_lo
	v_cndmask_b32_e64 v9, v5, 1, vcc_lo
.LBB485_318:
	s_or_b32 exec_lo, exec_lo, s3
	v_mov_b32_e32 v7, v9
.LBB485_319:
	s_or_b32 exec_lo, exec_lo, s2
	s_waitcnt lgkmcnt(0)
	v_or_b32_e32 v4, 16, v8
	v_add_nc_u32_e32 v6, 4, v6
	ds_bpermute_b32 v5, v4, v7
	ds_bpermute_b32 v3, v4, v1
	;; [unrolled: 1-line block ×3, first 2 shown]
	v_cmp_gt_u32_e32 vcc_lo, s0, v6
	s_and_saveexec_b32 s0, vcc_lo
	s_cbranch_execz .LBB485_325
; %bb.320:
	s_waitcnt lgkmcnt(2)
	v_and_b32_e32 v6, v7, v5
	s_mov_b32 s2, exec_lo
	v_and_b32_e32 v6, 1, v6
	v_cmpx_eq_u32_e32 1, v6
	s_xor_b32 s2, exec_lo, s2
	s_cbranch_execz .LBB485_322
; %bb.321:
	s_waitcnt lgkmcnt(0)
	v_cmp_lt_i64_e32 vcc_lo, v[3:4], v[1:2]
                                        ; implicit-def: $vgpr7
                                        ; implicit-def: $vgpr5
	v_cndmask_b32_e32 v2, v2, v4, vcc_lo
	v_cndmask_b32_e32 v1, v1, v3, vcc_lo
                                        ; implicit-def: $vgpr3_vgpr4
.LBB485_322:
	s_or_saveexec_b32 s2, s2
	v_mov_b32_e32 v6, 1
	s_xor_b32 exec_lo, exec_lo, s2
	s_cbranch_execz .LBB485_324
; %bb.323:
	v_and_b32_e32 v6, 1, v7
	v_cmp_eq_u32_e32 vcc_lo, 1, v6
	s_waitcnt lgkmcnt(0)
	v_cndmask_b32_e32 v2, v4, v2, vcc_lo
	v_cndmask_b32_e32 v1, v3, v1, vcc_lo
	v_cndmask_b32_e64 v6, v5, 1, vcc_lo
.LBB485_324:
	s_or_b32 exec_lo, exec_lo, s2
	v_mov_b32_e32 v7, v6
.LBB485_325:
	s_or_b32 exec_lo, exec_lo, s0
.LBB485_326:
	s_or_b32 exec_lo, exec_lo, s1
.LBB485_327:
                                        ; implicit-def: $vgpr3_vgpr4
                                        ; implicit-def: $vgpr5
	s_mov_b32 s0, exec_lo
	v_cmpx_eq_u32_e32 0, v0
	s_xor_b32 s2, exec_lo, s0
	s_cbranch_execz .LBB485_331
; %bb.328:
	s_waitcnt lgkmcnt(0)
	v_mov_b32_e32 v3, s20
	v_mov_b32_e32 v4, s21
	;; [unrolled: 1-line block ×3, first 2 shown]
	s_cmp_eq_u64 s[14:15], 0
	s_cbranch_scc1 .LBB485_330
; %bb.329:
	v_and_b32_e32 v3, 1, v7
	v_cmp_gt_i64_e32 vcc_lo, s[20:21], v[1:2]
	s_bitcmp1_b32 s24, 0
	s_cselect_b32 s1, -1, 0
	v_cmp_eq_u32_e64 s0, 1, v3
	v_cndmask_b32_e64 v5, v7, 1, s1
	s_and_b32 vcc_lo, s0, vcc_lo
	v_cndmask_b32_e32 v3, s20, v1, vcc_lo
	v_cndmask_b32_e32 v4, s21, v2, vcc_lo
	v_cndmask_b32_e64 v3, v1, v3, s1
	v_cndmask_b32_e64 v4, v2, v4, s1
.LBB485_330:
	s_or_b32 s22, s22, exec_lo
.LBB485_331:
	s_or_b32 exec_lo, exec_lo, s2
	v_mov_b32_e32 v1, s6
	v_mov_b32_e32 v2, s7
	s_branch .LBB485_356
.LBB485_332:
	s_cmp_eq_u32 s25, 1
	s_cbranch_scc0 .LBB485_355
; %bb.333:
	s_mov_b32 s3, 0
	s_lshr_b64 s[0:1], s[14:15], 8
	s_mov_b32 s7, s3
	s_lshl_b32 s2, s6, 8
	s_cmp_lg_u64 s[0:1], s[6:7]
	s_cbranch_scc0 .LBB485_359
; %bb.334:
	s_lshl_b64 s[0:1], s[2:3], 2
	v_lshlrev_b32_e32 v1, 2, v0
	s_add_u32 s8, s16, s0
	s_addc_u32 s9, s17, s1
	s_add_u32 s0, s18, s0
	s_addc_u32 s1, s19, s1
	s_waitcnt lgkmcnt(0)
	s_clause 0x1
	global_load_dword v4, v1, s[8:9]
	global_load_dword v5, v1, s[0:1]
	s_add_u32 s0, s12, s2
	s_addc_u32 s1, s13, 0
	v_add_co_u32 v1, s0, s0, v0
	v_add_co_ci_u32_e64 v2, null, s1, 0, s0
                                        ; implicit-def: $vgpr7
	v_mov_b32_dpp v3, v1 quad_perm:[1,0,3,2] row_mask:0xf bank_mask:0xf
	s_waitcnt vmcnt(0)
	v_cmp_ne_u32_e32 vcc_lo, v4, v5
	v_mov_b32_dpp v4, v2 quad_perm:[1,0,3,2] row_mask:0xf bank_mask:0xf
	v_cndmask_b32_e64 v5, 0, 1, vcc_lo
	v_cmp_lt_i64_e64 s0, v[1:2], v[3:4]
	v_mov_b32_dpp v5, v5 quad_perm:[1,0,3,2] row_mask:0xf bank_mask:0xf
	s_and_b32 s0, vcc_lo, s0
	v_cndmask_b32_e64 v3, v3, v1, s0
	v_and_b32_e32 v5, 1, v5
	v_cndmask_b32_e64 v4, v4, v2, s0
	v_cmp_eq_u32_e64 s0, 1, v5
	s_or_b32 s1, s0, vcc_lo
	v_cndmask_b32_e64 v4, v2, v4, s0
	v_cndmask_b32_e64 v2, 0, 1, s1
	;; [unrolled: 1-line block ×3, first 2 shown]
	v_mov_b32_dpp v6, v4 quad_perm:[2,3,0,1] row_mask:0xf bank_mask:0xf
	v_mov_b32_dpp v2, v2 quad_perm:[2,3,0,1] row_mask:0xf bank_mask:0xf
	;; [unrolled: 1-line block ×3, first 2 shown]
	v_and_b32_e32 v2, 1, v2
	v_cmp_eq_u32_e32 vcc_lo, 1, v2
                                        ; implicit-def: $vgpr1_vgpr2
	s_and_b32 s0, vcc_lo, s1
	s_xor_b32 s0, s0, -1
	s_and_saveexec_b32 s8, s0
	s_xor_b32 s0, exec_lo, s8
; %bb.335:
	s_or_b32 s1, vcc_lo, s1
	v_cndmask_b32_e32 v2, v4, v6, vcc_lo
	v_cndmask_b32_e32 v1, v3, v5, vcc_lo
	v_cndmask_b32_e64 v7, 0, 1, s1
                                        ; implicit-def: $vgpr3_vgpr4
                                        ; implicit-def: $vgpr5_vgpr6
; %bb.336:
	s_andn2_saveexec_b32 s0, s0
; %bb.337:
	v_cmp_lt_i64_e32 vcc_lo, v[3:4], v[5:6]
	v_mov_b32_e32 v7, 1
	v_cndmask_b32_e32 v2, v6, v4, vcc_lo
	v_cndmask_b32_e32 v1, v5, v3, vcc_lo
; %bb.338:
	s_or_b32 exec_lo, exec_lo, s0
	v_mov_b32_dpp v3, v1 row_ror:4 row_mask:0xf bank_mask:0xf
	v_mov_b32_dpp v4, v2 row_ror:4 row_mask:0xf bank_mask:0xf
	v_and_b32_e32 v6, 1, v7
	v_mov_b32_dpp v5, v7 row_ror:4 row_mask:0xf bank_mask:0xf
	v_mbcnt_lo_u32_b32 v8, -1, 0
	v_cmp_lt_i64_e32 vcc_lo, v[1:2], v[3:4]
	v_cmp_eq_u32_e64 s0, 1, v6
	v_and_b32_e32 v5, 1, v5
	s_and_b32 vcc_lo, s0, vcc_lo
	v_cmp_eq_u32_e64 s1, 1, v5
	v_cndmask_b32_e32 v3, v3, v1, vcc_lo
	v_cndmask_b32_e32 v4, v4, v2, vcc_lo
	v_cndmask_b32_e64 v5, v7, 1, s1
	v_cndmask_b32_e64 v1, v1, v3, s1
	;; [unrolled: 1-line block ×3, first 2 shown]
	v_and_b32_e32 v7, 1, v5
	v_mov_b32_dpp v3, v1 row_ror:8 row_mask:0xf bank_mask:0xf
	v_mov_b32_dpp v4, v2 row_ror:8 row_mask:0xf bank_mask:0xf
	;; [unrolled: 1-line block ×3, first 2 shown]
	v_cmp_eq_u32_e64 s0, 1, v7
	v_cmp_lt_i64_e32 vcc_lo, v[1:2], v[3:4]
	v_and_b32_e32 v6, 1, v6
	v_cmp_eq_u32_e64 s1, 1, v6
	s_and_b32 vcc_lo, s0, vcc_lo
	v_cndmask_b32_e32 v3, v3, v1, vcc_lo
	v_cndmask_b32_e32 v4, v4, v2, vcc_lo
	v_cndmask_b32_e64 v5, v5, 1, s1
	v_cndmask_b32_e64 v1, v1, v3, s1
	v_cndmask_b32_e64 v2, v2, v4, s1
	ds_swizzle_b32 v6, v5 offset:swizzle(BROADCAST,32,15)
	v_and_b32_e32 v7, 1, v5
	ds_swizzle_b32 v3, v1 offset:swizzle(BROADCAST,32,15)
	ds_swizzle_b32 v4, v2 offset:swizzle(BROADCAST,32,15)
	v_cmp_eq_u32_e64 s0, 1, v7
	s_waitcnt lgkmcnt(2)
	v_and_b32_e32 v6, 1, v6
	s_waitcnt lgkmcnt(0)
	v_cmp_lt_i64_e32 vcc_lo, v[1:2], v[3:4]
	v_cmp_eq_u32_e64 s1, 1, v6
	v_mov_b32_e32 v6, 0
	s_and_b32 vcc_lo, s0, vcc_lo
	v_cndmask_b32_e64 v5, v5, 1, s1
	v_cndmask_b32_e32 v3, v3, v1, vcc_lo
	v_cndmask_b32_e32 v4, v4, v2, vcc_lo
	s_mov_b32 s0, exec_lo
	ds_bpermute_b32 v7, v6, v5 offset:124
	v_cndmask_b32_e64 v1, v1, v3, s1
	v_cndmask_b32_e64 v2, v2, v4, s1
	ds_bpermute_b32 v1, v6, v1 offset:124
	ds_bpermute_b32 v2, v6, v2 offset:124
	v_cmpx_eq_u32_e32 0, v8
	s_cbranch_execz .LBB485_340
; %bb.339:
	v_lshrrev_b32_e32 v3, 1, v0
	v_and_b32_e32 v3, 0x70, v3
	s_waitcnt lgkmcnt(2)
	ds_write_b8 v3, v7
	s_waitcnt lgkmcnt(1)
	ds_write_b64 v3, v[1:2] offset:8
.LBB485_340:
	s_or_b32 exec_lo, exec_lo, s0
	s_mov_b32 s0, exec_lo
	s_waitcnt lgkmcnt(0)
	s_barrier
	buffer_gl0_inv
	v_cmpx_gt_u32_e32 32, v0
	s_cbranch_execz .LBB485_354
; %bb.341:
	v_and_b32_e32 v7, 7, v8
	v_lshlrev_b32_e32 v1, 4, v7
	v_cmp_ne_u32_e32 vcc_lo, 7, v7
	ds_read_u8 v10, v1
	ds_read_b64 v[3:4], v1 offset:8
	v_add_co_ci_u32_e64 v2, null, 0, v8, vcc_lo
	v_lshlrev_b32_e32 v2, 2, v2
	s_waitcnt lgkmcnt(1)
	v_and_b32_e32 v1, 0xff, v10
	s_waitcnt lgkmcnt(0)
	ds_bpermute_b32 v5, v2, v3
	ds_bpermute_b32 v6, v2, v4
	;; [unrolled: 1-line block ×3, first 2 shown]
	s_waitcnt lgkmcnt(0)
	v_and_b32_e32 v1, v10, v11
	v_and_b32_e32 v1, 1, v1
	v_cmp_eq_u32_e32 vcc_lo, 1, v1
                                        ; implicit-def: $vgpr1_vgpr2
	s_and_saveexec_b32 s1, vcc_lo
	s_xor_b32 s1, exec_lo, s1
; %bb.342:
	v_cmp_lt_i64_e32 vcc_lo, v[5:6], v[3:4]
                                        ; implicit-def: $vgpr10
                                        ; implicit-def: $vgpr11
	v_cndmask_b32_e32 v2, v4, v6, vcc_lo
	v_cndmask_b32_e32 v1, v3, v5, vcc_lo
                                        ; implicit-def: $vgpr5_vgpr6
                                        ; implicit-def: $vgpr3_vgpr4
; %bb.343:
	s_or_saveexec_b32 s1, s1
	v_mov_b32_e32 v9, 1
	s_xor_b32 exec_lo, exec_lo, s1
; %bb.344:
	v_and_b32_e32 v1, 1, v10
	v_and_b32_e32 v9, 0xff, v11
	v_cmp_eq_u32_e32 vcc_lo, 1, v1
	v_cndmask_b32_e32 v2, v6, v4, vcc_lo
	v_cndmask_b32_e32 v1, v5, v3, vcc_lo
	v_cndmask_b32_e64 v9, v9, 1, vcc_lo
; %bb.345:
	s_or_b32 exec_lo, exec_lo, s1
	v_cmp_gt_u32_e32 vcc_lo, 6, v7
	v_cndmask_b32_e64 v3, 0, 2, vcc_lo
	v_add_lshl_u32 v3, v3, v8, 2
	ds_bpermute_b32 v7, v3, v9
	ds_bpermute_b32 v5, v3, v1
	;; [unrolled: 1-line block ×3, first 2 shown]
	s_waitcnt lgkmcnt(2)
	v_and_b32_e32 v3, v9, v7
	v_and_b32_e32 v3, 1, v3
	v_cmp_eq_u32_e32 vcc_lo, 1, v3
                                        ; implicit-def: $vgpr3_vgpr4
	s_and_saveexec_b32 s1, vcc_lo
	s_xor_b32 s1, exec_lo, s1
	s_cbranch_execz .LBB485_347
; %bb.346:
	s_waitcnt lgkmcnt(0)
	v_cmp_lt_i64_e32 vcc_lo, v[5:6], v[1:2]
                                        ; implicit-def: $vgpr9
                                        ; implicit-def: $vgpr7
	v_cndmask_b32_e32 v4, v2, v6, vcc_lo
	v_cndmask_b32_e32 v3, v1, v5, vcc_lo
                                        ; implicit-def: $vgpr5_vgpr6
                                        ; implicit-def: $vgpr1_vgpr2
.LBB485_347:
	s_or_saveexec_b32 s1, s1
	v_lshlrev_b32_e32 v10, 2, v8
	v_mov_b32_e32 v8, 1
	s_xor_b32 exec_lo, exec_lo, s1
	s_cbranch_execz .LBB485_349
; %bb.348:
	v_and_b32_e32 v3, 1, v9
	v_and_b32_e32 v7, 0xff, v7
	v_cmp_eq_u32_e32 vcc_lo, 1, v3
	s_waitcnt lgkmcnt(0)
	v_cndmask_b32_e32 v4, v6, v2, vcc_lo
	v_cndmask_b32_e32 v3, v5, v1, vcc_lo
	v_cndmask_b32_e64 v8, v7, 1, vcc_lo
.LBB485_349:
	s_or_b32 exec_lo, exec_lo, s1
	v_or_b32_e32 v1, 16, v10
	ds_bpermute_b32 v9, v1, v8
	s_waitcnt lgkmcnt(2)
	ds_bpermute_b32 v5, v1, v3
	s_waitcnt lgkmcnt(2)
	;; [unrolled: 2-line block ×3, first 2 shown]
	v_and_b32_e32 v1, v8, v9
	v_and_b32_e32 v1, 1, v1
	v_cmp_eq_u32_e32 vcc_lo, 1, v1
                                        ; implicit-def: $vgpr1_vgpr2
	s_and_saveexec_b32 s1, vcc_lo
	s_xor_b32 s1, exec_lo, s1
	s_cbranch_execz .LBB485_351
; %bb.350:
	s_waitcnt lgkmcnt(0)
	v_cmp_lt_i64_e32 vcc_lo, v[5:6], v[3:4]
                                        ; implicit-def: $vgpr8
                                        ; implicit-def: $vgpr9
	v_cndmask_b32_e32 v2, v4, v6, vcc_lo
	v_cndmask_b32_e32 v1, v3, v5, vcc_lo
                                        ; implicit-def: $vgpr5_vgpr6
                                        ; implicit-def: $vgpr3_vgpr4
.LBB485_351:
	s_or_saveexec_b32 s1, s1
	v_mov_b32_e32 v7, 1
	s_xor_b32 exec_lo, exec_lo, s1
	s_cbranch_execz .LBB485_353
; %bb.352:
	v_and_b32_e32 v1, 1, v8
	v_cmp_eq_u32_e32 vcc_lo, 1, v1
	s_waitcnt lgkmcnt(0)
	v_cndmask_b32_e32 v2, v6, v4, vcc_lo
	v_cndmask_b32_e32 v1, v5, v3, vcc_lo
	v_cndmask_b32_e64 v7, v9, 1, vcc_lo
.LBB485_353:
	s_or_b32 exec_lo, exec_lo, s1
.LBB485_354:
	s_or_b32 exec_lo, exec_lo, s0
	s_branch .LBB485_415
.LBB485_355:
                                        ; implicit-def: $vgpr3_vgpr4
                                        ; implicit-def: $vgpr5
                                        ; implicit-def: $vgpr1_vgpr2
.LBB485_356:
	s_and_saveexec_b32 s0, s22
	s_cbranch_execz .LBB485_358
.LBB485_357:
	s_load_dwordx2 s[0:1], s[4:5], 0x38
	v_lshlrev_b64 v[0:1], 4, v[1:2]
	s_waitcnt lgkmcnt(0)
	v_add_co_u32 v0, vcc_lo, s0, v0
	v_add_co_ci_u32_e64 v1, null, s1, v1, vcc_lo
	global_store_byte v[0:1], v5, off
	global_store_dwordx2 v[0:1], v[3:4], off offset:8
.LBB485_358:
	s_endpgm
.LBB485_359:
                                        ; implicit-def: $vgpr1_vgpr2
                                        ; implicit-def: $vgpr7
	s_cbranch_execz .LBB485_415
; %bb.360:
	v_mov_b32_e32 v1, 0
	v_mov_b32_e32 v2, 0
	;; [unrolled: 1-line block ×3, first 2 shown]
	s_sub_i32 s0, s14, s2
	s_mov_b32 s1, exec_lo
	v_cmpx_gt_u32_e64 s0, v0
	s_cbranch_execz .LBB485_362
; %bb.361:
	s_lshl_b64 s[8:9], s[2:3], 2
	v_lshlrev_b32_e32 v1, 2, v0
	s_add_u32 s10, s18, s8
	s_addc_u32 s11, s19, s9
	s_add_u32 s8, s16, s8
	s_addc_u32 s9, s17, s9
	s_add_u32 s2, s12, s2
	s_waitcnt lgkmcnt(1)
	global_load_dword v3, v1, s[8:9]
	s_waitcnt lgkmcnt(0)
	global_load_dword v4, v1, s[10:11]
	s_addc_u32 s3, s13, 0
	v_add_co_u32 v1, s2, s2, v0
	v_add_co_ci_u32_e64 v2, null, s3, 0, s2
	s_waitcnt vmcnt(0)
	v_cmp_ne_u32_e32 vcc_lo, v3, v4
	v_cndmask_b32_e64 v8, 0, 1, vcc_lo
.LBB485_362:
	s_or_b32 exec_lo, exec_lo, s1
	s_waitcnt lgkmcnt(1)
	v_mbcnt_lo_u32_b32 v5, -1, 0
	v_and_b32_e32 v7, 0xffff, v8
	s_waitcnt lgkmcnt(0)
	v_and_b32_e32 v6, 0xe0, v0
	s_min_u32 s0, s0, 0x100
	s_mov_b32 s1, exec_lo
	v_cmp_ne_u32_e32 vcc_lo, 31, v5
	v_add_nc_u32_e32 v10, 1, v5
	v_sub_nc_u32_e64 v6, s0, v6 clamp
	v_add_co_ci_u32_e64 v3, null, 0, v5, vcc_lo
	v_lshlrev_b32_e32 v4, 2, v3
	ds_bpermute_b32 v9, v4, v7
	ds_bpermute_b32 v3, v4, v1
	;; [unrolled: 1-line block ×3, first 2 shown]
	v_cmpx_lt_u32_e64 v10, v6
	s_cbranch_execz .LBB485_368
; %bb.363:
	s_waitcnt lgkmcnt(2)
	v_and_b32_e32 v7, v9, v7
	s_mov_b32 s2, exec_lo
	v_and_b32_e32 v7, 1, v7
	v_cmpx_eq_u32_e32 1, v7
	s_xor_b32 s2, exec_lo, s2
	s_cbranch_execz .LBB485_365
; %bb.364:
	s_waitcnt lgkmcnt(0)
	v_cmp_lt_i64_e32 vcc_lo, v[3:4], v[1:2]
                                        ; implicit-def: $vgpr8
                                        ; implicit-def: $vgpr9
	v_cndmask_b32_e32 v2, v2, v4, vcc_lo
	v_cndmask_b32_e32 v1, v1, v3, vcc_lo
                                        ; implicit-def: $vgpr3_vgpr4
.LBB485_365:
	s_or_saveexec_b32 s2, s2
	v_mov_b32_e32 v7, 1
	s_xor_b32 exec_lo, exec_lo, s2
	s_cbranch_execz .LBB485_367
; %bb.366:
	v_and_b32_e32 v7, 1, v8
	v_cmp_eq_u32_e32 vcc_lo, 1, v7
	v_and_b32_e32 v7, 0xff, v9
	s_waitcnt lgkmcnt(0)
	v_cndmask_b32_e32 v2, v4, v2, vcc_lo
	v_cndmask_b32_e32 v1, v3, v1, vcc_lo
	v_cndmask_b32_e64 v7, v7, 1, vcc_lo
.LBB485_367:
	s_or_b32 exec_lo, exec_lo, s2
.LBB485_368:
	s_or_b32 exec_lo, exec_lo, s1
	v_cmp_gt_u32_e32 vcc_lo, 30, v5
	s_waitcnt lgkmcnt(2)
	v_add_nc_u32_e32 v9, 2, v5
	s_mov_b32 s1, exec_lo
	s_waitcnt lgkmcnt(1)
	v_cndmask_b32_e64 v3, 0, 2, vcc_lo
	s_waitcnt lgkmcnt(0)
	v_add_lshl_u32 v4, v3, v5, 2
	ds_bpermute_b32 v8, v4, v7
	ds_bpermute_b32 v3, v4, v1
	;; [unrolled: 1-line block ×3, first 2 shown]
	v_cmpx_lt_u32_e64 v9, v6
	s_cbranch_execz .LBB485_374
; %bb.369:
	s_waitcnt lgkmcnt(2)
	v_and_b32_e32 v9, v7, v8
	s_mov_b32 s2, exec_lo
	v_and_b32_e32 v9, 1, v9
	v_cmpx_eq_u32_e32 1, v9
	s_xor_b32 s2, exec_lo, s2
	s_cbranch_execz .LBB485_371
; %bb.370:
	s_waitcnt lgkmcnt(0)
	v_cmp_lt_i64_e32 vcc_lo, v[3:4], v[1:2]
                                        ; implicit-def: $vgpr7
                                        ; implicit-def: $vgpr8
	v_cndmask_b32_e32 v2, v2, v4, vcc_lo
	v_cndmask_b32_e32 v1, v1, v3, vcc_lo
                                        ; implicit-def: $vgpr3_vgpr4
.LBB485_371:
	s_or_saveexec_b32 s2, s2
	v_mov_b32_e32 v9, 1
	s_xor_b32 exec_lo, exec_lo, s2
	s_cbranch_execz .LBB485_373
; %bb.372:
	v_and_b32_e32 v7, 1, v7
	v_cmp_eq_u32_e32 vcc_lo, 1, v7
	v_and_b32_e32 v7, 0xff, v8
	s_waitcnt lgkmcnt(0)
	v_cndmask_b32_e32 v2, v4, v2, vcc_lo
	v_cndmask_b32_e32 v1, v3, v1, vcc_lo
	v_cndmask_b32_e64 v9, v7, 1, vcc_lo
.LBB485_373:
	s_or_b32 exec_lo, exec_lo, s2
	v_mov_b32_e32 v7, v9
.LBB485_374:
	s_or_b32 exec_lo, exec_lo, s1
	v_cmp_gt_u32_e32 vcc_lo, 28, v5
	v_add_nc_u32_e32 v9, 4, v5
	s_mov_b32 s1, exec_lo
	s_waitcnt lgkmcnt(1)
	v_cndmask_b32_e64 v3, 0, 4, vcc_lo
	s_waitcnt lgkmcnt(0)
	v_add_lshl_u32 v4, v3, v5, 2
	ds_bpermute_b32 v8, v4, v7
	ds_bpermute_b32 v3, v4, v1
	;; [unrolled: 1-line block ×3, first 2 shown]
	v_cmpx_lt_u32_e64 v9, v6
	s_cbranch_execz .LBB485_380
; %bb.375:
	s_waitcnt lgkmcnt(2)
	v_and_b32_e32 v9, v7, v8
	s_mov_b32 s2, exec_lo
	v_and_b32_e32 v9, 1, v9
	v_cmpx_eq_u32_e32 1, v9
	s_xor_b32 s2, exec_lo, s2
	s_cbranch_execz .LBB485_377
; %bb.376:
	s_waitcnt lgkmcnt(0)
	v_cmp_lt_i64_e32 vcc_lo, v[3:4], v[1:2]
                                        ; implicit-def: $vgpr7
                                        ; implicit-def: $vgpr8
	v_cndmask_b32_e32 v2, v2, v4, vcc_lo
	v_cndmask_b32_e32 v1, v1, v3, vcc_lo
                                        ; implicit-def: $vgpr3_vgpr4
.LBB485_377:
	s_or_saveexec_b32 s2, s2
	v_mov_b32_e32 v9, 1
	s_xor_b32 exec_lo, exec_lo, s2
	s_cbranch_execz .LBB485_379
; %bb.378:
	v_and_b32_e32 v7, 1, v7
	v_cmp_eq_u32_e32 vcc_lo, 1, v7
	v_and_b32_e32 v7, 0xff, v8
	s_waitcnt lgkmcnt(0)
	v_cndmask_b32_e32 v2, v4, v2, vcc_lo
	v_cndmask_b32_e32 v1, v3, v1, vcc_lo
	v_cndmask_b32_e64 v9, v7, 1, vcc_lo
.LBB485_379:
	s_or_b32 exec_lo, exec_lo, s2
	v_mov_b32_e32 v7, v9
.LBB485_380:
	s_or_b32 exec_lo, exec_lo, s1
	v_cmp_gt_u32_e32 vcc_lo, 24, v5
	v_add_nc_u32_e32 v9, 8, v5
	s_mov_b32 s1, exec_lo
	s_waitcnt lgkmcnt(1)
	v_cndmask_b32_e64 v3, 0, 8, vcc_lo
	s_waitcnt lgkmcnt(0)
	v_add_lshl_u32 v4, v3, v5, 2
	ds_bpermute_b32 v8, v4, v7
	ds_bpermute_b32 v3, v4, v1
	;; [unrolled: 1-line block ×3, first 2 shown]
	v_cmpx_lt_u32_e64 v9, v6
	s_cbranch_execz .LBB485_386
; %bb.381:
	s_waitcnt lgkmcnt(2)
	v_and_b32_e32 v9, v7, v8
	s_mov_b32 s2, exec_lo
	v_and_b32_e32 v9, 1, v9
	v_cmpx_eq_u32_e32 1, v9
	s_xor_b32 s2, exec_lo, s2
	s_cbranch_execz .LBB485_383
; %bb.382:
	s_waitcnt lgkmcnt(0)
	v_cmp_lt_i64_e32 vcc_lo, v[3:4], v[1:2]
                                        ; implicit-def: $vgpr7
                                        ; implicit-def: $vgpr8
	v_cndmask_b32_e32 v2, v2, v4, vcc_lo
	v_cndmask_b32_e32 v1, v1, v3, vcc_lo
                                        ; implicit-def: $vgpr3_vgpr4
.LBB485_383:
	s_or_saveexec_b32 s2, s2
	v_mov_b32_e32 v9, 1
	s_xor_b32 exec_lo, exec_lo, s2
	s_cbranch_execz .LBB485_385
; %bb.384:
	v_and_b32_e32 v7, 1, v7
	v_cmp_eq_u32_e32 vcc_lo, 1, v7
	v_and_b32_e32 v7, 0xff, v8
	s_waitcnt lgkmcnt(0)
	v_cndmask_b32_e32 v2, v4, v2, vcc_lo
	v_cndmask_b32_e32 v1, v3, v1, vcc_lo
	v_cndmask_b32_e64 v9, v7, 1, vcc_lo
.LBB485_385:
	s_or_b32 exec_lo, exec_lo, s2
	v_mov_b32_e32 v7, v9
.LBB485_386:
	s_or_b32 exec_lo, exec_lo, s1
	s_waitcnt lgkmcnt(2)
	v_lshlrev_b32_e32 v8, 2, v5
	v_add_nc_u32_e32 v10, 16, v5
	s_waitcnt lgkmcnt(0)
	v_or_b32_e32 v4, 64, v8
	v_cmp_lt_u32_e32 vcc_lo, v10, v6
	v_mov_b32_e32 v6, v7
	ds_bpermute_b32 v9, v4, v7
	ds_bpermute_b32 v3, v4, v1
	ds_bpermute_b32 v4, v4, v2
	s_and_saveexec_b32 s1, vcc_lo
	s_cbranch_execz .LBB485_392
; %bb.387:
	s_waitcnt lgkmcnt(2)
	v_and_b32_e32 v6, v7, v9
	s_mov_b32 s2, exec_lo
	v_and_b32_e32 v6, 1, v6
	v_cmpx_eq_u32_e32 1, v6
	s_xor_b32 s2, exec_lo, s2
	s_cbranch_execz .LBB485_389
; %bb.388:
	s_waitcnt lgkmcnt(0)
	v_cmp_lt_i64_e32 vcc_lo, v[3:4], v[1:2]
                                        ; implicit-def: $vgpr7
                                        ; implicit-def: $vgpr9
	v_cndmask_b32_e32 v2, v2, v4, vcc_lo
	v_cndmask_b32_e32 v1, v1, v3, vcc_lo
                                        ; implicit-def: $vgpr3_vgpr4
.LBB485_389:
	s_or_saveexec_b32 s2, s2
	v_mov_b32_e32 v6, 1
	s_xor_b32 exec_lo, exec_lo, s2
	s_cbranch_execz .LBB485_391
; %bb.390:
	v_and_b32_e32 v6, 1, v7
	v_cmp_eq_u32_e32 vcc_lo, 1, v6
	v_cndmask_b32_e64 v6, v9, 1, vcc_lo
	s_waitcnt lgkmcnt(0)
	v_cndmask_b32_e32 v2, v4, v2, vcc_lo
	v_cndmask_b32_e32 v1, v3, v1, vcc_lo
.LBB485_391:
	s_or_b32 exec_lo, exec_lo, s2
	v_and_b32_e32 v7, 0xff, v6
.LBB485_392:
	s_or_b32 exec_lo, exec_lo, s1
	s_mov_b32 s1, exec_lo
	v_cmpx_eq_u32_e32 0, v5
	s_cbranch_execz .LBB485_394
; %bb.393:
	s_waitcnt lgkmcnt(1)
	v_lshrrev_b32_e32 v3, 1, v0
	v_and_b32_e32 v3, 0x70, v3
	ds_write_b8 v3, v6 offset:512
	ds_write_b64 v3, v[1:2] offset:520
.LBB485_394:
	s_or_b32 exec_lo, exec_lo, s1
	s_mov_b32 s1, exec_lo
	s_waitcnt lgkmcnt(0)
	s_barrier
	buffer_gl0_inv
	v_cmpx_gt_u32_e32 8, v0
	s_cbranch_execz .LBB485_414
; %bb.395:
	v_lshlrev_b32_e32 v1, 4, v5
	v_and_b32_e32 v6, 7, v5
	s_add_i32 s0, s0, 31
	s_mov_b32 s2, exec_lo
	s_lshr_b32 s0, s0, 5
	ds_read_u8 v9, v1 offset:512
	ds_read_b64 v[1:2], v1 offset:520
	v_cmp_ne_u32_e32 vcc_lo, 7, v6
	v_add_nc_u32_e32 v11, 1, v6
	v_add_co_ci_u32_e64 v3, null, 0, v5, vcc_lo
	v_lshlrev_b32_e32 v4, 2, v3
	s_waitcnt lgkmcnt(1)
	v_and_b32_e32 v7, 0xff, v9
	s_waitcnt lgkmcnt(0)
	ds_bpermute_b32 v3, v4, v1
	ds_bpermute_b32 v10, v4, v7
	;; [unrolled: 1-line block ×3, first 2 shown]
	v_cmpx_gt_u32_e64 s0, v11
	s_cbranch_execz .LBB485_401
; %bb.396:
	s_waitcnt lgkmcnt(1)
	v_and_b32_e32 v7, v7, v10
	s_mov_b32 s3, exec_lo
	v_and_b32_e32 v7, 1, v7
	v_cmpx_eq_u32_e32 1, v7
	s_xor_b32 s3, exec_lo, s3
	s_cbranch_execz .LBB485_398
; %bb.397:
	s_waitcnt lgkmcnt(0)
	v_cmp_lt_i64_e32 vcc_lo, v[3:4], v[1:2]
                                        ; implicit-def: $vgpr9
                                        ; implicit-def: $vgpr10
	v_cndmask_b32_e32 v2, v2, v4, vcc_lo
	v_cndmask_b32_e32 v1, v1, v3, vcc_lo
                                        ; implicit-def: $vgpr3_vgpr4
.LBB485_398:
	s_or_saveexec_b32 s3, s3
	v_mov_b32_e32 v7, 1
	s_xor_b32 exec_lo, exec_lo, s3
	s_cbranch_execz .LBB485_400
; %bb.399:
	v_and_b32_e32 v7, 1, v9
	v_cmp_eq_u32_e32 vcc_lo, 1, v7
	v_and_b32_e32 v7, 0xff, v10
	s_waitcnt lgkmcnt(0)
	v_cndmask_b32_e32 v2, v4, v2, vcc_lo
	v_cndmask_b32_e32 v1, v3, v1, vcc_lo
	v_cndmask_b32_e64 v7, v7, 1, vcc_lo
.LBB485_400:
	s_or_b32 exec_lo, exec_lo, s3
.LBB485_401:
	s_or_b32 exec_lo, exec_lo, s2
	v_cmp_gt_u32_e32 vcc_lo, 6, v6
	v_add_nc_u32_e32 v9, 2, v6
	s_mov_b32 s2, exec_lo
	s_waitcnt lgkmcnt(2)
	v_cndmask_b32_e64 v3, 0, 2, vcc_lo
	s_waitcnt lgkmcnt(0)
	v_add_lshl_u32 v4, v3, v5, 2
	ds_bpermute_b32 v5, v4, v7
	ds_bpermute_b32 v3, v4, v1
	;; [unrolled: 1-line block ×3, first 2 shown]
	v_cmpx_gt_u32_e64 s0, v9
	s_cbranch_execz .LBB485_407
; %bb.402:
	s_waitcnt lgkmcnt(2)
	v_and_b32_e32 v9, v7, v5
	s_mov_b32 s3, exec_lo
	v_and_b32_e32 v9, 1, v9
	v_cmpx_eq_u32_e32 1, v9
	s_xor_b32 s3, exec_lo, s3
	s_cbranch_execz .LBB485_404
; %bb.403:
	s_waitcnt lgkmcnt(0)
	v_cmp_lt_i64_e32 vcc_lo, v[3:4], v[1:2]
                                        ; implicit-def: $vgpr7
                                        ; implicit-def: $vgpr5
	v_cndmask_b32_e32 v2, v2, v4, vcc_lo
	v_cndmask_b32_e32 v1, v1, v3, vcc_lo
                                        ; implicit-def: $vgpr3_vgpr4
.LBB485_404:
	s_or_saveexec_b32 s3, s3
	v_mov_b32_e32 v9, 1
	s_xor_b32 exec_lo, exec_lo, s3
	s_cbranch_execz .LBB485_406
; %bb.405:
	v_and_b32_e32 v7, 1, v7
	v_and_b32_e32 v5, 0xff, v5
	v_cmp_eq_u32_e32 vcc_lo, 1, v7
	s_waitcnt lgkmcnt(0)
	v_cndmask_b32_e32 v2, v4, v2, vcc_lo
	v_cndmask_b32_e32 v1, v3, v1, vcc_lo
	v_cndmask_b32_e64 v9, v5, 1, vcc_lo
.LBB485_406:
	s_or_b32 exec_lo, exec_lo, s3
	v_mov_b32_e32 v7, v9
.LBB485_407:
	s_or_b32 exec_lo, exec_lo, s2
	s_waitcnt lgkmcnt(0)
	v_or_b32_e32 v4, 16, v8
	v_add_nc_u32_e32 v6, 4, v6
	ds_bpermute_b32 v5, v4, v7
	ds_bpermute_b32 v3, v4, v1
	;; [unrolled: 1-line block ×3, first 2 shown]
	v_cmp_gt_u32_e32 vcc_lo, s0, v6
	s_and_saveexec_b32 s0, vcc_lo
	s_cbranch_execz .LBB485_413
; %bb.408:
	s_waitcnt lgkmcnt(2)
	v_and_b32_e32 v6, v7, v5
	s_mov_b32 s2, exec_lo
	v_and_b32_e32 v6, 1, v6
	v_cmpx_eq_u32_e32 1, v6
	s_xor_b32 s2, exec_lo, s2
	s_cbranch_execz .LBB485_410
; %bb.409:
	s_waitcnt lgkmcnt(0)
	v_cmp_lt_i64_e32 vcc_lo, v[3:4], v[1:2]
                                        ; implicit-def: $vgpr7
                                        ; implicit-def: $vgpr5
	v_cndmask_b32_e32 v2, v2, v4, vcc_lo
	v_cndmask_b32_e32 v1, v1, v3, vcc_lo
                                        ; implicit-def: $vgpr3_vgpr4
.LBB485_410:
	s_or_saveexec_b32 s2, s2
	v_mov_b32_e32 v6, 1
	s_xor_b32 exec_lo, exec_lo, s2
	s_cbranch_execz .LBB485_412
; %bb.411:
	v_and_b32_e32 v6, 1, v7
	v_cmp_eq_u32_e32 vcc_lo, 1, v6
	s_waitcnt lgkmcnt(0)
	v_cndmask_b32_e32 v2, v4, v2, vcc_lo
	v_cndmask_b32_e32 v1, v3, v1, vcc_lo
	v_cndmask_b32_e64 v6, v5, 1, vcc_lo
.LBB485_412:
	s_or_b32 exec_lo, exec_lo, s2
	v_mov_b32_e32 v7, v6
.LBB485_413:
	s_or_b32 exec_lo, exec_lo, s0
.LBB485_414:
	s_or_b32 exec_lo, exec_lo, s1
.LBB485_415:
	s_mov_b32 s2, exec_lo
                                        ; implicit-def: $vgpr3_vgpr4
                                        ; implicit-def: $vgpr5
	v_cmpx_eq_u32_e32 0, v0
	s_cbranch_execz .LBB485_419
; %bb.416:
	s_waitcnt lgkmcnt(0)
	v_mov_b32_e32 v3, s20
	v_mov_b32_e32 v4, s21
	;; [unrolled: 1-line block ×3, first 2 shown]
	s_cmp_eq_u64 s[14:15], 0
	s_cbranch_scc1 .LBB485_418
; %bb.417:
	v_and_b32_e32 v0, 1, v7
	v_cmp_gt_i64_e32 vcc_lo, s[20:21], v[1:2]
	s_bitcmp1_b32 s24, 0
	s_cselect_b32 s1, -1, 0
	v_cmp_eq_u32_e64 s0, 1, v0
	v_cndmask_b32_e64 v5, v7, 1, s1
	s_and_b32 vcc_lo, s0, vcc_lo
	v_cndmask_b32_e32 v0, s20, v1, vcc_lo
	v_cndmask_b32_e32 v3, s21, v2, vcc_lo
	v_cndmask_b32_e64 v4, v2, v3, s1
	v_cndmask_b32_e64 v3, v1, v0, s1
.LBB485_418:
	s_or_b32 s22, s22, exec_lo
.LBB485_419:
	s_or_b32 exec_lo, exec_lo, s2
	v_mov_b32_e32 v1, s6
	v_mov_b32_e32 v2, s7
	s_and_saveexec_b32 s0, s22
	s_cbranch_execnz .LBB485_357
	s_branch .LBB485_358
	.section	.rodata,"a",@progbits
	.p2align	6, 0x0
	.amdhsa_kernel _ZN7rocprim17ROCPRIM_400000_NS6detail17trampoline_kernelINS0_14default_configENS1_22reduce_config_selectorIN6thrust23THRUST_200600_302600_NS5tupleIblNS6_9null_typeES8_S8_S8_S8_S8_S8_S8_EEEEZNS1_11reduce_implILb1ES3_NS6_12zip_iteratorINS7_INS6_11hip_rocprim26transform_input_iterator_tIbNSD_35transform_pair_of_input_iterators_tIbNS6_6detail15normal_iteratorINS6_10device_ptrIKiEEEESL_NS6_8equal_toIiEEEENSG_9not_fun_tINSD_8identityEEEEENSD_19counting_iterator_tIlEES8_S8_S8_S8_S8_S8_S8_S8_EEEEPS9_S9_NSD_9__find_if7functorIS9_EEEE10hipError_tPvRmT1_T2_T3_mT4_P12ihipStream_tbEUlT_E1_NS1_11comp_targetILNS1_3genE8ELNS1_11target_archE1030ELNS1_3gpuE2ELNS1_3repE0EEENS1_30default_config_static_selectorELNS0_4arch9wavefront6targetE0EEEvS14_
		.amdhsa_group_segment_fixed_size 640
		.amdhsa_private_segment_fixed_size 0
		.amdhsa_kernarg_size 88
		.amdhsa_user_sgpr_count 6
		.amdhsa_user_sgpr_private_segment_buffer 1
		.amdhsa_user_sgpr_dispatch_ptr 0
		.amdhsa_user_sgpr_queue_ptr 0
		.amdhsa_user_sgpr_kernarg_segment_ptr 1
		.amdhsa_user_sgpr_dispatch_id 0
		.amdhsa_user_sgpr_flat_scratch_init 0
		.amdhsa_user_sgpr_private_segment_size 0
		.amdhsa_wavefront_size32 1
		.amdhsa_uses_dynamic_stack 0
		.amdhsa_system_sgpr_private_segment_wavefront_offset 0
		.amdhsa_system_sgpr_workgroup_id_x 1
		.amdhsa_system_sgpr_workgroup_id_y 0
		.amdhsa_system_sgpr_workgroup_id_z 0
		.amdhsa_system_sgpr_workgroup_info 0
		.amdhsa_system_vgpr_workitem_id 0
		.amdhsa_next_free_vgpr 27
		.amdhsa_next_free_sgpr 32
		.amdhsa_reserve_vcc 1
		.amdhsa_reserve_flat_scratch 0
		.amdhsa_float_round_mode_32 0
		.amdhsa_float_round_mode_16_64 0
		.amdhsa_float_denorm_mode_32 3
		.amdhsa_float_denorm_mode_16_64 3
		.amdhsa_dx10_clamp 1
		.amdhsa_ieee_mode 1
		.amdhsa_fp16_overflow 0
		.amdhsa_workgroup_processor_mode 1
		.amdhsa_memory_ordered 1
		.amdhsa_forward_progress 1
		.amdhsa_shared_vgpr_count 0
		.amdhsa_exception_fp_ieee_invalid_op 0
		.amdhsa_exception_fp_denorm_src 0
		.amdhsa_exception_fp_ieee_div_zero 0
		.amdhsa_exception_fp_ieee_overflow 0
		.amdhsa_exception_fp_ieee_underflow 0
		.amdhsa_exception_fp_ieee_inexact 0
		.amdhsa_exception_int_div_zero 0
	.end_amdhsa_kernel
	.section	.text._ZN7rocprim17ROCPRIM_400000_NS6detail17trampoline_kernelINS0_14default_configENS1_22reduce_config_selectorIN6thrust23THRUST_200600_302600_NS5tupleIblNS6_9null_typeES8_S8_S8_S8_S8_S8_S8_EEEEZNS1_11reduce_implILb1ES3_NS6_12zip_iteratorINS7_INS6_11hip_rocprim26transform_input_iterator_tIbNSD_35transform_pair_of_input_iterators_tIbNS6_6detail15normal_iteratorINS6_10device_ptrIKiEEEESL_NS6_8equal_toIiEEEENSG_9not_fun_tINSD_8identityEEEEENSD_19counting_iterator_tIlEES8_S8_S8_S8_S8_S8_S8_S8_EEEEPS9_S9_NSD_9__find_if7functorIS9_EEEE10hipError_tPvRmT1_T2_T3_mT4_P12ihipStream_tbEUlT_E1_NS1_11comp_targetILNS1_3genE8ELNS1_11target_archE1030ELNS1_3gpuE2ELNS1_3repE0EEENS1_30default_config_static_selectorELNS0_4arch9wavefront6targetE0EEEvS14_,"axG",@progbits,_ZN7rocprim17ROCPRIM_400000_NS6detail17trampoline_kernelINS0_14default_configENS1_22reduce_config_selectorIN6thrust23THRUST_200600_302600_NS5tupleIblNS6_9null_typeES8_S8_S8_S8_S8_S8_S8_EEEEZNS1_11reduce_implILb1ES3_NS6_12zip_iteratorINS7_INS6_11hip_rocprim26transform_input_iterator_tIbNSD_35transform_pair_of_input_iterators_tIbNS6_6detail15normal_iteratorINS6_10device_ptrIKiEEEESL_NS6_8equal_toIiEEEENSG_9not_fun_tINSD_8identityEEEEENSD_19counting_iterator_tIlEES8_S8_S8_S8_S8_S8_S8_S8_EEEEPS9_S9_NSD_9__find_if7functorIS9_EEEE10hipError_tPvRmT1_T2_T3_mT4_P12ihipStream_tbEUlT_E1_NS1_11comp_targetILNS1_3genE8ELNS1_11target_archE1030ELNS1_3gpuE2ELNS1_3repE0EEENS1_30default_config_static_selectorELNS0_4arch9wavefront6targetE0EEEvS14_,comdat
.Lfunc_end485:
	.size	_ZN7rocprim17ROCPRIM_400000_NS6detail17trampoline_kernelINS0_14default_configENS1_22reduce_config_selectorIN6thrust23THRUST_200600_302600_NS5tupleIblNS6_9null_typeES8_S8_S8_S8_S8_S8_S8_EEEEZNS1_11reduce_implILb1ES3_NS6_12zip_iteratorINS7_INS6_11hip_rocprim26transform_input_iterator_tIbNSD_35transform_pair_of_input_iterators_tIbNS6_6detail15normal_iteratorINS6_10device_ptrIKiEEEESL_NS6_8equal_toIiEEEENSG_9not_fun_tINSD_8identityEEEEENSD_19counting_iterator_tIlEES8_S8_S8_S8_S8_S8_S8_S8_EEEEPS9_S9_NSD_9__find_if7functorIS9_EEEE10hipError_tPvRmT1_T2_T3_mT4_P12ihipStream_tbEUlT_E1_NS1_11comp_targetILNS1_3genE8ELNS1_11target_archE1030ELNS1_3gpuE2ELNS1_3repE0EEENS1_30default_config_static_selectorELNS0_4arch9wavefront6targetE0EEEvS14_, .Lfunc_end485-_ZN7rocprim17ROCPRIM_400000_NS6detail17trampoline_kernelINS0_14default_configENS1_22reduce_config_selectorIN6thrust23THRUST_200600_302600_NS5tupleIblNS6_9null_typeES8_S8_S8_S8_S8_S8_S8_EEEEZNS1_11reduce_implILb1ES3_NS6_12zip_iteratorINS7_INS6_11hip_rocprim26transform_input_iterator_tIbNSD_35transform_pair_of_input_iterators_tIbNS6_6detail15normal_iteratorINS6_10device_ptrIKiEEEESL_NS6_8equal_toIiEEEENSG_9not_fun_tINSD_8identityEEEEENSD_19counting_iterator_tIlEES8_S8_S8_S8_S8_S8_S8_S8_EEEEPS9_S9_NSD_9__find_if7functorIS9_EEEE10hipError_tPvRmT1_T2_T3_mT4_P12ihipStream_tbEUlT_E1_NS1_11comp_targetILNS1_3genE8ELNS1_11target_archE1030ELNS1_3gpuE2ELNS1_3repE0EEENS1_30default_config_static_selectorELNS0_4arch9wavefront6targetE0EEEvS14_
                                        ; -- End function
	.set _ZN7rocprim17ROCPRIM_400000_NS6detail17trampoline_kernelINS0_14default_configENS1_22reduce_config_selectorIN6thrust23THRUST_200600_302600_NS5tupleIblNS6_9null_typeES8_S8_S8_S8_S8_S8_S8_EEEEZNS1_11reduce_implILb1ES3_NS6_12zip_iteratorINS7_INS6_11hip_rocprim26transform_input_iterator_tIbNSD_35transform_pair_of_input_iterators_tIbNS6_6detail15normal_iteratorINS6_10device_ptrIKiEEEESL_NS6_8equal_toIiEEEENSG_9not_fun_tINSD_8identityEEEEENSD_19counting_iterator_tIlEES8_S8_S8_S8_S8_S8_S8_S8_EEEEPS9_S9_NSD_9__find_if7functorIS9_EEEE10hipError_tPvRmT1_T2_T3_mT4_P12ihipStream_tbEUlT_E1_NS1_11comp_targetILNS1_3genE8ELNS1_11target_archE1030ELNS1_3gpuE2ELNS1_3repE0EEENS1_30default_config_static_selectorELNS0_4arch9wavefront6targetE0EEEvS14_.num_vgpr, 27
	.set _ZN7rocprim17ROCPRIM_400000_NS6detail17trampoline_kernelINS0_14default_configENS1_22reduce_config_selectorIN6thrust23THRUST_200600_302600_NS5tupleIblNS6_9null_typeES8_S8_S8_S8_S8_S8_S8_EEEEZNS1_11reduce_implILb1ES3_NS6_12zip_iteratorINS7_INS6_11hip_rocprim26transform_input_iterator_tIbNSD_35transform_pair_of_input_iterators_tIbNS6_6detail15normal_iteratorINS6_10device_ptrIKiEEEESL_NS6_8equal_toIiEEEENSG_9not_fun_tINSD_8identityEEEEENSD_19counting_iterator_tIlEES8_S8_S8_S8_S8_S8_S8_S8_EEEEPS9_S9_NSD_9__find_if7functorIS9_EEEE10hipError_tPvRmT1_T2_T3_mT4_P12ihipStream_tbEUlT_E1_NS1_11comp_targetILNS1_3genE8ELNS1_11target_archE1030ELNS1_3gpuE2ELNS1_3repE0EEENS1_30default_config_static_selectorELNS0_4arch9wavefront6targetE0EEEvS14_.num_agpr, 0
	.set _ZN7rocprim17ROCPRIM_400000_NS6detail17trampoline_kernelINS0_14default_configENS1_22reduce_config_selectorIN6thrust23THRUST_200600_302600_NS5tupleIblNS6_9null_typeES8_S8_S8_S8_S8_S8_S8_EEEEZNS1_11reduce_implILb1ES3_NS6_12zip_iteratorINS7_INS6_11hip_rocprim26transform_input_iterator_tIbNSD_35transform_pair_of_input_iterators_tIbNS6_6detail15normal_iteratorINS6_10device_ptrIKiEEEESL_NS6_8equal_toIiEEEENSG_9not_fun_tINSD_8identityEEEEENSD_19counting_iterator_tIlEES8_S8_S8_S8_S8_S8_S8_S8_EEEEPS9_S9_NSD_9__find_if7functorIS9_EEEE10hipError_tPvRmT1_T2_T3_mT4_P12ihipStream_tbEUlT_E1_NS1_11comp_targetILNS1_3genE8ELNS1_11target_archE1030ELNS1_3gpuE2ELNS1_3repE0EEENS1_30default_config_static_selectorELNS0_4arch9wavefront6targetE0EEEvS14_.numbered_sgpr, 32
	.set _ZN7rocprim17ROCPRIM_400000_NS6detail17trampoline_kernelINS0_14default_configENS1_22reduce_config_selectorIN6thrust23THRUST_200600_302600_NS5tupleIblNS6_9null_typeES8_S8_S8_S8_S8_S8_S8_EEEEZNS1_11reduce_implILb1ES3_NS6_12zip_iteratorINS7_INS6_11hip_rocprim26transform_input_iterator_tIbNSD_35transform_pair_of_input_iterators_tIbNS6_6detail15normal_iteratorINS6_10device_ptrIKiEEEESL_NS6_8equal_toIiEEEENSG_9not_fun_tINSD_8identityEEEEENSD_19counting_iterator_tIlEES8_S8_S8_S8_S8_S8_S8_S8_EEEEPS9_S9_NSD_9__find_if7functorIS9_EEEE10hipError_tPvRmT1_T2_T3_mT4_P12ihipStream_tbEUlT_E1_NS1_11comp_targetILNS1_3genE8ELNS1_11target_archE1030ELNS1_3gpuE2ELNS1_3repE0EEENS1_30default_config_static_selectorELNS0_4arch9wavefront6targetE0EEEvS14_.num_named_barrier, 0
	.set _ZN7rocprim17ROCPRIM_400000_NS6detail17trampoline_kernelINS0_14default_configENS1_22reduce_config_selectorIN6thrust23THRUST_200600_302600_NS5tupleIblNS6_9null_typeES8_S8_S8_S8_S8_S8_S8_EEEEZNS1_11reduce_implILb1ES3_NS6_12zip_iteratorINS7_INS6_11hip_rocprim26transform_input_iterator_tIbNSD_35transform_pair_of_input_iterators_tIbNS6_6detail15normal_iteratorINS6_10device_ptrIKiEEEESL_NS6_8equal_toIiEEEENSG_9not_fun_tINSD_8identityEEEEENSD_19counting_iterator_tIlEES8_S8_S8_S8_S8_S8_S8_S8_EEEEPS9_S9_NSD_9__find_if7functorIS9_EEEE10hipError_tPvRmT1_T2_T3_mT4_P12ihipStream_tbEUlT_E1_NS1_11comp_targetILNS1_3genE8ELNS1_11target_archE1030ELNS1_3gpuE2ELNS1_3repE0EEENS1_30default_config_static_selectorELNS0_4arch9wavefront6targetE0EEEvS14_.private_seg_size, 0
	.set _ZN7rocprim17ROCPRIM_400000_NS6detail17trampoline_kernelINS0_14default_configENS1_22reduce_config_selectorIN6thrust23THRUST_200600_302600_NS5tupleIblNS6_9null_typeES8_S8_S8_S8_S8_S8_S8_EEEEZNS1_11reduce_implILb1ES3_NS6_12zip_iteratorINS7_INS6_11hip_rocprim26transform_input_iterator_tIbNSD_35transform_pair_of_input_iterators_tIbNS6_6detail15normal_iteratorINS6_10device_ptrIKiEEEESL_NS6_8equal_toIiEEEENSG_9not_fun_tINSD_8identityEEEEENSD_19counting_iterator_tIlEES8_S8_S8_S8_S8_S8_S8_S8_EEEEPS9_S9_NSD_9__find_if7functorIS9_EEEE10hipError_tPvRmT1_T2_T3_mT4_P12ihipStream_tbEUlT_E1_NS1_11comp_targetILNS1_3genE8ELNS1_11target_archE1030ELNS1_3gpuE2ELNS1_3repE0EEENS1_30default_config_static_selectorELNS0_4arch9wavefront6targetE0EEEvS14_.uses_vcc, 1
	.set _ZN7rocprim17ROCPRIM_400000_NS6detail17trampoline_kernelINS0_14default_configENS1_22reduce_config_selectorIN6thrust23THRUST_200600_302600_NS5tupleIblNS6_9null_typeES8_S8_S8_S8_S8_S8_S8_EEEEZNS1_11reduce_implILb1ES3_NS6_12zip_iteratorINS7_INS6_11hip_rocprim26transform_input_iterator_tIbNSD_35transform_pair_of_input_iterators_tIbNS6_6detail15normal_iteratorINS6_10device_ptrIKiEEEESL_NS6_8equal_toIiEEEENSG_9not_fun_tINSD_8identityEEEEENSD_19counting_iterator_tIlEES8_S8_S8_S8_S8_S8_S8_S8_EEEEPS9_S9_NSD_9__find_if7functorIS9_EEEE10hipError_tPvRmT1_T2_T3_mT4_P12ihipStream_tbEUlT_E1_NS1_11comp_targetILNS1_3genE8ELNS1_11target_archE1030ELNS1_3gpuE2ELNS1_3repE0EEENS1_30default_config_static_selectorELNS0_4arch9wavefront6targetE0EEEvS14_.uses_flat_scratch, 0
	.set _ZN7rocprim17ROCPRIM_400000_NS6detail17trampoline_kernelINS0_14default_configENS1_22reduce_config_selectorIN6thrust23THRUST_200600_302600_NS5tupleIblNS6_9null_typeES8_S8_S8_S8_S8_S8_S8_EEEEZNS1_11reduce_implILb1ES3_NS6_12zip_iteratorINS7_INS6_11hip_rocprim26transform_input_iterator_tIbNSD_35transform_pair_of_input_iterators_tIbNS6_6detail15normal_iteratorINS6_10device_ptrIKiEEEESL_NS6_8equal_toIiEEEENSG_9not_fun_tINSD_8identityEEEEENSD_19counting_iterator_tIlEES8_S8_S8_S8_S8_S8_S8_S8_EEEEPS9_S9_NSD_9__find_if7functorIS9_EEEE10hipError_tPvRmT1_T2_T3_mT4_P12ihipStream_tbEUlT_E1_NS1_11comp_targetILNS1_3genE8ELNS1_11target_archE1030ELNS1_3gpuE2ELNS1_3repE0EEENS1_30default_config_static_selectorELNS0_4arch9wavefront6targetE0EEEvS14_.has_dyn_sized_stack, 0
	.set _ZN7rocprim17ROCPRIM_400000_NS6detail17trampoline_kernelINS0_14default_configENS1_22reduce_config_selectorIN6thrust23THRUST_200600_302600_NS5tupleIblNS6_9null_typeES8_S8_S8_S8_S8_S8_S8_EEEEZNS1_11reduce_implILb1ES3_NS6_12zip_iteratorINS7_INS6_11hip_rocprim26transform_input_iterator_tIbNSD_35transform_pair_of_input_iterators_tIbNS6_6detail15normal_iteratorINS6_10device_ptrIKiEEEESL_NS6_8equal_toIiEEEENSG_9not_fun_tINSD_8identityEEEEENSD_19counting_iterator_tIlEES8_S8_S8_S8_S8_S8_S8_S8_EEEEPS9_S9_NSD_9__find_if7functorIS9_EEEE10hipError_tPvRmT1_T2_T3_mT4_P12ihipStream_tbEUlT_E1_NS1_11comp_targetILNS1_3genE8ELNS1_11target_archE1030ELNS1_3gpuE2ELNS1_3repE0EEENS1_30default_config_static_selectorELNS0_4arch9wavefront6targetE0EEEvS14_.has_recursion, 0
	.set _ZN7rocprim17ROCPRIM_400000_NS6detail17trampoline_kernelINS0_14default_configENS1_22reduce_config_selectorIN6thrust23THRUST_200600_302600_NS5tupleIblNS6_9null_typeES8_S8_S8_S8_S8_S8_S8_EEEEZNS1_11reduce_implILb1ES3_NS6_12zip_iteratorINS7_INS6_11hip_rocprim26transform_input_iterator_tIbNSD_35transform_pair_of_input_iterators_tIbNS6_6detail15normal_iteratorINS6_10device_ptrIKiEEEESL_NS6_8equal_toIiEEEENSG_9not_fun_tINSD_8identityEEEEENSD_19counting_iterator_tIlEES8_S8_S8_S8_S8_S8_S8_S8_EEEEPS9_S9_NSD_9__find_if7functorIS9_EEEE10hipError_tPvRmT1_T2_T3_mT4_P12ihipStream_tbEUlT_E1_NS1_11comp_targetILNS1_3genE8ELNS1_11target_archE1030ELNS1_3gpuE2ELNS1_3repE0EEENS1_30default_config_static_selectorELNS0_4arch9wavefront6targetE0EEEvS14_.has_indirect_call, 0
	.section	.AMDGPU.csdata,"",@progbits
; Kernel info:
; codeLenInByte = 14960
; TotalNumSgprs: 34
; NumVgprs: 27
; ScratchSize: 0
; MemoryBound: 0
; FloatMode: 240
; IeeeMode: 1
; LDSByteSize: 640 bytes/workgroup (compile time only)
; SGPRBlocks: 0
; VGPRBlocks: 3
; NumSGPRsForWavesPerEU: 34
; NumVGPRsForWavesPerEU: 27
; Occupancy: 16
; WaveLimiterHint : 0
; COMPUTE_PGM_RSRC2:SCRATCH_EN: 0
; COMPUTE_PGM_RSRC2:USER_SGPR: 6
; COMPUTE_PGM_RSRC2:TRAP_HANDLER: 0
; COMPUTE_PGM_RSRC2:TGID_X_EN: 1
; COMPUTE_PGM_RSRC2:TGID_Y_EN: 0
; COMPUTE_PGM_RSRC2:TGID_Z_EN: 0
; COMPUTE_PGM_RSRC2:TIDIG_COMP_CNT: 0
	.section	.text._ZN6thrust23THRUST_200600_302600_NS11hip_rocprim14__parallel_for6kernelILj256ENS1_10for_each_fINS0_7pointerINS0_5tupleIblNS0_9null_typeES7_S7_S7_S7_S7_S7_S7_EENS1_3tagENS0_11use_defaultESA_EENS0_6detail16wrapped_functionINSC_23allocator_traits_detail24construct1_via_allocatorINSC_18no_throw_allocatorINSC_19temporary_allocatorIS8_S9_EEEEEEvEEEEmLj1EEEvT0_T1_SO_,"axG",@progbits,_ZN6thrust23THRUST_200600_302600_NS11hip_rocprim14__parallel_for6kernelILj256ENS1_10for_each_fINS0_7pointerINS0_5tupleIblNS0_9null_typeES7_S7_S7_S7_S7_S7_S7_EENS1_3tagENS0_11use_defaultESA_EENS0_6detail16wrapped_functionINSC_23allocator_traits_detail24construct1_via_allocatorINSC_18no_throw_allocatorINSC_19temporary_allocatorIS8_S9_EEEEEEvEEEEmLj1EEEvT0_T1_SO_,comdat
	.protected	_ZN6thrust23THRUST_200600_302600_NS11hip_rocprim14__parallel_for6kernelILj256ENS1_10for_each_fINS0_7pointerINS0_5tupleIblNS0_9null_typeES7_S7_S7_S7_S7_S7_S7_EENS1_3tagENS0_11use_defaultESA_EENS0_6detail16wrapped_functionINSC_23allocator_traits_detail24construct1_via_allocatorINSC_18no_throw_allocatorINSC_19temporary_allocatorIS8_S9_EEEEEEvEEEEmLj1EEEvT0_T1_SO_ ; -- Begin function _ZN6thrust23THRUST_200600_302600_NS11hip_rocprim14__parallel_for6kernelILj256ENS1_10for_each_fINS0_7pointerINS0_5tupleIblNS0_9null_typeES7_S7_S7_S7_S7_S7_S7_EENS1_3tagENS0_11use_defaultESA_EENS0_6detail16wrapped_functionINSC_23allocator_traits_detail24construct1_via_allocatorINSC_18no_throw_allocatorINSC_19temporary_allocatorIS8_S9_EEEEEEvEEEEmLj1EEEvT0_T1_SO_
	.globl	_ZN6thrust23THRUST_200600_302600_NS11hip_rocprim14__parallel_for6kernelILj256ENS1_10for_each_fINS0_7pointerINS0_5tupleIblNS0_9null_typeES7_S7_S7_S7_S7_S7_S7_EENS1_3tagENS0_11use_defaultESA_EENS0_6detail16wrapped_functionINSC_23allocator_traits_detail24construct1_via_allocatorINSC_18no_throw_allocatorINSC_19temporary_allocatorIS8_S9_EEEEEEvEEEEmLj1EEEvT0_T1_SO_
	.p2align	8
	.type	_ZN6thrust23THRUST_200600_302600_NS11hip_rocprim14__parallel_for6kernelILj256ENS1_10for_each_fINS0_7pointerINS0_5tupleIblNS0_9null_typeES7_S7_S7_S7_S7_S7_S7_EENS1_3tagENS0_11use_defaultESA_EENS0_6detail16wrapped_functionINSC_23allocator_traits_detail24construct1_via_allocatorINSC_18no_throw_allocatorINSC_19temporary_allocatorIS8_S9_EEEEEEvEEEEmLj1EEEvT0_T1_SO_,@function
_ZN6thrust23THRUST_200600_302600_NS11hip_rocprim14__parallel_for6kernelILj256ENS1_10for_each_fINS0_7pointerINS0_5tupleIblNS0_9null_typeES7_S7_S7_S7_S7_S7_S7_EENS1_3tagENS0_11use_defaultESA_EENS0_6detail16wrapped_functionINSC_23allocator_traits_detail24construct1_via_allocatorINSC_18no_throw_allocatorINSC_19temporary_allocatorIS8_S9_EEEEEEvEEEEmLj1EEEvT0_T1_SO_: ; @_ZN6thrust23THRUST_200600_302600_NS11hip_rocprim14__parallel_for6kernelILj256ENS1_10for_each_fINS0_7pointerINS0_5tupleIblNS0_9null_typeES7_S7_S7_S7_S7_S7_S7_EENS1_3tagENS0_11use_defaultESA_EENS0_6detail16wrapped_functionINSC_23allocator_traits_detail24construct1_via_allocatorINSC_18no_throw_allocatorINSC_19temporary_allocatorIS8_S9_EEEEEEvEEEEmLj1EEEvT0_T1_SO_
; %bb.0:
	s_clause 0x1
	s_load_dwordx4 s[8:11], s[4:5], 0x10
	s_load_dwordx2 s[0:1], s[4:5], 0x0
	s_lshl_b32 s2, s6, 8
	s_waitcnt lgkmcnt(0)
	s_add_u32 s2, s10, s2
	s_addc_u32 s3, s11, 0
	s_sub_u32 s4, s8, s2
	s_subb_u32 s5, s9, s3
	v_cmp_lt_u64_e64 s5, 0xff, s[4:5]
	s_and_b32 vcc_lo, exec_lo, s5
	s_mov_b32 s5, -1
	s_cbranch_vccz .LBB486_3
; %bb.1:
	s_andn2_b32 vcc_lo, exec_lo, s5
	s_cbranch_vccz .LBB486_6
.LBB486_2:
	s_endpgm
.LBB486_3:
	v_cmp_gt_u32_e32 vcc_lo, s4, v0
	s_and_saveexec_b32 s4, vcc_lo
	s_cbranch_execz .LBB486_5
; %bb.4:
	v_lshlrev_b32_e32 v2, 4, v0
	s_lshl_b64 s[6:7], s[2:3], 4
	v_mov_b32_e32 v1, 0
	s_add_u32 s5, s0, s6
	s_addc_u32 s6, s1, s7
	v_add_co_u32 v3, s5, s5, v2
	v_add_co_ci_u32_e64 v4, null, s6, 0, s5
	v_mov_b32_e32 v2, v1
	flat_store_byte v[3:4], v1
	flat_store_dwordx2 v[3:4], v[1:2] offset:8
.LBB486_5:
	s_or_b32 exec_lo, exec_lo, s4
	s_cbranch_execnz .LBB486_2
.LBB486_6:
	v_lshlrev_b32_e32 v1, 4, v0
	s_lshl_b64 s[2:3], s[2:3], 4
	v_mov_b32_e32 v0, 0
	s_add_u32 s0, s0, s2
	s_addc_u32 s1, s1, s3
	v_add_co_u32 v2, s0, s0, v1
	v_add_co_ci_u32_e64 v3, null, s1, 0, s0
	v_mov_b32_e32 v1, v0
	flat_store_byte v[2:3], v0
	flat_store_dwordx2 v[2:3], v[0:1] offset:8
	s_endpgm
	.section	.rodata,"a",@progbits
	.p2align	6, 0x0
	.amdhsa_kernel _ZN6thrust23THRUST_200600_302600_NS11hip_rocprim14__parallel_for6kernelILj256ENS1_10for_each_fINS0_7pointerINS0_5tupleIblNS0_9null_typeES7_S7_S7_S7_S7_S7_S7_EENS1_3tagENS0_11use_defaultESA_EENS0_6detail16wrapped_functionINSC_23allocator_traits_detail24construct1_via_allocatorINSC_18no_throw_allocatorINSC_19temporary_allocatorIS8_S9_EEEEEEvEEEEmLj1EEEvT0_T1_SO_
		.amdhsa_group_segment_fixed_size 0
		.amdhsa_private_segment_fixed_size 0
		.amdhsa_kernarg_size 32
		.amdhsa_user_sgpr_count 6
		.amdhsa_user_sgpr_private_segment_buffer 1
		.amdhsa_user_sgpr_dispatch_ptr 0
		.amdhsa_user_sgpr_queue_ptr 0
		.amdhsa_user_sgpr_kernarg_segment_ptr 1
		.amdhsa_user_sgpr_dispatch_id 0
		.amdhsa_user_sgpr_flat_scratch_init 0
		.amdhsa_user_sgpr_private_segment_size 0
		.amdhsa_wavefront_size32 1
		.amdhsa_uses_dynamic_stack 0
		.amdhsa_system_sgpr_private_segment_wavefront_offset 0
		.amdhsa_system_sgpr_workgroup_id_x 1
		.amdhsa_system_sgpr_workgroup_id_y 0
		.amdhsa_system_sgpr_workgroup_id_z 0
		.amdhsa_system_sgpr_workgroup_info 0
		.amdhsa_system_vgpr_workitem_id 0
		.amdhsa_next_free_vgpr 5
		.amdhsa_next_free_sgpr 12
		.amdhsa_reserve_vcc 1
		.amdhsa_reserve_flat_scratch 0
		.amdhsa_float_round_mode_32 0
		.amdhsa_float_round_mode_16_64 0
		.amdhsa_float_denorm_mode_32 3
		.amdhsa_float_denorm_mode_16_64 3
		.amdhsa_dx10_clamp 1
		.amdhsa_ieee_mode 1
		.amdhsa_fp16_overflow 0
		.amdhsa_workgroup_processor_mode 1
		.amdhsa_memory_ordered 1
		.amdhsa_forward_progress 1
		.amdhsa_shared_vgpr_count 0
		.amdhsa_exception_fp_ieee_invalid_op 0
		.amdhsa_exception_fp_denorm_src 0
		.amdhsa_exception_fp_ieee_div_zero 0
		.amdhsa_exception_fp_ieee_overflow 0
		.amdhsa_exception_fp_ieee_underflow 0
		.amdhsa_exception_fp_ieee_inexact 0
		.amdhsa_exception_int_div_zero 0
	.end_amdhsa_kernel
	.section	.text._ZN6thrust23THRUST_200600_302600_NS11hip_rocprim14__parallel_for6kernelILj256ENS1_10for_each_fINS0_7pointerINS0_5tupleIblNS0_9null_typeES7_S7_S7_S7_S7_S7_S7_EENS1_3tagENS0_11use_defaultESA_EENS0_6detail16wrapped_functionINSC_23allocator_traits_detail24construct1_via_allocatorINSC_18no_throw_allocatorINSC_19temporary_allocatorIS8_S9_EEEEEEvEEEEmLj1EEEvT0_T1_SO_,"axG",@progbits,_ZN6thrust23THRUST_200600_302600_NS11hip_rocprim14__parallel_for6kernelILj256ENS1_10for_each_fINS0_7pointerINS0_5tupleIblNS0_9null_typeES7_S7_S7_S7_S7_S7_S7_EENS1_3tagENS0_11use_defaultESA_EENS0_6detail16wrapped_functionINSC_23allocator_traits_detail24construct1_via_allocatorINSC_18no_throw_allocatorINSC_19temporary_allocatorIS8_S9_EEEEEEvEEEEmLj1EEEvT0_T1_SO_,comdat
.Lfunc_end486:
	.size	_ZN6thrust23THRUST_200600_302600_NS11hip_rocprim14__parallel_for6kernelILj256ENS1_10for_each_fINS0_7pointerINS0_5tupleIblNS0_9null_typeES7_S7_S7_S7_S7_S7_S7_EENS1_3tagENS0_11use_defaultESA_EENS0_6detail16wrapped_functionINSC_23allocator_traits_detail24construct1_via_allocatorINSC_18no_throw_allocatorINSC_19temporary_allocatorIS8_S9_EEEEEEvEEEEmLj1EEEvT0_T1_SO_, .Lfunc_end486-_ZN6thrust23THRUST_200600_302600_NS11hip_rocprim14__parallel_for6kernelILj256ENS1_10for_each_fINS0_7pointerINS0_5tupleIblNS0_9null_typeES7_S7_S7_S7_S7_S7_S7_EENS1_3tagENS0_11use_defaultESA_EENS0_6detail16wrapped_functionINSC_23allocator_traits_detail24construct1_via_allocatorINSC_18no_throw_allocatorINSC_19temporary_allocatorIS8_S9_EEEEEEvEEEEmLj1EEEvT0_T1_SO_
                                        ; -- End function
	.set _ZN6thrust23THRUST_200600_302600_NS11hip_rocprim14__parallel_for6kernelILj256ENS1_10for_each_fINS0_7pointerINS0_5tupleIblNS0_9null_typeES7_S7_S7_S7_S7_S7_S7_EENS1_3tagENS0_11use_defaultESA_EENS0_6detail16wrapped_functionINSC_23allocator_traits_detail24construct1_via_allocatorINSC_18no_throw_allocatorINSC_19temporary_allocatorIS8_S9_EEEEEEvEEEEmLj1EEEvT0_T1_SO_.num_vgpr, 5
	.set _ZN6thrust23THRUST_200600_302600_NS11hip_rocprim14__parallel_for6kernelILj256ENS1_10for_each_fINS0_7pointerINS0_5tupleIblNS0_9null_typeES7_S7_S7_S7_S7_S7_S7_EENS1_3tagENS0_11use_defaultESA_EENS0_6detail16wrapped_functionINSC_23allocator_traits_detail24construct1_via_allocatorINSC_18no_throw_allocatorINSC_19temporary_allocatorIS8_S9_EEEEEEvEEEEmLj1EEEvT0_T1_SO_.num_agpr, 0
	.set _ZN6thrust23THRUST_200600_302600_NS11hip_rocprim14__parallel_for6kernelILj256ENS1_10for_each_fINS0_7pointerINS0_5tupleIblNS0_9null_typeES7_S7_S7_S7_S7_S7_S7_EENS1_3tagENS0_11use_defaultESA_EENS0_6detail16wrapped_functionINSC_23allocator_traits_detail24construct1_via_allocatorINSC_18no_throw_allocatorINSC_19temporary_allocatorIS8_S9_EEEEEEvEEEEmLj1EEEvT0_T1_SO_.numbered_sgpr, 12
	.set _ZN6thrust23THRUST_200600_302600_NS11hip_rocprim14__parallel_for6kernelILj256ENS1_10for_each_fINS0_7pointerINS0_5tupleIblNS0_9null_typeES7_S7_S7_S7_S7_S7_S7_EENS1_3tagENS0_11use_defaultESA_EENS0_6detail16wrapped_functionINSC_23allocator_traits_detail24construct1_via_allocatorINSC_18no_throw_allocatorINSC_19temporary_allocatorIS8_S9_EEEEEEvEEEEmLj1EEEvT0_T1_SO_.num_named_barrier, 0
	.set _ZN6thrust23THRUST_200600_302600_NS11hip_rocprim14__parallel_for6kernelILj256ENS1_10for_each_fINS0_7pointerINS0_5tupleIblNS0_9null_typeES7_S7_S7_S7_S7_S7_S7_EENS1_3tagENS0_11use_defaultESA_EENS0_6detail16wrapped_functionINSC_23allocator_traits_detail24construct1_via_allocatorINSC_18no_throw_allocatorINSC_19temporary_allocatorIS8_S9_EEEEEEvEEEEmLj1EEEvT0_T1_SO_.private_seg_size, 0
	.set _ZN6thrust23THRUST_200600_302600_NS11hip_rocprim14__parallel_for6kernelILj256ENS1_10for_each_fINS0_7pointerINS0_5tupleIblNS0_9null_typeES7_S7_S7_S7_S7_S7_S7_EENS1_3tagENS0_11use_defaultESA_EENS0_6detail16wrapped_functionINSC_23allocator_traits_detail24construct1_via_allocatorINSC_18no_throw_allocatorINSC_19temporary_allocatorIS8_S9_EEEEEEvEEEEmLj1EEEvT0_T1_SO_.uses_vcc, 1
	.set _ZN6thrust23THRUST_200600_302600_NS11hip_rocprim14__parallel_for6kernelILj256ENS1_10for_each_fINS0_7pointerINS0_5tupleIblNS0_9null_typeES7_S7_S7_S7_S7_S7_S7_EENS1_3tagENS0_11use_defaultESA_EENS0_6detail16wrapped_functionINSC_23allocator_traits_detail24construct1_via_allocatorINSC_18no_throw_allocatorINSC_19temporary_allocatorIS8_S9_EEEEEEvEEEEmLj1EEEvT0_T1_SO_.uses_flat_scratch, 0
	.set _ZN6thrust23THRUST_200600_302600_NS11hip_rocprim14__parallel_for6kernelILj256ENS1_10for_each_fINS0_7pointerINS0_5tupleIblNS0_9null_typeES7_S7_S7_S7_S7_S7_S7_EENS1_3tagENS0_11use_defaultESA_EENS0_6detail16wrapped_functionINSC_23allocator_traits_detail24construct1_via_allocatorINSC_18no_throw_allocatorINSC_19temporary_allocatorIS8_S9_EEEEEEvEEEEmLj1EEEvT0_T1_SO_.has_dyn_sized_stack, 0
	.set _ZN6thrust23THRUST_200600_302600_NS11hip_rocprim14__parallel_for6kernelILj256ENS1_10for_each_fINS0_7pointerINS0_5tupleIblNS0_9null_typeES7_S7_S7_S7_S7_S7_S7_EENS1_3tagENS0_11use_defaultESA_EENS0_6detail16wrapped_functionINSC_23allocator_traits_detail24construct1_via_allocatorINSC_18no_throw_allocatorINSC_19temporary_allocatorIS8_S9_EEEEEEvEEEEmLj1EEEvT0_T1_SO_.has_recursion, 0
	.set _ZN6thrust23THRUST_200600_302600_NS11hip_rocprim14__parallel_for6kernelILj256ENS1_10for_each_fINS0_7pointerINS0_5tupleIblNS0_9null_typeES7_S7_S7_S7_S7_S7_S7_EENS1_3tagENS0_11use_defaultESA_EENS0_6detail16wrapped_functionINSC_23allocator_traits_detail24construct1_via_allocatorINSC_18no_throw_allocatorINSC_19temporary_allocatorIS8_S9_EEEEEEvEEEEmLj1EEEvT0_T1_SO_.has_indirect_call, 0
	.section	.AMDGPU.csdata,"",@progbits
; Kernel info:
; codeLenInByte = 216
; TotalNumSgprs: 14
; NumVgprs: 5
; ScratchSize: 0
; MemoryBound: 0
; FloatMode: 240
; IeeeMode: 1
; LDSByteSize: 0 bytes/workgroup (compile time only)
; SGPRBlocks: 0
; VGPRBlocks: 0
; NumSGPRsForWavesPerEU: 14
; NumVGPRsForWavesPerEU: 5
; Occupancy: 16
; WaveLimiterHint : 0
; COMPUTE_PGM_RSRC2:SCRATCH_EN: 0
; COMPUTE_PGM_RSRC2:USER_SGPR: 6
; COMPUTE_PGM_RSRC2:TRAP_HANDLER: 0
; COMPUTE_PGM_RSRC2:TGID_X_EN: 1
; COMPUTE_PGM_RSRC2:TGID_Y_EN: 0
; COMPUTE_PGM_RSRC2:TGID_Z_EN: 0
; COMPUTE_PGM_RSRC2:TIDIG_COMP_CNT: 0
	.section	.text._ZN6thrust23THRUST_200600_302600_NS11hip_rocprim14__parallel_for6kernelILj256ENS1_10for_each_fINS0_7pointerINS0_5tupleIblNS0_9null_typeES7_S7_S7_S7_S7_S7_S7_EENS1_3tagENS0_11use_defaultESA_EENS0_6detail16wrapped_functionINSC_23allocator_traits_detail5gozerEvEEEElLj1EEEvT0_T1_SJ_,"axG",@progbits,_ZN6thrust23THRUST_200600_302600_NS11hip_rocprim14__parallel_for6kernelILj256ENS1_10for_each_fINS0_7pointerINS0_5tupleIblNS0_9null_typeES7_S7_S7_S7_S7_S7_S7_EENS1_3tagENS0_11use_defaultESA_EENS0_6detail16wrapped_functionINSC_23allocator_traits_detail5gozerEvEEEElLj1EEEvT0_T1_SJ_,comdat
	.protected	_ZN6thrust23THRUST_200600_302600_NS11hip_rocprim14__parallel_for6kernelILj256ENS1_10for_each_fINS0_7pointerINS0_5tupleIblNS0_9null_typeES7_S7_S7_S7_S7_S7_S7_EENS1_3tagENS0_11use_defaultESA_EENS0_6detail16wrapped_functionINSC_23allocator_traits_detail5gozerEvEEEElLj1EEEvT0_T1_SJ_ ; -- Begin function _ZN6thrust23THRUST_200600_302600_NS11hip_rocprim14__parallel_for6kernelILj256ENS1_10for_each_fINS0_7pointerINS0_5tupleIblNS0_9null_typeES7_S7_S7_S7_S7_S7_S7_EENS1_3tagENS0_11use_defaultESA_EENS0_6detail16wrapped_functionINSC_23allocator_traits_detail5gozerEvEEEElLj1EEEvT0_T1_SJ_
	.globl	_ZN6thrust23THRUST_200600_302600_NS11hip_rocprim14__parallel_for6kernelILj256ENS1_10for_each_fINS0_7pointerINS0_5tupleIblNS0_9null_typeES7_S7_S7_S7_S7_S7_S7_EENS1_3tagENS0_11use_defaultESA_EENS0_6detail16wrapped_functionINSC_23allocator_traits_detail5gozerEvEEEElLj1EEEvT0_T1_SJ_
	.p2align	8
	.type	_ZN6thrust23THRUST_200600_302600_NS11hip_rocprim14__parallel_for6kernelILj256ENS1_10for_each_fINS0_7pointerINS0_5tupleIblNS0_9null_typeES7_S7_S7_S7_S7_S7_S7_EENS1_3tagENS0_11use_defaultESA_EENS0_6detail16wrapped_functionINSC_23allocator_traits_detail5gozerEvEEEElLj1EEEvT0_T1_SJ_,@function
_ZN6thrust23THRUST_200600_302600_NS11hip_rocprim14__parallel_for6kernelILj256ENS1_10for_each_fINS0_7pointerINS0_5tupleIblNS0_9null_typeES7_S7_S7_S7_S7_S7_S7_EENS1_3tagENS0_11use_defaultESA_EENS0_6detail16wrapped_functionINSC_23allocator_traits_detail5gozerEvEEEElLj1EEEvT0_T1_SJ_: ; @_ZN6thrust23THRUST_200600_302600_NS11hip_rocprim14__parallel_for6kernelILj256ENS1_10for_each_fINS0_7pointerINS0_5tupleIblNS0_9null_typeES7_S7_S7_S7_S7_S7_S7_EENS1_3tagENS0_11use_defaultESA_EENS0_6detail16wrapped_functionINSC_23allocator_traits_detail5gozerEvEEEElLj1EEEvT0_T1_SJ_
; %bb.0:
	s_endpgm
	.section	.rodata,"a",@progbits
	.p2align	6, 0x0
	.amdhsa_kernel _ZN6thrust23THRUST_200600_302600_NS11hip_rocprim14__parallel_for6kernelILj256ENS1_10for_each_fINS0_7pointerINS0_5tupleIblNS0_9null_typeES7_S7_S7_S7_S7_S7_S7_EENS1_3tagENS0_11use_defaultESA_EENS0_6detail16wrapped_functionINSC_23allocator_traits_detail5gozerEvEEEElLj1EEEvT0_T1_SJ_
		.amdhsa_group_segment_fixed_size 0
		.amdhsa_private_segment_fixed_size 0
		.amdhsa_kernarg_size 32
		.amdhsa_user_sgpr_count 6
		.amdhsa_user_sgpr_private_segment_buffer 1
		.amdhsa_user_sgpr_dispatch_ptr 0
		.amdhsa_user_sgpr_queue_ptr 0
		.amdhsa_user_sgpr_kernarg_segment_ptr 1
		.amdhsa_user_sgpr_dispatch_id 0
		.amdhsa_user_sgpr_flat_scratch_init 0
		.amdhsa_user_sgpr_private_segment_size 0
		.amdhsa_wavefront_size32 1
		.amdhsa_uses_dynamic_stack 0
		.amdhsa_system_sgpr_private_segment_wavefront_offset 0
		.amdhsa_system_sgpr_workgroup_id_x 1
		.amdhsa_system_sgpr_workgroup_id_y 0
		.amdhsa_system_sgpr_workgroup_id_z 0
		.amdhsa_system_sgpr_workgroup_info 0
		.amdhsa_system_vgpr_workitem_id 0
		.amdhsa_next_free_vgpr 1
		.amdhsa_next_free_sgpr 1
		.amdhsa_reserve_vcc 0
		.amdhsa_reserve_flat_scratch 0
		.amdhsa_float_round_mode_32 0
		.amdhsa_float_round_mode_16_64 0
		.amdhsa_float_denorm_mode_32 3
		.amdhsa_float_denorm_mode_16_64 3
		.amdhsa_dx10_clamp 1
		.amdhsa_ieee_mode 1
		.amdhsa_fp16_overflow 0
		.amdhsa_workgroup_processor_mode 1
		.amdhsa_memory_ordered 1
		.amdhsa_forward_progress 1
		.amdhsa_shared_vgpr_count 0
		.amdhsa_exception_fp_ieee_invalid_op 0
		.amdhsa_exception_fp_denorm_src 0
		.amdhsa_exception_fp_ieee_div_zero 0
		.amdhsa_exception_fp_ieee_overflow 0
		.amdhsa_exception_fp_ieee_underflow 0
		.amdhsa_exception_fp_ieee_inexact 0
		.amdhsa_exception_int_div_zero 0
	.end_amdhsa_kernel
	.section	.text._ZN6thrust23THRUST_200600_302600_NS11hip_rocprim14__parallel_for6kernelILj256ENS1_10for_each_fINS0_7pointerINS0_5tupleIblNS0_9null_typeES7_S7_S7_S7_S7_S7_S7_EENS1_3tagENS0_11use_defaultESA_EENS0_6detail16wrapped_functionINSC_23allocator_traits_detail5gozerEvEEEElLj1EEEvT0_T1_SJ_,"axG",@progbits,_ZN6thrust23THRUST_200600_302600_NS11hip_rocprim14__parallel_for6kernelILj256ENS1_10for_each_fINS0_7pointerINS0_5tupleIblNS0_9null_typeES7_S7_S7_S7_S7_S7_S7_EENS1_3tagENS0_11use_defaultESA_EENS0_6detail16wrapped_functionINSC_23allocator_traits_detail5gozerEvEEEElLj1EEEvT0_T1_SJ_,comdat
.Lfunc_end487:
	.size	_ZN6thrust23THRUST_200600_302600_NS11hip_rocprim14__parallel_for6kernelILj256ENS1_10for_each_fINS0_7pointerINS0_5tupleIblNS0_9null_typeES7_S7_S7_S7_S7_S7_S7_EENS1_3tagENS0_11use_defaultESA_EENS0_6detail16wrapped_functionINSC_23allocator_traits_detail5gozerEvEEEElLj1EEEvT0_T1_SJ_, .Lfunc_end487-_ZN6thrust23THRUST_200600_302600_NS11hip_rocprim14__parallel_for6kernelILj256ENS1_10for_each_fINS0_7pointerINS0_5tupleIblNS0_9null_typeES7_S7_S7_S7_S7_S7_S7_EENS1_3tagENS0_11use_defaultESA_EENS0_6detail16wrapped_functionINSC_23allocator_traits_detail5gozerEvEEEElLj1EEEvT0_T1_SJ_
                                        ; -- End function
	.set _ZN6thrust23THRUST_200600_302600_NS11hip_rocprim14__parallel_for6kernelILj256ENS1_10for_each_fINS0_7pointerINS0_5tupleIblNS0_9null_typeES7_S7_S7_S7_S7_S7_S7_EENS1_3tagENS0_11use_defaultESA_EENS0_6detail16wrapped_functionINSC_23allocator_traits_detail5gozerEvEEEElLj1EEEvT0_T1_SJ_.num_vgpr, 0
	.set _ZN6thrust23THRUST_200600_302600_NS11hip_rocprim14__parallel_for6kernelILj256ENS1_10for_each_fINS0_7pointerINS0_5tupleIblNS0_9null_typeES7_S7_S7_S7_S7_S7_S7_EENS1_3tagENS0_11use_defaultESA_EENS0_6detail16wrapped_functionINSC_23allocator_traits_detail5gozerEvEEEElLj1EEEvT0_T1_SJ_.num_agpr, 0
	.set _ZN6thrust23THRUST_200600_302600_NS11hip_rocprim14__parallel_for6kernelILj256ENS1_10for_each_fINS0_7pointerINS0_5tupleIblNS0_9null_typeES7_S7_S7_S7_S7_S7_S7_EENS1_3tagENS0_11use_defaultESA_EENS0_6detail16wrapped_functionINSC_23allocator_traits_detail5gozerEvEEEElLj1EEEvT0_T1_SJ_.numbered_sgpr, 0
	.set _ZN6thrust23THRUST_200600_302600_NS11hip_rocprim14__parallel_for6kernelILj256ENS1_10for_each_fINS0_7pointerINS0_5tupleIblNS0_9null_typeES7_S7_S7_S7_S7_S7_S7_EENS1_3tagENS0_11use_defaultESA_EENS0_6detail16wrapped_functionINSC_23allocator_traits_detail5gozerEvEEEElLj1EEEvT0_T1_SJ_.num_named_barrier, 0
	.set _ZN6thrust23THRUST_200600_302600_NS11hip_rocprim14__parallel_for6kernelILj256ENS1_10for_each_fINS0_7pointerINS0_5tupleIblNS0_9null_typeES7_S7_S7_S7_S7_S7_S7_EENS1_3tagENS0_11use_defaultESA_EENS0_6detail16wrapped_functionINSC_23allocator_traits_detail5gozerEvEEEElLj1EEEvT0_T1_SJ_.private_seg_size, 0
	.set _ZN6thrust23THRUST_200600_302600_NS11hip_rocprim14__parallel_for6kernelILj256ENS1_10for_each_fINS0_7pointerINS0_5tupleIblNS0_9null_typeES7_S7_S7_S7_S7_S7_S7_EENS1_3tagENS0_11use_defaultESA_EENS0_6detail16wrapped_functionINSC_23allocator_traits_detail5gozerEvEEEElLj1EEEvT0_T1_SJ_.uses_vcc, 0
	.set _ZN6thrust23THRUST_200600_302600_NS11hip_rocprim14__parallel_for6kernelILj256ENS1_10for_each_fINS0_7pointerINS0_5tupleIblNS0_9null_typeES7_S7_S7_S7_S7_S7_S7_EENS1_3tagENS0_11use_defaultESA_EENS0_6detail16wrapped_functionINSC_23allocator_traits_detail5gozerEvEEEElLj1EEEvT0_T1_SJ_.uses_flat_scratch, 0
	.set _ZN6thrust23THRUST_200600_302600_NS11hip_rocprim14__parallel_for6kernelILj256ENS1_10for_each_fINS0_7pointerINS0_5tupleIblNS0_9null_typeES7_S7_S7_S7_S7_S7_S7_EENS1_3tagENS0_11use_defaultESA_EENS0_6detail16wrapped_functionINSC_23allocator_traits_detail5gozerEvEEEElLj1EEEvT0_T1_SJ_.has_dyn_sized_stack, 0
	.set _ZN6thrust23THRUST_200600_302600_NS11hip_rocprim14__parallel_for6kernelILj256ENS1_10for_each_fINS0_7pointerINS0_5tupleIblNS0_9null_typeES7_S7_S7_S7_S7_S7_S7_EENS1_3tagENS0_11use_defaultESA_EENS0_6detail16wrapped_functionINSC_23allocator_traits_detail5gozerEvEEEElLj1EEEvT0_T1_SJ_.has_recursion, 0
	.set _ZN6thrust23THRUST_200600_302600_NS11hip_rocprim14__parallel_for6kernelILj256ENS1_10for_each_fINS0_7pointerINS0_5tupleIblNS0_9null_typeES7_S7_S7_S7_S7_S7_S7_EENS1_3tagENS0_11use_defaultESA_EENS0_6detail16wrapped_functionINSC_23allocator_traits_detail5gozerEvEEEElLj1EEEvT0_T1_SJ_.has_indirect_call, 0
	.section	.AMDGPU.csdata,"",@progbits
; Kernel info:
; codeLenInByte = 4
; TotalNumSgprs: 0
; NumVgprs: 0
; ScratchSize: 0
; MemoryBound: 0
; FloatMode: 240
; IeeeMode: 1
; LDSByteSize: 0 bytes/workgroup (compile time only)
; SGPRBlocks: 0
; VGPRBlocks: 0
; NumSGPRsForWavesPerEU: 1
; NumVGPRsForWavesPerEU: 1
; Occupancy: 16
; WaveLimiterHint : 0
; COMPUTE_PGM_RSRC2:SCRATCH_EN: 0
; COMPUTE_PGM_RSRC2:USER_SGPR: 6
; COMPUTE_PGM_RSRC2:TRAP_HANDLER: 0
; COMPUTE_PGM_RSRC2:TGID_X_EN: 1
; COMPUTE_PGM_RSRC2:TGID_Y_EN: 0
; COMPUTE_PGM_RSRC2:TGID_Z_EN: 0
; COMPUTE_PGM_RSRC2:TIDIG_COMP_CNT: 0
	.section	.text._ZN6thrust23THRUST_200600_302600_NS11hip_rocprim14__parallel_for6kernelILj256ENS1_20__uninitialized_copy7functorIPNS0_5tupleIblNS0_9null_typeES7_S7_S7_S7_S7_S7_S7_EENS0_7pointerIS8_NS1_3tagENS0_11use_defaultESC_EEEEmLj1EEEvT0_T1_SG_,"axG",@progbits,_ZN6thrust23THRUST_200600_302600_NS11hip_rocprim14__parallel_for6kernelILj256ENS1_20__uninitialized_copy7functorIPNS0_5tupleIblNS0_9null_typeES7_S7_S7_S7_S7_S7_S7_EENS0_7pointerIS8_NS1_3tagENS0_11use_defaultESC_EEEEmLj1EEEvT0_T1_SG_,comdat
	.protected	_ZN6thrust23THRUST_200600_302600_NS11hip_rocprim14__parallel_for6kernelILj256ENS1_20__uninitialized_copy7functorIPNS0_5tupleIblNS0_9null_typeES7_S7_S7_S7_S7_S7_S7_EENS0_7pointerIS8_NS1_3tagENS0_11use_defaultESC_EEEEmLj1EEEvT0_T1_SG_ ; -- Begin function _ZN6thrust23THRUST_200600_302600_NS11hip_rocprim14__parallel_for6kernelILj256ENS1_20__uninitialized_copy7functorIPNS0_5tupleIblNS0_9null_typeES7_S7_S7_S7_S7_S7_S7_EENS0_7pointerIS8_NS1_3tagENS0_11use_defaultESC_EEEEmLj1EEEvT0_T1_SG_
	.globl	_ZN6thrust23THRUST_200600_302600_NS11hip_rocprim14__parallel_for6kernelILj256ENS1_20__uninitialized_copy7functorIPNS0_5tupleIblNS0_9null_typeES7_S7_S7_S7_S7_S7_S7_EENS0_7pointerIS8_NS1_3tagENS0_11use_defaultESC_EEEEmLj1EEEvT0_T1_SG_
	.p2align	8
	.type	_ZN6thrust23THRUST_200600_302600_NS11hip_rocprim14__parallel_for6kernelILj256ENS1_20__uninitialized_copy7functorIPNS0_5tupleIblNS0_9null_typeES7_S7_S7_S7_S7_S7_S7_EENS0_7pointerIS8_NS1_3tagENS0_11use_defaultESC_EEEEmLj1EEEvT0_T1_SG_,@function
_ZN6thrust23THRUST_200600_302600_NS11hip_rocprim14__parallel_for6kernelILj256ENS1_20__uninitialized_copy7functorIPNS0_5tupleIblNS0_9null_typeES7_S7_S7_S7_S7_S7_S7_EENS0_7pointerIS8_NS1_3tagENS0_11use_defaultESC_EEEEmLj1EEEvT0_T1_SG_: ; @_ZN6thrust23THRUST_200600_302600_NS11hip_rocprim14__parallel_for6kernelILj256ENS1_20__uninitialized_copy7functorIPNS0_5tupleIblNS0_9null_typeES7_S7_S7_S7_S7_S7_S7_EENS0_7pointerIS8_NS1_3tagENS0_11use_defaultESC_EEEEmLj1EEEvT0_T1_SG_
; %bb.0:
	s_load_dwordx8 s[8:15], s[4:5], 0x0
	s_lshl_b32 s0, s6, 8
	s_waitcnt lgkmcnt(0)
	s_add_u32 s2, s14, s0
	s_addc_u32 s3, s15, 0
	s_sub_u32 s0, s12, s2
	s_subb_u32 s1, s13, s3
	v_cmp_lt_u64_e64 s4, 0xff, s[0:1]
	s_mov_b32 s1, 0
	s_and_b32 vcc_lo, exec_lo, s4
	s_mov_b32 s4, -1
	s_cbranch_vccz .LBB488_4
; %bb.1:
	s_andn2_b32 vcc_lo, exec_lo, s4
	s_cbranch_vccz .LBB488_5
.LBB488_2:
	s_and_saveexec_b32 s0, s1
	s_cbranch_execnz .LBB488_6
.LBB488_3:
	s_endpgm
.LBB488_4:
	v_cmp_gt_u32_e32 vcc_lo, s0, v0
	s_and_b32 s1, vcc_lo, exec_lo
	s_cbranch_execnz .LBB488_2
.LBB488_5:
	s_or_b32 s1, s1, exec_lo
	s_and_saveexec_b32 s0, s1
	s_cbranch_execz .LBB488_3
.LBB488_6:
	v_add_co_u32 v0, s0, s2, v0
	v_add_co_ci_u32_e64 v1, null, s3, 0, s0
	v_lshlrev_b64 v[4:5], 4, v[0:1]
	v_add_co_u32 v0, vcc_lo, s8, v4
	v_add_co_ci_u32_e64 v1, null, s9, v5, vcc_lo
	v_add_co_u32 v4, vcc_lo, s10, v4
	v_add_co_ci_u32_e64 v5, null, s11, v5, vcc_lo
	global_load_dwordx4 v[0:3], v[0:1], off
	s_waitcnt vmcnt(0)
	flat_store_dwordx4 v[4:5], v[0:3]
	s_endpgm
	.section	.rodata,"a",@progbits
	.p2align	6, 0x0
	.amdhsa_kernel _ZN6thrust23THRUST_200600_302600_NS11hip_rocprim14__parallel_for6kernelILj256ENS1_20__uninitialized_copy7functorIPNS0_5tupleIblNS0_9null_typeES7_S7_S7_S7_S7_S7_S7_EENS0_7pointerIS8_NS1_3tagENS0_11use_defaultESC_EEEEmLj1EEEvT0_T1_SG_
		.amdhsa_group_segment_fixed_size 0
		.amdhsa_private_segment_fixed_size 0
		.amdhsa_kernarg_size 32
		.amdhsa_user_sgpr_count 6
		.amdhsa_user_sgpr_private_segment_buffer 1
		.amdhsa_user_sgpr_dispatch_ptr 0
		.amdhsa_user_sgpr_queue_ptr 0
		.amdhsa_user_sgpr_kernarg_segment_ptr 1
		.amdhsa_user_sgpr_dispatch_id 0
		.amdhsa_user_sgpr_flat_scratch_init 0
		.amdhsa_user_sgpr_private_segment_size 0
		.amdhsa_wavefront_size32 1
		.amdhsa_uses_dynamic_stack 0
		.amdhsa_system_sgpr_private_segment_wavefront_offset 0
		.amdhsa_system_sgpr_workgroup_id_x 1
		.amdhsa_system_sgpr_workgroup_id_y 0
		.amdhsa_system_sgpr_workgroup_id_z 0
		.amdhsa_system_sgpr_workgroup_info 0
		.amdhsa_system_vgpr_workitem_id 0
		.amdhsa_next_free_vgpr 6
		.amdhsa_next_free_sgpr 16
		.amdhsa_reserve_vcc 1
		.amdhsa_reserve_flat_scratch 0
		.amdhsa_float_round_mode_32 0
		.amdhsa_float_round_mode_16_64 0
		.amdhsa_float_denorm_mode_32 3
		.amdhsa_float_denorm_mode_16_64 3
		.amdhsa_dx10_clamp 1
		.amdhsa_ieee_mode 1
		.amdhsa_fp16_overflow 0
		.amdhsa_workgroup_processor_mode 1
		.amdhsa_memory_ordered 1
		.amdhsa_forward_progress 1
		.amdhsa_shared_vgpr_count 0
		.amdhsa_exception_fp_ieee_invalid_op 0
		.amdhsa_exception_fp_denorm_src 0
		.amdhsa_exception_fp_ieee_div_zero 0
		.amdhsa_exception_fp_ieee_overflow 0
		.amdhsa_exception_fp_ieee_underflow 0
		.amdhsa_exception_fp_ieee_inexact 0
		.amdhsa_exception_int_div_zero 0
	.end_amdhsa_kernel
	.section	.text._ZN6thrust23THRUST_200600_302600_NS11hip_rocprim14__parallel_for6kernelILj256ENS1_20__uninitialized_copy7functorIPNS0_5tupleIblNS0_9null_typeES7_S7_S7_S7_S7_S7_S7_EENS0_7pointerIS8_NS1_3tagENS0_11use_defaultESC_EEEEmLj1EEEvT0_T1_SG_,"axG",@progbits,_ZN6thrust23THRUST_200600_302600_NS11hip_rocprim14__parallel_for6kernelILj256ENS1_20__uninitialized_copy7functorIPNS0_5tupleIblNS0_9null_typeES7_S7_S7_S7_S7_S7_S7_EENS0_7pointerIS8_NS1_3tagENS0_11use_defaultESC_EEEEmLj1EEEvT0_T1_SG_,comdat
.Lfunc_end488:
	.size	_ZN6thrust23THRUST_200600_302600_NS11hip_rocprim14__parallel_for6kernelILj256ENS1_20__uninitialized_copy7functorIPNS0_5tupleIblNS0_9null_typeES7_S7_S7_S7_S7_S7_S7_EENS0_7pointerIS8_NS1_3tagENS0_11use_defaultESC_EEEEmLj1EEEvT0_T1_SG_, .Lfunc_end488-_ZN6thrust23THRUST_200600_302600_NS11hip_rocprim14__parallel_for6kernelILj256ENS1_20__uninitialized_copy7functorIPNS0_5tupleIblNS0_9null_typeES7_S7_S7_S7_S7_S7_S7_EENS0_7pointerIS8_NS1_3tagENS0_11use_defaultESC_EEEEmLj1EEEvT0_T1_SG_
                                        ; -- End function
	.set _ZN6thrust23THRUST_200600_302600_NS11hip_rocprim14__parallel_for6kernelILj256ENS1_20__uninitialized_copy7functorIPNS0_5tupleIblNS0_9null_typeES7_S7_S7_S7_S7_S7_S7_EENS0_7pointerIS8_NS1_3tagENS0_11use_defaultESC_EEEEmLj1EEEvT0_T1_SG_.num_vgpr, 6
	.set _ZN6thrust23THRUST_200600_302600_NS11hip_rocprim14__parallel_for6kernelILj256ENS1_20__uninitialized_copy7functorIPNS0_5tupleIblNS0_9null_typeES7_S7_S7_S7_S7_S7_S7_EENS0_7pointerIS8_NS1_3tagENS0_11use_defaultESC_EEEEmLj1EEEvT0_T1_SG_.num_agpr, 0
	.set _ZN6thrust23THRUST_200600_302600_NS11hip_rocprim14__parallel_for6kernelILj256ENS1_20__uninitialized_copy7functorIPNS0_5tupleIblNS0_9null_typeES7_S7_S7_S7_S7_S7_S7_EENS0_7pointerIS8_NS1_3tagENS0_11use_defaultESC_EEEEmLj1EEEvT0_T1_SG_.numbered_sgpr, 16
	.set _ZN6thrust23THRUST_200600_302600_NS11hip_rocprim14__parallel_for6kernelILj256ENS1_20__uninitialized_copy7functorIPNS0_5tupleIblNS0_9null_typeES7_S7_S7_S7_S7_S7_S7_EENS0_7pointerIS8_NS1_3tagENS0_11use_defaultESC_EEEEmLj1EEEvT0_T1_SG_.num_named_barrier, 0
	.set _ZN6thrust23THRUST_200600_302600_NS11hip_rocprim14__parallel_for6kernelILj256ENS1_20__uninitialized_copy7functorIPNS0_5tupleIblNS0_9null_typeES7_S7_S7_S7_S7_S7_S7_EENS0_7pointerIS8_NS1_3tagENS0_11use_defaultESC_EEEEmLj1EEEvT0_T1_SG_.private_seg_size, 0
	.set _ZN6thrust23THRUST_200600_302600_NS11hip_rocprim14__parallel_for6kernelILj256ENS1_20__uninitialized_copy7functorIPNS0_5tupleIblNS0_9null_typeES7_S7_S7_S7_S7_S7_S7_EENS0_7pointerIS8_NS1_3tagENS0_11use_defaultESC_EEEEmLj1EEEvT0_T1_SG_.uses_vcc, 1
	.set _ZN6thrust23THRUST_200600_302600_NS11hip_rocprim14__parallel_for6kernelILj256ENS1_20__uninitialized_copy7functorIPNS0_5tupleIblNS0_9null_typeES7_S7_S7_S7_S7_S7_S7_EENS0_7pointerIS8_NS1_3tagENS0_11use_defaultESC_EEEEmLj1EEEvT0_T1_SG_.uses_flat_scratch, 0
	.set _ZN6thrust23THRUST_200600_302600_NS11hip_rocprim14__parallel_for6kernelILj256ENS1_20__uninitialized_copy7functorIPNS0_5tupleIblNS0_9null_typeES7_S7_S7_S7_S7_S7_S7_EENS0_7pointerIS8_NS1_3tagENS0_11use_defaultESC_EEEEmLj1EEEvT0_T1_SG_.has_dyn_sized_stack, 0
	.set _ZN6thrust23THRUST_200600_302600_NS11hip_rocprim14__parallel_for6kernelILj256ENS1_20__uninitialized_copy7functorIPNS0_5tupleIblNS0_9null_typeES7_S7_S7_S7_S7_S7_S7_EENS0_7pointerIS8_NS1_3tagENS0_11use_defaultESC_EEEEmLj1EEEvT0_T1_SG_.has_recursion, 0
	.set _ZN6thrust23THRUST_200600_302600_NS11hip_rocprim14__parallel_for6kernelILj256ENS1_20__uninitialized_copy7functorIPNS0_5tupleIblNS0_9null_typeES7_S7_S7_S7_S7_S7_S7_EENS0_7pointerIS8_NS1_3tagENS0_11use_defaultESC_EEEEmLj1EEEvT0_T1_SG_.has_indirect_call, 0
	.section	.AMDGPU.csdata,"",@progbits
; Kernel info:
; codeLenInByte = 184
; TotalNumSgprs: 18
; NumVgprs: 6
; ScratchSize: 0
; MemoryBound: 0
; FloatMode: 240
; IeeeMode: 1
; LDSByteSize: 0 bytes/workgroup (compile time only)
; SGPRBlocks: 0
; VGPRBlocks: 0
; NumSGPRsForWavesPerEU: 18
; NumVGPRsForWavesPerEU: 6
; Occupancy: 16
; WaveLimiterHint : 0
; COMPUTE_PGM_RSRC2:SCRATCH_EN: 0
; COMPUTE_PGM_RSRC2:USER_SGPR: 6
; COMPUTE_PGM_RSRC2:TRAP_HANDLER: 0
; COMPUTE_PGM_RSRC2:TGID_X_EN: 1
; COMPUTE_PGM_RSRC2:TGID_Y_EN: 0
; COMPUTE_PGM_RSRC2:TGID_Z_EN: 0
; COMPUTE_PGM_RSRC2:TIDIG_COMP_CNT: 0
	.section	.text._ZN7rocprim17ROCPRIM_400000_NS6detail17trampoline_kernelINS0_14default_configENS1_27lower_bound_config_selectorIN6thrust23THRUST_200600_302600_NS5tupleIiiNS6_9null_typeES8_S8_S8_S8_S8_S8_S8_EEiEEZNS1_14transform_implILb0ES3_SA_NS6_6detail15normal_iteratorINS6_10device_ptrIS9_EEEENSD_INSE_IiEEEEZNS1_13binary_searchIS3_SA_SG_SG_SI_NS1_21lower_bound_search_opENSC_16wrapped_functionINS0_4lessIvEEbEEEE10hipError_tPvRmT1_T2_T3_mmT4_T5_P12ihipStream_tbEUlRKS9_E_EESP_ST_SU_mSV_SY_bEUlT_E_NS1_11comp_targetILNS1_3genE0ELNS1_11target_archE4294967295ELNS1_3gpuE0ELNS1_3repE0EEENS1_30default_config_static_selectorELNS0_4arch9wavefront6targetE0EEEvSS_,"axG",@progbits,_ZN7rocprim17ROCPRIM_400000_NS6detail17trampoline_kernelINS0_14default_configENS1_27lower_bound_config_selectorIN6thrust23THRUST_200600_302600_NS5tupleIiiNS6_9null_typeES8_S8_S8_S8_S8_S8_S8_EEiEEZNS1_14transform_implILb0ES3_SA_NS6_6detail15normal_iteratorINS6_10device_ptrIS9_EEEENSD_INSE_IiEEEEZNS1_13binary_searchIS3_SA_SG_SG_SI_NS1_21lower_bound_search_opENSC_16wrapped_functionINS0_4lessIvEEbEEEE10hipError_tPvRmT1_T2_T3_mmT4_T5_P12ihipStream_tbEUlRKS9_E_EESP_ST_SU_mSV_SY_bEUlT_E_NS1_11comp_targetILNS1_3genE0ELNS1_11target_archE4294967295ELNS1_3gpuE0ELNS1_3repE0EEENS1_30default_config_static_selectorELNS0_4arch9wavefront6targetE0EEEvSS_,comdat
	.protected	_ZN7rocprim17ROCPRIM_400000_NS6detail17trampoline_kernelINS0_14default_configENS1_27lower_bound_config_selectorIN6thrust23THRUST_200600_302600_NS5tupleIiiNS6_9null_typeES8_S8_S8_S8_S8_S8_S8_EEiEEZNS1_14transform_implILb0ES3_SA_NS6_6detail15normal_iteratorINS6_10device_ptrIS9_EEEENSD_INSE_IiEEEEZNS1_13binary_searchIS3_SA_SG_SG_SI_NS1_21lower_bound_search_opENSC_16wrapped_functionINS0_4lessIvEEbEEEE10hipError_tPvRmT1_T2_T3_mmT4_T5_P12ihipStream_tbEUlRKS9_E_EESP_ST_SU_mSV_SY_bEUlT_E_NS1_11comp_targetILNS1_3genE0ELNS1_11target_archE4294967295ELNS1_3gpuE0ELNS1_3repE0EEENS1_30default_config_static_selectorELNS0_4arch9wavefront6targetE0EEEvSS_ ; -- Begin function _ZN7rocprim17ROCPRIM_400000_NS6detail17trampoline_kernelINS0_14default_configENS1_27lower_bound_config_selectorIN6thrust23THRUST_200600_302600_NS5tupleIiiNS6_9null_typeES8_S8_S8_S8_S8_S8_S8_EEiEEZNS1_14transform_implILb0ES3_SA_NS6_6detail15normal_iteratorINS6_10device_ptrIS9_EEEENSD_INSE_IiEEEEZNS1_13binary_searchIS3_SA_SG_SG_SI_NS1_21lower_bound_search_opENSC_16wrapped_functionINS0_4lessIvEEbEEEE10hipError_tPvRmT1_T2_T3_mmT4_T5_P12ihipStream_tbEUlRKS9_E_EESP_ST_SU_mSV_SY_bEUlT_E_NS1_11comp_targetILNS1_3genE0ELNS1_11target_archE4294967295ELNS1_3gpuE0ELNS1_3repE0EEENS1_30default_config_static_selectorELNS0_4arch9wavefront6targetE0EEEvSS_
	.globl	_ZN7rocprim17ROCPRIM_400000_NS6detail17trampoline_kernelINS0_14default_configENS1_27lower_bound_config_selectorIN6thrust23THRUST_200600_302600_NS5tupleIiiNS6_9null_typeES8_S8_S8_S8_S8_S8_S8_EEiEEZNS1_14transform_implILb0ES3_SA_NS6_6detail15normal_iteratorINS6_10device_ptrIS9_EEEENSD_INSE_IiEEEEZNS1_13binary_searchIS3_SA_SG_SG_SI_NS1_21lower_bound_search_opENSC_16wrapped_functionINS0_4lessIvEEbEEEE10hipError_tPvRmT1_T2_T3_mmT4_T5_P12ihipStream_tbEUlRKS9_E_EESP_ST_SU_mSV_SY_bEUlT_E_NS1_11comp_targetILNS1_3genE0ELNS1_11target_archE4294967295ELNS1_3gpuE0ELNS1_3repE0EEENS1_30default_config_static_selectorELNS0_4arch9wavefront6targetE0EEEvSS_
	.p2align	8
	.type	_ZN7rocprim17ROCPRIM_400000_NS6detail17trampoline_kernelINS0_14default_configENS1_27lower_bound_config_selectorIN6thrust23THRUST_200600_302600_NS5tupleIiiNS6_9null_typeES8_S8_S8_S8_S8_S8_S8_EEiEEZNS1_14transform_implILb0ES3_SA_NS6_6detail15normal_iteratorINS6_10device_ptrIS9_EEEENSD_INSE_IiEEEEZNS1_13binary_searchIS3_SA_SG_SG_SI_NS1_21lower_bound_search_opENSC_16wrapped_functionINS0_4lessIvEEbEEEE10hipError_tPvRmT1_T2_T3_mmT4_T5_P12ihipStream_tbEUlRKS9_E_EESP_ST_SU_mSV_SY_bEUlT_E_NS1_11comp_targetILNS1_3genE0ELNS1_11target_archE4294967295ELNS1_3gpuE0ELNS1_3repE0EEENS1_30default_config_static_selectorELNS0_4arch9wavefront6targetE0EEEvSS_,@function
_ZN7rocprim17ROCPRIM_400000_NS6detail17trampoline_kernelINS0_14default_configENS1_27lower_bound_config_selectorIN6thrust23THRUST_200600_302600_NS5tupleIiiNS6_9null_typeES8_S8_S8_S8_S8_S8_S8_EEiEEZNS1_14transform_implILb0ES3_SA_NS6_6detail15normal_iteratorINS6_10device_ptrIS9_EEEENSD_INSE_IiEEEEZNS1_13binary_searchIS3_SA_SG_SG_SI_NS1_21lower_bound_search_opENSC_16wrapped_functionINS0_4lessIvEEbEEEE10hipError_tPvRmT1_T2_T3_mmT4_T5_P12ihipStream_tbEUlRKS9_E_EESP_ST_SU_mSV_SY_bEUlT_E_NS1_11comp_targetILNS1_3genE0ELNS1_11target_archE4294967295ELNS1_3gpuE0ELNS1_3repE0EEENS1_30default_config_static_selectorELNS0_4arch9wavefront6targetE0EEEvSS_: ; @_ZN7rocprim17ROCPRIM_400000_NS6detail17trampoline_kernelINS0_14default_configENS1_27lower_bound_config_selectorIN6thrust23THRUST_200600_302600_NS5tupleIiiNS6_9null_typeES8_S8_S8_S8_S8_S8_S8_EEiEEZNS1_14transform_implILb0ES3_SA_NS6_6detail15normal_iteratorINS6_10device_ptrIS9_EEEENSD_INSE_IiEEEEZNS1_13binary_searchIS3_SA_SG_SG_SI_NS1_21lower_bound_search_opENSC_16wrapped_functionINS0_4lessIvEEbEEEE10hipError_tPvRmT1_T2_T3_mmT4_T5_P12ihipStream_tbEUlRKS9_E_EESP_ST_SU_mSV_SY_bEUlT_E_NS1_11comp_targetILNS1_3genE0ELNS1_11target_archE4294967295ELNS1_3gpuE0ELNS1_3repE0EEENS1_30default_config_static_selectorELNS0_4arch9wavefront6targetE0EEEvSS_
; %bb.0:
	.section	.rodata,"a",@progbits
	.p2align	6, 0x0
	.amdhsa_kernel _ZN7rocprim17ROCPRIM_400000_NS6detail17trampoline_kernelINS0_14default_configENS1_27lower_bound_config_selectorIN6thrust23THRUST_200600_302600_NS5tupleIiiNS6_9null_typeES8_S8_S8_S8_S8_S8_S8_EEiEEZNS1_14transform_implILb0ES3_SA_NS6_6detail15normal_iteratorINS6_10device_ptrIS9_EEEENSD_INSE_IiEEEEZNS1_13binary_searchIS3_SA_SG_SG_SI_NS1_21lower_bound_search_opENSC_16wrapped_functionINS0_4lessIvEEbEEEE10hipError_tPvRmT1_T2_T3_mmT4_T5_P12ihipStream_tbEUlRKS9_E_EESP_ST_SU_mSV_SY_bEUlT_E_NS1_11comp_targetILNS1_3genE0ELNS1_11target_archE4294967295ELNS1_3gpuE0ELNS1_3repE0EEENS1_30default_config_static_selectorELNS0_4arch9wavefront6targetE0EEEvSS_
		.amdhsa_group_segment_fixed_size 0
		.amdhsa_private_segment_fixed_size 0
		.amdhsa_kernarg_size 56
		.amdhsa_user_sgpr_count 6
		.amdhsa_user_sgpr_private_segment_buffer 1
		.amdhsa_user_sgpr_dispatch_ptr 0
		.amdhsa_user_sgpr_queue_ptr 0
		.amdhsa_user_sgpr_kernarg_segment_ptr 1
		.amdhsa_user_sgpr_dispatch_id 0
		.amdhsa_user_sgpr_flat_scratch_init 0
		.amdhsa_user_sgpr_private_segment_size 0
		.amdhsa_wavefront_size32 1
		.amdhsa_uses_dynamic_stack 0
		.amdhsa_system_sgpr_private_segment_wavefront_offset 0
		.amdhsa_system_sgpr_workgroup_id_x 1
		.amdhsa_system_sgpr_workgroup_id_y 0
		.amdhsa_system_sgpr_workgroup_id_z 0
		.amdhsa_system_sgpr_workgroup_info 0
		.amdhsa_system_vgpr_workitem_id 0
		.amdhsa_next_free_vgpr 1
		.amdhsa_next_free_sgpr 1
		.amdhsa_reserve_vcc 0
		.amdhsa_reserve_flat_scratch 0
		.amdhsa_float_round_mode_32 0
		.amdhsa_float_round_mode_16_64 0
		.amdhsa_float_denorm_mode_32 3
		.amdhsa_float_denorm_mode_16_64 3
		.amdhsa_dx10_clamp 1
		.amdhsa_ieee_mode 1
		.amdhsa_fp16_overflow 0
		.amdhsa_workgroup_processor_mode 1
		.amdhsa_memory_ordered 1
		.amdhsa_forward_progress 1
		.amdhsa_shared_vgpr_count 0
		.amdhsa_exception_fp_ieee_invalid_op 0
		.amdhsa_exception_fp_denorm_src 0
		.amdhsa_exception_fp_ieee_div_zero 0
		.amdhsa_exception_fp_ieee_overflow 0
		.amdhsa_exception_fp_ieee_underflow 0
		.amdhsa_exception_fp_ieee_inexact 0
		.amdhsa_exception_int_div_zero 0
	.end_amdhsa_kernel
	.section	.text._ZN7rocprim17ROCPRIM_400000_NS6detail17trampoline_kernelINS0_14default_configENS1_27lower_bound_config_selectorIN6thrust23THRUST_200600_302600_NS5tupleIiiNS6_9null_typeES8_S8_S8_S8_S8_S8_S8_EEiEEZNS1_14transform_implILb0ES3_SA_NS6_6detail15normal_iteratorINS6_10device_ptrIS9_EEEENSD_INSE_IiEEEEZNS1_13binary_searchIS3_SA_SG_SG_SI_NS1_21lower_bound_search_opENSC_16wrapped_functionINS0_4lessIvEEbEEEE10hipError_tPvRmT1_T2_T3_mmT4_T5_P12ihipStream_tbEUlRKS9_E_EESP_ST_SU_mSV_SY_bEUlT_E_NS1_11comp_targetILNS1_3genE0ELNS1_11target_archE4294967295ELNS1_3gpuE0ELNS1_3repE0EEENS1_30default_config_static_selectorELNS0_4arch9wavefront6targetE0EEEvSS_,"axG",@progbits,_ZN7rocprim17ROCPRIM_400000_NS6detail17trampoline_kernelINS0_14default_configENS1_27lower_bound_config_selectorIN6thrust23THRUST_200600_302600_NS5tupleIiiNS6_9null_typeES8_S8_S8_S8_S8_S8_S8_EEiEEZNS1_14transform_implILb0ES3_SA_NS6_6detail15normal_iteratorINS6_10device_ptrIS9_EEEENSD_INSE_IiEEEEZNS1_13binary_searchIS3_SA_SG_SG_SI_NS1_21lower_bound_search_opENSC_16wrapped_functionINS0_4lessIvEEbEEEE10hipError_tPvRmT1_T2_T3_mmT4_T5_P12ihipStream_tbEUlRKS9_E_EESP_ST_SU_mSV_SY_bEUlT_E_NS1_11comp_targetILNS1_3genE0ELNS1_11target_archE4294967295ELNS1_3gpuE0ELNS1_3repE0EEENS1_30default_config_static_selectorELNS0_4arch9wavefront6targetE0EEEvSS_,comdat
.Lfunc_end489:
	.size	_ZN7rocprim17ROCPRIM_400000_NS6detail17trampoline_kernelINS0_14default_configENS1_27lower_bound_config_selectorIN6thrust23THRUST_200600_302600_NS5tupleIiiNS6_9null_typeES8_S8_S8_S8_S8_S8_S8_EEiEEZNS1_14transform_implILb0ES3_SA_NS6_6detail15normal_iteratorINS6_10device_ptrIS9_EEEENSD_INSE_IiEEEEZNS1_13binary_searchIS3_SA_SG_SG_SI_NS1_21lower_bound_search_opENSC_16wrapped_functionINS0_4lessIvEEbEEEE10hipError_tPvRmT1_T2_T3_mmT4_T5_P12ihipStream_tbEUlRKS9_E_EESP_ST_SU_mSV_SY_bEUlT_E_NS1_11comp_targetILNS1_3genE0ELNS1_11target_archE4294967295ELNS1_3gpuE0ELNS1_3repE0EEENS1_30default_config_static_selectorELNS0_4arch9wavefront6targetE0EEEvSS_, .Lfunc_end489-_ZN7rocprim17ROCPRIM_400000_NS6detail17trampoline_kernelINS0_14default_configENS1_27lower_bound_config_selectorIN6thrust23THRUST_200600_302600_NS5tupleIiiNS6_9null_typeES8_S8_S8_S8_S8_S8_S8_EEiEEZNS1_14transform_implILb0ES3_SA_NS6_6detail15normal_iteratorINS6_10device_ptrIS9_EEEENSD_INSE_IiEEEEZNS1_13binary_searchIS3_SA_SG_SG_SI_NS1_21lower_bound_search_opENSC_16wrapped_functionINS0_4lessIvEEbEEEE10hipError_tPvRmT1_T2_T3_mmT4_T5_P12ihipStream_tbEUlRKS9_E_EESP_ST_SU_mSV_SY_bEUlT_E_NS1_11comp_targetILNS1_3genE0ELNS1_11target_archE4294967295ELNS1_3gpuE0ELNS1_3repE0EEENS1_30default_config_static_selectorELNS0_4arch9wavefront6targetE0EEEvSS_
                                        ; -- End function
	.set _ZN7rocprim17ROCPRIM_400000_NS6detail17trampoline_kernelINS0_14default_configENS1_27lower_bound_config_selectorIN6thrust23THRUST_200600_302600_NS5tupleIiiNS6_9null_typeES8_S8_S8_S8_S8_S8_S8_EEiEEZNS1_14transform_implILb0ES3_SA_NS6_6detail15normal_iteratorINS6_10device_ptrIS9_EEEENSD_INSE_IiEEEEZNS1_13binary_searchIS3_SA_SG_SG_SI_NS1_21lower_bound_search_opENSC_16wrapped_functionINS0_4lessIvEEbEEEE10hipError_tPvRmT1_T2_T3_mmT4_T5_P12ihipStream_tbEUlRKS9_E_EESP_ST_SU_mSV_SY_bEUlT_E_NS1_11comp_targetILNS1_3genE0ELNS1_11target_archE4294967295ELNS1_3gpuE0ELNS1_3repE0EEENS1_30default_config_static_selectorELNS0_4arch9wavefront6targetE0EEEvSS_.num_vgpr, 0
	.set _ZN7rocprim17ROCPRIM_400000_NS6detail17trampoline_kernelINS0_14default_configENS1_27lower_bound_config_selectorIN6thrust23THRUST_200600_302600_NS5tupleIiiNS6_9null_typeES8_S8_S8_S8_S8_S8_S8_EEiEEZNS1_14transform_implILb0ES3_SA_NS6_6detail15normal_iteratorINS6_10device_ptrIS9_EEEENSD_INSE_IiEEEEZNS1_13binary_searchIS3_SA_SG_SG_SI_NS1_21lower_bound_search_opENSC_16wrapped_functionINS0_4lessIvEEbEEEE10hipError_tPvRmT1_T2_T3_mmT4_T5_P12ihipStream_tbEUlRKS9_E_EESP_ST_SU_mSV_SY_bEUlT_E_NS1_11comp_targetILNS1_3genE0ELNS1_11target_archE4294967295ELNS1_3gpuE0ELNS1_3repE0EEENS1_30default_config_static_selectorELNS0_4arch9wavefront6targetE0EEEvSS_.num_agpr, 0
	.set _ZN7rocprim17ROCPRIM_400000_NS6detail17trampoline_kernelINS0_14default_configENS1_27lower_bound_config_selectorIN6thrust23THRUST_200600_302600_NS5tupleIiiNS6_9null_typeES8_S8_S8_S8_S8_S8_S8_EEiEEZNS1_14transform_implILb0ES3_SA_NS6_6detail15normal_iteratorINS6_10device_ptrIS9_EEEENSD_INSE_IiEEEEZNS1_13binary_searchIS3_SA_SG_SG_SI_NS1_21lower_bound_search_opENSC_16wrapped_functionINS0_4lessIvEEbEEEE10hipError_tPvRmT1_T2_T3_mmT4_T5_P12ihipStream_tbEUlRKS9_E_EESP_ST_SU_mSV_SY_bEUlT_E_NS1_11comp_targetILNS1_3genE0ELNS1_11target_archE4294967295ELNS1_3gpuE0ELNS1_3repE0EEENS1_30default_config_static_selectorELNS0_4arch9wavefront6targetE0EEEvSS_.numbered_sgpr, 0
	.set _ZN7rocprim17ROCPRIM_400000_NS6detail17trampoline_kernelINS0_14default_configENS1_27lower_bound_config_selectorIN6thrust23THRUST_200600_302600_NS5tupleIiiNS6_9null_typeES8_S8_S8_S8_S8_S8_S8_EEiEEZNS1_14transform_implILb0ES3_SA_NS6_6detail15normal_iteratorINS6_10device_ptrIS9_EEEENSD_INSE_IiEEEEZNS1_13binary_searchIS3_SA_SG_SG_SI_NS1_21lower_bound_search_opENSC_16wrapped_functionINS0_4lessIvEEbEEEE10hipError_tPvRmT1_T2_T3_mmT4_T5_P12ihipStream_tbEUlRKS9_E_EESP_ST_SU_mSV_SY_bEUlT_E_NS1_11comp_targetILNS1_3genE0ELNS1_11target_archE4294967295ELNS1_3gpuE0ELNS1_3repE0EEENS1_30default_config_static_selectorELNS0_4arch9wavefront6targetE0EEEvSS_.num_named_barrier, 0
	.set _ZN7rocprim17ROCPRIM_400000_NS6detail17trampoline_kernelINS0_14default_configENS1_27lower_bound_config_selectorIN6thrust23THRUST_200600_302600_NS5tupleIiiNS6_9null_typeES8_S8_S8_S8_S8_S8_S8_EEiEEZNS1_14transform_implILb0ES3_SA_NS6_6detail15normal_iteratorINS6_10device_ptrIS9_EEEENSD_INSE_IiEEEEZNS1_13binary_searchIS3_SA_SG_SG_SI_NS1_21lower_bound_search_opENSC_16wrapped_functionINS0_4lessIvEEbEEEE10hipError_tPvRmT1_T2_T3_mmT4_T5_P12ihipStream_tbEUlRKS9_E_EESP_ST_SU_mSV_SY_bEUlT_E_NS1_11comp_targetILNS1_3genE0ELNS1_11target_archE4294967295ELNS1_3gpuE0ELNS1_3repE0EEENS1_30default_config_static_selectorELNS0_4arch9wavefront6targetE0EEEvSS_.private_seg_size, 0
	.set _ZN7rocprim17ROCPRIM_400000_NS6detail17trampoline_kernelINS0_14default_configENS1_27lower_bound_config_selectorIN6thrust23THRUST_200600_302600_NS5tupleIiiNS6_9null_typeES8_S8_S8_S8_S8_S8_S8_EEiEEZNS1_14transform_implILb0ES3_SA_NS6_6detail15normal_iteratorINS6_10device_ptrIS9_EEEENSD_INSE_IiEEEEZNS1_13binary_searchIS3_SA_SG_SG_SI_NS1_21lower_bound_search_opENSC_16wrapped_functionINS0_4lessIvEEbEEEE10hipError_tPvRmT1_T2_T3_mmT4_T5_P12ihipStream_tbEUlRKS9_E_EESP_ST_SU_mSV_SY_bEUlT_E_NS1_11comp_targetILNS1_3genE0ELNS1_11target_archE4294967295ELNS1_3gpuE0ELNS1_3repE0EEENS1_30default_config_static_selectorELNS0_4arch9wavefront6targetE0EEEvSS_.uses_vcc, 0
	.set _ZN7rocprim17ROCPRIM_400000_NS6detail17trampoline_kernelINS0_14default_configENS1_27lower_bound_config_selectorIN6thrust23THRUST_200600_302600_NS5tupleIiiNS6_9null_typeES8_S8_S8_S8_S8_S8_S8_EEiEEZNS1_14transform_implILb0ES3_SA_NS6_6detail15normal_iteratorINS6_10device_ptrIS9_EEEENSD_INSE_IiEEEEZNS1_13binary_searchIS3_SA_SG_SG_SI_NS1_21lower_bound_search_opENSC_16wrapped_functionINS0_4lessIvEEbEEEE10hipError_tPvRmT1_T2_T3_mmT4_T5_P12ihipStream_tbEUlRKS9_E_EESP_ST_SU_mSV_SY_bEUlT_E_NS1_11comp_targetILNS1_3genE0ELNS1_11target_archE4294967295ELNS1_3gpuE0ELNS1_3repE0EEENS1_30default_config_static_selectorELNS0_4arch9wavefront6targetE0EEEvSS_.uses_flat_scratch, 0
	.set _ZN7rocprim17ROCPRIM_400000_NS6detail17trampoline_kernelINS0_14default_configENS1_27lower_bound_config_selectorIN6thrust23THRUST_200600_302600_NS5tupleIiiNS6_9null_typeES8_S8_S8_S8_S8_S8_S8_EEiEEZNS1_14transform_implILb0ES3_SA_NS6_6detail15normal_iteratorINS6_10device_ptrIS9_EEEENSD_INSE_IiEEEEZNS1_13binary_searchIS3_SA_SG_SG_SI_NS1_21lower_bound_search_opENSC_16wrapped_functionINS0_4lessIvEEbEEEE10hipError_tPvRmT1_T2_T3_mmT4_T5_P12ihipStream_tbEUlRKS9_E_EESP_ST_SU_mSV_SY_bEUlT_E_NS1_11comp_targetILNS1_3genE0ELNS1_11target_archE4294967295ELNS1_3gpuE0ELNS1_3repE0EEENS1_30default_config_static_selectorELNS0_4arch9wavefront6targetE0EEEvSS_.has_dyn_sized_stack, 0
	.set _ZN7rocprim17ROCPRIM_400000_NS6detail17trampoline_kernelINS0_14default_configENS1_27lower_bound_config_selectorIN6thrust23THRUST_200600_302600_NS5tupleIiiNS6_9null_typeES8_S8_S8_S8_S8_S8_S8_EEiEEZNS1_14transform_implILb0ES3_SA_NS6_6detail15normal_iteratorINS6_10device_ptrIS9_EEEENSD_INSE_IiEEEEZNS1_13binary_searchIS3_SA_SG_SG_SI_NS1_21lower_bound_search_opENSC_16wrapped_functionINS0_4lessIvEEbEEEE10hipError_tPvRmT1_T2_T3_mmT4_T5_P12ihipStream_tbEUlRKS9_E_EESP_ST_SU_mSV_SY_bEUlT_E_NS1_11comp_targetILNS1_3genE0ELNS1_11target_archE4294967295ELNS1_3gpuE0ELNS1_3repE0EEENS1_30default_config_static_selectorELNS0_4arch9wavefront6targetE0EEEvSS_.has_recursion, 0
	.set _ZN7rocprim17ROCPRIM_400000_NS6detail17trampoline_kernelINS0_14default_configENS1_27lower_bound_config_selectorIN6thrust23THRUST_200600_302600_NS5tupleIiiNS6_9null_typeES8_S8_S8_S8_S8_S8_S8_EEiEEZNS1_14transform_implILb0ES3_SA_NS6_6detail15normal_iteratorINS6_10device_ptrIS9_EEEENSD_INSE_IiEEEEZNS1_13binary_searchIS3_SA_SG_SG_SI_NS1_21lower_bound_search_opENSC_16wrapped_functionINS0_4lessIvEEbEEEE10hipError_tPvRmT1_T2_T3_mmT4_T5_P12ihipStream_tbEUlRKS9_E_EESP_ST_SU_mSV_SY_bEUlT_E_NS1_11comp_targetILNS1_3genE0ELNS1_11target_archE4294967295ELNS1_3gpuE0ELNS1_3repE0EEENS1_30default_config_static_selectorELNS0_4arch9wavefront6targetE0EEEvSS_.has_indirect_call, 0
	.section	.AMDGPU.csdata,"",@progbits
; Kernel info:
; codeLenInByte = 0
; TotalNumSgprs: 0
; NumVgprs: 0
; ScratchSize: 0
; MemoryBound: 0
; FloatMode: 240
; IeeeMode: 1
; LDSByteSize: 0 bytes/workgroup (compile time only)
; SGPRBlocks: 0
; VGPRBlocks: 0
; NumSGPRsForWavesPerEU: 1
; NumVGPRsForWavesPerEU: 1
; Occupancy: 16
; WaveLimiterHint : 0
; COMPUTE_PGM_RSRC2:SCRATCH_EN: 0
; COMPUTE_PGM_RSRC2:USER_SGPR: 6
; COMPUTE_PGM_RSRC2:TRAP_HANDLER: 0
; COMPUTE_PGM_RSRC2:TGID_X_EN: 1
; COMPUTE_PGM_RSRC2:TGID_Y_EN: 0
; COMPUTE_PGM_RSRC2:TGID_Z_EN: 0
; COMPUTE_PGM_RSRC2:TIDIG_COMP_CNT: 0
	.section	.text._ZN7rocprim17ROCPRIM_400000_NS6detail17trampoline_kernelINS0_14default_configENS1_27lower_bound_config_selectorIN6thrust23THRUST_200600_302600_NS5tupleIiiNS6_9null_typeES8_S8_S8_S8_S8_S8_S8_EEiEEZNS1_14transform_implILb0ES3_SA_NS6_6detail15normal_iteratorINS6_10device_ptrIS9_EEEENSD_INSE_IiEEEEZNS1_13binary_searchIS3_SA_SG_SG_SI_NS1_21lower_bound_search_opENSC_16wrapped_functionINS0_4lessIvEEbEEEE10hipError_tPvRmT1_T2_T3_mmT4_T5_P12ihipStream_tbEUlRKS9_E_EESP_ST_SU_mSV_SY_bEUlT_E_NS1_11comp_targetILNS1_3genE5ELNS1_11target_archE942ELNS1_3gpuE9ELNS1_3repE0EEENS1_30default_config_static_selectorELNS0_4arch9wavefront6targetE0EEEvSS_,"axG",@progbits,_ZN7rocprim17ROCPRIM_400000_NS6detail17trampoline_kernelINS0_14default_configENS1_27lower_bound_config_selectorIN6thrust23THRUST_200600_302600_NS5tupleIiiNS6_9null_typeES8_S8_S8_S8_S8_S8_S8_EEiEEZNS1_14transform_implILb0ES3_SA_NS6_6detail15normal_iteratorINS6_10device_ptrIS9_EEEENSD_INSE_IiEEEEZNS1_13binary_searchIS3_SA_SG_SG_SI_NS1_21lower_bound_search_opENSC_16wrapped_functionINS0_4lessIvEEbEEEE10hipError_tPvRmT1_T2_T3_mmT4_T5_P12ihipStream_tbEUlRKS9_E_EESP_ST_SU_mSV_SY_bEUlT_E_NS1_11comp_targetILNS1_3genE5ELNS1_11target_archE942ELNS1_3gpuE9ELNS1_3repE0EEENS1_30default_config_static_selectorELNS0_4arch9wavefront6targetE0EEEvSS_,comdat
	.protected	_ZN7rocprim17ROCPRIM_400000_NS6detail17trampoline_kernelINS0_14default_configENS1_27lower_bound_config_selectorIN6thrust23THRUST_200600_302600_NS5tupleIiiNS6_9null_typeES8_S8_S8_S8_S8_S8_S8_EEiEEZNS1_14transform_implILb0ES3_SA_NS6_6detail15normal_iteratorINS6_10device_ptrIS9_EEEENSD_INSE_IiEEEEZNS1_13binary_searchIS3_SA_SG_SG_SI_NS1_21lower_bound_search_opENSC_16wrapped_functionINS0_4lessIvEEbEEEE10hipError_tPvRmT1_T2_T3_mmT4_T5_P12ihipStream_tbEUlRKS9_E_EESP_ST_SU_mSV_SY_bEUlT_E_NS1_11comp_targetILNS1_3genE5ELNS1_11target_archE942ELNS1_3gpuE9ELNS1_3repE0EEENS1_30default_config_static_selectorELNS0_4arch9wavefront6targetE0EEEvSS_ ; -- Begin function _ZN7rocprim17ROCPRIM_400000_NS6detail17trampoline_kernelINS0_14default_configENS1_27lower_bound_config_selectorIN6thrust23THRUST_200600_302600_NS5tupleIiiNS6_9null_typeES8_S8_S8_S8_S8_S8_S8_EEiEEZNS1_14transform_implILb0ES3_SA_NS6_6detail15normal_iteratorINS6_10device_ptrIS9_EEEENSD_INSE_IiEEEEZNS1_13binary_searchIS3_SA_SG_SG_SI_NS1_21lower_bound_search_opENSC_16wrapped_functionINS0_4lessIvEEbEEEE10hipError_tPvRmT1_T2_T3_mmT4_T5_P12ihipStream_tbEUlRKS9_E_EESP_ST_SU_mSV_SY_bEUlT_E_NS1_11comp_targetILNS1_3genE5ELNS1_11target_archE942ELNS1_3gpuE9ELNS1_3repE0EEENS1_30default_config_static_selectorELNS0_4arch9wavefront6targetE0EEEvSS_
	.globl	_ZN7rocprim17ROCPRIM_400000_NS6detail17trampoline_kernelINS0_14default_configENS1_27lower_bound_config_selectorIN6thrust23THRUST_200600_302600_NS5tupleIiiNS6_9null_typeES8_S8_S8_S8_S8_S8_S8_EEiEEZNS1_14transform_implILb0ES3_SA_NS6_6detail15normal_iteratorINS6_10device_ptrIS9_EEEENSD_INSE_IiEEEEZNS1_13binary_searchIS3_SA_SG_SG_SI_NS1_21lower_bound_search_opENSC_16wrapped_functionINS0_4lessIvEEbEEEE10hipError_tPvRmT1_T2_T3_mmT4_T5_P12ihipStream_tbEUlRKS9_E_EESP_ST_SU_mSV_SY_bEUlT_E_NS1_11comp_targetILNS1_3genE5ELNS1_11target_archE942ELNS1_3gpuE9ELNS1_3repE0EEENS1_30default_config_static_selectorELNS0_4arch9wavefront6targetE0EEEvSS_
	.p2align	8
	.type	_ZN7rocprim17ROCPRIM_400000_NS6detail17trampoline_kernelINS0_14default_configENS1_27lower_bound_config_selectorIN6thrust23THRUST_200600_302600_NS5tupleIiiNS6_9null_typeES8_S8_S8_S8_S8_S8_S8_EEiEEZNS1_14transform_implILb0ES3_SA_NS6_6detail15normal_iteratorINS6_10device_ptrIS9_EEEENSD_INSE_IiEEEEZNS1_13binary_searchIS3_SA_SG_SG_SI_NS1_21lower_bound_search_opENSC_16wrapped_functionINS0_4lessIvEEbEEEE10hipError_tPvRmT1_T2_T3_mmT4_T5_P12ihipStream_tbEUlRKS9_E_EESP_ST_SU_mSV_SY_bEUlT_E_NS1_11comp_targetILNS1_3genE5ELNS1_11target_archE942ELNS1_3gpuE9ELNS1_3repE0EEENS1_30default_config_static_selectorELNS0_4arch9wavefront6targetE0EEEvSS_,@function
_ZN7rocprim17ROCPRIM_400000_NS6detail17trampoline_kernelINS0_14default_configENS1_27lower_bound_config_selectorIN6thrust23THRUST_200600_302600_NS5tupleIiiNS6_9null_typeES8_S8_S8_S8_S8_S8_S8_EEiEEZNS1_14transform_implILb0ES3_SA_NS6_6detail15normal_iteratorINS6_10device_ptrIS9_EEEENSD_INSE_IiEEEEZNS1_13binary_searchIS3_SA_SG_SG_SI_NS1_21lower_bound_search_opENSC_16wrapped_functionINS0_4lessIvEEbEEEE10hipError_tPvRmT1_T2_T3_mmT4_T5_P12ihipStream_tbEUlRKS9_E_EESP_ST_SU_mSV_SY_bEUlT_E_NS1_11comp_targetILNS1_3genE5ELNS1_11target_archE942ELNS1_3gpuE9ELNS1_3repE0EEENS1_30default_config_static_selectorELNS0_4arch9wavefront6targetE0EEEvSS_: ; @_ZN7rocprim17ROCPRIM_400000_NS6detail17trampoline_kernelINS0_14default_configENS1_27lower_bound_config_selectorIN6thrust23THRUST_200600_302600_NS5tupleIiiNS6_9null_typeES8_S8_S8_S8_S8_S8_S8_EEiEEZNS1_14transform_implILb0ES3_SA_NS6_6detail15normal_iteratorINS6_10device_ptrIS9_EEEENSD_INSE_IiEEEEZNS1_13binary_searchIS3_SA_SG_SG_SI_NS1_21lower_bound_search_opENSC_16wrapped_functionINS0_4lessIvEEbEEEE10hipError_tPvRmT1_T2_T3_mmT4_T5_P12ihipStream_tbEUlRKS9_E_EESP_ST_SU_mSV_SY_bEUlT_E_NS1_11comp_targetILNS1_3genE5ELNS1_11target_archE942ELNS1_3gpuE9ELNS1_3repE0EEENS1_30default_config_static_selectorELNS0_4arch9wavefront6targetE0EEEvSS_
; %bb.0:
	.section	.rodata,"a",@progbits
	.p2align	6, 0x0
	.amdhsa_kernel _ZN7rocprim17ROCPRIM_400000_NS6detail17trampoline_kernelINS0_14default_configENS1_27lower_bound_config_selectorIN6thrust23THRUST_200600_302600_NS5tupleIiiNS6_9null_typeES8_S8_S8_S8_S8_S8_S8_EEiEEZNS1_14transform_implILb0ES3_SA_NS6_6detail15normal_iteratorINS6_10device_ptrIS9_EEEENSD_INSE_IiEEEEZNS1_13binary_searchIS3_SA_SG_SG_SI_NS1_21lower_bound_search_opENSC_16wrapped_functionINS0_4lessIvEEbEEEE10hipError_tPvRmT1_T2_T3_mmT4_T5_P12ihipStream_tbEUlRKS9_E_EESP_ST_SU_mSV_SY_bEUlT_E_NS1_11comp_targetILNS1_3genE5ELNS1_11target_archE942ELNS1_3gpuE9ELNS1_3repE0EEENS1_30default_config_static_selectorELNS0_4arch9wavefront6targetE0EEEvSS_
		.amdhsa_group_segment_fixed_size 0
		.amdhsa_private_segment_fixed_size 0
		.amdhsa_kernarg_size 56
		.amdhsa_user_sgpr_count 6
		.amdhsa_user_sgpr_private_segment_buffer 1
		.amdhsa_user_sgpr_dispatch_ptr 0
		.amdhsa_user_sgpr_queue_ptr 0
		.amdhsa_user_sgpr_kernarg_segment_ptr 1
		.amdhsa_user_sgpr_dispatch_id 0
		.amdhsa_user_sgpr_flat_scratch_init 0
		.amdhsa_user_sgpr_private_segment_size 0
		.amdhsa_wavefront_size32 1
		.amdhsa_uses_dynamic_stack 0
		.amdhsa_system_sgpr_private_segment_wavefront_offset 0
		.amdhsa_system_sgpr_workgroup_id_x 1
		.amdhsa_system_sgpr_workgroup_id_y 0
		.amdhsa_system_sgpr_workgroup_id_z 0
		.amdhsa_system_sgpr_workgroup_info 0
		.amdhsa_system_vgpr_workitem_id 0
		.amdhsa_next_free_vgpr 1
		.amdhsa_next_free_sgpr 1
		.amdhsa_reserve_vcc 0
		.amdhsa_reserve_flat_scratch 0
		.amdhsa_float_round_mode_32 0
		.amdhsa_float_round_mode_16_64 0
		.amdhsa_float_denorm_mode_32 3
		.amdhsa_float_denorm_mode_16_64 3
		.amdhsa_dx10_clamp 1
		.amdhsa_ieee_mode 1
		.amdhsa_fp16_overflow 0
		.amdhsa_workgroup_processor_mode 1
		.amdhsa_memory_ordered 1
		.amdhsa_forward_progress 1
		.amdhsa_shared_vgpr_count 0
		.amdhsa_exception_fp_ieee_invalid_op 0
		.amdhsa_exception_fp_denorm_src 0
		.amdhsa_exception_fp_ieee_div_zero 0
		.amdhsa_exception_fp_ieee_overflow 0
		.amdhsa_exception_fp_ieee_underflow 0
		.amdhsa_exception_fp_ieee_inexact 0
		.amdhsa_exception_int_div_zero 0
	.end_amdhsa_kernel
	.section	.text._ZN7rocprim17ROCPRIM_400000_NS6detail17trampoline_kernelINS0_14default_configENS1_27lower_bound_config_selectorIN6thrust23THRUST_200600_302600_NS5tupleIiiNS6_9null_typeES8_S8_S8_S8_S8_S8_S8_EEiEEZNS1_14transform_implILb0ES3_SA_NS6_6detail15normal_iteratorINS6_10device_ptrIS9_EEEENSD_INSE_IiEEEEZNS1_13binary_searchIS3_SA_SG_SG_SI_NS1_21lower_bound_search_opENSC_16wrapped_functionINS0_4lessIvEEbEEEE10hipError_tPvRmT1_T2_T3_mmT4_T5_P12ihipStream_tbEUlRKS9_E_EESP_ST_SU_mSV_SY_bEUlT_E_NS1_11comp_targetILNS1_3genE5ELNS1_11target_archE942ELNS1_3gpuE9ELNS1_3repE0EEENS1_30default_config_static_selectorELNS0_4arch9wavefront6targetE0EEEvSS_,"axG",@progbits,_ZN7rocprim17ROCPRIM_400000_NS6detail17trampoline_kernelINS0_14default_configENS1_27lower_bound_config_selectorIN6thrust23THRUST_200600_302600_NS5tupleIiiNS6_9null_typeES8_S8_S8_S8_S8_S8_S8_EEiEEZNS1_14transform_implILb0ES3_SA_NS6_6detail15normal_iteratorINS6_10device_ptrIS9_EEEENSD_INSE_IiEEEEZNS1_13binary_searchIS3_SA_SG_SG_SI_NS1_21lower_bound_search_opENSC_16wrapped_functionINS0_4lessIvEEbEEEE10hipError_tPvRmT1_T2_T3_mmT4_T5_P12ihipStream_tbEUlRKS9_E_EESP_ST_SU_mSV_SY_bEUlT_E_NS1_11comp_targetILNS1_3genE5ELNS1_11target_archE942ELNS1_3gpuE9ELNS1_3repE0EEENS1_30default_config_static_selectorELNS0_4arch9wavefront6targetE0EEEvSS_,comdat
.Lfunc_end490:
	.size	_ZN7rocprim17ROCPRIM_400000_NS6detail17trampoline_kernelINS0_14default_configENS1_27lower_bound_config_selectorIN6thrust23THRUST_200600_302600_NS5tupleIiiNS6_9null_typeES8_S8_S8_S8_S8_S8_S8_EEiEEZNS1_14transform_implILb0ES3_SA_NS6_6detail15normal_iteratorINS6_10device_ptrIS9_EEEENSD_INSE_IiEEEEZNS1_13binary_searchIS3_SA_SG_SG_SI_NS1_21lower_bound_search_opENSC_16wrapped_functionINS0_4lessIvEEbEEEE10hipError_tPvRmT1_T2_T3_mmT4_T5_P12ihipStream_tbEUlRKS9_E_EESP_ST_SU_mSV_SY_bEUlT_E_NS1_11comp_targetILNS1_3genE5ELNS1_11target_archE942ELNS1_3gpuE9ELNS1_3repE0EEENS1_30default_config_static_selectorELNS0_4arch9wavefront6targetE0EEEvSS_, .Lfunc_end490-_ZN7rocprim17ROCPRIM_400000_NS6detail17trampoline_kernelINS0_14default_configENS1_27lower_bound_config_selectorIN6thrust23THRUST_200600_302600_NS5tupleIiiNS6_9null_typeES8_S8_S8_S8_S8_S8_S8_EEiEEZNS1_14transform_implILb0ES3_SA_NS6_6detail15normal_iteratorINS6_10device_ptrIS9_EEEENSD_INSE_IiEEEEZNS1_13binary_searchIS3_SA_SG_SG_SI_NS1_21lower_bound_search_opENSC_16wrapped_functionINS0_4lessIvEEbEEEE10hipError_tPvRmT1_T2_T3_mmT4_T5_P12ihipStream_tbEUlRKS9_E_EESP_ST_SU_mSV_SY_bEUlT_E_NS1_11comp_targetILNS1_3genE5ELNS1_11target_archE942ELNS1_3gpuE9ELNS1_3repE0EEENS1_30default_config_static_selectorELNS0_4arch9wavefront6targetE0EEEvSS_
                                        ; -- End function
	.set _ZN7rocprim17ROCPRIM_400000_NS6detail17trampoline_kernelINS0_14default_configENS1_27lower_bound_config_selectorIN6thrust23THRUST_200600_302600_NS5tupleIiiNS6_9null_typeES8_S8_S8_S8_S8_S8_S8_EEiEEZNS1_14transform_implILb0ES3_SA_NS6_6detail15normal_iteratorINS6_10device_ptrIS9_EEEENSD_INSE_IiEEEEZNS1_13binary_searchIS3_SA_SG_SG_SI_NS1_21lower_bound_search_opENSC_16wrapped_functionINS0_4lessIvEEbEEEE10hipError_tPvRmT1_T2_T3_mmT4_T5_P12ihipStream_tbEUlRKS9_E_EESP_ST_SU_mSV_SY_bEUlT_E_NS1_11comp_targetILNS1_3genE5ELNS1_11target_archE942ELNS1_3gpuE9ELNS1_3repE0EEENS1_30default_config_static_selectorELNS0_4arch9wavefront6targetE0EEEvSS_.num_vgpr, 0
	.set _ZN7rocprim17ROCPRIM_400000_NS6detail17trampoline_kernelINS0_14default_configENS1_27lower_bound_config_selectorIN6thrust23THRUST_200600_302600_NS5tupleIiiNS6_9null_typeES8_S8_S8_S8_S8_S8_S8_EEiEEZNS1_14transform_implILb0ES3_SA_NS6_6detail15normal_iteratorINS6_10device_ptrIS9_EEEENSD_INSE_IiEEEEZNS1_13binary_searchIS3_SA_SG_SG_SI_NS1_21lower_bound_search_opENSC_16wrapped_functionINS0_4lessIvEEbEEEE10hipError_tPvRmT1_T2_T3_mmT4_T5_P12ihipStream_tbEUlRKS9_E_EESP_ST_SU_mSV_SY_bEUlT_E_NS1_11comp_targetILNS1_3genE5ELNS1_11target_archE942ELNS1_3gpuE9ELNS1_3repE0EEENS1_30default_config_static_selectorELNS0_4arch9wavefront6targetE0EEEvSS_.num_agpr, 0
	.set _ZN7rocprim17ROCPRIM_400000_NS6detail17trampoline_kernelINS0_14default_configENS1_27lower_bound_config_selectorIN6thrust23THRUST_200600_302600_NS5tupleIiiNS6_9null_typeES8_S8_S8_S8_S8_S8_S8_EEiEEZNS1_14transform_implILb0ES3_SA_NS6_6detail15normal_iteratorINS6_10device_ptrIS9_EEEENSD_INSE_IiEEEEZNS1_13binary_searchIS3_SA_SG_SG_SI_NS1_21lower_bound_search_opENSC_16wrapped_functionINS0_4lessIvEEbEEEE10hipError_tPvRmT1_T2_T3_mmT4_T5_P12ihipStream_tbEUlRKS9_E_EESP_ST_SU_mSV_SY_bEUlT_E_NS1_11comp_targetILNS1_3genE5ELNS1_11target_archE942ELNS1_3gpuE9ELNS1_3repE0EEENS1_30default_config_static_selectorELNS0_4arch9wavefront6targetE0EEEvSS_.numbered_sgpr, 0
	.set _ZN7rocprim17ROCPRIM_400000_NS6detail17trampoline_kernelINS0_14default_configENS1_27lower_bound_config_selectorIN6thrust23THRUST_200600_302600_NS5tupleIiiNS6_9null_typeES8_S8_S8_S8_S8_S8_S8_EEiEEZNS1_14transform_implILb0ES3_SA_NS6_6detail15normal_iteratorINS6_10device_ptrIS9_EEEENSD_INSE_IiEEEEZNS1_13binary_searchIS3_SA_SG_SG_SI_NS1_21lower_bound_search_opENSC_16wrapped_functionINS0_4lessIvEEbEEEE10hipError_tPvRmT1_T2_T3_mmT4_T5_P12ihipStream_tbEUlRKS9_E_EESP_ST_SU_mSV_SY_bEUlT_E_NS1_11comp_targetILNS1_3genE5ELNS1_11target_archE942ELNS1_3gpuE9ELNS1_3repE0EEENS1_30default_config_static_selectorELNS0_4arch9wavefront6targetE0EEEvSS_.num_named_barrier, 0
	.set _ZN7rocprim17ROCPRIM_400000_NS6detail17trampoline_kernelINS0_14default_configENS1_27lower_bound_config_selectorIN6thrust23THRUST_200600_302600_NS5tupleIiiNS6_9null_typeES8_S8_S8_S8_S8_S8_S8_EEiEEZNS1_14transform_implILb0ES3_SA_NS6_6detail15normal_iteratorINS6_10device_ptrIS9_EEEENSD_INSE_IiEEEEZNS1_13binary_searchIS3_SA_SG_SG_SI_NS1_21lower_bound_search_opENSC_16wrapped_functionINS0_4lessIvEEbEEEE10hipError_tPvRmT1_T2_T3_mmT4_T5_P12ihipStream_tbEUlRKS9_E_EESP_ST_SU_mSV_SY_bEUlT_E_NS1_11comp_targetILNS1_3genE5ELNS1_11target_archE942ELNS1_3gpuE9ELNS1_3repE0EEENS1_30default_config_static_selectorELNS0_4arch9wavefront6targetE0EEEvSS_.private_seg_size, 0
	.set _ZN7rocprim17ROCPRIM_400000_NS6detail17trampoline_kernelINS0_14default_configENS1_27lower_bound_config_selectorIN6thrust23THRUST_200600_302600_NS5tupleIiiNS6_9null_typeES8_S8_S8_S8_S8_S8_S8_EEiEEZNS1_14transform_implILb0ES3_SA_NS6_6detail15normal_iteratorINS6_10device_ptrIS9_EEEENSD_INSE_IiEEEEZNS1_13binary_searchIS3_SA_SG_SG_SI_NS1_21lower_bound_search_opENSC_16wrapped_functionINS0_4lessIvEEbEEEE10hipError_tPvRmT1_T2_T3_mmT4_T5_P12ihipStream_tbEUlRKS9_E_EESP_ST_SU_mSV_SY_bEUlT_E_NS1_11comp_targetILNS1_3genE5ELNS1_11target_archE942ELNS1_3gpuE9ELNS1_3repE0EEENS1_30default_config_static_selectorELNS0_4arch9wavefront6targetE0EEEvSS_.uses_vcc, 0
	.set _ZN7rocprim17ROCPRIM_400000_NS6detail17trampoline_kernelINS0_14default_configENS1_27lower_bound_config_selectorIN6thrust23THRUST_200600_302600_NS5tupleIiiNS6_9null_typeES8_S8_S8_S8_S8_S8_S8_EEiEEZNS1_14transform_implILb0ES3_SA_NS6_6detail15normal_iteratorINS6_10device_ptrIS9_EEEENSD_INSE_IiEEEEZNS1_13binary_searchIS3_SA_SG_SG_SI_NS1_21lower_bound_search_opENSC_16wrapped_functionINS0_4lessIvEEbEEEE10hipError_tPvRmT1_T2_T3_mmT4_T5_P12ihipStream_tbEUlRKS9_E_EESP_ST_SU_mSV_SY_bEUlT_E_NS1_11comp_targetILNS1_3genE5ELNS1_11target_archE942ELNS1_3gpuE9ELNS1_3repE0EEENS1_30default_config_static_selectorELNS0_4arch9wavefront6targetE0EEEvSS_.uses_flat_scratch, 0
	.set _ZN7rocprim17ROCPRIM_400000_NS6detail17trampoline_kernelINS0_14default_configENS1_27lower_bound_config_selectorIN6thrust23THRUST_200600_302600_NS5tupleIiiNS6_9null_typeES8_S8_S8_S8_S8_S8_S8_EEiEEZNS1_14transform_implILb0ES3_SA_NS6_6detail15normal_iteratorINS6_10device_ptrIS9_EEEENSD_INSE_IiEEEEZNS1_13binary_searchIS3_SA_SG_SG_SI_NS1_21lower_bound_search_opENSC_16wrapped_functionINS0_4lessIvEEbEEEE10hipError_tPvRmT1_T2_T3_mmT4_T5_P12ihipStream_tbEUlRKS9_E_EESP_ST_SU_mSV_SY_bEUlT_E_NS1_11comp_targetILNS1_3genE5ELNS1_11target_archE942ELNS1_3gpuE9ELNS1_3repE0EEENS1_30default_config_static_selectorELNS0_4arch9wavefront6targetE0EEEvSS_.has_dyn_sized_stack, 0
	.set _ZN7rocprim17ROCPRIM_400000_NS6detail17trampoline_kernelINS0_14default_configENS1_27lower_bound_config_selectorIN6thrust23THRUST_200600_302600_NS5tupleIiiNS6_9null_typeES8_S8_S8_S8_S8_S8_S8_EEiEEZNS1_14transform_implILb0ES3_SA_NS6_6detail15normal_iteratorINS6_10device_ptrIS9_EEEENSD_INSE_IiEEEEZNS1_13binary_searchIS3_SA_SG_SG_SI_NS1_21lower_bound_search_opENSC_16wrapped_functionINS0_4lessIvEEbEEEE10hipError_tPvRmT1_T2_T3_mmT4_T5_P12ihipStream_tbEUlRKS9_E_EESP_ST_SU_mSV_SY_bEUlT_E_NS1_11comp_targetILNS1_3genE5ELNS1_11target_archE942ELNS1_3gpuE9ELNS1_3repE0EEENS1_30default_config_static_selectorELNS0_4arch9wavefront6targetE0EEEvSS_.has_recursion, 0
	.set _ZN7rocprim17ROCPRIM_400000_NS6detail17trampoline_kernelINS0_14default_configENS1_27lower_bound_config_selectorIN6thrust23THRUST_200600_302600_NS5tupleIiiNS6_9null_typeES8_S8_S8_S8_S8_S8_S8_EEiEEZNS1_14transform_implILb0ES3_SA_NS6_6detail15normal_iteratorINS6_10device_ptrIS9_EEEENSD_INSE_IiEEEEZNS1_13binary_searchIS3_SA_SG_SG_SI_NS1_21lower_bound_search_opENSC_16wrapped_functionINS0_4lessIvEEbEEEE10hipError_tPvRmT1_T2_T3_mmT4_T5_P12ihipStream_tbEUlRKS9_E_EESP_ST_SU_mSV_SY_bEUlT_E_NS1_11comp_targetILNS1_3genE5ELNS1_11target_archE942ELNS1_3gpuE9ELNS1_3repE0EEENS1_30default_config_static_selectorELNS0_4arch9wavefront6targetE0EEEvSS_.has_indirect_call, 0
	.section	.AMDGPU.csdata,"",@progbits
; Kernel info:
; codeLenInByte = 0
; TotalNumSgprs: 0
; NumVgprs: 0
; ScratchSize: 0
; MemoryBound: 0
; FloatMode: 240
; IeeeMode: 1
; LDSByteSize: 0 bytes/workgroup (compile time only)
; SGPRBlocks: 0
; VGPRBlocks: 0
; NumSGPRsForWavesPerEU: 1
; NumVGPRsForWavesPerEU: 1
; Occupancy: 16
; WaveLimiterHint : 0
; COMPUTE_PGM_RSRC2:SCRATCH_EN: 0
; COMPUTE_PGM_RSRC2:USER_SGPR: 6
; COMPUTE_PGM_RSRC2:TRAP_HANDLER: 0
; COMPUTE_PGM_RSRC2:TGID_X_EN: 1
; COMPUTE_PGM_RSRC2:TGID_Y_EN: 0
; COMPUTE_PGM_RSRC2:TGID_Z_EN: 0
; COMPUTE_PGM_RSRC2:TIDIG_COMP_CNT: 0
	.section	.text._ZN7rocprim17ROCPRIM_400000_NS6detail17trampoline_kernelINS0_14default_configENS1_27lower_bound_config_selectorIN6thrust23THRUST_200600_302600_NS5tupleIiiNS6_9null_typeES8_S8_S8_S8_S8_S8_S8_EEiEEZNS1_14transform_implILb0ES3_SA_NS6_6detail15normal_iteratorINS6_10device_ptrIS9_EEEENSD_INSE_IiEEEEZNS1_13binary_searchIS3_SA_SG_SG_SI_NS1_21lower_bound_search_opENSC_16wrapped_functionINS0_4lessIvEEbEEEE10hipError_tPvRmT1_T2_T3_mmT4_T5_P12ihipStream_tbEUlRKS9_E_EESP_ST_SU_mSV_SY_bEUlT_E_NS1_11comp_targetILNS1_3genE4ELNS1_11target_archE910ELNS1_3gpuE8ELNS1_3repE0EEENS1_30default_config_static_selectorELNS0_4arch9wavefront6targetE0EEEvSS_,"axG",@progbits,_ZN7rocprim17ROCPRIM_400000_NS6detail17trampoline_kernelINS0_14default_configENS1_27lower_bound_config_selectorIN6thrust23THRUST_200600_302600_NS5tupleIiiNS6_9null_typeES8_S8_S8_S8_S8_S8_S8_EEiEEZNS1_14transform_implILb0ES3_SA_NS6_6detail15normal_iteratorINS6_10device_ptrIS9_EEEENSD_INSE_IiEEEEZNS1_13binary_searchIS3_SA_SG_SG_SI_NS1_21lower_bound_search_opENSC_16wrapped_functionINS0_4lessIvEEbEEEE10hipError_tPvRmT1_T2_T3_mmT4_T5_P12ihipStream_tbEUlRKS9_E_EESP_ST_SU_mSV_SY_bEUlT_E_NS1_11comp_targetILNS1_3genE4ELNS1_11target_archE910ELNS1_3gpuE8ELNS1_3repE0EEENS1_30default_config_static_selectorELNS0_4arch9wavefront6targetE0EEEvSS_,comdat
	.protected	_ZN7rocprim17ROCPRIM_400000_NS6detail17trampoline_kernelINS0_14default_configENS1_27lower_bound_config_selectorIN6thrust23THRUST_200600_302600_NS5tupleIiiNS6_9null_typeES8_S8_S8_S8_S8_S8_S8_EEiEEZNS1_14transform_implILb0ES3_SA_NS6_6detail15normal_iteratorINS6_10device_ptrIS9_EEEENSD_INSE_IiEEEEZNS1_13binary_searchIS3_SA_SG_SG_SI_NS1_21lower_bound_search_opENSC_16wrapped_functionINS0_4lessIvEEbEEEE10hipError_tPvRmT1_T2_T3_mmT4_T5_P12ihipStream_tbEUlRKS9_E_EESP_ST_SU_mSV_SY_bEUlT_E_NS1_11comp_targetILNS1_3genE4ELNS1_11target_archE910ELNS1_3gpuE8ELNS1_3repE0EEENS1_30default_config_static_selectorELNS0_4arch9wavefront6targetE0EEEvSS_ ; -- Begin function _ZN7rocprim17ROCPRIM_400000_NS6detail17trampoline_kernelINS0_14default_configENS1_27lower_bound_config_selectorIN6thrust23THRUST_200600_302600_NS5tupleIiiNS6_9null_typeES8_S8_S8_S8_S8_S8_S8_EEiEEZNS1_14transform_implILb0ES3_SA_NS6_6detail15normal_iteratorINS6_10device_ptrIS9_EEEENSD_INSE_IiEEEEZNS1_13binary_searchIS3_SA_SG_SG_SI_NS1_21lower_bound_search_opENSC_16wrapped_functionINS0_4lessIvEEbEEEE10hipError_tPvRmT1_T2_T3_mmT4_T5_P12ihipStream_tbEUlRKS9_E_EESP_ST_SU_mSV_SY_bEUlT_E_NS1_11comp_targetILNS1_3genE4ELNS1_11target_archE910ELNS1_3gpuE8ELNS1_3repE0EEENS1_30default_config_static_selectorELNS0_4arch9wavefront6targetE0EEEvSS_
	.globl	_ZN7rocprim17ROCPRIM_400000_NS6detail17trampoline_kernelINS0_14default_configENS1_27lower_bound_config_selectorIN6thrust23THRUST_200600_302600_NS5tupleIiiNS6_9null_typeES8_S8_S8_S8_S8_S8_S8_EEiEEZNS1_14transform_implILb0ES3_SA_NS6_6detail15normal_iteratorINS6_10device_ptrIS9_EEEENSD_INSE_IiEEEEZNS1_13binary_searchIS3_SA_SG_SG_SI_NS1_21lower_bound_search_opENSC_16wrapped_functionINS0_4lessIvEEbEEEE10hipError_tPvRmT1_T2_T3_mmT4_T5_P12ihipStream_tbEUlRKS9_E_EESP_ST_SU_mSV_SY_bEUlT_E_NS1_11comp_targetILNS1_3genE4ELNS1_11target_archE910ELNS1_3gpuE8ELNS1_3repE0EEENS1_30default_config_static_selectorELNS0_4arch9wavefront6targetE0EEEvSS_
	.p2align	8
	.type	_ZN7rocprim17ROCPRIM_400000_NS6detail17trampoline_kernelINS0_14default_configENS1_27lower_bound_config_selectorIN6thrust23THRUST_200600_302600_NS5tupleIiiNS6_9null_typeES8_S8_S8_S8_S8_S8_S8_EEiEEZNS1_14transform_implILb0ES3_SA_NS6_6detail15normal_iteratorINS6_10device_ptrIS9_EEEENSD_INSE_IiEEEEZNS1_13binary_searchIS3_SA_SG_SG_SI_NS1_21lower_bound_search_opENSC_16wrapped_functionINS0_4lessIvEEbEEEE10hipError_tPvRmT1_T2_T3_mmT4_T5_P12ihipStream_tbEUlRKS9_E_EESP_ST_SU_mSV_SY_bEUlT_E_NS1_11comp_targetILNS1_3genE4ELNS1_11target_archE910ELNS1_3gpuE8ELNS1_3repE0EEENS1_30default_config_static_selectorELNS0_4arch9wavefront6targetE0EEEvSS_,@function
_ZN7rocprim17ROCPRIM_400000_NS6detail17trampoline_kernelINS0_14default_configENS1_27lower_bound_config_selectorIN6thrust23THRUST_200600_302600_NS5tupleIiiNS6_9null_typeES8_S8_S8_S8_S8_S8_S8_EEiEEZNS1_14transform_implILb0ES3_SA_NS6_6detail15normal_iteratorINS6_10device_ptrIS9_EEEENSD_INSE_IiEEEEZNS1_13binary_searchIS3_SA_SG_SG_SI_NS1_21lower_bound_search_opENSC_16wrapped_functionINS0_4lessIvEEbEEEE10hipError_tPvRmT1_T2_T3_mmT4_T5_P12ihipStream_tbEUlRKS9_E_EESP_ST_SU_mSV_SY_bEUlT_E_NS1_11comp_targetILNS1_3genE4ELNS1_11target_archE910ELNS1_3gpuE8ELNS1_3repE0EEENS1_30default_config_static_selectorELNS0_4arch9wavefront6targetE0EEEvSS_: ; @_ZN7rocprim17ROCPRIM_400000_NS6detail17trampoline_kernelINS0_14default_configENS1_27lower_bound_config_selectorIN6thrust23THRUST_200600_302600_NS5tupleIiiNS6_9null_typeES8_S8_S8_S8_S8_S8_S8_EEiEEZNS1_14transform_implILb0ES3_SA_NS6_6detail15normal_iteratorINS6_10device_ptrIS9_EEEENSD_INSE_IiEEEEZNS1_13binary_searchIS3_SA_SG_SG_SI_NS1_21lower_bound_search_opENSC_16wrapped_functionINS0_4lessIvEEbEEEE10hipError_tPvRmT1_T2_T3_mmT4_T5_P12ihipStream_tbEUlRKS9_E_EESP_ST_SU_mSV_SY_bEUlT_E_NS1_11comp_targetILNS1_3genE4ELNS1_11target_archE910ELNS1_3gpuE8ELNS1_3repE0EEENS1_30default_config_static_selectorELNS0_4arch9wavefront6targetE0EEEvSS_
; %bb.0:
	.section	.rodata,"a",@progbits
	.p2align	6, 0x0
	.amdhsa_kernel _ZN7rocprim17ROCPRIM_400000_NS6detail17trampoline_kernelINS0_14default_configENS1_27lower_bound_config_selectorIN6thrust23THRUST_200600_302600_NS5tupleIiiNS6_9null_typeES8_S8_S8_S8_S8_S8_S8_EEiEEZNS1_14transform_implILb0ES3_SA_NS6_6detail15normal_iteratorINS6_10device_ptrIS9_EEEENSD_INSE_IiEEEEZNS1_13binary_searchIS3_SA_SG_SG_SI_NS1_21lower_bound_search_opENSC_16wrapped_functionINS0_4lessIvEEbEEEE10hipError_tPvRmT1_T2_T3_mmT4_T5_P12ihipStream_tbEUlRKS9_E_EESP_ST_SU_mSV_SY_bEUlT_E_NS1_11comp_targetILNS1_3genE4ELNS1_11target_archE910ELNS1_3gpuE8ELNS1_3repE0EEENS1_30default_config_static_selectorELNS0_4arch9wavefront6targetE0EEEvSS_
		.amdhsa_group_segment_fixed_size 0
		.amdhsa_private_segment_fixed_size 0
		.amdhsa_kernarg_size 56
		.amdhsa_user_sgpr_count 6
		.amdhsa_user_sgpr_private_segment_buffer 1
		.amdhsa_user_sgpr_dispatch_ptr 0
		.amdhsa_user_sgpr_queue_ptr 0
		.amdhsa_user_sgpr_kernarg_segment_ptr 1
		.amdhsa_user_sgpr_dispatch_id 0
		.amdhsa_user_sgpr_flat_scratch_init 0
		.amdhsa_user_sgpr_private_segment_size 0
		.amdhsa_wavefront_size32 1
		.amdhsa_uses_dynamic_stack 0
		.amdhsa_system_sgpr_private_segment_wavefront_offset 0
		.amdhsa_system_sgpr_workgroup_id_x 1
		.amdhsa_system_sgpr_workgroup_id_y 0
		.amdhsa_system_sgpr_workgroup_id_z 0
		.amdhsa_system_sgpr_workgroup_info 0
		.amdhsa_system_vgpr_workitem_id 0
		.amdhsa_next_free_vgpr 1
		.amdhsa_next_free_sgpr 1
		.amdhsa_reserve_vcc 0
		.amdhsa_reserve_flat_scratch 0
		.amdhsa_float_round_mode_32 0
		.amdhsa_float_round_mode_16_64 0
		.amdhsa_float_denorm_mode_32 3
		.amdhsa_float_denorm_mode_16_64 3
		.amdhsa_dx10_clamp 1
		.amdhsa_ieee_mode 1
		.amdhsa_fp16_overflow 0
		.amdhsa_workgroup_processor_mode 1
		.amdhsa_memory_ordered 1
		.amdhsa_forward_progress 1
		.amdhsa_shared_vgpr_count 0
		.amdhsa_exception_fp_ieee_invalid_op 0
		.amdhsa_exception_fp_denorm_src 0
		.amdhsa_exception_fp_ieee_div_zero 0
		.amdhsa_exception_fp_ieee_overflow 0
		.amdhsa_exception_fp_ieee_underflow 0
		.amdhsa_exception_fp_ieee_inexact 0
		.amdhsa_exception_int_div_zero 0
	.end_amdhsa_kernel
	.section	.text._ZN7rocprim17ROCPRIM_400000_NS6detail17trampoline_kernelINS0_14default_configENS1_27lower_bound_config_selectorIN6thrust23THRUST_200600_302600_NS5tupleIiiNS6_9null_typeES8_S8_S8_S8_S8_S8_S8_EEiEEZNS1_14transform_implILb0ES3_SA_NS6_6detail15normal_iteratorINS6_10device_ptrIS9_EEEENSD_INSE_IiEEEEZNS1_13binary_searchIS3_SA_SG_SG_SI_NS1_21lower_bound_search_opENSC_16wrapped_functionINS0_4lessIvEEbEEEE10hipError_tPvRmT1_T2_T3_mmT4_T5_P12ihipStream_tbEUlRKS9_E_EESP_ST_SU_mSV_SY_bEUlT_E_NS1_11comp_targetILNS1_3genE4ELNS1_11target_archE910ELNS1_3gpuE8ELNS1_3repE0EEENS1_30default_config_static_selectorELNS0_4arch9wavefront6targetE0EEEvSS_,"axG",@progbits,_ZN7rocprim17ROCPRIM_400000_NS6detail17trampoline_kernelINS0_14default_configENS1_27lower_bound_config_selectorIN6thrust23THRUST_200600_302600_NS5tupleIiiNS6_9null_typeES8_S8_S8_S8_S8_S8_S8_EEiEEZNS1_14transform_implILb0ES3_SA_NS6_6detail15normal_iteratorINS6_10device_ptrIS9_EEEENSD_INSE_IiEEEEZNS1_13binary_searchIS3_SA_SG_SG_SI_NS1_21lower_bound_search_opENSC_16wrapped_functionINS0_4lessIvEEbEEEE10hipError_tPvRmT1_T2_T3_mmT4_T5_P12ihipStream_tbEUlRKS9_E_EESP_ST_SU_mSV_SY_bEUlT_E_NS1_11comp_targetILNS1_3genE4ELNS1_11target_archE910ELNS1_3gpuE8ELNS1_3repE0EEENS1_30default_config_static_selectorELNS0_4arch9wavefront6targetE0EEEvSS_,comdat
.Lfunc_end491:
	.size	_ZN7rocprim17ROCPRIM_400000_NS6detail17trampoline_kernelINS0_14default_configENS1_27lower_bound_config_selectorIN6thrust23THRUST_200600_302600_NS5tupleIiiNS6_9null_typeES8_S8_S8_S8_S8_S8_S8_EEiEEZNS1_14transform_implILb0ES3_SA_NS6_6detail15normal_iteratorINS6_10device_ptrIS9_EEEENSD_INSE_IiEEEEZNS1_13binary_searchIS3_SA_SG_SG_SI_NS1_21lower_bound_search_opENSC_16wrapped_functionINS0_4lessIvEEbEEEE10hipError_tPvRmT1_T2_T3_mmT4_T5_P12ihipStream_tbEUlRKS9_E_EESP_ST_SU_mSV_SY_bEUlT_E_NS1_11comp_targetILNS1_3genE4ELNS1_11target_archE910ELNS1_3gpuE8ELNS1_3repE0EEENS1_30default_config_static_selectorELNS0_4arch9wavefront6targetE0EEEvSS_, .Lfunc_end491-_ZN7rocprim17ROCPRIM_400000_NS6detail17trampoline_kernelINS0_14default_configENS1_27lower_bound_config_selectorIN6thrust23THRUST_200600_302600_NS5tupleIiiNS6_9null_typeES8_S8_S8_S8_S8_S8_S8_EEiEEZNS1_14transform_implILb0ES3_SA_NS6_6detail15normal_iteratorINS6_10device_ptrIS9_EEEENSD_INSE_IiEEEEZNS1_13binary_searchIS3_SA_SG_SG_SI_NS1_21lower_bound_search_opENSC_16wrapped_functionINS0_4lessIvEEbEEEE10hipError_tPvRmT1_T2_T3_mmT4_T5_P12ihipStream_tbEUlRKS9_E_EESP_ST_SU_mSV_SY_bEUlT_E_NS1_11comp_targetILNS1_3genE4ELNS1_11target_archE910ELNS1_3gpuE8ELNS1_3repE0EEENS1_30default_config_static_selectorELNS0_4arch9wavefront6targetE0EEEvSS_
                                        ; -- End function
	.set _ZN7rocprim17ROCPRIM_400000_NS6detail17trampoline_kernelINS0_14default_configENS1_27lower_bound_config_selectorIN6thrust23THRUST_200600_302600_NS5tupleIiiNS6_9null_typeES8_S8_S8_S8_S8_S8_S8_EEiEEZNS1_14transform_implILb0ES3_SA_NS6_6detail15normal_iteratorINS6_10device_ptrIS9_EEEENSD_INSE_IiEEEEZNS1_13binary_searchIS3_SA_SG_SG_SI_NS1_21lower_bound_search_opENSC_16wrapped_functionINS0_4lessIvEEbEEEE10hipError_tPvRmT1_T2_T3_mmT4_T5_P12ihipStream_tbEUlRKS9_E_EESP_ST_SU_mSV_SY_bEUlT_E_NS1_11comp_targetILNS1_3genE4ELNS1_11target_archE910ELNS1_3gpuE8ELNS1_3repE0EEENS1_30default_config_static_selectorELNS0_4arch9wavefront6targetE0EEEvSS_.num_vgpr, 0
	.set _ZN7rocprim17ROCPRIM_400000_NS6detail17trampoline_kernelINS0_14default_configENS1_27lower_bound_config_selectorIN6thrust23THRUST_200600_302600_NS5tupleIiiNS6_9null_typeES8_S8_S8_S8_S8_S8_S8_EEiEEZNS1_14transform_implILb0ES3_SA_NS6_6detail15normal_iteratorINS6_10device_ptrIS9_EEEENSD_INSE_IiEEEEZNS1_13binary_searchIS3_SA_SG_SG_SI_NS1_21lower_bound_search_opENSC_16wrapped_functionINS0_4lessIvEEbEEEE10hipError_tPvRmT1_T2_T3_mmT4_T5_P12ihipStream_tbEUlRKS9_E_EESP_ST_SU_mSV_SY_bEUlT_E_NS1_11comp_targetILNS1_3genE4ELNS1_11target_archE910ELNS1_3gpuE8ELNS1_3repE0EEENS1_30default_config_static_selectorELNS0_4arch9wavefront6targetE0EEEvSS_.num_agpr, 0
	.set _ZN7rocprim17ROCPRIM_400000_NS6detail17trampoline_kernelINS0_14default_configENS1_27lower_bound_config_selectorIN6thrust23THRUST_200600_302600_NS5tupleIiiNS6_9null_typeES8_S8_S8_S8_S8_S8_S8_EEiEEZNS1_14transform_implILb0ES3_SA_NS6_6detail15normal_iteratorINS6_10device_ptrIS9_EEEENSD_INSE_IiEEEEZNS1_13binary_searchIS3_SA_SG_SG_SI_NS1_21lower_bound_search_opENSC_16wrapped_functionINS0_4lessIvEEbEEEE10hipError_tPvRmT1_T2_T3_mmT4_T5_P12ihipStream_tbEUlRKS9_E_EESP_ST_SU_mSV_SY_bEUlT_E_NS1_11comp_targetILNS1_3genE4ELNS1_11target_archE910ELNS1_3gpuE8ELNS1_3repE0EEENS1_30default_config_static_selectorELNS0_4arch9wavefront6targetE0EEEvSS_.numbered_sgpr, 0
	.set _ZN7rocprim17ROCPRIM_400000_NS6detail17trampoline_kernelINS0_14default_configENS1_27lower_bound_config_selectorIN6thrust23THRUST_200600_302600_NS5tupleIiiNS6_9null_typeES8_S8_S8_S8_S8_S8_S8_EEiEEZNS1_14transform_implILb0ES3_SA_NS6_6detail15normal_iteratorINS6_10device_ptrIS9_EEEENSD_INSE_IiEEEEZNS1_13binary_searchIS3_SA_SG_SG_SI_NS1_21lower_bound_search_opENSC_16wrapped_functionINS0_4lessIvEEbEEEE10hipError_tPvRmT1_T2_T3_mmT4_T5_P12ihipStream_tbEUlRKS9_E_EESP_ST_SU_mSV_SY_bEUlT_E_NS1_11comp_targetILNS1_3genE4ELNS1_11target_archE910ELNS1_3gpuE8ELNS1_3repE0EEENS1_30default_config_static_selectorELNS0_4arch9wavefront6targetE0EEEvSS_.num_named_barrier, 0
	.set _ZN7rocprim17ROCPRIM_400000_NS6detail17trampoline_kernelINS0_14default_configENS1_27lower_bound_config_selectorIN6thrust23THRUST_200600_302600_NS5tupleIiiNS6_9null_typeES8_S8_S8_S8_S8_S8_S8_EEiEEZNS1_14transform_implILb0ES3_SA_NS6_6detail15normal_iteratorINS6_10device_ptrIS9_EEEENSD_INSE_IiEEEEZNS1_13binary_searchIS3_SA_SG_SG_SI_NS1_21lower_bound_search_opENSC_16wrapped_functionINS0_4lessIvEEbEEEE10hipError_tPvRmT1_T2_T3_mmT4_T5_P12ihipStream_tbEUlRKS9_E_EESP_ST_SU_mSV_SY_bEUlT_E_NS1_11comp_targetILNS1_3genE4ELNS1_11target_archE910ELNS1_3gpuE8ELNS1_3repE0EEENS1_30default_config_static_selectorELNS0_4arch9wavefront6targetE0EEEvSS_.private_seg_size, 0
	.set _ZN7rocprim17ROCPRIM_400000_NS6detail17trampoline_kernelINS0_14default_configENS1_27lower_bound_config_selectorIN6thrust23THRUST_200600_302600_NS5tupleIiiNS6_9null_typeES8_S8_S8_S8_S8_S8_S8_EEiEEZNS1_14transform_implILb0ES3_SA_NS6_6detail15normal_iteratorINS6_10device_ptrIS9_EEEENSD_INSE_IiEEEEZNS1_13binary_searchIS3_SA_SG_SG_SI_NS1_21lower_bound_search_opENSC_16wrapped_functionINS0_4lessIvEEbEEEE10hipError_tPvRmT1_T2_T3_mmT4_T5_P12ihipStream_tbEUlRKS9_E_EESP_ST_SU_mSV_SY_bEUlT_E_NS1_11comp_targetILNS1_3genE4ELNS1_11target_archE910ELNS1_3gpuE8ELNS1_3repE0EEENS1_30default_config_static_selectorELNS0_4arch9wavefront6targetE0EEEvSS_.uses_vcc, 0
	.set _ZN7rocprim17ROCPRIM_400000_NS6detail17trampoline_kernelINS0_14default_configENS1_27lower_bound_config_selectorIN6thrust23THRUST_200600_302600_NS5tupleIiiNS6_9null_typeES8_S8_S8_S8_S8_S8_S8_EEiEEZNS1_14transform_implILb0ES3_SA_NS6_6detail15normal_iteratorINS6_10device_ptrIS9_EEEENSD_INSE_IiEEEEZNS1_13binary_searchIS3_SA_SG_SG_SI_NS1_21lower_bound_search_opENSC_16wrapped_functionINS0_4lessIvEEbEEEE10hipError_tPvRmT1_T2_T3_mmT4_T5_P12ihipStream_tbEUlRKS9_E_EESP_ST_SU_mSV_SY_bEUlT_E_NS1_11comp_targetILNS1_3genE4ELNS1_11target_archE910ELNS1_3gpuE8ELNS1_3repE0EEENS1_30default_config_static_selectorELNS0_4arch9wavefront6targetE0EEEvSS_.uses_flat_scratch, 0
	.set _ZN7rocprim17ROCPRIM_400000_NS6detail17trampoline_kernelINS0_14default_configENS1_27lower_bound_config_selectorIN6thrust23THRUST_200600_302600_NS5tupleIiiNS6_9null_typeES8_S8_S8_S8_S8_S8_S8_EEiEEZNS1_14transform_implILb0ES3_SA_NS6_6detail15normal_iteratorINS6_10device_ptrIS9_EEEENSD_INSE_IiEEEEZNS1_13binary_searchIS3_SA_SG_SG_SI_NS1_21lower_bound_search_opENSC_16wrapped_functionINS0_4lessIvEEbEEEE10hipError_tPvRmT1_T2_T3_mmT4_T5_P12ihipStream_tbEUlRKS9_E_EESP_ST_SU_mSV_SY_bEUlT_E_NS1_11comp_targetILNS1_3genE4ELNS1_11target_archE910ELNS1_3gpuE8ELNS1_3repE0EEENS1_30default_config_static_selectorELNS0_4arch9wavefront6targetE0EEEvSS_.has_dyn_sized_stack, 0
	.set _ZN7rocprim17ROCPRIM_400000_NS6detail17trampoline_kernelINS0_14default_configENS1_27lower_bound_config_selectorIN6thrust23THRUST_200600_302600_NS5tupleIiiNS6_9null_typeES8_S8_S8_S8_S8_S8_S8_EEiEEZNS1_14transform_implILb0ES3_SA_NS6_6detail15normal_iteratorINS6_10device_ptrIS9_EEEENSD_INSE_IiEEEEZNS1_13binary_searchIS3_SA_SG_SG_SI_NS1_21lower_bound_search_opENSC_16wrapped_functionINS0_4lessIvEEbEEEE10hipError_tPvRmT1_T2_T3_mmT4_T5_P12ihipStream_tbEUlRKS9_E_EESP_ST_SU_mSV_SY_bEUlT_E_NS1_11comp_targetILNS1_3genE4ELNS1_11target_archE910ELNS1_3gpuE8ELNS1_3repE0EEENS1_30default_config_static_selectorELNS0_4arch9wavefront6targetE0EEEvSS_.has_recursion, 0
	.set _ZN7rocprim17ROCPRIM_400000_NS6detail17trampoline_kernelINS0_14default_configENS1_27lower_bound_config_selectorIN6thrust23THRUST_200600_302600_NS5tupleIiiNS6_9null_typeES8_S8_S8_S8_S8_S8_S8_EEiEEZNS1_14transform_implILb0ES3_SA_NS6_6detail15normal_iteratorINS6_10device_ptrIS9_EEEENSD_INSE_IiEEEEZNS1_13binary_searchIS3_SA_SG_SG_SI_NS1_21lower_bound_search_opENSC_16wrapped_functionINS0_4lessIvEEbEEEE10hipError_tPvRmT1_T2_T3_mmT4_T5_P12ihipStream_tbEUlRKS9_E_EESP_ST_SU_mSV_SY_bEUlT_E_NS1_11comp_targetILNS1_3genE4ELNS1_11target_archE910ELNS1_3gpuE8ELNS1_3repE0EEENS1_30default_config_static_selectorELNS0_4arch9wavefront6targetE0EEEvSS_.has_indirect_call, 0
	.section	.AMDGPU.csdata,"",@progbits
; Kernel info:
; codeLenInByte = 0
; TotalNumSgprs: 0
; NumVgprs: 0
; ScratchSize: 0
; MemoryBound: 0
; FloatMode: 240
; IeeeMode: 1
; LDSByteSize: 0 bytes/workgroup (compile time only)
; SGPRBlocks: 0
; VGPRBlocks: 0
; NumSGPRsForWavesPerEU: 1
; NumVGPRsForWavesPerEU: 1
; Occupancy: 16
; WaveLimiterHint : 0
; COMPUTE_PGM_RSRC2:SCRATCH_EN: 0
; COMPUTE_PGM_RSRC2:USER_SGPR: 6
; COMPUTE_PGM_RSRC2:TRAP_HANDLER: 0
; COMPUTE_PGM_RSRC2:TGID_X_EN: 1
; COMPUTE_PGM_RSRC2:TGID_Y_EN: 0
; COMPUTE_PGM_RSRC2:TGID_Z_EN: 0
; COMPUTE_PGM_RSRC2:TIDIG_COMP_CNT: 0
	.section	.text._ZN7rocprim17ROCPRIM_400000_NS6detail17trampoline_kernelINS0_14default_configENS1_27lower_bound_config_selectorIN6thrust23THRUST_200600_302600_NS5tupleIiiNS6_9null_typeES8_S8_S8_S8_S8_S8_S8_EEiEEZNS1_14transform_implILb0ES3_SA_NS6_6detail15normal_iteratorINS6_10device_ptrIS9_EEEENSD_INSE_IiEEEEZNS1_13binary_searchIS3_SA_SG_SG_SI_NS1_21lower_bound_search_opENSC_16wrapped_functionINS0_4lessIvEEbEEEE10hipError_tPvRmT1_T2_T3_mmT4_T5_P12ihipStream_tbEUlRKS9_E_EESP_ST_SU_mSV_SY_bEUlT_E_NS1_11comp_targetILNS1_3genE3ELNS1_11target_archE908ELNS1_3gpuE7ELNS1_3repE0EEENS1_30default_config_static_selectorELNS0_4arch9wavefront6targetE0EEEvSS_,"axG",@progbits,_ZN7rocprim17ROCPRIM_400000_NS6detail17trampoline_kernelINS0_14default_configENS1_27lower_bound_config_selectorIN6thrust23THRUST_200600_302600_NS5tupleIiiNS6_9null_typeES8_S8_S8_S8_S8_S8_S8_EEiEEZNS1_14transform_implILb0ES3_SA_NS6_6detail15normal_iteratorINS6_10device_ptrIS9_EEEENSD_INSE_IiEEEEZNS1_13binary_searchIS3_SA_SG_SG_SI_NS1_21lower_bound_search_opENSC_16wrapped_functionINS0_4lessIvEEbEEEE10hipError_tPvRmT1_T2_T3_mmT4_T5_P12ihipStream_tbEUlRKS9_E_EESP_ST_SU_mSV_SY_bEUlT_E_NS1_11comp_targetILNS1_3genE3ELNS1_11target_archE908ELNS1_3gpuE7ELNS1_3repE0EEENS1_30default_config_static_selectorELNS0_4arch9wavefront6targetE0EEEvSS_,comdat
	.protected	_ZN7rocprim17ROCPRIM_400000_NS6detail17trampoline_kernelINS0_14default_configENS1_27lower_bound_config_selectorIN6thrust23THRUST_200600_302600_NS5tupleIiiNS6_9null_typeES8_S8_S8_S8_S8_S8_S8_EEiEEZNS1_14transform_implILb0ES3_SA_NS6_6detail15normal_iteratorINS6_10device_ptrIS9_EEEENSD_INSE_IiEEEEZNS1_13binary_searchIS3_SA_SG_SG_SI_NS1_21lower_bound_search_opENSC_16wrapped_functionINS0_4lessIvEEbEEEE10hipError_tPvRmT1_T2_T3_mmT4_T5_P12ihipStream_tbEUlRKS9_E_EESP_ST_SU_mSV_SY_bEUlT_E_NS1_11comp_targetILNS1_3genE3ELNS1_11target_archE908ELNS1_3gpuE7ELNS1_3repE0EEENS1_30default_config_static_selectorELNS0_4arch9wavefront6targetE0EEEvSS_ ; -- Begin function _ZN7rocprim17ROCPRIM_400000_NS6detail17trampoline_kernelINS0_14default_configENS1_27lower_bound_config_selectorIN6thrust23THRUST_200600_302600_NS5tupleIiiNS6_9null_typeES8_S8_S8_S8_S8_S8_S8_EEiEEZNS1_14transform_implILb0ES3_SA_NS6_6detail15normal_iteratorINS6_10device_ptrIS9_EEEENSD_INSE_IiEEEEZNS1_13binary_searchIS3_SA_SG_SG_SI_NS1_21lower_bound_search_opENSC_16wrapped_functionINS0_4lessIvEEbEEEE10hipError_tPvRmT1_T2_T3_mmT4_T5_P12ihipStream_tbEUlRKS9_E_EESP_ST_SU_mSV_SY_bEUlT_E_NS1_11comp_targetILNS1_3genE3ELNS1_11target_archE908ELNS1_3gpuE7ELNS1_3repE0EEENS1_30default_config_static_selectorELNS0_4arch9wavefront6targetE0EEEvSS_
	.globl	_ZN7rocprim17ROCPRIM_400000_NS6detail17trampoline_kernelINS0_14default_configENS1_27lower_bound_config_selectorIN6thrust23THRUST_200600_302600_NS5tupleIiiNS6_9null_typeES8_S8_S8_S8_S8_S8_S8_EEiEEZNS1_14transform_implILb0ES3_SA_NS6_6detail15normal_iteratorINS6_10device_ptrIS9_EEEENSD_INSE_IiEEEEZNS1_13binary_searchIS3_SA_SG_SG_SI_NS1_21lower_bound_search_opENSC_16wrapped_functionINS0_4lessIvEEbEEEE10hipError_tPvRmT1_T2_T3_mmT4_T5_P12ihipStream_tbEUlRKS9_E_EESP_ST_SU_mSV_SY_bEUlT_E_NS1_11comp_targetILNS1_3genE3ELNS1_11target_archE908ELNS1_3gpuE7ELNS1_3repE0EEENS1_30default_config_static_selectorELNS0_4arch9wavefront6targetE0EEEvSS_
	.p2align	8
	.type	_ZN7rocprim17ROCPRIM_400000_NS6detail17trampoline_kernelINS0_14default_configENS1_27lower_bound_config_selectorIN6thrust23THRUST_200600_302600_NS5tupleIiiNS6_9null_typeES8_S8_S8_S8_S8_S8_S8_EEiEEZNS1_14transform_implILb0ES3_SA_NS6_6detail15normal_iteratorINS6_10device_ptrIS9_EEEENSD_INSE_IiEEEEZNS1_13binary_searchIS3_SA_SG_SG_SI_NS1_21lower_bound_search_opENSC_16wrapped_functionINS0_4lessIvEEbEEEE10hipError_tPvRmT1_T2_T3_mmT4_T5_P12ihipStream_tbEUlRKS9_E_EESP_ST_SU_mSV_SY_bEUlT_E_NS1_11comp_targetILNS1_3genE3ELNS1_11target_archE908ELNS1_3gpuE7ELNS1_3repE0EEENS1_30default_config_static_selectorELNS0_4arch9wavefront6targetE0EEEvSS_,@function
_ZN7rocprim17ROCPRIM_400000_NS6detail17trampoline_kernelINS0_14default_configENS1_27lower_bound_config_selectorIN6thrust23THRUST_200600_302600_NS5tupleIiiNS6_9null_typeES8_S8_S8_S8_S8_S8_S8_EEiEEZNS1_14transform_implILb0ES3_SA_NS6_6detail15normal_iteratorINS6_10device_ptrIS9_EEEENSD_INSE_IiEEEEZNS1_13binary_searchIS3_SA_SG_SG_SI_NS1_21lower_bound_search_opENSC_16wrapped_functionINS0_4lessIvEEbEEEE10hipError_tPvRmT1_T2_T3_mmT4_T5_P12ihipStream_tbEUlRKS9_E_EESP_ST_SU_mSV_SY_bEUlT_E_NS1_11comp_targetILNS1_3genE3ELNS1_11target_archE908ELNS1_3gpuE7ELNS1_3repE0EEENS1_30default_config_static_selectorELNS0_4arch9wavefront6targetE0EEEvSS_: ; @_ZN7rocprim17ROCPRIM_400000_NS6detail17trampoline_kernelINS0_14default_configENS1_27lower_bound_config_selectorIN6thrust23THRUST_200600_302600_NS5tupleIiiNS6_9null_typeES8_S8_S8_S8_S8_S8_S8_EEiEEZNS1_14transform_implILb0ES3_SA_NS6_6detail15normal_iteratorINS6_10device_ptrIS9_EEEENSD_INSE_IiEEEEZNS1_13binary_searchIS3_SA_SG_SG_SI_NS1_21lower_bound_search_opENSC_16wrapped_functionINS0_4lessIvEEbEEEE10hipError_tPvRmT1_T2_T3_mmT4_T5_P12ihipStream_tbEUlRKS9_E_EESP_ST_SU_mSV_SY_bEUlT_E_NS1_11comp_targetILNS1_3genE3ELNS1_11target_archE908ELNS1_3gpuE7ELNS1_3repE0EEENS1_30default_config_static_selectorELNS0_4arch9wavefront6targetE0EEEvSS_
; %bb.0:
	.section	.rodata,"a",@progbits
	.p2align	6, 0x0
	.amdhsa_kernel _ZN7rocprim17ROCPRIM_400000_NS6detail17trampoline_kernelINS0_14default_configENS1_27lower_bound_config_selectorIN6thrust23THRUST_200600_302600_NS5tupleIiiNS6_9null_typeES8_S8_S8_S8_S8_S8_S8_EEiEEZNS1_14transform_implILb0ES3_SA_NS6_6detail15normal_iteratorINS6_10device_ptrIS9_EEEENSD_INSE_IiEEEEZNS1_13binary_searchIS3_SA_SG_SG_SI_NS1_21lower_bound_search_opENSC_16wrapped_functionINS0_4lessIvEEbEEEE10hipError_tPvRmT1_T2_T3_mmT4_T5_P12ihipStream_tbEUlRKS9_E_EESP_ST_SU_mSV_SY_bEUlT_E_NS1_11comp_targetILNS1_3genE3ELNS1_11target_archE908ELNS1_3gpuE7ELNS1_3repE0EEENS1_30default_config_static_selectorELNS0_4arch9wavefront6targetE0EEEvSS_
		.amdhsa_group_segment_fixed_size 0
		.amdhsa_private_segment_fixed_size 0
		.amdhsa_kernarg_size 56
		.amdhsa_user_sgpr_count 6
		.amdhsa_user_sgpr_private_segment_buffer 1
		.amdhsa_user_sgpr_dispatch_ptr 0
		.amdhsa_user_sgpr_queue_ptr 0
		.amdhsa_user_sgpr_kernarg_segment_ptr 1
		.amdhsa_user_sgpr_dispatch_id 0
		.amdhsa_user_sgpr_flat_scratch_init 0
		.amdhsa_user_sgpr_private_segment_size 0
		.amdhsa_wavefront_size32 1
		.amdhsa_uses_dynamic_stack 0
		.amdhsa_system_sgpr_private_segment_wavefront_offset 0
		.amdhsa_system_sgpr_workgroup_id_x 1
		.amdhsa_system_sgpr_workgroup_id_y 0
		.amdhsa_system_sgpr_workgroup_id_z 0
		.amdhsa_system_sgpr_workgroup_info 0
		.amdhsa_system_vgpr_workitem_id 0
		.amdhsa_next_free_vgpr 1
		.amdhsa_next_free_sgpr 1
		.amdhsa_reserve_vcc 0
		.amdhsa_reserve_flat_scratch 0
		.amdhsa_float_round_mode_32 0
		.amdhsa_float_round_mode_16_64 0
		.amdhsa_float_denorm_mode_32 3
		.amdhsa_float_denorm_mode_16_64 3
		.amdhsa_dx10_clamp 1
		.amdhsa_ieee_mode 1
		.amdhsa_fp16_overflow 0
		.amdhsa_workgroup_processor_mode 1
		.amdhsa_memory_ordered 1
		.amdhsa_forward_progress 1
		.amdhsa_shared_vgpr_count 0
		.amdhsa_exception_fp_ieee_invalid_op 0
		.amdhsa_exception_fp_denorm_src 0
		.amdhsa_exception_fp_ieee_div_zero 0
		.amdhsa_exception_fp_ieee_overflow 0
		.amdhsa_exception_fp_ieee_underflow 0
		.amdhsa_exception_fp_ieee_inexact 0
		.amdhsa_exception_int_div_zero 0
	.end_amdhsa_kernel
	.section	.text._ZN7rocprim17ROCPRIM_400000_NS6detail17trampoline_kernelINS0_14default_configENS1_27lower_bound_config_selectorIN6thrust23THRUST_200600_302600_NS5tupleIiiNS6_9null_typeES8_S8_S8_S8_S8_S8_S8_EEiEEZNS1_14transform_implILb0ES3_SA_NS6_6detail15normal_iteratorINS6_10device_ptrIS9_EEEENSD_INSE_IiEEEEZNS1_13binary_searchIS3_SA_SG_SG_SI_NS1_21lower_bound_search_opENSC_16wrapped_functionINS0_4lessIvEEbEEEE10hipError_tPvRmT1_T2_T3_mmT4_T5_P12ihipStream_tbEUlRKS9_E_EESP_ST_SU_mSV_SY_bEUlT_E_NS1_11comp_targetILNS1_3genE3ELNS1_11target_archE908ELNS1_3gpuE7ELNS1_3repE0EEENS1_30default_config_static_selectorELNS0_4arch9wavefront6targetE0EEEvSS_,"axG",@progbits,_ZN7rocprim17ROCPRIM_400000_NS6detail17trampoline_kernelINS0_14default_configENS1_27lower_bound_config_selectorIN6thrust23THRUST_200600_302600_NS5tupleIiiNS6_9null_typeES8_S8_S8_S8_S8_S8_S8_EEiEEZNS1_14transform_implILb0ES3_SA_NS6_6detail15normal_iteratorINS6_10device_ptrIS9_EEEENSD_INSE_IiEEEEZNS1_13binary_searchIS3_SA_SG_SG_SI_NS1_21lower_bound_search_opENSC_16wrapped_functionINS0_4lessIvEEbEEEE10hipError_tPvRmT1_T2_T3_mmT4_T5_P12ihipStream_tbEUlRKS9_E_EESP_ST_SU_mSV_SY_bEUlT_E_NS1_11comp_targetILNS1_3genE3ELNS1_11target_archE908ELNS1_3gpuE7ELNS1_3repE0EEENS1_30default_config_static_selectorELNS0_4arch9wavefront6targetE0EEEvSS_,comdat
.Lfunc_end492:
	.size	_ZN7rocprim17ROCPRIM_400000_NS6detail17trampoline_kernelINS0_14default_configENS1_27lower_bound_config_selectorIN6thrust23THRUST_200600_302600_NS5tupleIiiNS6_9null_typeES8_S8_S8_S8_S8_S8_S8_EEiEEZNS1_14transform_implILb0ES3_SA_NS6_6detail15normal_iteratorINS6_10device_ptrIS9_EEEENSD_INSE_IiEEEEZNS1_13binary_searchIS3_SA_SG_SG_SI_NS1_21lower_bound_search_opENSC_16wrapped_functionINS0_4lessIvEEbEEEE10hipError_tPvRmT1_T2_T3_mmT4_T5_P12ihipStream_tbEUlRKS9_E_EESP_ST_SU_mSV_SY_bEUlT_E_NS1_11comp_targetILNS1_3genE3ELNS1_11target_archE908ELNS1_3gpuE7ELNS1_3repE0EEENS1_30default_config_static_selectorELNS0_4arch9wavefront6targetE0EEEvSS_, .Lfunc_end492-_ZN7rocprim17ROCPRIM_400000_NS6detail17trampoline_kernelINS0_14default_configENS1_27lower_bound_config_selectorIN6thrust23THRUST_200600_302600_NS5tupleIiiNS6_9null_typeES8_S8_S8_S8_S8_S8_S8_EEiEEZNS1_14transform_implILb0ES3_SA_NS6_6detail15normal_iteratorINS6_10device_ptrIS9_EEEENSD_INSE_IiEEEEZNS1_13binary_searchIS3_SA_SG_SG_SI_NS1_21lower_bound_search_opENSC_16wrapped_functionINS0_4lessIvEEbEEEE10hipError_tPvRmT1_T2_T3_mmT4_T5_P12ihipStream_tbEUlRKS9_E_EESP_ST_SU_mSV_SY_bEUlT_E_NS1_11comp_targetILNS1_3genE3ELNS1_11target_archE908ELNS1_3gpuE7ELNS1_3repE0EEENS1_30default_config_static_selectorELNS0_4arch9wavefront6targetE0EEEvSS_
                                        ; -- End function
	.set _ZN7rocprim17ROCPRIM_400000_NS6detail17trampoline_kernelINS0_14default_configENS1_27lower_bound_config_selectorIN6thrust23THRUST_200600_302600_NS5tupleIiiNS6_9null_typeES8_S8_S8_S8_S8_S8_S8_EEiEEZNS1_14transform_implILb0ES3_SA_NS6_6detail15normal_iteratorINS6_10device_ptrIS9_EEEENSD_INSE_IiEEEEZNS1_13binary_searchIS3_SA_SG_SG_SI_NS1_21lower_bound_search_opENSC_16wrapped_functionINS0_4lessIvEEbEEEE10hipError_tPvRmT1_T2_T3_mmT4_T5_P12ihipStream_tbEUlRKS9_E_EESP_ST_SU_mSV_SY_bEUlT_E_NS1_11comp_targetILNS1_3genE3ELNS1_11target_archE908ELNS1_3gpuE7ELNS1_3repE0EEENS1_30default_config_static_selectorELNS0_4arch9wavefront6targetE0EEEvSS_.num_vgpr, 0
	.set _ZN7rocprim17ROCPRIM_400000_NS6detail17trampoline_kernelINS0_14default_configENS1_27lower_bound_config_selectorIN6thrust23THRUST_200600_302600_NS5tupleIiiNS6_9null_typeES8_S8_S8_S8_S8_S8_S8_EEiEEZNS1_14transform_implILb0ES3_SA_NS6_6detail15normal_iteratorINS6_10device_ptrIS9_EEEENSD_INSE_IiEEEEZNS1_13binary_searchIS3_SA_SG_SG_SI_NS1_21lower_bound_search_opENSC_16wrapped_functionINS0_4lessIvEEbEEEE10hipError_tPvRmT1_T2_T3_mmT4_T5_P12ihipStream_tbEUlRKS9_E_EESP_ST_SU_mSV_SY_bEUlT_E_NS1_11comp_targetILNS1_3genE3ELNS1_11target_archE908ELNS1_3gpuE7ELNS1_3repE0EEENS1_30default_config_static_selectorELNS0_4arch9wavefront6targetE0EEEvSS_.num_agpr, 0
	.set _ZN7rocprim17ROCPRIM_400000_NS6detail17trampoline_kernelINS0_14default_configENS1_27lower_bound_config_selectorIN6thrust23THRUST_200600_302600_NS5tupleIiiNS6_9null_typeES8_S8_S8_S8_S8_S8_S8_EEiEEZNS1_14transform_implILb0ES3_SA_NS6_6detail15normal_iteratorINS6_10device_ptrIS9_EEEENSD_INSE_IiEEEEZNS1_13binary_searchIS3_SA_SG_SG_SI_NS1_21lower_bound_search_opENSC_16wrapped_functionINS0_4lessIvEEbEEEE10hipError_tPvRmT1_T2_T3_mmT4_T5_P12ihipStream_tbEUlRKS9_E_EESP_ST_SU_mSV_SY_bEUlT_E_NS1_11comp_targetILNS1_3genE3ELNS1_11target_archE908ELNS1_3gpuE7ELNS1_3repE0EEENS1_30default_config_static_selectorELNS0_4arch9wavefront6targetE0EEEvSS_.numbered_sgpr, 0
	.set _ZN7rocprim17ROCPRIM_400000_NS6detail17trampoline_kernelINS0_14default_configENS1_27lower_bound_config_selectorIN6thrust23THRUST_200600_302600_NS5tupleIiiNS6_9null_typeES8_S8_S8_S8_S8_S8_S8_EEiEEZNS1_14transform_implILb0ES3_SA_NS6_6detail15normal_iteratorINS6_10device_ptrIS9_EEEENSD_INSE_IiEEEEZNS1_13binary_searchIS3_SA_SG_SG_SI_NS1_21lower_bound_search_opENSC_16wrapped_functionINS0_4lessIvEEbEEEE10hipError_tPvRmT1_T2_T3_mmT4_T5_P12ihipStream_tbEUlRKS9_E_EESP_ST_SU_mSV_SY_bEUlT_E_NS1_11comp_targetILNS1_3genE3ELNS1_11target_archE908ELNS1_3gpuE7ELNS1_3repE0EEENS1_30default_config_static_selectorELNS0_4arch9wavefront6targetE0EEEvSS_.num_named_barrier, 0
	.set _ZN7rocprim17ROCPRIM_400000_NS6detail17trampoline_kernelINS0_14default_configENS1_27lower_bound_config_selectorIN6thrust23THRUST_200600_302600_NS5tupleIiiNS6_9null_typeES8_S8_S8_S8_S8_S8_S8_EEiEEZNS1_14transform_implILb0ES3_SA_NS6_6detail15normal_iteratorINS6_10device_ptrIS9_EEEENSD_INSE_IiEEEEZNS1_13binary_searchIS3_SA_SG_SG_SI_NS1_21lower_bound_search_opENSC_16wrapped_functionINS0_4lessIvEEbEEEE10hipError_tPvRmT1_T2_T3_mmT4_T5_P12ihipStream_tbEUlRKS9_E_EESP_ST_SU_mSV_SY_bEUlT_E_NS1_11comp_targetILNS1_3genE3ELNS1_11target_archE908ELNS1_3gpuE7ELNS1_3repE0EEENS1_30default_config_static_selectorELNS0_4arch9wavefront6targetE0EEEvSS_.private_seg_size, 0
	.set _ZN7rocprim17ROCPRIM_400000_NS6detail17trampoline_kernelINS0_14default_configENS1_27lower_bound_config_selectorIN6thrust23THRUST_200600_302600_NS5tupleIiiNS6_9null_typeES8_S8_S8_S8_S8_S8_S8_EEiEEZNS1_14transform_implILb0ES3_SA_NS6_6detail15normal_iteratorINS6_10device_ptrIS9_EEEENSD_INSE_IiEEEEZNS1_13binary_searchIS3_SA_SG_SG_SI_NS1_21lower_bound_search_opENSC_16wrapped_functionINS0_4lessIvEEbEEEE10hipError_tPvRmT1_T2_T3_mmT4_T5_P12ihipStream_tbEUlRKS9_E_EESP_ST_SU_mSV_SY_bEUlT_E_NS1_11comp_targetILNS1_3genE3ELNS1_11target_archE908ELNS1_3gpuE7ELNS1_3repE0EEENS1_30default_config_static_selectorELNS0_4arch9wavefront6targetE0EEEvSS_.uses_vcc, 0
	.set _ZN7rocprim17ROCPRIM_400000_NS6detail17trampoline_kernelINS0_14default_configENS1_27lower_bound_config_selectorIN6thrust23THRUST_200600_302600_NS5tupleIiiNS6_9null_typeES8_S8_S8_S8_S8_S8_S8_EEiEEZNS1_14transform_implILb0ES3_SA_NS6_6detail15normal_iteratorINS6_10device_ptrIS9_EEEENSD_INSE_IiEEEEZNS1_13binary_searchIS3_SA_SG_SG_SI_NS1_21lower_bound_search_opENSC_16wrapped_functionINS0_4lessIvEEbEEEE10hipError_tPvRmT1_T2_T3_mmT4_T5_P12ihipStream_tbEUlRKS9_E_EESP_ST_SU_mSV_SY_bEUlT_E_NS1_11comp_targetILNS1_3genE3ELNS1_11target_archE908ELNS1_3gpuE7ELNS1_3repE0EEENS1_30default_config_static_selectorELNS0_4arch9wavefront6targetE0EEEvSS_.uses_flat_scratch, 0
	.set _ZN7rocprim17ROCPRIM_400000_NS6detail17trampoline_kernelINS0_14default_configENS1_27lower_bound_config_selectorIN6thrust23THRUST_200600_302600_NS5tupleIiiNS6_9null_typeES8_S8_S8_S8_S8_S8_S8_EEiEEZNS1_14transform_implILb0ES3_SA_NS6_6detail15normal_iteratorINS6_10device_ptrIS9_EEEENSD_INSE_IiEEEEZNS1_13binary_searchIS3_SA_SG_SG_SI_NS1_21lower_bound_search_opENSC_16wrapped_functionINS0_4lessIvEEbEEEE10hipError_tPvRmT1_T2_T3_mmT4_T5_P12ihipStream_tbEUlRKS9_E_EESP_ST_SU_mSV_SY_bEUlT_E_NS1_11comp_targetILNS1_3genE3ELNS1_11target_archE908ELNS1_3gpuE7ELNS1_3repE0EEENS1_30default_config_static_selectorELNS0_4arch9wavefront6targetE0EEEvSS_.has_dyn_sized_stack, 0
	.set _ZN7rocprim17ROCPRIM_400000_NS6detail17trampoline_kernelINS0_14default_configENS1_27lower_bound_config_selectorIN6thrust23THRUST_200600_302600_NS5tupleIiiNS6_9null_typeES8_S8_S8_S8_S8_S8_S8_EEiEEZNS1_14transform_implILb0ES3_SA_NS6_6detail15normal_iteratorINS6_10device_ptrIS9_EEEENSD_INSE_IiEEEEZNS1_13binary_searchIS3_SA_SG_SG_SI_NS1_21lower_bound_search_opENSC_16wrapped_functionINS0_4lessIvEEbEEEE10hipError_tPvRmT1_T2_T3_mmT4_T5_P12ihipStream_tbEUlRKS9_E_EESP_ST_SU_mSV_SY_bEUlT_E_NS1_11comp_targetILNS1_3genE3ELNS1_11target_archE908ELNS1_3gpuE7ELNS1_3repE0EEENS1_30default_config_static_selectorELNS0_4arch9wavefront6targetE0EEEvSS_.has_recursion, 0
	.set _ZN7rocprim17ROCPRIM_400000_NS6detail17trampoline_kernelINS0_14default_configENS1_27lower_bound_config_selectorIN6thrust23THRUST_200600_302600_NS5tupleIiiNS6_9null_typeES8_S8_S8_S8_S8_S8_S8_EEiEEZNS1_14transform_implILb0ES3_SA_NS6_6detail15normal_iteratorINS6_10device_ptrIS9_EEEENSD_INSE_IiEEEEZNS1_13binary_searchIS3_SA_SG_SG_SI_NS1_21lower_bound_search_opENSC_16wrapped_functionINS0_4lessIvEEbEEEE10hipError_tPvRmT1_T2_T3_mmT4_T5_P12ihipStream_tbEUlRKS9_E_EESP_ST_SU_mSV_SY_bEUlT_E_NS1_11comp_targetILNS1_3genE3ELNS1_11target_archE908ELNS1_3gpuE7ELNS1_3repE0EEENS1_30default_config_static_selectorELNS0_4arch9wavefront6targetE0EEEvSS_.has_indirect_call, 0
	.section	.AMDGPU.csdata,"",@progbits
; Kernel info:
; codeLenInByte = 0
; TotalNumSgprs: 0
; NumVgprs: 0
; ScratchSize: 0
; MemoryBound: 0
; FloatMode: 240
; IeeeMode: 1
; LDSByteSize: 0 bytes/workgroup (compile time only)
; SGPRBlocks: 0
; VGPRBlocks: 0
; NumSGPRsForWavesPerEU: 1
; NumVGPRsForWavesPerEU: 1
; Occupancy: 16
; WaveLimiterHint : 0
; COMPUTE_PGM_RSRC2:SCRATCH_EN: 0
; COMPUTE_PGM_RSRC2:USER_SGPR: 6
; COMPUTE_PGM_RSRC2:TRAP_HANDLER: 0
; COMPUTE_PGM_RSRC2:TGID_X_EN: 1
; COMPUTE_PGM_RSRC2:TGID_Y_EN: 0
; COMPUTE_PGM_RSRC2:TGID_Z_EN: 0
; COMPUTE_PGM_RSRC2:TIDIG_COMP_CNT: 0
	.section	.text._ZN7rocprim17ROCPRIM_400000_NS6detail17trampoline_kernelINS0_14default_configENS1_27lower_bound_config_selectorIN6thrust23THRUST_200600_302600_NS5tupleIiiNS6_9null_typeES8_S8_S8_S8_S8_S8_S8_EEiEEZNS1_14transform_implILb0ES3_SA_NS6_6detail15normal_iteratorINS6_10device_ptrIS9_EEEENSD_INSE_IiEEEEZNS1_13binary_searchIS3_SA_SG_SG_SI_NS1_21lower_bound_search_opENSC_16wrapped_functionINS0_4lessIvEEbEEEE10hipError_tPvRmT1_T2_T3_mmT4_T5_P12ihipStream_tbEUlRKS9_E_EESP_ST_SU_mSV_SY_bEUlT_E_NS1_11comp_targetILNS1_3genE2ELNS1_11target_archE906ELNS1_3gpuE6ELNS1_3repE0EEENS1_30default_config_static_selectorELNS0_4arch9wavefront6targetE0EEEvSS_,"axG",@progbits,_ZN7rocprim17ROCPRIM_400000_NS6detail17trampoline_kernelINS0_14default_configENS1_27lower_bound_config_selectorIN6thrust23THRUST_200600_302600_NS5tupleIiiNS6_9null_typeES8_S8_S8_S8_S8_S8_S8_EEiEEZNS1_14transform_implILb0ES3_SA_NS6_6detail15normal_iteratorINS6_10device_ptrIS9_EEEENSD_INSE_IiEEEEZNS1_13binary_searchIS3_SA_SG_SG_SI_NS1_21lower_bound_search_opENSC_16wrapped_functionINS0_4lessIvEEbEEEE10hipError_tPvRmT1_T2_T3_mmT4_T5_P12ihipStream_tbEUlRKS9_E_EESP_ST_SU_mSV_SY_bEUlT_E_NS1_11comp_targetILNS1_3genE2ELNS1_11target_archE906ELNS1_3gpuE6ELNS1_3repE0EEENS1_30default_config_static_selectorELNS0_4arch9wavefront6targetE0EEEvSS_,comdat
	.protected	_ZN7rocprim17ROCPRIM_400000_NS6detail17trampoline_kernelINS0_14default_configENS1_27lower_bound_config_selectorIN6thrust23THRUST_200600_302600_NS5tupleIiiNS6_9null_typeES8_S8_S8_S8_S8_S8_S8_EEiEEZNS1_14transform_implILb0ES3_SA_NS6_6detail15normal_iteratorINS6_10device_ptrIS9_EEEENSD_INSE_IiEEEEZNS1_13binary_searchIS3_SA_SG_SG_SI_NS1_21lower_bound_search_opENSC_16wrapped_functionINS0_4lessIvEEbEEEE10hipError_tPvRmT1_T2_T3_mmT4_T5_P12ihipStream_tbEUlRKS9_E_EESP_ST_SU_mSV_SY_bEUlT_E_NS1_11comp_targetILNS1_3genE2ELNS1_11target_archE906ELNS1_3gpuE6ELNS1_3repE0EEENS1_30default_config_static_selectorELNS0_4arch9wavefront6targetE0EEEvSS_ ; -- Begin function _ZN7rocprim17ROCPRIM_400000_NS6detail17trampoline_kernelINS0_14default_configENS1_27lower_bound_config_selectorIN6thrust23THRUST_200600_302600_NS5tupleIiiNS6_9null_typeES8_S8_S8_S8_S8_S8_S8_EEiEEZNS1_14transform_implILb0ES3_SA_NS6_6detail15normal_iteratorINS6_10device_ptrIS9_EEEENSD_INSE_IiEEEEZNS1_13binary_searchIS3_SA_SG_SG_SI_NS1_21lower_bound_search_opENSC_16wrapped_functionINS0_4lessIvEEbEEEE10hipError_tPvRmT1_T2_T3_mmT4_T5_P12ihipStream_tbEUlRKS9_E_EESP_ST_SU_mSV_SY_bEUlT_E_NS1_11comp_targetILNS1_3genE2ELNS1_11target_archE906ELNS1_3gpuE6ELNS1_3repE0EEENS1_30default_config_static_selectorELNS0_4arch9wavefront6targetE0EEEvSS_
	.globl	_ZN7rocprim17ROCPRIM_400000_NS6detail17trampoline_kernelINS0_14default_configENS1_27lower_bound_config_selectorIN6thrust23THRUST_200600_302600_NS5tupleIiiNS6_9null_typeES8_S8_S8_S8_S8_S8_S8_EEiEEZNS1_14transform_implILb0ES3_SA_NS6_6detail15normal_iteratorINS6_10device_ptrIS9_EEEENSD_INSE_IiEEEEZNS1_13binary_searchIS3_SA_SG_SG_SI_NS1_21lower_bound_search_opENSC_16wrapped_functionINS0_4lessIvEEbEEEE10hipError_tPvRmT1_T2_T3_mmT4_T5_P12ihipStream_tbEUlRKS9_E_EESP_ST_SU_mSV_SY_bEUlT_E_NS1_11comp_targetILNS1_3genE2ELNS1_11target_archE906ELNS1_3gpuE6ELNS1_3repE0EEENS1_30default_config_static_selectorELNS0_4arch9wavefront6targetE0EEEvSS_
	.p2align	8
	.type	_ZN7rocprim17ROCPRIM_400000_NS6detail17trampoline_kernelINS0_14default_configENS1_27lower_bound_config_selectorIN6thrust23THRUST_200600_302600_NS5tupleIiiNS6_9null_typeES8_S8_S8_S8_S8_S8_S8_EEiEEZNS1_14transform_implILb0ES3_SA_NS6_6detail15normal_iteratorINS6_10device_ptrIS9_EEEENSD_INSE_IiEEEEZNS1_13binary_searchIS3_SA_SG_SG_SI_NS1_21lower_bound_search_opENSC_16wrapped_functionINS0_4lessIvEEbEEEE10hipError_tPvRmT1_T2_T3_mmT4_T5_P12ihipStream_tbEUlRKS9_E_EESP_ST_SU_mSV_SY_bEUlT_E_NS1_11comp_targetILNS1_3genE2ELNS1_11target_archE906ELNS1_3gpuE6ELNS1_3repE0EEENS1_30default_config_static_selectorELNS0_4arch9wavefront6targetE0EEEvSS_,@function
_ZN7rocprim17ROCPRIM_400000_NS6detail17trampoline_kernelINS0_14default_configENS1_27lower_bound_config_selectorIN6thrust23THRUST_200600_302600_NS5tupleIiiNS6_9null_typeES8_S8_S8_S8_S8_S8_S8_EEiEEZNS1_14transform_implILb0ES3_SA_NS6_6detail15normal_iteratorINS6_10device_ptrIS9_EEEENSD_INSE_IiEEEEZNS1_13binary_searchIS3_SA_SG_SG_SI_NS1_21lower_bound_search_opENSC_16wrapped_functionINS0_4lessIvEEbEEEE10hipError_tPvRmT1_T2_T3_mmT4_T5_P12ihipStream_tbEUlRKS9_E_EESP_ST_SU_mSV_SY_bEUlT_E_NS1_11comp_targetILNS1_3genE2ELNS1_11target_archE906ELNS1_3gpuE6ELNS1_3repE0EEENS1_30default_config_static_selectorELNS0_4arch9wavefront6targetE0EEEvSS_: ; @_ZN7rocprim17ROCPRIM_400000_NS6detail17trampoline_kernelINS0_14default_configENS1_27lower_bound_config_selectorIN6thrust23THRUST_200600_302600_NS5tupleIiiNS6_9null_typeES8_S8_S8_S8_S8_S8_S8_EEiEEZNS1_14transform_implILb0ES3_SA_NS6_6detail15normal_iteratorINS6_10device_ptrIS9_EEEENSD_INSE_IiEEEEZNS1_13binary_searchIS3_SA_SG_SG_SI_NS1_21lower_bound_search_opENSC_16wrapped_functionINS0_4lessIvEEbEEEE10hipError_tPvRmT1_T2_T3_mmT4_T5_P12ihipStream_tbEUlRKS9_E_EESP_ST_SU_mSV_SY_bEUlT_E_NS1_11comp_targetILNS1_3genE2ELNS1_11target_archE906ELNS1_3gpuE6ELNS1_3repE0EEENS1_30default_config_static_selectorELNS0_4arch9wavefront6targetE0EEEvSS_
; %bb.0:
	.section	.rodata,"a",@progbits
	.p2align	6, 0x0
	.amdhsa_kernel _ZN7rocprim17ROCPRIM_400000_NS6detail17trampoline_kernelINS0_14default_configENS1_27lower_bound_config_selectorIN6thrust23THRUST_200600_302600_NS5tupleIiiNS6_9null_typeES8_S8_S8_S8_S8_S8_S8_EEiEEZNS1_14transform_implILb0ES3_SA_NS6_6detail15normal_iteratorINS6_10device_ptrIS9_EEEENSD_INSE_IiEEEEZNS1_13binary_searchIS3_SA_SG_SG_SI_NS1_21lower_bound_search_opENSC_16wrapped_functionINS0_4lessIvEEbEEEE10hipError_tPvRmT1_T2_T3_mmT4_T5_P12ihipStream_tbEUlRKS9_E_EESP_ST_SU_mSV_SY_bEUlT_E_NS1_11comp_targetILNS1_3genE2ELNS1_11target_archE906ELNS1_3gpuE6ELNS1_3repE0EEENS1_30default_config_static_selectorELNS0_4arch9wavefront6targetE0EEEvSS_
		.amdhsa_group_segment_fixed_size 0
		.amdhsa_private_segment_fixed_size 0
		.amdhsa_kernarg_size 56
		.amdhsa_user_sgpr_count 6
		.amdhsa_user_sgpr_private_segment_buffer 1
		.amdhsa_user_sgpr_dispatch_ptr 0
		.amdhsa_user_sgpr_queue_ptr 0
		.amdhsa_user_sgpr_kernarg_segment_ptr 1
		.amdhsa_user_sgpr_dispatch_id 0
		.amdhsa_user_sgpr_flat_scratch_init 0
		.amdhsa_user_sgpr_private_segment_size 0
		.amdhsa_wavefront_size32 1
		.amdhsa_uses_dynamic_stack 0
		.amdhsa_system_sgpr_private_segment_wavefront_offset 0
		.amdhsa_system_sgpr_workgroup_id_x 1
		.amdhsa_system_sgpr_workgroup_id_y 0
		.amdhsa_system_sgpr_workgroup_id_z 0
		.amdhsa_system_sgpr_workgroup_info 0
		.amdhsa_system_vgpr_workitem_id 0
		.amdhsa_next_free_vgpr 1
		.amdhsa_next_free_sgpr 1
		.amdhsa_reserve_vcc 0
		.amdhsa_reserve_flat_scratch 0
		.amdhsa_float_round_mode_32 0
		.amdhsa_float_round_mode_16_64 0
		.amdhsa_float_denorm_mode_32 3
		.amdhsa_float_denorm_mode_16_64 3
		.amdhsa_dx10_clamp 1
		.amdhsa_ieee_mode 1
		.amdhsa_fp16_overflow 0
		.amdhsa_workgroup_processor_mode 1
		.amdhsa_memory_ordered 1
		.amdhsa_forward_progress 1
		.amdhsa_shared_vgpr_count 0
		.amdhsa_exception_fp_ieee_invalid_op 0
		.amdhsa_exception_fp_denorm_src 0
		.amdhsa_exception_fp_ieee_div_zero 0
		.amdhsa_exception_fp_ieee_overflow 0
		.amdhsa_exception_fp_ieee_underflow 0
		.amdhsa_exception_fp_ieee_inexact 0
		.amdhsa_exception_int_div_zero 0
	.end_amdhsa_kernel
	.section	.text._ZN7rocprim17ROCPRIM_400000_NS6detail17trampoline_kernelINS0_14default_configENS1_27lower_bound_config_selectorIN6thrust23THRUST_200600_302600_NS5tupleIiiNS6_9null_typeES8_S8_S8_S8_S8_S8_S8_EEiEEZNS1_14transform_implILb0ES3_SA_NS6_6detail15normal_iteratorINS6_10device_ptrIS9_EEEENSD_INSE_IiEEEEZNS1_13binary_searchIS3_SA_SG_SG_SI_NS1_21lower_bound_search_opENSC_16wrapped_functionINS0_4lessIvEEbEEEE10hipError_tPvRmT1_T2_T3_mmT4_T5_P12ihipStream_tbEUlRKS9_E_EESP_ST_SU_mSV_SY_bEUlT_E_NS1_11comp_targetILNS1_3genE2ELNS1_11target_archE906ELNS1_3gpuE6ELNS1_3repE0EEENS1_30default_config_static_selectorELNS0_4arch9wavefront6targetE0EEEvSS_,"axG",@progbits,_ZN7rocprim17ROCPRIM_400000_NS6detail17trampoline_kernelINS0_14default_configENS1_27lower_bound_config_selectorIN6thrust23THRUST_200600_302600_NS5tupleIiiNS6_9null_typeES8_S8_S8_S8_S8_S8_S8_EEiEEZNS1_14transform_implILb0ES3_SA_NS6_6detail15normal_iteratorINS6_10device_ptrIS9_EEEENSD_INSE_IiEEEEZNS1_13binary_searchIS3_SA_SG_SG_SI_NS1_21lower_bound_search_opENSC_16wrapped_functionINS0_4lessIvEEbEEEE10hipError_tPvRmT1_T2_T3_mmT4_T5_P12ihipStream_tbEUlRKS9_E_EESP_ST_SU_mSV_SY_bEUlT_E_NS1_11comp_targetILNS1_3genE2ELNS1_11target_archE906ELNS1_3gpuE6ELNS1_3repE0EEENS1_30default_config_static_selectorELNS0_4arch9wavefront6targetE0EEEvSS_,comdat
.Lfunc_end493:
	.size	_ZN7rocprim17ROCPRIM_400000_NS6detail17trampoline_kernelINS0_14default_configENS1_27lower_bound_config_selectorIN6thrust23THRUST_200600_302600_NS5tupleIiiNS6_9null_typeES8_S8_S8_S8_S8_S8_S8_EEiEEZNS1_14transform_implILb0ES3_SA_NS6_6detail15normal_iteratorINS6_10device_ptrIS9_EEEENSD_INSE_IiEEEEZNS1_13binary_searchIS3_SA_SG_SG_SI_NS1_21lower_bound_search_opENSC_16wrapped_functionINS0_4lessIvEEbEEEE10hipError_tPvRmT1_T2_T3_mmT4_T5_P12ihipStream_tbEUlRKS9_E_EESP_ST_SU_mSV_SY_bEUlT_E_NS1_11comp_targetILNS1_3genE2ELNS1_11target_archE906ELNS1_3gpuE6ELNS1_3repE0EEENS1_30default_config_static_selectorELNS0_4arch9wavefront6targetE0EEEvSS_, .Lfunc_end493-_ZN7rocprim17ROCPRIM_400000_NS6detail17trampoline_kernelINS0_14default_configENS1_27lower_bound_config_selectorIN6thrust23THRUST_200600_302600_NS5tupleIiiNS6_9null_typeES8_S8_S8_S8_S8_S8_S8_EEiEEZNS1_14transform_implILb0ES3_SA_NS6_6detail15normal_iteratorINS6_10device_ptrIS9_EEEENSD_INSE_IiEEEEZNS1_13binary_searchIS3_SA_SG_SG_SI_NS1_21lower_bound_search_opENSC_16wrapped_functionINS0_4lessIvEEbEEEE10hipError_tPvRmT1_T2_T3_mmT4_T5_P12ihipStream_tbEUlRKS9_E_EESP_ST_SU_mSV_SY_bEUlT_E_NS1_11comp_targetILNS1_3genE2ELNS1_11target_archE906ELNS1_3gpuE6ELNS1_3repE0EEENS1_30default_config_static_selectorELNS0_4arch9wavefront6targetE0EEEvSS_
                                        ; -- End function
	.set _ZN7rocprim17ROCPRIM_400000_NS6detail17trampoline_kernelINS0_14default_configENS1_27lower_bound_config_selectorIN6thrust23THRUST_200600_302600_NS5tupleIiiNS6_9null_typeES8_S8_S8_S8_S8_S8_S8_EEiEEZNS1_14transform_implILb0ES3_SA_NS6_6detail15normal_iteratorINS6_10device_ptrIS9_EEEENSD_INSE_IiEEEEZNS1_13binary_searchIS3_SA_SG_SG_SI_NS1_21lower_bound_search_opENSC_16wrapped_functionINS0_4lessIvEEbEEEE10hipError_tPvRmT1_T2_T3_mmT4_T5_P12ihipStream_tbEUlRKS9_E_EESP_ST_SU_mSV_SY_bEUlT_E_NS1_11comp_targetILNS1_3genE2ELNS1_11target_archE906ELNS1_3gpuE6ELNS1_3repE0EEENS1_30default_config_static_selectorELNS0_4arch9wavefront6targetE0EEEvSS_.num_vgpr, 0
	.set _ZN7rocprim17ROCPRIM_400000_NS6detail17trampoline_kernelINS0_14default_configENS1_27lower_bound_config_selectorIN6thrust23THRUST_200600_302600_NS5tupleIiiNS6_9null_typeES8_S8_S8_S8_S8_S8_S8_EEiEEZNS1_14transform_implILb0ES3_SA_NS6_6detail15normal_iteratorINS6_10device_ptrIS9_EEEENSD_INSE_IiEEEEZNS1_13binary_searchIS3_SA_SG_SG_SI_NS1_21lower_bound_search_opENSC_16wrapped_functionINS0_4lessIvEEbEEEE10hipError_tPvRmT1_T2_T3_mmT4_T5_P12ihipStream_tbEUlRKS9_E_EESP_ST_SU_mSV_SY_bEUlT_E_NS1_11comp_targetILNS1_3genE2ELNS1_11target_archE906ELNS1_3gpuE6ELNS1_3repE0EEENS1_30default_config_static_selectorELNS0_4arch9wavefront6targetE0EEEvSS_.num_agpr, 0
	.set _ZN7rocprim17ROCPRIM_400000_NS6detail17trampoline_kernelINS0_14default_configENS1_27lower_bound_config_selectorIN6thrust23THRUST_200600_302600_NS5tupleIiiNS6_9null_typeES8_S8_S8_S8_S8_S8_S8_EEiEEZNS1_14transform_implILb0ES3_SA_NS6_6detail15normal_iteratorINS6_10device_ptrIS9_EEEENSD_INSE_IiEEEEZNS1_13binary_searchIS3_SA_SG_SG_SI_NS1_21lower_bound_search_opENSC_16wrapped_functionINS0_4lessIvEEbEEEE10hipError_tPvRmT1_T2_T3_mmT4_T5_P12ihipStream_tbEUlRKS9_E_EESP_ST_SU_mSV_SY_bEUlT_E_NS1_11comp_targetILNS1_3genE2ELNS1_11target_archE906ELNS1_3gpuE6ELNS1_3repE0EEENS1_30default_config_static_selectorELNS0_4arch9wavefront6targetE0EEEvSS_.numbered_sgpr, 0
	.set _ZN7rocprim17ROCPRIM_400000_NS6detail17trampoline_kernelINS0_14default_configENS1_27lower_bound_config_selectorIN6thrust23THRUST_200600_302600_NS5tupleIiiNS6_9null_typeES8_S8_S8_S8_S8_S8_S8_EEiEEZNS1_14transform_implILb0ES3_SA_NS6_6detail15normal_iteratorINS6_10device_ptrIS9_EEEENSD_INSE_IiEEEEZNS1_13binary_searchIS3_SA_SG_SG_SI_NS1_21lower_bound_search_opENSC_16wrapped_functionINS0_4lessIvEEbEEEE10hipError_tPvRmT1_T2_T3_mmT4_T5_P12ihipStream_tbEUlRKS9_E_EESP_ST_SU_mSV_SY_bEUlT_E_NS1_11comp_targetILNS1_3genE2ELNS1_11target_archE906ELNS1_3gpuE6ELNS1_3repE0EEENS1_30default_config_static_selectorELNS0_4arch9wavefront6targetE0EEEvSS_.num_named_barrier, 0
	.set _ZN7rocprim17ROCPRIM_400000_NS6detail17trampoline_kernelINS0_14default_configENS1_27lower_bound_config_selectorIN6thrust23THRUST_200600_302600_NS5tupleIiiNS6_9null_typeES8_S8_S8_S8_S8_S8_S8_EEiEEZNS1_14transform_implILb0ES3_SA_NS6_6detail15normal_iteratorINS6_10device_ptrIS9_EEEENSD_INSE_IiEEEEZNS1_13binary_searchIS3_SA_SG_SG_SI_NS1_21lower_bound_search_opENSC_16wrapped_functionINS0_4lessIvEEbEEEE10hipError_tPvRmT1_T2_T3_mmT4_T5_P12ihipStream_tbEUlRKS9_E_EESP_ST_SU_mSV_SY_bEUlT_E_NS1_11comp_targetILNS1_3genE2ELNS1_11target_archE906ELNS1_3gpuE6ELNS1_3repE0EEENS1_30default_config_static_selectorELNS0_4arch9wavefront6targetE0EEEvSS_.private_seg_size, 0
	.set _ZN7rocprim17ROCPRIM_400000_NS6detail17trampoline_kernelINS0_14default_configENS1_27lower_bound_config_selectorIN6thrust23THRUST_200600_302600_NS5tupleIiiNS6_9null_typeES8_S8_S8_S8_S8_S8_S8_EEiEEZNS1_14transform_implILb0ES3_SA_NS6_6detail15normal_iteratorINS6_10device_ptrIS9_EEEENSD_INSE_IiEEEEZNS1_13binary_searchIS3_SA_SG_SG_SI_NS1_21lower_bound_search_opENSC_16wrapped_functionINS0_4lessIvEEbEEEE10hipError_tPvRmT1_T2_T3_mmT4_T5_P12ihipStream_tbEUlRKS9_E_EESP_ST_SU_mSV_SY_bEUlT_E_NS1_11comp_targetILNS1_3genE2ELNS1_11target_archE906ELNS1_3gpuE6ELNS1_3repE0EEENS1_30default_config_static_selectorELNS0_4arch9wavefront6targetE0EEEvSS_.uses_vcc, 0
	.set _ZN7rocprim17ROCPRIM_400000_NS6detail17trampoline_kernelINS0_14default_configENS1_27lower_bound_config_selectorIN6thrust23THRUST_200600_302600_NS5tupleIiiNS6_9null_typeES8_S8_S8_S8_S8_S8_S8_EEiEEZNS1_14transform_implILb0ES3_SA_NS6_6detail15normal_iteratorINS6_10device_ptrIS9_EEEENSD_INSE_IiEEEEZNS1_13binary_searchIS3_SA_SG_SG_SI_NS1_21lower_bound_search_opENSC_16wrapped_functionINS0_4lessIvEEbEEEE10hipError_tPvRmT1_T2_T3_mmT4_T5_P12ihipStream_tbEUlRKS9_E_EESP_ST_SU_mSV_SY_bEUlT_E_NS1_11comp_targetILNS1_3genE2ELNS1_11target_archE906ELNS1_3gpuE6ELNS1_3repE0EEENS1_30default_config_static_selectorELNS0_4arch9wavefront6targetE0EEEvSS_.uses_flat_scratch, 0
	.set _ZN7rocprim17ROCPRIM_400000_NS6detail17trampoline_kernelINS0_14default_configENS1_27lower_bound_config_selectorIN6thrust23THRUST_200600_302600_NS5tupleIiiNS6_9null_typeES8_S8_S8_S8_S8_S8_S8_EEiEEZNS1_14transform_implILb0ES3_SA_NS6_6detail15normal_iteratorINS6_10device_ptrIS9_EEEENSD_INSE_IiEEEEZNS1_13binary_searchIS3_SA_SG_SG_SI_NS1_21lower_bound_search_opENSC_16wrapped_functionINS0_4lessIvEEbEEEE10hipError_tPvRmT1_T2_T3_mmT4_T5_P12ihipStream_tbEUlRKS9_E_EESP_ST_SU_mSV_SY_bEUlT_E_NS1_11comp_targetILNS1_3genE2ELNS1_11target_archE906ELNS1_3gpuE6ELNS1_3repE0EEENS1_30default_config_static_selectorELNS0_4arch9wavefront6targetE0EEEvSS_.has_dyn_sized_stack, 0
	.set _ZN7rocprim17ROCPRIM_400000_NS6detail17trampoline_kernelINS0_14default_configENS1_27lower_bound_config_selectorIN6thrust23THRUST_200600_302600_NS5tupleIiiNS6_9null_typeES8_S8_S8_S8_S8_S8_S8_EEiEEZNS1_14transform_implILb0ES3_SA_NS6_6detail15normal_iteratorINS6_10device_ptrIS9_EEEENSD_INSE_IiEEEEZNS1_13binary_searchIS3_SA_SG_SG_SI_NS1_21lower_bound_search_opENSC_16wrapped_functionINS0_4lessIvEEbEEEE10hipError_tPvRmT1_T2_T3_mmT4_T5_P12ihipStream_tbEUlRKS9_E_EESP_ST_SU_mSV_SY_bEUlT_E_NS1_11comp_targetILNS1_3genE2ELNS1_11target_archE906ELNS1_3gpuE6ELNS1_3repE0EEENS1_30default_config_static_selectorELNS0_4arch9wavefront6targetE0EEEvSS_.has_recursion, 0
	.set _ZN7rocprim17ROCPRIM_400000_NS6detail17trampoline_kernelINS0_14default_configENS1_27lower_bound_config_selectorIN6thrust23THRUST_200600_302600_NS5tupleIiiNS6_9null_typeES8_S8_S8_S8_S8_S8_S8_EEiEEZNS1_14transform_implILb0ES3_SA_NS6_6detail15normal_iteratorINS6_10device_ptrIS9_EEEENSD_INSE_IiEEEEZNS1_13binary_searchIS3_SA_SG_SG_SI_NS1_21lower_bound_search_opENSC_16wrapped_functionINS0_4lessIvEEbEEEE10hipError_tPvRmT1_T2_T3_mmT4_T5_P12ihipStream_tbEUlRKS9_E_EESP_ST_SU_mSV_SY_bEUlT_E_NS1_11comp_targetILNS1_3genE2ELNS1_11target_archE906ELNS1_3gpuE6ELNS1_3repE0EEENS1_30default_config_static_selectorELNS0_4arch9wavefront6targetE0EEEvSS_.has_indirect_call, 0
	.section	.AMDGPU.csdata,"",@progbits
; Kernel info:
; codeLenInByte = 0
; TotalNumSgprs: 0
; NumVgprs: 0
; ScratchSize: 0
; MemoryBound: 0
; FloatMode: 240
; IeeeMode: 1
; LDSByteSize: 0 bytes/workgroup (compile time only)
; SGPRBlocks: 0
; VGPRBlocks: 0
; NumSGPRsForWavesPerEU: 1
; NumVGPRsForWavesPerEU: 1
; Occupancy: 16
; WaveLimiterHint : 0
; COMPUTE_PGM_RSRC2:SCRATCH_EN: 0
; COMPUTE_PGM_RSRC2:USER_SGPR: 6
; COMPUTE_PGM_RSRC2:TRAP_HANDLER: 0
; COMPUTE_PGM_RSRC2:TGID_X_EN: 1
; COMPUTE_PGM_RSRC2:TGID_Y_EN: 0
; COMPUTE_PGM_RSRC2:TGID_Z_EN: 0
; COMPUTE_PGM_RSRC2:TIDIG_COMP_CNT: 0
	.section	.text._ZN7rocprim17ROCPRIM_400000_NS6detail17trampoline_kernelINS0_14default_configENS1_27lower_bound_config_selectorIN6thrust23THRUST_200600_302600_NS5tupleIiiNS6_9null_typeES8_S8_S8_S8_S8_S8_S8_EEiEEZNS1_14transform_implILb0ES3_SA_NS6_6detail15normal_iteratorINS6_10device_ptrIS9_EEEENSD_INSE_IiEEEEZNS1_13binary_searchIS3_SA_SG_SG_SI_NS1_21lower_bound_search_opENSC_16wrapped_functionINS0_4lessIvEEbEEEE10hipError_tPvRmT1_T2_T3_mmT4_T5_P12ihipStream_tbEUlRKS9_E_EESP_ST_SU_mSV_SY_bEUlT_E_NS1_11comp_targetILNS1_3genE10ELNS1_11target_archE1201ELNS1_3gpuE5ELNS1_3repE0EEENS1_30default_config_static_selectorELNS0_4arch9wavefront6targetE0EEEvSS_,"axG",@progbits,_ZN7rocprim17ROCPRIM_400000_NS6detail17trampoline_kernelINS0_14default_configENS1_27lower_bound_config_selectorIN6thrust23THRUST_200600_302600_NS5tupleIiiNS6_9null_typeES8_S8_S8_S8_S8_S8_S8_EEiEEZNS1_14transform_implILb0ES3_SA_NS6_6detail15normal_iteratorINS6_10device_ptrIS9_EEEENSD_INSE_IiEEEEZNS1_13binary_searchIS3_SA_SG_SG_SI_NS1_21lower_bound_search_opENSC_16wrapped_functionINS0_4lessIvEEbEEEE10hipError_tPvRmT1_T2_T3_mmT4_T5_P12ihipStream_tbEUlRKS9_E_EESP_ST_SU_mSV_SY_bEUlT_E_NS1_11comp_targetILNS1_3genE10ELNS1_11target_archE1201ELNS1_3gpuE5ELNS1_3repE0EEENS1_30default_config_static_selectorELNS0_4arch9wavefront6targetE0EEEvSS_,comdat
	.protected	_ZN7rocprim17ROCPRIM_400000_NS6detail17trampoline_kernelINS0_14default_configENS1_27lower_bound_config_selectorIN6thrust23THRUST_200600_302600_NS5tupleIiiNS6_9null_typeES8_S8_S8_S8_S8_S8_S8_EEiEEZNS1_14transform_implILb0ES3_SA_NS6_6detail15normal_iteratorINS6_10device_ptrIS9_EEEENSD_INSE_IiEEEEZNS1_13binary_searchIS3_SA_SG_SG_SI_NS1_21lower_bound_search_opENSC_16wrapped_functionINS0_4lessIvEEbEEEE10hipError_tPvRmT1_T2_T3_mmT4_T5_P12ihipStream_tbEUlRKS9_E_EESP_ST_SU_mSV_SY_bEUlT_E_NS1_11comp_targetILNS1_3genE10ELNS1_11target_archE1201ELNS1_3gpuE5ELNS1_3repE0EEENS1_30default_config_static_selectorELNS0_4arch9wavefront6targetE0EEEvSS_ ; -- Begin function _ZN7rocprim17ROCPRIM_400000_NS6detail17trampoline_kernelINS0_14default_configENS1_27lower_bound_config_selectorIN6thrust23THRUST_200600_302600_NS5tupleIiiNS6_9null_typeES8_S8_S8_S8_S8_S8_S8_EEiEEZNS1_14transform_implILb0ES3_SA_NS6_6detail15normal_iteratorINS6_10device_ptrIS9_EEEENSD_INSE_IiEEEEZNS1_13binary_searchIS3_SA_SG_SG_SI_NS1_21lower_bound_search_opENSC_16wrapped_functionINS0_4lessIvEEbEEEE10hipError_tPvRmT1_T2_T3_mmT4_T5_P12ihipStream_tbEUlRKS9_E_EESP_ST_SU_mSV_SY_bEUlT_E_NS1_11comp_targetILNS1_3genE10ELNS1_11target_archE1201ELNS1_3gpuE5ELNS1_3repE0EEENS1_30default_config_static_selectorELNS0_4arch9wavefront6targetE0EEEvSS_
	.globl	_ZN7rocprim17ROCPRIM_400000_NS6detail17trampoline_kernelINS0_14default_configENS1_27lower_bound_config_selectorIN6thrust23THRUST_200600_302600_NS5tupleIiiNS6_9null_typeES8_S8_S8_S8_S8_S8_S8_EEiEEZNS1_14transform_implILb0ES3_SA_NS6_6detail15normal_iteratorINS6_10device_ptrIS9_EEEENSD_INSE_IiEEEEZNS1_13binary_searchIS3_SA_SG_SG_SI_NS1_21lower_bound_search_opENSC_16wrapped_functionINS0_4lessIvEEbEEEE10hipError_tPvRmT1_T2_T3_mmT4_T5_P12ihipStream_tbEUlRKS9_E_EESP_ST_SU_mSV_SY_bEUlT_E_NS1_11comp_targetILNS1_3genE10ELNS1_11target_archE1201ELNS1_3gpuE5ELNS1_3repE0EEENS1_30default_config_static_selectorELNS0_4arch9wavefront6targetE0EEEvSS_
	.p2align	8
	.type	_ZN7rocprim17ROCPRIM_400000_NS6detail17trampoline_kernelINS0_14default_configENS1_27lower_bound_config_selectorIN6thrust23THRUST_200600_302600_NS5tupleIiiNS6_9null_typeES8_S8_S8_S8_S8_S8_S8_EEiEEZNS1_14transform_implILb0ES3_SA_NS6_6detail15normal_iteratorINS6_10device_ptrIS9_EEEENSD_INSE_IiEEEEZNS1_13binary_searchIS3_SA_SG_SG_SI_NS1_21lower_bound_search_opENSC_16wrapped_functionINS0_4lessIvEEbEEEE10hipError_tPvRmT1_T2_T3_mmT4_T5_P12ihipStream_tbEUlRKS9_E_EESP_ST_SU_mSV_SY_bEUlT_E_NS1_11comp_targetILNS1_3genE10ELNS1_11target_archE1201ELNS1_3gpuE5ELNS1_3repE0EEENS1_30default_config_static_selectorELNS0_4arch9wavefront6targetE0EEEvSS_,@function
_ZN7rocprim17ROCPRIM_400000_NS6detail17trampoline_kernelINS0_14default_configENS1_27lower_bound_config_selectorIN6thrust23THRUST_200600_302600_NS5tupleIiiNS6_9null_typeES8_S8_S8_S8_S8_S8_S8_EEiEEZNS1_14transform_implILb0ES3_SA_NS6_6detail15normal_iteratorINS6_10device_ptrIS9_EEEENSD_INSE_IiEEEEZNS1_13binary_searchIS3_SA_SG_SG_SI_NS1_21lower_bound_search_opENSC_16wrapped_functionINS0_4lessIvEEbEEEE10hipError_tPvRmT1_T2_T3_mmT4_T5_P12ihipStream_tbEUlRKS9_E_EESP_ST_SU_mSV_SY_bEUlT_E_NS1_11comp_targetILNS1_3genE10ELNS1_11target_archE1201ELNS1_3gpuE5ELNS1_3repE0EEENS1_30default_config_static_selectorELNS0_4arch9wavefront6targetE0EEEvSS_: ; @_ZN7rocprim17ROCPRIM_400000_NS6detail17trampoline_kernelINS0_14default_configENS1_27lower_bound_config_selectorIN6thrust23THRUST_200600_302600_NS5tupleIiiNS6_9null_typeES8_S8_S8_S8_S8_S8_S8_EEiEEZNS1_14transform_implILb0ES3_SA_NS6_6detail15normal_iteratorINS6_10device_ptrIS9_EEEENSD_INSE_IiEEEEZNS1_13binary_searchIS3_SA_SG_SG_SI_NS1_21lower_bound_search_opENSC_16wrapped_functionINS0_4lessIvEEbEEEE10hipError_tPvRmT1_T2_T3_mmT4_T5_P12ihipStream_tbEUlRKS9_E_EESP_ST_SU_mSV_SY_bEUlT_E_NS1_11comp_targetILNS1_3genE10ELNS1_11target_archE1201ELNS1_3gpuE5ELNS1_3repE0EEENS1_30default_config_static_selectorELNS0_4arch9wavefront6targetE0EEEvSS_
; %bb.0:
	.section	.rodata,"a",@progbits
	.p2align	6, 0x0
	.amdhsa_kernel _ZN7rocprim17ROCPRIM_400000_NS6detail17trampoline_kernelINS0_14default_configENS1_27lower_bound_config_selectorIN6thrust23THRUST_200600_302600_NS5tupleIiiNS6_9null_typeES8_S8_S8_S8_S8_S8_S8_EEiEEZNS1_14transform_implILb0ES3_SA_NS6_6detail15normal_iteratorINS6_10device_ptrIS9_EEEENSD_INSE_IiEEEEZNS1_13binary_searchIS3_SA_SG_SG_SI_NS1_21lower_bound_search_opENSC_16wrapped_functionINS0_4lessIvEEbEEEE10hipError_tPvRmT1_T2_T3_mmT4_T5_P12ihipStream_tbEUlRKS9_E_EESP_ST_SU_mSV_SY_bEUlT_E_NS1_11comp_targetILNS1_3genE10ELNS1_11target_archE1201ELNS1_3gpuE5ELNS1_3repE0EEENS1_30default_config_static_selectorELNS0_4arch9wavefront6targetE0EEEvSS_
		.amdhsa_group_segment_fixed_size 0
		.amdhsa_private_segment_fixed_size 0
		.amdhsa_kernarg_size 56
		.amdhsa_user_sgpr_count 6
		.amdhsa_user_sgpr_private_segment_buffer 1
		.amdhsa_user_sgpr_dispatch_ptr 0
		.amdhsa_user_sgpr_queue_ptr 0
		.amdhsa_user_sgpr_kernarg_segment_ptr 1
		.amdhsa_user_sgpr_dispatch_id 0
		.amdhsa_user_sgpr_flat_scratch_init 0
		.amdhsa_user_sgpr_private_segment_size 0
		.amdhsa_wavefront_size32 1
		.amdhsa_uses_dynamic_stack 0
		.amdhsa_system_sgpr_private_segment_wavefront_offset 0
		.amdhsa_system_sgpr_workgroup_id_x 1
		.amdhsa_system_sgpr_workgroup_id_y 0
		.amdhsa_system_sgpr_workgroup_id_z 0
		.amdhsa_system_sgpr_workgroup_info 0
		.amdhsa_system_vgpr_workitem_id 0
		.amdhsa_next_free_vgpr 1
		.amdhsa_next_free_sgpr 1
		.amdhsa_reserve_vcc 0
		.amdhsa_reserve_flat_scratch 0
		.amdhsa_float_round_mode_32 0
		.amdhsa_float_round_mode_16_64 0
		.amdhsa_float_denorm_mode_32 3
		.amdhsa_float_denorm_mode_16_64 3
		.amdhsa_dx10_clamp 1
		.amdhsa_ieee_mode 1
		.amdhsa_fp16_overflow 0
		.amdhsa_workgroup_processor_mode 1
		.amdhsa_memory_ordered 1
		.amdhsa_forward_progress 1
		.amdhsa_shared_vgpr_count 0
		.amdhsa_exception_fp_ieee_invalid_op 0
		.amdhsa_exception_fp_denorm_src 0
		.amdhsa_exception_fp_ieee_div_zero 0
		.amdhsa_exception_fp_ieee_overflow 0
		.amdhsa_exception_fp_ieee_underflow 0
		.amdhsa_exception_fp_ieee_inexact 0
		.amdhsa_exception_int_div_zero 0
	.end_amdhsa_kernel
	.section	.text._ZN7rocprim17ROCPRIM_400000_NS6detail17trampoline_kernelINS0_14default_configENS1_27lower_bound_config_selectorIN6thrust23THRUST_200600_302600_NS5tupleIiiNS6_9null_typeES8_S8_S8_S8_S8_S8_S8_EEiEEZNS1_14transform_implILb0ES3_SA_NS6_6detail15normal_iteratorINS6_10device_ptrIS9_EEEENSD_INSE_IiEEEEZNS1_13binary_searchIS3_SA_SG_SG_SI_NS1_21lower_bound_search_opENSC_16wrapped_functionINS0_4lessIvEEbEEEE10hipError_tPvRmT1_T2_T3_mmT4_T5_P12ihipStream_tbEUlRKS9_E_EESP_ST_SU_mSV_SY_bEUlT_E_NS1_11comp_targetILNS1_3genE10ELNS1_11target_archE1201ELNS1_3gpuE5ELNS1_3repE0EEENS1_30default_config_static_selectorELNS0_4arch9wavefront6targetE0EEEvSS_,"axG",@progbits,_ZN7rocprim17ROCPRIM_400000_NS6detail17trampoline_kernelINS0_14default_configENS1_27lower_bound_config_selectorIN6thrust23THRUST_200600_302600_NS5tupleIiiNS6_9null_typeES8_S8_S8_S8_S8_S8_S8_EEiEEZNS1_14transform_implILb0ES3_SA_NS6_6detail15normal_iteratorINS6_10device_ptrIS9_EEEENSD_INSE_IiEEEEZNS1_13binary_searchIS3_SA_SG_SG_SI_NS1_21lower_bound_search_opENSC_16wrapped_functionINS0_4lessIvEEbEEEE10hipError_tPvRmT1_T2_T3_mmT4_T5_P12ihipStream_tbEUlRKS9_E_EESP_ST_SU_mSV_SY_bEUlT_E_NS1_11comp_targetILNS1_3genE10ELNS1_11target_archE1201ELNS1_3gpuE5ELNS1_3repE0EEENS1_30default_config_static_selectorELNS0_4arch9wavefront6targetE0EEEvSS_,comdat
.Lfunc_end494:
	.size	_ZN7rocprim17ROCPRIM_400000_NS6detail17trampoline_kernelINS0_14default_configENS1_27lower_bound_config_selectorIN6thrust23THRUST_200600_302600_NS5tupleIiiNS6_9null_typeES8_S8_S8_S8_S8_S8_S8_EEiEEZNS1_14transform_implILb0ES3_SA_NS6_6detail15normal_iteratorINS6_10device_ptrIS9_EEEENSD_INSE_IiEEEEZNS1_13binary_searchIS3_SA_SG_SG_SI_NS1_21lower_bound_search_opENSC_16wrapped_functionINS0_4lessIvEEbEEEE10hipError_tPvRmT1_T2_T3_mmT4_T5_P12ihipStream_tbEUlRKS9_E_EESP_ST_SU_mSV_SY_bEUlT_E_NS1_11comp_targetILNS1_3genE10ELNS1_11target_archE1201ELNS1_3gpuE5ELNS1_3repE0EEENS1_30default_config_static_selectorELNS0_4arch9wavefront6targetE0EEEvSS_, .Lfunc_end494-_ZN7rocprim17ROCPRIM_400000_NS6detail17trampoline_kernelINS0_14default_configENS1_27lower_bound_config_selectorIN6thrust23THRUST_200600_302600_NS5tupleIiiNS6_9null_typeES8_S8_S8_S8_S8_S8_S8_EEiEEZNS1_14transform_implILb0ES3_SA_NS6_6detail15normal_iteratorINS6_10device_ptrIS9_EEEENSD_INSE_IiEEEEZNS1_13binary_searchIS3_SA_SG_SG_SI_NS1_21lower_bound_search_opENSC_16wrapped_functionINS0_4lessIvEEbEEEE10hipError_tPvRmT1_T2_T3_mmT4_T5_P12ihipStream_tbEUlRKS9_E_EESP_ST_SU_mSV_SY_bEUlT_E_NS1_11comp_targetILNS1_3genE10ELNS1_11target_archE1201ELNS1_3gpuE5ELNS1_3repE0EEENS1_30default_config_static_selectorELNS0_4arch9wavefront6targetE0EEEvSS_
                                        ; -- End function
	.set _ZN7rocprim17ROCPRIM_400000_NS6detail17trampoline_kernelINS0_14default_configENS1_27lower_bound_config_selectorIN6thrust23THRUST_200600_302600_NS5tupleIiiNS6_9null_typeES8_S8_S8_S8_S8_S8_S8_EEiEEZNS1_14transform_implILb0ES3_SA_NS6_6detail15normal_iteratorINS6_10device_ptrIS9_EEEENSD_INSE_IiEEEEZNS1_13binary_searchIS3_SA_SG_SG_SI_NS1_21lower_bound_search_opENSC_16wrapped_functionINS0_4lessIvEEbEEEE10hipError_tPvRmT1_T2_T3_mmT4_T5_P12ihipStream_tbEUlRKS9_E_EESP_ST_SU_mSV_SY_bEUlT_E_NS1_11comp_targetILNS1_3genE10ELNS1_11target_archE1201ELNS1_3gpuE5ELNS1_3repE0EEENS1_30default_config_static_selectorELNS0_4arch9wavefront6targetE0EEEvSS_.num_vgpr, 0
	.set _ZN7rocprim17ROCPRIM_400000_NS6detail17trampoline_kernelINS0_14default_configENS1_27lower_bound_config_selectorIN6thrust23THRUST_200600_302600_NS5tupleIiiNS6_9null_typeES8_S8_S8_S8_S8_S8_S8_EEiEEZNS1_14transform_implILb0ES3_SA_NS6_6detail15normal_iteratorINS6_10device_ptrIS9_EEEENSD_INSE_IiEEEEZNS1_13binary_searchIS3_SA_SG_SG_SI_NS1_21lower_bound_search_opENSC_16wrapped_functionINS0_4lessIvEEbEEEE10hipError_tPvRmT1_T2_T3_mmT4_T5_P12ihipStream_tbEUlRKS9_E_EESP_ST_SU_mSV_SY_bEUlT_E_NS1_11comp_targetILNS1_3genE10ELNS1_11target_archE1201ELNS1_3gpuE5ELNS1_3repE0EEENS1_30default_config_static_selectorELNS0_4arch9wavefront6targetE0EEEvSS_.num_agpr, 0
	.set _ZN7rocprim17ROCPRIM_400000_NS6detail17trampoline_kernelINS0_14default_configENS1_27lower_bound_config_selectorIN6thrust23THRUST_200600_302600_NS5tupleIiiNS6_9null_typeES8_S8_S8_S8_S8_S8_S8_EEiEEZNS1_14transform_implILb0ES3_SA_NS6_6detail15normal_iteratorINS6_10device_ptrIS9_EEEENSD_INSE_IiEEEEZNS1_13binary_searchIS3_SA_SG_SG_SI_NS1_21lower_bound_search_opENSC_16wrapped_functionINS0_4lessIvEEbEEEE10hipError_tPvRmT1_T2_T3_mmT4_T5_P12ihipStream_tbEUlRKS9_E_EESP_ST_SU_mSV_SY_bEUlT_E_NS1_11comp_targetILNS1_3genE10ELNS1_11target_archE1201ELNS1_3gpuE5ELNS1_3repE0EEENS1_30default_config_static_selectorELNS0_4arch9wavefront6targetE0EEEvSS_.numbered_sgpr, 0
	.set _ZN7rocprim17ROCPRIM_400000_NS6detail17trampoline_kernelINS0_14default_configENS1_27lower_bound_config_selectorIN6thrust23THRUST_200600_302600_NS5tupleIiiNS6_9null_typeES8_S8_S8_S8_S8_S8_S8_EEiEEZNS1_14transform_implILb0ES3_SA_NS6_6detail15normal_iteratorINS6_10device_ptrIS9_EEEENSD_INSE_IiEEEEZNS1_13binary_searchIS3_SA_SG_SG_SI_NS1_21lower_bound_search_opENSC_16wrapped_functionINS0_4lessIvEEbEEEE10hipError_tPvRmT1_T2_T3_mmT4_T5_P12ihipStream_tbEUlRKS9_E_EESP_ST_SU_mSV_SY_bEUlT_E_NS1_11comp_targetILNS1_3genE10ELNS1_11target_archE1201ELNS1_3gpuE5ELNS1_3repE0EEENS1_30default_config_static_selectorELNS0_4arch9wavefront6targetE0EEEvSS_.num_named_barrier, 0
	.set _ZN7rocprim17ROCPRIM_400000_NS6detail17trampoline_kernelINS0_14default_configENS1_27lower_bound_config_selectorIN6thrust23THRUST_200600_302600_NS5tupleIiiNS6_9null_typeES8_S8_S8_S8_S8_S8_S8_EEiEEZNS1_14transform_implILb0ES3_SA_NS6_6detail15normal_iteratorINS6_10device_ptrIS9_EEEENSD_INSE_IiEEEEZNS1_13binary_searchIS3_SA_SG_SG_SI_NS1_21lower_bound_search_opENSC_16wrapped_functionINS0_4lessIvEEbEEEE10hipError_tPvRmT1_T2_T3_mmT4_T5_P12ihipStream_tbEUlRKS9_E_EESP_ST_SU_mSV_SY_bEUlT_E_NS1_11comp_targetILNS1_3genE10ELNS1_11target_archE1201ELNS1_3gpuE5ELNS1_3repE0EEENS1_30default_config_static_selectorELNS0_4arch9wavefront6targetE0EEEvSS_.private_seg_size, 0
	.set _ZN7rocprim17ROCPRIM_400000_NS6detail17trampoline_kernelINS0_14default_configENS1_27lower_bound_config_selectorIN6thrust23THRUST_200600_302600_NS5tupleIiiNS6_9null_typeES8_S8_S8_S8_S8_S8_S8_EEiEEZNS1_14transform_implILb0ES3_SA_NS6_6detail15normal_iteratorINS6_10device_ptrIS9_EEEENSD_INSE_IiEEEEZNS1_13binary_searchIS3_SA_SG_SG_SI_NS1_21lower_bound_search_opENSC_16wrapped_functionINS0_4lessIvEEbEEEE10hipError_tPvRmT1_T2_T3_mmT4_T5_P12ihipStream_tbEUlRKS9_E_EESP_ST_SU_mSV_SY_bEUlT_E_NS1_11comp_targetILNS1_3genE10ELNS1_11target_archE1201ELNS1_3gpuE5ELNS1_3repE0EEENS1_30default_config_static_selectorELNS0_4arch9wavefront6targetE0EEEvSS_.uses_vcc, 0
	.set _ZN7rocprim17ROCPRIM_400000_NS6detail17trampoline_kernelINS0_14default_configENS1_27lower_bound_config_selectorIN6thrust23THRUST_200600_302600_NS5tupleIiiNS6_9null_typeES8_S8_S8_S8_S8_S8_S8_EEiEEZNS1_14transform_implILb0ES3_SA_NS6_6detail15normal_iteratorINS6_10device_ptrIS9_EEEENSD_INSE_IiEEEEZNS1_13binary_searchIS3_SA_SG_SG_SI_NS1_21lower_bound_search_opENSC_16wrapped_functionINS0_4lessIvEEbEEEE10hipError_tPvRmT1_T2_T3_mmT4_T5_P12ihipStream_tbEUlRKS9_E_EESP_ST_SU_mSV_SY_bEUlT_E_NS1_11comp_targetILNS1_3genE10ELNS1_11target_archE1201ELNS1_3gpuE5ELNS1_3repE0EEENS1_30default_config_static_selectorELNS0_4arch9wavefront6targetE0EEEvSS_.uses_flat_scratch, 0
	.set _ZN7rocprim17ROCPRIM_400000_NS6detail17trampoline_kernelINS0_14default_configENS1_27lower_bound_config_selectorIN6thrust23THRUST_200600_302600_NS5tupleIiiNS6_9null_typeES8_S8_S8_S8_S8_S8_S8_EEiEEZNS1_14transform_implILb0ES3_SA_NS6_6detail15normal_iteratorINS6_10device_ptrIS9_EEEENSD_INSE_IiEEEEZNS1_13binary_searchIS3_SA_SG_SG_SI_NS1_21lower_bound_search_opENSC_16wrapped_functionINS0_4lessIvEEbEEEE10hipError_tPvRmT1_T2_T3_mmT4_T5_P12ihipStream_tbEUlRKS9_E_EESP_ST_SU_mSV_SY_bEUlT_E_NS1_11comp_targetILNS1_3genE10ELNS1_11target_archE1201ELNS1_3gpuE5ELNS1_3repE0EEENS1_30default_config_static_selectorELNS0_4arch9wavefront6targetE0EEEvSS_.has_dyn_sized_stack, 0
	.set _ZN7rocprim17ROCPRIM_400000_NS6detail17trampoline_kernelINS0_14default_configENS1_27lower_bound_config_selectorIN6thrust23THRUST_200600_302600_NS5tupleIiiNS6_9null_typeES8_S8_S8_S8_S8_S8_S8_EEiEEZNS1_14transform_implILb0ES3_SA_NS6_6detail15normal_iteratorINS6_10device_ptrIS9_EEEENSD_INSE_IiEEEEZNS1_13binary_searchIS3_SA_SG_SG_SI_NS1_21lower_bound_search_opENSC_16wrapped_functionINS0_4lessIvEEbEEEE10hipError_tPvRmT1_T2_T3_mmT4_T5_P12ihipStream_tbEUlRKS9_E_EESP_ST_SU_mSV_SY_bEUlT_E_NS1_11comp_targetILNS1_3genE10ELNS1_11target_archE1201ELNS1_3gpuE5ELNS1_3repE0EEENS1_30default_config_static_selectorELNS0_4arch9wavefront6targetE0EEEvSS_.has_recursion, 0
	.set _ZN7rocprim17ROCPRIM_400000_NS6detail17trampoline_kernelINS0_14default_configENS1_27lower_bound_config_selectorIN6thrust23THRUST_200600_302600_NS5tupleIiiNS6_9null_typeES8_S8_S8_S8_S8_S8_S8_EEiEEZNS1_14transform_implILb0ES3_SA_NS6_6detail15normal_iteratorINS6_10device_ptrIS9_EEEENSD_INSE_IiEEEEZNS1_13binary_searchIS3_SA_SG_SG_SI_NS1_21lower_bound_search_opENSC_16wrapped_functionINS0_4lessIvEEbEEEE10hipError_tPvRmT1_T2_T3_mmT4_T5_P12ihipStream_tbEUlRKS9_E_EESP_ST_SU_mSV_SY_bEUlT_E_NS1_11comp_targetILNS1_3genE10ELNS1_11target_archE1201ELNS1_3gpuE5ELNS1_3repE0EEENS1_30default_config_static_selectorELNS0_4arch9wavefront6targetE0EEEvSS_.has_indirect_call, 0
	.section	.AMDGPU.csdata,"",@progbits
; Kernel info:
; codeLenInByte = 0
; TotalNumSgprs: 0
; NumVgprs: 0
; ScratchSize: 0
; MemoryBound: 0
; FloatMode: 240
; IeeeMode: 1
; LDSByteSize: 0 bytes/workgroup (compile time only)
; SGPRBlocks: 0
; VGPRBlocks: 0
; NumSGPRsForWavesPerEU: 1
; NumVGPRsForWavesPerEU: 1
; Occupancy: 16
; WaveLimiterHint : 0
; COMPUTE_PGM_RSRC2:SCRATCH_EN: 0
; COMPUTE_PGM_RSRC2:USER_SGPR: 6
; COMPUTE_PGM_RSRC2:TRAP_HANDLER: 0
; COMPUTE_PGM_RSRC2:TGID_X_EN: 1
; COMPUTE_PGM_RSRC2:TGID_Y_EN: 0
; COMPUTE_PGM_RSRC2:TGID_Z_EN: 0
; COMPUTE_PGM_RSRC2:TIDIG_COMP_CNT: 0
	.section	.text._ZN7rocprim17ROCPRIM_400000_NS6detail17trampoline_kernelINS0_14default_configENS1_27lower_bound_config_selectorIN6thrust23THRUST_200600_302600_NS5tupleIiiNS6_9null_typeES8_S8_S8_S8_S8_S8_S8_EEiEEZNS1_14transform_implILb0ES3_SA_NS6_6detail15normal_iteratorINS6_10device_ptrIS9_EEEENSD_INSE_IiEEEEZNS1_13binary_searchIS3_SA_SG_SG_SI_NS1_21lower_bound_search_opENSC_16wrapped_functionINS0_4lessIvEEbEEEE10hipError_tPvRmT1_T2_T3_mmT4_T5_P12ihipStream_tbEUlRKS9_E_EESP_ST_SU_mSV_SY_bEUlT_E_NS1_11comp_targetILNS1_3genE10ELNS1_11target_archE1200ELNS1_3gpuE4ELNS1_3repE0EEENS1_30default_config_static_selectorELNS0_4arch9wavefront6targetE0EEEvSS_,"axG",@progbits,_ZN7rocprim17ROCPRIM_400000_NS6detail17trampoline_kernelINS0_14default_configENS1_27lower_bound_config_selectorIN6thrust23THRUST_200600_302600_NS5tupleIiiNS6_9null_typeES8_S8_S8_S8_S8_S8_S8_EEiEEZNS1_14transform_implILb0ES3_SA_NS6_6detail15normal_iteratorINS6_10device_ptrIS9_EEEENSD_INSE_IiEEEEZNS1_13binary_searchIS3_SA_SG_SG_SI_NS1_21lower_bound_search_opENSC_16wrapped_functionINS0_4lessIvEEbEEEE10hipError_tPvRmT1_T2_T3_mmT4_T5_P12ihipStream_tbEUlRKS9_E_EESP_ST_SU_mSV_SY_bEUlT_E_NS1_11comp_targetILNS1_3genE10ELNS1_11target_archE1200ELNS1_3gpuE4ELNS1_3repE0EEENS1_30default_config_static_selectorELNS0_4arch9wavefront6targetE0EEEvSS_,comdat
	.protected	_ZN7rocprim17ROCPRIM_400000_NS6detail17trampoline_kernelINS0_14default_configENS1_27lower_bound_config_selectorIN6thrust23THRUST_200600_302600_NS5tupleIiiNS6_9null_typeES8_S8_S8_S8_S8_S8_S8_EEiEEZNS1_14transform_implILb0ES3_SA_NS6_6detail15normal_iteratorINS6_10device_ptrIS9_EEEENSD_INSE_IiEEEEZNS1_13binary_searchIS3_SA_SG_SG_SI_NS1_21lower_bound_search_opENSC_16wrapped_functionINS0_4lessIvEEbEEEE10hipError_tPvRmT1_T2_T3_mmT4_T5_P12ihipStream_tbEUlRKS9_E_EESP_ST_SU_mSV_SY_bEUlT_E_NS1_11comp_targetILNS1_3genE10ELNS1_11target_archE1200ELNS1_3gpuE4ELNS1_3repE0EEENS1_30default_config_static_selectorELNS0_4arch9wavefront6targetE0EEEvSS_ ; -- Begin function _ZN7rocprim17ROCPRIM_400000_NS6detail17trampoline_kernelINS0_14default_configENS1_27lower_bound_config_selectorIN6thrust23THRUST_200600_302600_NS5tupleIiiNS6_9null_typeES8_S8_S8_S8_S8_S8_S8_EEiEEZNS1_14transform_implILb0ES3_SA_NS6_6detail15normal_iteratorINS6_10device_ptrIS9_EEEENSD_INSE_IiEEEEZNS1_13binary_searchIS3_SA_SG_SG_SI_NS1_21lower_bound_search_opENSC_16wrapped_functionINS0_4lessIvEEbEEEE10hipError_tPvRmT1_T2_T3_mmT4_T5_P12ihipStream_tbEUlRKS9_E_EESP_ST_SU_mSV_SY_bEUlT_E_NS1_11comp_targetILNS1_3genE10ELNS1_11target_archE1200ELNS1_3gpuE4ELNS1_3repE0EEENS1_30default_config_static_selectorELNS0_4arch9wavefront6targetE0EEEvSS_
	.globl	_ZN7rocprim17ROCPRIM_400000_NS6detail17trampoline_kernelINS0_14default_configENS1_27lower_bound_config_selectorIN6thrust23THRUST_200600_302600_NS5tupleIiiNS6_9null_typeES8_S8_S8_S8_S8_S8_S8_EEiEEZNS1_14transform_implILb0ES3_SA_NS6_6detail15normal_iteratorINS6_10device_ptrIS9_EEEENSD_INSE_IiEEEEZNS1_13binary_searchIS3_SA_SG_SG_SI_NS1_21lower_bound_search_opENSC_16wrapped_functionINS0_4lessIvEEbEEEE10hipError_tPvRmT1_T2_T3_mmT4_T5_P12ihipStream_tbEUlRKS9_E_EESP_ST_SU_mSV_SY_bEUlT_E_NS1_11comp_targetILNS1_3genE10ELNS1_11target_archE1200ELNS1_3gpuE4ELNS1_3repE0EEENS1_30default_config_static_selectorELNS0_4arch9wavefront6targetE0EEEvSS_
	.p2align	8
	.type	_ZN7rocprim17ROCPRIM_400000_NS6detail17trampoline_kernelINS0_14default_configENS1_27lower_bound_config_selectorIN6thrust23THRUST_200600_302600_NS5tupleIiiNS6_9null_typeES8_S8_S8_S8_S8_S8_S8_EEiEEZNS1_14transform_implILb0ES3_SA_NS6_6detail15normal_iteratorINS6_10device_ptrIS9_EEEENSD_INSE_IiEEEEZNS1_13binary_searchIS3_SA_SG_SG_SI_NS1_21lower_bound_search_opENSC_16wrapped_functionINS0_4lessIvEEbEEEE10hipError_tPvRmT1_T2_T3_mmT4_T5_P12ihipStream_tbEUlRKS9_E_EESP_ST_SU_mSV_SY_bEUlT_E_NS1_11comp_targetILNS1_3genE10ELNS1_11target_archE1200ELNS1_3gpuE4ELNS1_3repE0EEENS1_30default_config_static_selectorELNS0_4arch9wavefront6targetE0EEEvSS_,@function
_ZN7rocprim17ROCPRIM_400000_NS6detail17trampoline_kernelINS0_14default_configENS1_27lower_bound_config_selectorIN6thrust23THRUST_200600_302600_NS5tupleIiiNS6_9null_typeES8_S8_S8_S8_S8_S8_S8_EEiEEZNS1_14transform_implILb0ES3_SA_NS6_6detail15normal_iteratorINS6_10device_ptrIS9_EEEENSD_INSE_IiEEEEZNS1_13binary_searchIS3_SA_SG_SG_SI_NS1_21lower_bound_search_opENSC_16wrapped_functionINS0_4lessIvEEbEEEE10hipError_tPvRmT1_T2_T3_mmT4_T5_P12ihipStream_tbEUlRKS9_E_EESP_ST_SU_mSV_SY_bEUlT_E_NS1_11comp_targetILNS1_3genE10ELNS1_11target_archE1200ELNS1_3gpuE4ELNS1_3repE0EEENS1_30default_config_static_selectorELNS0_4arch9wavefront6targetE0EEEvSS_: ; @_ZN7rocprim17ROCPRIM_400000_NS6detail17trampoline_kernelINS0_14default_configENS1_27lower_bound_config_selectorIN6thrust23THRUST_200600_302600_NS5tupleIiiNS6_9null_typeES8_S8_S8_S8_S8_S8_S8_EEiEEZNS1_14transform_implILb0ES3_SA_NS6_6detail15normal_iteratorINS6_10device_ptrIS9_EEEENSD_INSE_IiEEEEZNS1_13binary_searchIS3_SA_SG_SG_SI_NS1_21lower_bound_search_opENSC_16wrapped_functionINS0_4lessIvEEbEEEE10hipError_tPvRmT1_T2_T3_mmT4_T5_P12ihipStream_tbEUlRKS9_E_EESP_ST_SU_mSV_SY_bEUlT_E_NS1_11comp_targetILNS1_3genE10ELNS1_11target_archE1200ELNS1_3gpuE4ELNS1_3repE0EEENS1_30default_config_static_selectorELNS0_4arch9wavefront6targetE0EEEvSS_
; %bb.0:
	.section	.rodata,"a",@progbits
	.p2align	6, 0x0
	.amdhsa_kernel _ZN7rocprim17ROCPRIM_400000_NS6detail17trampoline_kernelINS0_14default_configENS1_27lower_bound_config_selectorIN6thrust23THRUST_200600_302600_NS5tupleIiiNS6_9null_typeES8_S8_S8_S8_S8_S8_S8_EEiEEZNS1_14transform_implILb0ES3_SA_NS6_6detail15normal_iteratorINS6_10device_ptrIS9_EEEENSD_INSE_IiEEEEZNS1_13binary_searchIS3_SA_SG_SG_SI_NS1_21lower_bound_search_opENSC_16wrapped_functionINS0_4lessIvEEbEEEE10hipError_tPvRmT1_T2_T3_mmT4_T5_P12ihipStream_tbEUlRKS9_E_EESP_ST_SU_mSV_SY_bEUlT_E_NS1_11comp_targetILNS1_3genE10ELNS1_11target_archE1200ELNS1_3gpuE4ELNS1_3repE0EEENS1_30default_config_static_selectorELNS0_4arch9wavefront6targetE0EEEvSS_
		.amdhsa_group_segment_fixed_size 0
		.amdhsa_private_segment_fixed_size 0
		.amdhsa_kernarg_size 56
		.amdhsa_user_sgpr_count 6
		.amdhsa_user_sgpr_private_segment_buffer 1
		.amdhsa_user_sgpr_dispatch_ptr 0
		.amdhsa_user_sgpr_queue_ptr 0
		.amdhsa_user_sgpr_kernarg_segment_ptr 1
		.amdhsa_user_sgpr_dispatch_id 0
		.amdhsa_user_sgpr_flat_scratch_init 0
		.amdhsa_user_sgpr_private_segment_size 0
		.amdhsa_wavefront_size32 1
		.amdhsa_uses_dynamic_stack 0
		.amdhsa_system_sgpr_private_segment_wavefront_offset 0
		.amdhsa_system_sgpr_workgroup_id_x 1
		.amdhsa_system_sgpr_workgroup_id_y 0
		.amdhsa_system_sgpr_workgroup_id_z 0
		.amdhsa_system_sgpr_workgroup_info 0
		.amdhsa_system_vgpr_workitem_id 0
		.amdhsa_next_free_vgpr 1
		.amdhsa_next_free_sgpr 1
		.amdhsa_reserve_vcc 0
		.amdhsa_reserve_flat_scratch 0
		.amdhsa_float_round_mode_32 0
		.amdhsa_float_round_mode_16_64 0
		.amdhsa_float_denorm_mode_32 3
		.amdhsa_float_denorm_mode_16_64 3
		.amdhsa_dx10_clamp 1
		.amdhsa_ieee_mode 1
		.amdhsa_fp16_overflow 0
		.amdhsa_workgroup_processor_mode 1
		.amdhsa_memory_ordered 1
		.amdhsa_forward_progress 1
		.amdhsa_shared_vgpr_count 0
		.amdhsa_exception_fp_ieee_invalid_op 0
		.amdhsa_exception_fp_denorm_src 0
		.amdhsa_exception_fp_ieee_div_zero 0
		.amdhsa_exception_fp_ieee_overflow 0
		.amdhsa_exception_fp_ieee_underflow 0
		.amdhsa_exception_fp_ieee_inexact 0
		.amdhsa_exception_int_div_zero 0
	.end_amdhsa_kernel
	.section	.text._ZN7rocprim17ROCPRIM_400000_NS6detail17trampoline_kernelINS0_14default_configENS1_27lower_bound_config_selectorIN6thrust23THRUST_200600_302600_NS5tupleIiiNS6_9null_typeES8_S8_S8_S8_S8_S8_S8_EEiEEZNS1_14transform_implILb0ES3_SA_NS6_6detail15normal_iteratorINS6_10device_ptrIS9_EEEENSD_INSE_IiEEEEZNS1_13binary_searchIS3_SA_SG_SG_SI_NS1_21lower_bound_search_opENSC_16wrapped_functionINS0_4lessIvEEbEEEE10hipError_tPvRmT1_T2_T3_mmT4_T5_P12ihipStream_tbEUlRKS9_E_EESP_ST_SU_mSV_SY_bEUlT_E_NS1_11comp_targetILNS1_3genE10ELNS1_11target_archE1200ELNS1_3gpuE4ELNS1_3repE0EEENS1_30default_config_static_selectorELNS0_4arch9wavefront6targetE0EEEvSS_,"axG",@progbits,_ZN7rocprim17ROCPRIM_400000_NS6detail17trampoline_kernelINS0_14default_configENS1_27lower_bound_config_selectorIN6thrust23THRUST_200600_302600_NS5tupleIiiNS6_9null_typeES8_S8_S8_S8_S8_S8_S8_EEiEEZNS1_14transform_implILb0ES3_SA_NS6_6detail15normal_iteratorINS6_10device_ptrIS9_EEEENSD_INSE_IiEEEEZNS1_13binary_searchIS3_SA_SG_SG_SI_NS1_21lower_bound_search_opENSC_16wrapped_functionINS0_4lessIvEEbEEEE10hipError_tPvRmT1_T2_T3_mmT4_T5_P12ihipStream_tbEUlRKS9_E_EESP_ST_SU_mSV_SY_bEUlT_E_NS1_11comp_targetILNS1_3genE10ELNS1_11target_archE1200ELNS1_3gpuE4ELNS1_3repE0EEENS1_30default_config_static_selectorELNS0_4arch9wavefront6targetE0EEEvSS_,comdat
.Lfunc_end495:
	.size	_ZN7rocprim17ROCPRIM_400000_NS6detail17trampoline_kernelINS0_14default_configENS1_27lower_bound_config_selectorIN6thrust23THRUST_200600_302600_NS5tupleIiiNS6_9null_typeES8_S8_S8_S8_S8_S8_S8_EEiEEZNS1_14transform_implILb0ES3_SA_NS6_6detail15normal_iteratorINS6_10device_ptrIS9_EEEENSD_INSE_IiEEEEZNS1_13binary_searchIS3_SA_SG_SG_SI_NS1_21lower_bound_search_opENSC_16wrapped_functionINS0_4lessIvEEbEEEE10hipError_tPvRmT1_T2_T3_mmT4_T5_P12ihipStream_tbEUlRKS9_E_EESP_ST_SU_mSV_SY_bEUlT_E_NS1_11comp_targetILNS1_3genE10ELNS1_11target_archE1200ELNS1_3gpuE4ELNS1_3repE0EEENS1_30default_config_static_selectorELNS0_4arch9wavefront6targetE0EEEvSS_, .Lfunc_end495-_ZN7rocprim17ROCPRIM_400000_NS6detail17trampoline_kernelINS0_14default_configENS1_27lower_bound_config_selectorIN6thrust23THRUST_200600_302600_NS5tupleIiiNS6_9null_typeES8_S8_S8_S8_S8_S8_S8_EEiEEZNS1_14transform_implILb0ES3_SA_NS6_6detail15normal_iteratorINS6_10device_ptrIS9_EEEENSD_INSE_IiEEEEZNS1_13binary_searchIS3_SA_SG_SG_SI_NS1_21lower_bound_search_opENSC_16wrapped_functionINS0_4lessIvEEbEEEE10hipError_tPvRmT1_T2_T3_mmT4_T5_P12ihipStream_tbEUlRKS9_E_EESP_ST_SU_mSV_SY_bEUlT_E_NS1_11comp_targetILNS1_3genE10ELNS1_11target_archE1200ELNS1_3gpuE4ELNS1_3repE0EEENS1_30default_config_static_selectorELNS0_4arch9wavefront6targetE0EEEvSS_
                                        ; -- End function
	.set _ZN7rocprim17ROCPRIM_400000_NS6detail17trampoline_kernelINS0_14default_configENS1_27lower_bound_config_selectorIN6thrust23THRUST_200600_302600_NS5tupleIiiNS6_9null_typeES8_S8_S8_S8_S8_S8_S8_EEiEEZNS1_14transform_implILb0ES3_SA_NS6_6detail15normal_iteratorINS6_10device_ptrIS9_EEEENSD_INSE_IiEEEEZNS1_13binary_searchIS3_SA_SG_SG_SI_NS1_21lower_bound_search_opENSC_16wrapped_functionINS0_4lessIvEEbEEEE10hipError_tPvRmT1_T2_T3_mmT4_T5_P12ihipStream_tbEUlRKS9_E_EESP_ST_SU_mSV_SY_bEUlT_E_NS1_11comp_targetILNS1_3genE10ELNS1_11target_archE1200ELNS1_3gpuE4ELNS1_3repE0EEENS1_30default_config_static_selectorELNS0_4arch9wavefront6targetE0EEEvSS_.num_vgpr, 0
	.set _ZN7rocprim17ROCPRIM_400000_NS6detail17trampoline_kernelINS0_14default_configENS1_27lower_bound_config_selectorIN6thrust23THRUST_200600_302600_NS5tupleIiiNS6_9null_typeES8_S8_S8_S8_S8_S8_S8_EEiEEZNS1_14transform_implILb0ES3_SA_NS6_6detail15normal_iteratorINS6_10device_ptrIS9_EEEENSD_INSE_IiEEEEZNS1_13binary_searchIS3_SA_SG_SG_SI_NS1_21lower_bound_search_opENSC_16wrapped_functionINS0_4lessIvEEbEEEE10hipError_tPvRmT1_T2_T3_mmT4_T5_P12ihipStream_tbEUlRKS9_E_EESP_ST_SU_mSV_SY_bEUlT_E_NS1_11comp_targetILNS1_3genE10ELNS1_11target_archE1200ELNS1_3gpuE4ELNS1_3repE0EEENS1_30default_config_static_selectorELNS0_4arch9wavefront6targetE0EEEvSS_.num_agpr, 0
	.set _ZN7rocprim17ROCPRIM_400000_NS6detail17trampoline_kernelINS0_14default_configENS1_27lower_bound_config_selectorIN6thrust23THRUST_200600_302600_NS5tupleIiiNS6_9null_typeES8_S8_S8_S8_S8_S8_S8_EEiEEZNS1_14transform_implILb0ES3_SA_NS6_6detail15normal_iteratorINS6_10device_ptrIS9_EEEENSD_INSE_IiEEEEZNS1_13binary_searchIS3_SA_SG_SG_SI_NS1_21lower_bound_search_opENSC_16wrapped_functionINS0_4lessIvEEbEEEE10hipError_tPvRmT1_T2_T3_mmT4_T5_P12ihipStream_tbEUlRKS9_E_EESP_ST_SU_mSV_SY_bEUlT_E_NS1_11comp_targetILNS1_3genE10ELNS1_11target_archE1200ELNS1_3gpuE4ELNS1_3repE0EEENS1_30default_config_static_selectorELNS0_4arch9wavefront6targetE0EEEvSS_.numbered_sgpr, 0
	.set _ZN7rocprim17ROCPRIM_400000_NS6detail17trampoline_kernelINS0_14default_configENS1_27lower_bound_config_selectorIN6thrust23THRUST_200600_302600_NS5tupleIiiNS6_9null_typeES8_S8_S8_S8_S8_S8_S8_EEiEEZNS1_14transform_implILb0ES3_SA_NS6_6detail15normal_iteratorINS6_10device_ptrIS9_EEEENSD_INSE_IiEEEEZNS1_13binary_searchIS3_SA_SG_SG_SI_NS1_21lower_bound_search_opENSC_16wrapped_functionINS0_4lessIvEEbEEEE10hipError_tPvRmT1_T2_T3_mmT4_T5_P12ihipStream_tbEUlRKS9_E_EESP_ST_SU_mSV_SY_bEUlT_E_NS1_11comp_targetILNS1_3genE10ELNS1_11target_archE1200ELNS1_3gpuE4ELNS1_3repE0EEENS1_30default_config_static_selectorELNS0_4arch9wavefront6targetE0EEEvSS_.num_named_barrier, 0
	.set _ZN7rocprim17ROCPRIM_400000_NS6detail17trampoline_kernelINS0_14default_configENS1_27lower_bound_config_selectorIN6thrust23THRUST_200600_302600_NS5tupleIiiNS6_9null_typeES8_S8_S8_S8_S8_S8_S8_EEiEEZNS1_14transform_implILb0ES3_SA_NS6_6detail15normal_iteratorINS6_10device_ptrIS9_EEEENSD_INSE_IiEEEEZNS1_13binary_searchIS3_SA_SG_SG_SI_NS1_21lower_bound_search_opENSC_16wrapped_functionINS0_4lessIvEEbEEEE10hipError_tPvRmT1_T2_T3_mmT4_T5_P12ihipStream_tbEUlRKS9_E_EESP_ST_SU_mSV_SY_bEUlT_E_NS1_11comp_targetILNS1_3genE10ELNS1_11target_archE1200ELNS1_3gpuE4ELNS1_3repE0EEENS1_30default_config_static_selectorELNS0_4arch9wavefront6targetE0EEEvSS_.private_seg_size, 0
	.set _ZN7rocprim17ROCPRIM_400000_NS6detail17trampoline_kernelINS0_14default_configENS1_27lower_bound_config_selectorIN6thrust23THRUST_200600_302600_NS5tupleIiiNS6_9null_typeES8_S8_S8_S8_S8_S8_S8_EEiEEZNS1_14transform_implILb0ES3_SA_NS6_6detail15normal_iteratorINS6_10device_ptrIS9_EEEENSD_INSE_IiEEEEZNS1_13binary_searchIS3_SA_SG_SG_SI_NS1_21lower_bound_search_opENSC_16wrapped_functionINS0_4lessIvEEbEEEE10hipError_tPvRmT1_T2_T3_mmT4_T5_P12ihipStream_tbEUlRKS9_E_EESP_ST_SU_mSV_SY_bEUlT_E_NS1_11comp_targetILNS1_3genE10ELNS1_11target_archE1200ELNS1_3gpuE4ELNS1_3repE0EEENS1_30default_config_static_selectorELNS0_4arch9wavefront6targetE0EEEvSS_.uses_vcc, 0
	.set _ZN7rocprim17ROCPRIM_400000_NS6detail17trampoline_kernelINS0_14default_configENS1_27lower_bound_config_selectorIN6thrust23THRUST_200600_302600_NS5tupleIiiNS6_9null_typeES8_S8_S8_S8_S8_S8_S8_EEiEEZNS1_14transform_implILb0ES3_SA_NS6_6detail15normal_iteratorINS6_10device_ptrIS9_EEEENSD_INSE_IiEEEEZNS1_13binary_searchIS3_SA_SG_SG_SI_NS1_21lower_bound_search_opENSC_16wrapped_functionINS0_4lessIvEEbEEEE10hipError_tPvRmT1_T2_T3_mmT4_T5_P12ihipStream_tbEUlRKS9_E_EESP_ST_SU_mSV_SY_bEUlT_E_NS1_11comp_targetILNS1_3genE10ELNS1_11target_archE1200ELNS1_3gpuE4ELNS1_3repE0EEENS1_30default_config_static_selectorELNS0_4arch9wavefront6targetE0EEEvSS_.uses_flat_scratch, 0
	.set _ZN7rocprim17ROCPRIM_400000_NS6detail17trampoline_kernelINS0_14default_configENS1_27lower_bound_config_selectorIN6thrust23THRUST_200600_302600_NS5tupleIiiNS6_9null_typeES8_S8_S8_S8_S8_S8_S8_EEiEEZNS1_14transform_implILb0ES3_SA_NS6_6detail15normal_iteratorINS6_10device_ptrIS9_EEEENSD_INSE_IiEEEEZNS1_13binary_searchIS3_SA_SG_SG_SI_NS1_21lower_bound_search_opENSC_16wrapped_functionINS0_4lessIvEEbEEEE10hipError_tPvRmT1_T2_T3_mmT4_T5_P12ihipStream_tbEUlRKS9_E_EESP_ST_SU_mSV_SY_bEUlT_E_NS1_11comp_targetILNS1_3genE10ELNS1_11target_archE1200ELNS1_3gpuE4ELNS1_3repE0EEENS1_30default_config_static_selectorELNS0_4arch9wavefront6targetE0EEEvSS_.has_dyn_sized_stack, 0
	.set _ZN7rocprim17ROCPRIM_400000_NS6detail17trampoline_kernelINS0_14default_configENS1_27lower_bound_config_selectorIN6thrust23THRUST_200600_302600_NS5tupleIiiNS6_9null_typeES8_S8_S8_S8_S8_S8_S8_EEiEEZNS1_14transform_implILb0ES3_SA_NS6_6detail15normal_iteratorINS6_10device_ptrIS9_EEEENSD_INSE_IiEEEEZNS1_13binary_searchIS3_SA_SG_SG_SI_NS1_21lower_bound_search_opENSC_16wrapped_functionINS0_4lessIvEEbEEEE10hipError_tPvRmT1_T2_T3_mmT4_T5_P12ihipStream_tbEUlRKS9_E_EESP_ST_SU_mSV_SY_bEUlT_E_NS1_11comp_targetILNS1_3genE10ELNS1_11target_archE1200ELNS1_3gpuE4ELNS1_3repE0EEENS1_30default_config_static_selectorELNS0_4arch9wavefront6targetE0EEEvSS_.has_recursion, 0
	.set _ZN7rocprim17ROCPRIM_400000_NS6detail17trampoline_kernelINS0_14default_configENS1_27lower_bound_config_selectorIN6thrust23THRUST_200600_302600_NS5tupleIiiNS6_9null_typeES8_S8_S8_S8_S8_S8_S8_EEiEEZNS1_14transform_implILb0ES3_SA_NS6_6detail15normal_iteratorINS6_10device_ptrIS9_EEEENSD_INSE_IiEEEEZNS1_13binary_searchIS3_SA_SG_SG_SI_NS1_21lower_bound_search_opENSC_16wrapped_functionINS0_4lessIvEEbEEEE10hipError_tPvRmT1_T2_T3_mmT4_T5_P12ihipStream_tbEUlRKS9_E_EESP_ST_SU_mSV_SY_bEUlT_E_NS1_11comp_targetILNS1_3genE10ELNS1_11target_archE1200ELNS1_3gpuE4ELNS1_3repE0EEENS1_30default_config_static_selectorELNS0_4arch9wavefront6targetE0EEEvSS_.has_indirect_call, 0
	.section	.AMDGPU.csdata,"",@progbits
; Kernel info:
; codeLenInByte = 0
; TotalNumSgprs: 0
; NumVgprs: 0
; ScratchSize: 0
; MemoryBound: 0
; FloatMode: 240
; IeeeMode: 1
; LDSByteSize: 0 bytes/workgroup (compile time only)
; SGPRBlocks: 0
; VGPRBlocks: 0
; NumSGPRsForWavesPerEU: 1
; NumVGPRsForWavesPerEU: 1
; Occupancy: 16
; WaveLimiterHint : 0
; COMPUTE_PGM_RSRC2:SCRATCH_EN: 0
; COMPUTE_PGM_RSRC2:USER_SGPR: 6
; COMPUTE_PGM_RSRC2:TRAP_HANDLER: 0
; COMPUTE_PGM_RSRC2:TGID_X_EN: 1
; COMPUTE_PGM_RSRC2:TGID_Y_EN: 0
; COMPUTE_PGM_RSRC2:TGID_Z_EN: 0
; COMPUTE_PGM_RSRC2:TIDIG_COMP_CNT: 0
	.section	.text._ZN7rocprim17ROCPRIM_400000_NS6detail17trampoline_kernelINS0_14default_configENS1_27lower_bound_config_selectorIN6thrust23THRUST_200600_302600_NS5tupleIiiNS6_9null_typeES8_S8_S8_S8_S8_S8_S8_EEiEEZNS1_14transform_implILb0ES3_SA_NS6_6detail15normal_iteratorINS6_10device_ptrIS9_EEEENSD_INSE_IiEEEEZNS1_13binary_searchIS3_SA_SG_SG_SI_NS1_21lower_bound_search_opENSC_16wrapped_functionINS0_4lessIvEEbEEEE10hipError_tPvRmT1_T2_T3_mmT4_T5_P12ihipStream_tbEUlRKS9_E_EESP_ST_SU_mSV_SY_bEUlT_E_NS1_11comp_targetILNS1_3genE9ELNS1_11target_archE1100ELNS1_3gpuE3ELNS1_3repE0EEENS1_30default_config_static_selectorELNS0_4arch9wavefront6targetE0EEEvSS_,"axG",@progbits,_ZN7rocprim17ROCPRIM_400000_NS6detail17trampoline_kernelINS0_14default_configENS1_27lower_bound_config_selectorIN6thrust23THRUST_200600_302600_NS5tupleIiiNS6_9null_typeES8_S8_S8_S8_S8_S8_S8_EEiEEZNS1_14transform_implILb0ES3_SA_NS6_6detail15normal_iteratorINS6_10device_ptrIS9_EEEENSD_INSE_IiEEEEZNS1_13binary_searchIS3_SA_SG_SG_SI_NS1_21lower_bound_search_opENSC_16wrapped_functionINS0_4lessIvEEbEEEE10hipError_tPvRmT1_T2_T3_mmT4_T5_P12ihipStream_tbEUlRKS9_E_EESP_ST_SU_mSV_SY_bEUlT_E_NS1_11comp_targetILNS1_3genE9ELNS1_11target_archE1100ELNS1_3gpuE3ELNS1_3repE0EEENS1_30default_config_static_selectorELNS0_4arch9wavefront6targetE0EEEvSS_,comdat
	.protected	_ZN7rocprim17ROCPRIM_400000_NS6detail17trampoline_kernelINS0_14default_configENS1_27lower_bound_config_selectorIN6thrust23THRUST_200600_302600_NS5tupleIiiNS6_9null_typeES8_S8_S8_S8_S8_S8_S8_EEiEEZNS1_14transform_implILb0ES3_SA_NS6_6detail15normal_iteratorINS6_10device_ptrIS9_EEEENSD_INSE_IiEEEEZNS1_13binary_searchIS3_SA_SG_SG_SI_NS1_21lower_bound_search_opENSC_16wrapped_functionINS0_4lessIvEEbEEEE10hipError_tPvRmT1_T2_T3_mmT4_T5_P12ihipStream_tbEUlRKS9_E_EESP_ST_SU_mSV_SY_bEUlT_E_NS1_11comp_targetILNS1_3genE9ELNS1_11target_archE1100ELNS1_3gpuE3ELNS1_3repE0EEENS1_30default_config_static_selectorELNS0_4arch9wavefront6targetE0EEEvSS_ ; -- Begin function _ZN7rocprim17ROCPRIM_400000_NS6detail17trampoline_kernelINS0_14default_configENS1_27lower_bound_config_selectorIN6thrust23THRUST_200600_302600_NS5tupleIiiNS6_9null_typeES8_S8_S8_S8_S8_S8_S8_EEiEEZNS1_14transform_implILb0ES3_SA_NS6_6detail15normal_iteratorINS6_10device_ptrIS9_EEEENSD_INSE_IiEEEEZNS1_13binary_searchIS3_SA_SG_SG_SI_NS1_21lower_bound_search_opENSC_16wrapped_functionINS0_4lessIvEEbEEEE10hipError_tPvRmT1_T2_T3_mmT4_T5_P12ihipStream_tbEUlRKS9_E_EESP_ST_SU_mSV_SY_bEUlT_E_NS1_11comp_targetILNS1_3genE9ELNS1_11target_archE1100ELNS1_3gpuE3ELNS1_3repE0EEENS1_30default_config_static_selectorELNS0_4arch9wavefront6targetE0EEEvSS_
	.globl	_ZN7rocprim17ROCPRIM_400000_NS6detail17trampoline_kernelINS0_14default_configENS1_27lower_bound_config_selectorIN6thrust23THRUST_200600_302600_NS5tupleIiiNS6_9null_typeES8_S8_S8_S8_S8_S8_S8_EEiEEZNS1_14transform_implILb0ES3_SA_NS6_6detail15normal_iteratorINS6_10device_ptrIS9_EEEENSD_INSE_IiEEEEZNS1_13binary_searchIS3_SA_SG_SG_SI_NS1_21lower_bound_search_opENSC_16wrapped_functionINS0_4lessIvEEbEEEE10hipError_tPvRmT1_T2_T3_mmT4_T5_P12ihipStream_tbEUlRKS9_E_EESP_ST_SU_mSV_SY_bEUlT_E_NS1_11comp_targetILNS1_3genE9ELNS1_11target_archE1100ELNS1_3gpuE3ELNS1_3repE0EEENS1_30default_config_static_selectorELNS0_4arch9wavefront6targetE0EEEvSS_
	.p2align	8
	.type	_ZN7rocprim17ROCPRIM_400000_NS6detail17trampoline_kernelINS0_14default_configENS1_27lower_bound_config_selectorIN6thrust23THRUST_200600_302600_NS5tupleIiiNS6_9null_typeES8_S8_S8_S8_S8_S8_S8_EEiEEZNS1_14transform_implILb0ES3_SA_NS6_6detail15normal_iteratorINS6_10device_ptrIS9_EEEENSD_INSE_IiEEEEZNS1_13binary_searchIS3_SA_SG_SG_SI_NS1_21lower_bound_search_opENSC_16wrapped_functionINS0_4lessIvEEbEEEE10hipError_tPvRmT1_T2_T3_mmT4_T5_P12ihipStream_tbEUlRKS9_E_EESP_ST_SU_mSV_SY_bEUlT_E_NS1_11comp_targetILNS1_3genE9ELNS1_11target_archE1100ELNS1_3gpuE3ELNS1_3repE0EEENS1_30default_config_static_selectorELNS0_4arch9wavefront6targetE0EEEvSS_,@function
_ZN7rocprim17ROCPRIM_400000_NS6detail17trampoline_kernelINS0_14default_configENS1_27lower_bound_config_selectorIN6thrust23THRUST_200600_302600_NS5tupleIiiNS6_9null_typeES8_S8_S8_S8_S8_S8_S8_EEiEEZNS1_14transform_implILb0ES3_SA_NS6_6detail15normal_iteratorINS6_10device_ptrIS9_EEEENSD_INSE_IiEEEEZNS1_13binary_searchIS3_SA_SG_SG_SI_NS1_21lower_bound_search_opENSC_16wrapped_functionINS0_4lessIvEEbEEEE10hipError_tPvRmT1_T2_T3_mmT4_T5_P12ihipStream_tbEUlRKS9_E_EESP_ST_SU_mSV_SY_bEUlT_E_NS1_11comp_targetILNS1_3genE9ELNS1_11target_archE1100ELNS1_3gpuE3ELNS1_3repE0EEENS1_30default_config_static_selectorELNS0_4arch9wavefront6targetE0EEEvSS_: ; @_ZN7rocprim17ROCPRIM_400000_NS6detail17trampoline_kernelINS0_14default_configENS1_27lower_bound_config_selectorIN6thrust23THRUST_200600_302600_NS5tupleIiiNS6_9null_typeES8_S8_S8_S8_S8_S8_S8_EEiEEZNS1_14transform_implILb0ES3_SA_NS6_6detail15normal_iteratorINS6_10device_ptrIS9_EEEENSD_INSE_IiEEEEZNS1_13binary_searchIS3_SA_SG_SG_SI_NS1_21lower_bound_search_opENSC_16wrapped_functionINS0_4lessIvEEbEEEE10hipError_tPvRmT1_T2_T3_mmT4_T5_P12ihipStream_tbEUlRKS9_E_EESP_ST_SU_mSV_SY_bEUlT_E_NS1_11comp_targetILNS1_3genE9ELNS1_11target_archE1100ELNS1_3gpuE3ELNS1_3repE0EEENS1_30default_config_static_selectorELNS0_4arch9wavefront6targetE0EEEvSS_
; %bb.0:
	.section	.rodata,"a",@progbits
	.p2align	6, 0x0
	.amdhsa_kernel _ZN7rocprim17ROCPRIM_400000_NS6detail17trampoline_kernelINS0_14default_configENS1_27lower_bound_config_selectorIN6thrust23THRUST_200600_302600_NS5tupleIiiNS6_9null_typeES8_S8_S8_S8_S8_S8_S8_EEiEEZNS1_14transform_implILb0ES3_SA_NS6_6detail15normal_iteratorINS6_10device_ptrIS9_EEEENSD_INSE_IiEEEEZNS1_13binary_searchIS3_SA_SG_SG_SI_NS1_21lower_bound_search_opENSC_16wrapped_functionINS0_4lessIvEEbEEEE10hipError_tPvRmT1_T2_T3_mmT4_T5_P12ihipStream_tbEUlRKS9_E_EESP_ST_SU_mSV_SY_bEUlT_E_NS1_11comp_targetILNS1_3genE9ELNS1_11target_archE1100ELNS1_3gpuE3ELNS1_3repE0EEENS1_30default_config_static_selectorELNS0_4arch9wavefront6targetE0EEEvSS_
		.amdhsa_group_segment_fixed_size 0
		.amdhsa_private_segment_fixed_size 0
		.amdhsa_kernarg_size 56
		.amdhsa_user_sgpr_count 6
		.amdhsa_user_sgpr_private_segment_buffer 1
		.amdhsa_user_sgpr_dispatch_ptr 0
		.amdhsa_user_sgpr_queue_ptr 0
		.amdhsa_user_sgpr_kernarg_segment_ptr 1
		.amdhsa_user_sgpr_dispatch_id 0
		.amdhsa_user_sgpr_flat_scratch_init 0
		.amdhsa_user_sgpr_private_segment_size 0
		.amdhsa_wavefront_size32 1
		.amdhsa_uses_dynamic_stack 0
		.amdhsa_system_sgpr_private_segment_wavefront_offset 0
		.amdhsa_system_sgpr_workgroup_id_x 1
		.amdhsa_system_sgpr_workgroup_id_y 0
		.amdhsa_system_sgpr_workgroup_id_z 0
		.amdhsa_system_sgpr_workgroup_info 0
		.amdhsa_system_vgpr_workitem_id 0
		.amdhsa_next_free_vgpr 1
		.amdhsa_next_free_sgpr 1
		.amdhsa_reserve_vcc 0
		.amdhsa_reserve_flat_scratch 0
		.amdhsa_float_round_mode_32 0
		.amdhsa_float_round_mode_16_64 0
		.amdhsa_float_denorm_mode_32 3
		.amdhsa_float_denorm_mode_16_64 3
		.amdhsa_dx10_clamp 1
		.amdhsa_ieee_mode 1
		.amdhsa_fp16_overflow 0
		.amdhsa_workgroup_processor_mode 1
		.amdhsa_memory_ordered 1
		.amdhsa_forward_progress 1
		.amdhsa_shared_vgpr_count 0
		.amdhsa_exception_fp_ieee_invalid_op 0
		.amdhsa_exception_fp_denorm_src 0
		.amdhsa_exception_fp_ieee_div_zero 0
		.amdhsa_exception_fp_ieee_overflow 0
		.amdhsa_exception_fp_ieee_underflow 0
		.amdhsa_exception_fp_ieee_inexact 0
		.amdhsa_exception_int_div_zero 0
	.end_amdhsa_kernel
	.section	.text._ZN7rocprim17ROCPRIM_400000_NS6detail17trampoline_kernelINS0_14default_configENS1_27lower_bound_config_selectorIN6thrust23THRUST_200600_302600_NS5tupleIiiNS6_9null_typeES8_S8_S8_S8_S8_S8_S8_EEiEEZNS1_14transform_implILb0ES3_SA_NS6_6detail15normal_iteratorINS6_10device_ptrIS9_EEEENSD_INSE_IiEEEEZNS1_13binary_searchIS3_SA_SG_SG_SI_NS1_21lower_bound_search_opENSC_16wrapped_functionINS0_4lessIvEEbEEEE10hipError_tPvRmT1_T2_T3_mmT4_T5_P12ihipStream_tbEUlRKS9_E_EESP_ST_SU_mSV_SY_bEUlT_E_NS1_11comp_targetILNS1_3genE9ELNS1_11target_archE1100ELNS1_3gpuE3ELNS1_3repE0EEENS1_30default_config_static_selectorELNS0_4arch9wavefront6targetE0EEEvSS_,"axG",@progbits,_ZN7rocprim17ROCPRIM_400000_NS6detail17trampoline_kernelINS0_14default_configENS1_27lower_bound_config_selectorIN6thrust23THRUST_200600_302600_NS5tupleIiiNS6_9null_typeES8_S8_S8_S8_S8_S8_S8_EEiEEZNS1_14transform_implILb0ES3_SA_NS6_6detail15normal_iteratorINS6_10device_ptrIS9_EEEENSD_INSE_IiEEEEZNS1_13binary_searchIS3_SA_SG_SG_SI_NS1_21lower_bound_search_opENSC_16wrapped_functionINS0_4lessIvEEbEEEE10hipError_tPvRmT1_T2_T3_mmT4_T5_P12ihipStream_tbEUlRKS9_E_EESP_ST_SU_mSV_SY_bEUlT_E_NS1_11comp_targetILNS1_3genE9ELNS1_11target_archE1100ELNS1_3gpuE3ELNS1_3repE0EEENS1_30default_config_static_selectorELNS0_4arch9wavefront6targetE0EEEvSS_,comdat
.Lfunc_end496:
	.size	_ZN7rocprim17ROCPRIM_400000_NS6detail17trampoline_kernelINS0_14default_configENS1_27lower_bound_config_selectorIN6thrust23THRUST_200600_302600_NS5tupleIiiNS6_9null_typeES8_S8_S8_S8_S8_S8_S8_EEiEEZNS1_14transform_implILb0ES3_SA_NS6_6detail15normal_iteratorINS6_10device_ptrIS9_EEEENSD_INSE_IiEEEEZNS1_13binary_searchIS3_SA_SG_SG_SI_NS1_21lower_bound_search_opENSC_16wrapped_functionINS0_4lessIvEEbEEEE10hipError_tPvRmT1_T2_T3_mmT4_T5_P12ihipStream_tbEUlRKS9_E_EESP_ST_SU_mSV_SY_bEUlT_E_NS1_11comp_targetILNS1_3genE9ELNS1_11target_archE1100ELNS1_3gpuE3ELNS1_3repE0EEENS1_30default_config_static_selectorELNS0_4arch9wavefront6targetE0EEEvSS_, .Lfunc_end496-_ZN7rocprim17ROCPRIM_400000_NS6detail17trampoline_kernelINS0_14default_configENS1_27lower_bound_config_selectorIN6thrust23THRUST_200600_302600_NS5tupleIiiNS6_9null_typeES8_S8_S8_S8_S8_S8_S8_EEiEEZNS1_14transform_implILb0ES3_SA_NS6_6detail15normal_iteratorINS6_10device_ptrIS9_EEEENSD_INSE_IiEEEEZNS1_13binary_searchIS3_SA_SG_SG_SI_NS1_21lower_bound_search_opENSC_16wrapped_functionINS0_4lessIvEEbEEEE10hipError_tPvRmT1_T2_T3_mmT4_T5_P12ihipStream_tbEUlRKS9_E_EESP_ST_SU_mSV_SY_bEUlT_E_NS1_11comp_targetILNS1_3genE9ELNS1_11target_archE1100ELNS1_3gpuE3ELNS1_3repE0EEENS1_30default_config_static_selectorELNS0_4arch9wavefront6targetE0EEEvSS_
                                        ; -- End function
	.set _ZN7rocprim17ROCPRIM_400000_NS6detail17trampoline_kernelINS0_14default_configENS1_27lower_bound_config_selectorIN6thrust23THRUST_200600_302600_NS5tupleIiiNS6_9null_typeES8_S8_S8_S8_S8_S8_S8_EEiEEZNS1_14transform_implILb0ES3_SA_NS6_6detail15normal_iteratorINS6_10device_ptrIS9_EEEENSD_INSE_IiEEEEZNS1_13binary_searchIS3_SA_SG_SG_SI_NS1_21lower_bound_search_opENSC_16wrapped_functionINS0_4lessIvEEbEEEE10hipError_tPvRmT1_T2_T3_mmT4_T5_P12ihipStream_tbEUlRKS9_E_EESP_ST_SU_mSV_SY_bEUlT_E_NS1_11comp_targetILNS1_3genE9ELNS1_11target_archE1100ELNS1_3gpuE3ELNS1_3repE0EEENS1_30default_config_static_selectorELNS0_4arch9wavefront6targetE0EEEvSS_.num_vgpr, 0
	.set _ZN7rocprim17ROCPRIM_400000_NS6detail17trampoline_kernelINS0_14default_configENS1_27lower_bound_config_selectorIN6thrust23THRUST_200600_302600_NS5tupleIiiNS6_9null_typeES8_S8_S8_S8_S8_S8_S8_EEiEEZNS1_14transform_implILb0ES3_SA_NS6_6detail15normal_iteratorINS6_10device_ptrIS9_EEEENSD_INSE_IiEEEEZNS1_13binary_searchIS3_SA_SG_SG_SI_NS1_21lower_bound_search_opENSC_16wrapped_functionINS0_4lessIvEEbEEEE10hipError_tPvRmT1_T2_T3_mmT4_T5_P12ihipStream_tbEUlRKS9_E_EESP_ST_SU_mSV_SY_bEUlT_E_NS1_11comp_targetILNS1_3genE9ELNS1_11target_archE1100ELNS1_3gpuE3ELNS1_3repE0EEENS1_30default_config_static_selectorELNS0_4arch9wavefront6targetE0EEEvSS_.num_agpr, 0
	.set _ZN7rocprim17ROCPRIM_400000_NS6detail17trampoline_kernelINS0_14default_configENS1_27lower_bound_config_selectorIN6thrust23THRUST_200600_302600_NS5tupleIiiNS6_9null_typeES8_S8_S8_S8_S8_S8_S8_EEiEEZNS1_14transform_implILb0ES3_SA_NS6_6detail15normal_iteratorINS6_10device_ptrIS9_EEEENSD_INSE_IiEEEEZNS1_13binary_searchIS3_SA_SG_SG_SI_NS1_21lower_bound_search_opENSC_16wrapped_functionINS0_4lessIvEEbEEEE10hipError_tPvRmT1_T2_T3_mmT4_T5_P12ihipStream_tbEUlRKS9_E_EESP_ST_SU_mSV_SY_bEUlT_E_NS1_11comp_targetILNS1_3genE9ELNS1_11target_archE1100ELNS1_3gpuE3ELNS1_3repE0EEENS1_30default_config_static_selectorELNS0_4arch9wavefront6targetE0EEEvSS_.numbered_sgpr, 0
	.set _ZN7rocprim17ROCPRIM_400000_NS6detail17trampoline_kernelINS0_14default_configENS1_27lower_bound_config_selectorIN6thrust23THRUST_200600_302600_NS5tupleIiiNS6_9null_typeES8_S8_S8_S8_S8_S8_S8_EEiEEZNS1_14transform_implILb0ES3_SA_NS6_6detail15normal_iteratorINS6_10device_ptrIS9_EEEENSD_INSE_IiEEEEZNS1_13binary_searchIS3_SA_SG_SG_SI_NS1_21lower_bound_search_opENSC_16wrapped_functionINS0_4lessIvEEbEEEE10hipError_tPvRmT1_T2_T3_mmT4_T5_P12ihipStream_tbEUlRKS9_E_EESP_ST_SU_mSV_SY_bEUlT_E_NS1_11comp_targetILNS1_3genE9ELNS1_11target_archE1100ELNS1_3gpuE3ELNS1_3repE0EEENS1_30default_config_static_selectorELNS0_4arch9wavefront6targetE0EEEvSS_.num_named_barrier, 0
	.set _ZN7rocprim17ROCPRIM_400000_NS6detail17trampoline_kernelINS0_14default_configENS1_27lower_bound_config_selectorIN6thrust23THRUST_200600_302600_NS5tupleIiiNS6_9null_typeES8_S8_S8_S8_S8_S8_S8_EEiEEZNS1_14transform_implILb0ES3_SA_NS6_6detail15normal_iteratorINS6_10device_ptrIS9_EEEENSD_INSE_IiEEEEZNS1_13binary_searchIS3_SA_SG_SG_SI_NS1_21lower_bound_search_opENSC_16wrapped_functionINS0_4lessIvEEbEEEE10hipError_tPvRmT1_T2_T3_mmT4_T5_P12ihipStream_tbEUlRKS9_E_EESP_ST_SU_mSV_SY_bEUlT_E_NS1_11comp_targetILNS1_3genE9ELNS1_11target_archE1100ELNS1_3gpuE3ELNS1_3repE0EEENS1_30default_config_static_selectorELNS0_4arch9wavefront6targetE0EEEvSS_.private_seg_size, 0
	.set _ZN7rocprim17ROCPRIM_400000_NS6detail17trampoline_kernelINS0_14default_configENS1_27lower_bound_config_selectorIN6thrust23THRUST_200600_302600_NS5tupleIiiNS6_9null_typeES8_S8_S8_S8_S8_S8_S8_EEiEEZNS1_14transform_implILb0ES3_SA_NS6_6detail15normal_iteratorINS6_10device_ptrIS9_EEEENSD_INSE_IiEEEEZNS1_13binary_searchIS3_SA_SG_SG_SI_NS1_21lower_bound_search_opENSC_16wrapped_functionINS0_4lessIvEEbEEEE10hipError_tPvRmT1_T2_T3_mmT4_T5_P12ihipStream_tbEUlRKS9_E_EESP_ST_SU_mSV_SY_bEUlT_E_NS1_11comp_targetILNS1_3genE9ELNS1_11target_archE1100ELNS1_3gpuE3ELNS1_3repE0EEENS1_30default_config_static_selectorELNS0_4arch9wavefront6targetE0EEEvSS_.uses_vcc, 0
	.set _ZN7rocprim17ROCPRIM_400000_NS6detail17trampoline_kernelINS0_14default_configENS1_27lower_bound_config_selectorIN6thrust23THRUST_200600_302600_NS5tupleIiiNS6_9null_typeES8_S8_S8_S8_S8_S8_S8_EEiEEZNS1_14transform_implILb0ES3_SA_NS6_6detail15normal_iteratorINS6_10device_ptrIS9_EEEENSD_INSE_IiEEEEZNS1_13binary_searchIS3_SA_SG_SG_SI_NS1_21lower_bound_search_opENSC_16wrapped_functionINS0_4lessIvEEbEEEE10hipError_tPvRmT1_T2_T3_mmT4_T5_P12ihipStream_tbEUlRKS9_E_EESP_ST_SU_mSV_SY_bEUlT_E_NS1_11comp_targetILNS1_3genE9ELNS1_11target_archE1100ELNS1_3gpuE3ELNS1_3repE0EEENS1_30default_config_static_selectorELNS0_4arch9wavefront6targetE0EEEvSS_.uses_flat_scratch, 0
	.set _ZN7rocprim17ROCPRIM_400000_NS6detail17trampoline_kernelINS0_14default_configENS1_27lower_bound_config_selectorIN6thrust23THRUST_200600_302600_NS5tupleIiiNS6_9null_typeES8_S8_S8_S8_S8_S8_S8_EEiEEZNS1_14transform_implILb0ES3_SA_NS6_6detail15normal_iteratorINS6_10device_ptrIS9_EEEENSD_INSE_IiEEEEZNS1_13binary_searchIS3_SA_SG_SG_SI_NS1_21lower_bound_search_opENSC_16wrapped_functionINS0_4lessIvEEbEEEE10hipError_tPvRmT1_T2_T3_mmT4_T5_P12ihipStream_tbEUlRKS9_E_EESP_ST_SU_mSV_SY_bEUlT_E_NS1_11comp_targetILNS1_3genE9ELNS1_11target_archE1100ELNS1_3gpuE3ELNS1_3repE0EEENS1_30default_config_static_selectorELNS0_4arch9wavefront6targetE0EEEvSS_.has_dyn_sized_stack, 0
	.set _ZN7rocprim17ROCPRIM_400000_NS6detail17trampoline_kernelINS0_14default_configENS1_27lower_bound_config_selectorIN6thrust23THRUST_200600_302600_NS5tupleIiiNS6_9null_typeES8_S8_S8_S8_S8_S8_S8_EEiEEZNS1_14transform_implILb0ES3_SA_NS6_6detail15normal_iteratorINS6_10device_ptrIS9_EEEENSD_INSE_IiEEEEZNS1_13binary_searchIS3_SA_SG_SG_SI_NS1_21lower_bound_search_opENSC_16wrapped_functionINS0_4lessIvEEbEEEE10hipError_tPvRmT1_T2_T3_mmT4_T5_P12ihipStream_tbEUlRKS9_E_EESP_ST_SU_mSV_SY_bEUlT_E_NS1_11comp_targetILNS1_3genE9ELNS1_11target_archE1100ELNS1_3gpuE3ELNS1_3repE0EEENS1_30default_config_static_selectorELNS0_4arch9wavefront6targetE0EEEvSS_.has_recursion, 0
	.set _ZN7rocprim17ROCPRIM_400000_NS6detail17trampoline_kernelINS0_14default_configENS1_27lower_bound_config_selectorIN6thrust23THRUST_200600_302600_NS5tupleIiiNS6_9null_typeES8_S8_S8_S8_S8_S8_S8_EEiEEZNS1_14transform_implILb0ES3_SA_NS6_6detail15normal_iteratorINS6_10device_ptrIS9_EEEENSD_INSE_IiEEEEZNS1_13binary_searchIS3_SA_SG_SG_SI_NS1_21lower_bound_search_opENSC_16wrapped_functionINS0_4lessIvEEbEEEE10hipError_tPvRmT1_T2_T3_mmT4_T5_P12ihipStream_tbEUlRKS9_E_EESP_ST_SU_mSV_SY_bEUlT_E_NS1_11comp_targetILNS1_3genE9ELNS1_11target_archE1100ELNS1_3gpuE3ELNS1_3repE0EEENS1_30default_config_static_selectorELNS0_4arch9wavefront6targetE0EEEvSS_.has_indirect_call, 0
	.section	.AMDGPU.csdata,"",@progbits
; Kernel info:
; codeLenInByte = 0
; TotalNumSgprs: 0
; NumVgprs: 0
; ScratchSize: 0
; MemoryBound: 0
; FloatMode: 240
; IeeeMode: 1
; LDSByteSize: 0 bytes/workgroup (compile time only)
; SGPRBlocks: 0
; VGPRBlocks: 0
; NumSGPRsForWavesPerEU: 1
; NumVGPRsForWavesPerEU: 1
; Occupancy: 16
; WaveLimiterHint : 0
; COMPUTE_PGM_RSRC2:SCRATCH_EN: 0
; COMPUTE_PGM_RSRC2:USER_SGPR: 6
; COMPUTE_PGM_RSRC2:TRAP_HANDLER: 0
; COMPUTE_PGM_RSRC2:TGID_X_EN: 1
; COMPUTE_PGM_RSRC2:TGID_Y_EN: 0
; COMPUTE_PGM_RSRC2:TGID_Z_EN: 0
; COMPUTE_PGM_RSRC2:TIDIG_COMP_CNT: 0
	.section	.text._ZN7rocprim17ROCPRIM_400000_NS6detail17trampoline_kernelINS0_14default_configENS1_27lower_bound_config_selectorIN6thrust23THRUST_200600_302600_NS5tupleIiiNS6_9null_typeES8_S8_S8_S8_S8_S8_S8_EEiEEZNS1_14transform_implILb0ES3_SA_NS6_6detail15normal_iteratorINS6_10device_ptrIS9_EEEENSD_INSE_IiEEEEZNS1_13binary_searchIS3_SA_SG_SG_SI_NS1_21lower_bound_search_opENSC_16wrapped_functionINS0_4lessIvEEbEEEE10hipError_tPvRmT1_T2_T3_mmT4_T5_P12ihipStream_tbEUlRKS9_E_EESP_ST_SU_mSV_SY_bEUlT_E_NS1_11comp_targetILNS1_3genE8ELNS1_11target_archE1030ELNS1_3gpuE2ELNS1_3repE0EEENS1_30default_config_static_selectorELNS0_4arch9wavefront6targetE0EEEvSS_,"axG",@progbits,_ZN7rocprim17ROCPRIM_400000_NS6detail17trampoline_kernelINS0_14default_configENS1_27lower_bound_config_selectorIN6thrust23THRUST_200600_302600_NS5tupleIiiNS6_9null_typeES8_S8_S8_S8_S8_S8_S8_EEiEEZNS1_14transform_implILb0ES3_SA_NS6_6detail15normal_iteratorINS6_10device_ptrIS9_EEEENSD_INSE_IiEEEEZNS1_13binary_searchIS3_SA_SG_SG_SI_NS1_21lower_bound_search_opENSC_16wrapped_functionINS0_4lessIvEEbEEEE10hipError_tPvRmT1_T2_T3_mmT4_T5_P12ihipStream_tbEUlRKS9_E_EESP_ST_SU_mSV_SY_bEUlT_E_NS1_11comp_targetILNS1_3genE8ELNS1_11target_archE1030ELNS1_3gpuE2ELNS1_3repE0EEENS1_30default_config_static_selectorELNS0_4arch9wavefront6targetE0EEEvSS_,comdat
	.protected	_ZN7rocprim17ROCPRIM_400000_NS6detail17trampoline_kernelINS0_14default_configENS1_27lower_bound_config_selectorIN6thrust23THRUST_200600_302600_NS5tupleIiiNS6_9null_typeES8_S8_S8_S8_S8_S8_S8_EEiEEZNS1_14transform_implILb0ES3_SA_NS6_6detail15normal_iteratorINS6_10device_ptrIS9_EEEENSD_INSE_IiEEEEZNS1_13binary_searchIS3_SA_SG_SG_SI_NS1_21lower_bound_search_opENSC_16wrapped_functionINS0_4lessIvEEbEEEE10hipError_tPvRmT1_T2_T3_mmT4_T5_P12ihipStream_tbEUlRKS9_E_EESP_ST_SU_mSV_SY_bEUlT_E_NS1_11comp_targetILNS1_3genE8ELNS1_11target_archE1030ELNS1_3gpuE2ELNS1_3repE0EEENS1_30default_config_static_selectorELNS0_4arch9wavefront6targetE0EEEvSS_ ; -- Begin function _ZN7rocprim17ROCPRIM_400000_NS6detail17trampoline_kernelINS0_14default_configENS1_27lower_bound_config_selectorIN6thrust23THRUST_200600_302600_NS5tupleIiiNS6_9null_typeES8_S8_S8_S8_S8_S8_S8_EEiEEZNS1_14transform_implILb0ES3_SA_NS6_6detail15normal_iteratorINS6_10device_ptrIS9_EEEENSD_INSE_IiEEEEZNS1_13binary_searchIS3_SA_SG_SG_SI_NS1_21lower_bound_search_opENSC_16wrapped_functionINS0_4lessIvEEbEEEE10hipError_tPvRmT1_T2_T3_mmT4_T5_P12ihipStream_tbEUlRKS9_E_EESP_ST_SU_mSV_SY_bEUlT_E_NS1_11comp_targetILNS1_3genE8ELNS1_11target_archE1030ELNS1_3gpuE2ELNS1_3repE0EEENS1_30default_config_static_selectorELNS0_4arch9wavefront6targetE0EEEvSS_
	.globl	_ZN7rocprim17ROCPRIM_400000_NS6detail17trampoline_kernelINS0_14default_configENS1_27lower_bound_config_selectorIN6thrust23THRUST_200600_302600_NS5tupleIiiNS6_9null_typeES8_S8_S8_S8_S8_S8_S8_EEiEEZNS1_14transform_implILb0ES3_SA_NS6_6detail15normal_iteratorINS6_10device_ptrIS9_EEEENSD_INSE_IiEEEEZNS1_13binary_searchIS3_SA_SG_SG_SI_NS1_21lower_bound_search_opENSC_16wrapped_functionINS0_4lessIvEEbEEEE10hipError_tPvRmT1_T2_T3_mmT4_T5_P12ihipStream_tbEUlRKS9_E_EESP_ST_SU_mSV_SY_bEUlT_E_NS1_11comp_targetILNS1_3genE8ELNS1_11target_archE1030ELNS1_3gpuE2ELNS1_3repE0EEENS1_30default_config_static_selectorELNS0_4arch9wavefront6targetE0EEEvSS_
	.p2align	8
	.type	_ZN7rocprim17ROCPRIM_400000_NS6detail17trampoline_kernelINS0_14default_configENS1_27lower_bound_config_selectorIN6thrust23THRUST_200600_302600_NS5tupleIiiNS6_9null_typeES8_S8_S8_S8_S8_S8_S8_EEiEEZNS1_14transform_implILb0ES3_SA_NS6_6detail15normal_iteratorINS6_10device_ptrIS9_EEEENSD_INSE_IiEEEEZNS1_13binary_searchIS3_SA_SG_SG_SI_NS1_21lower_bound_search_opENSC_16wrapped_functionINS0_4lessIvEEbEEEE10hipError_tPvRmT1_T2_T3_mmT4_T5_P12ihipStream_tbEUlRKS9_E_EESP_ST_SU_mSV_SY_bEUlT_E_NS1_11comp_targetILNS1_3genE8ELNS1_11target_archE1030ELNS1_3gpuE2ELNS1_3repE0EEENS1_30default_config_static_selectorELNS0_4arch9wavefront6targetE0EEEvSS_,@function
_ZN7rocprim17ROCPRIM_400000_NS6detail17trampoline_kernelINS0_14default_configENS1_27lower_bound_config_selectorIN6thrust23THRUST_200600_302600_NS5tupleIiiNS6_9null_typeES8_S8_S8_S8_S8_S8_S8_EEiEEZNS1_14transform_implILb0ES3_SA_NS6_6detail15normal_iteratorINS6_10device_ptrIS9_EEEENSD_INSE_IiEEEEZNS1_13binary_searchIS3_SA_SG_SG_SI_NS1_21lower_bound_search_opENSC_16wrapped_functionINS0_4lessIvEEbEEEE10hipError_tPvRmT1_T2_T3_mmT4_T5_P12ihipStream_tbEUlRKS9_E_EESP_ST_SU_mSV_SY_bEUlT_E_NS1_11comp_targetILNS1_3genE8ELNS1_11target_archE1030ELNS1_3gpuE2ELNS1_3repE0EEENS1_30default_config_static_selectorELNS0_4arch9wavefront6targetE0EEEvSS_: ; @_ZN7rocprim17ROCPRIM_400000_NS6detail17trampoline_kernelINS0_14default_configENS1_27lower_bound_config_selectorIN6thrust23THRUST_200600_302600_NS5tupleIiiNS6_9null_typeES8_S8_S8_S8_S8_S8_S8_EEiEEZNS1_14transform_implILb0ES3_SA_NS6_6detail15normal_iteratorINS6_10device_ptrIS9_EEEENSD_INSE_IiEEEEZNS1_13binary_searchIS3_SA_SG_SG_SI_NS1_21lower_bound_search_opENSC_16wrapped_functionINS0_4lessIvEEbEEEE10hipError_tPvRmT1_T2_T3_mmT4_T5_P12ihipStream_tbEUlRKS9_E_EESP_ST_SU_mSV_SY_bEUlT_E_NS1_11comp_targetILNS1_3genE8ELNS1_11target_archE1030ELNS1_3gpuE2ELNS1_3repE0EEENS1_30default_config_static_selectorELNS0_4arch9wavefront6targetE0EEEvSS_
; %bb.0:
	s_clause 0x3
	s_load_dwordx4 s[0:3], s[4:5], 0x0
	s_load_dword s17, s[4:5], 0x38
	s_load_dwordx2 s[14:15], s[4:5], 0x28
	s_load_dwordx4 s[8:11], s[4:5], 0x18
	s_waitcnt lgkmcnt(0)
	s_lshl_b64 s[12:13], s[2:3], 3
	s_add_u32 s7, s0, s12
	s_addc_u32 s16, s1, s13
	s_add_i32 s17, s17, -1
	s_lshl_b32 s12, s6, 8
	s_mov_b32 s13, 0
	s_cmp_lg_u32 s6, s17
	s_mov_b32 s0, -1
	s_cbranch_scc0 .LBB497_6
; %bb.1:
	v_mov_b32_e32 v1, 0
	s_cmp_eq_u64 s[14:15], 0
	v_mov_b32_e32 v2, v1
	s_cbranch_scc1 .LBB497_5
; %bb.2:
	v_lshlrev_b32_e32 v2, 3, v0
	s_lshl_b64 s[0:1], s[12:13], 3
	v_mov_b32_e32 v6, s14
	s_add_u32 s0, s7, s0
	s_addc_u32 s1, s16, s1
	v_add_co_u32 v2, s0, s0, v2
	v_add_co_ci_u32_e64 v3, null, s1, 0, s0
	v_mov_b32_e32 v7, s15
	s_mov_b32 s6, 0
	flat_load_dwordx2 v[4:5], v[2:3]
	v_mov_b32_e32 v2, 0
	v_mov_b32_e32 v3, 0
	s_inst_prefetch 0x1
	.p2align	6
.LBB497_3:                              ; =>This Inner Loop Header: Depth=1
	v_sub_co_u32 v8, vcc_lo, v6, v2
	v_sub_co_ci_u32_e64 v9, null, v7, v3, vcc_lo
	v_lshrrev_b64 v[10:11], 1, v[8:9]
	v_lshrrev_b64 v[8:9], 6, v[8:9]
	v_add_co_u32 v10, vcc_lo, v10, v2
	v_add_co_ci_u32_e64 v11, null, v11, v3, vcc_lo
	v_add_co_u32 v8, vcc_lo, v10, v8
	v_add_co_ci_u32_e64 v9, null, v11, v9, vcc_lo
	v_lshlrev_b64 v[10:11], 3, v[8:9]
	v_add_co_u32 v10, vcc_lo, s10, v10
	v_add_co_ci_u32_e64 v11, null, s11, v11, vcc_lo
	v_add_co_u32 v12, vcc_lo, v8, 1
	v_add_co_ci_u32_e64 v13, null, 0, v9, vcc_lo
	global_load_dwordx2 v[10:11], v[10:11], off
	s_waitcnt vmcnt(0) lgkmcnt(0)
	v_cmp_ge_i32_e32 vcc_lo, v4, v10
	v_cmp_lt_i32_e64 s0, v11, v5
	v_cmp_lt_i32_e64 s1, v10, v4
	s_and_b32 s0, vcc_lo, s0
	s_or_b32 vcc_lo, s1, s0
	v_cndmask_b32_e32 v7, v9, v7, vcc_lo
	v_cndmask_b32_e32 v6, v8, v6, vcc_lo
	;; [unrolled: 1-line block ×4, first 2 shown]
	v_cmp_ge_u64_e32 vcc_lo, v[2:3], v[6:7]
	s_or_b32 s6, vcc_lo, s6
	s_andn2_b32 exec_lo, exec_lo, s6
	s_cbranch_execnz .LBB497_3
; %bb.4:
	s_inst_prefetch 0x2
	s_or_b32 exec_lo, exec_lo, s6
.LBB497_5:
	s_mov_b32 s6, -1
	s_cbranch_execz .LBB497_7
	s_branch .LBB497_14
.LBB497_6:
	s_mov_b32 s6, s13
                                        ; implicit-def: $vgpr2
	s_andn2_b32 vcc_lo, exec_lo, s0
	s_cbranch_vccnz .LBB497_14
.LBB497_7:
	s_load_dword s0, s[4:5], 0x10
	s_mov_b32 s4, exec_lo
                                        ; implicit-def: $vgpr2
	s_waitcnt lgkmcnt(0)
	s_sub_i32 s0, s0, s12
	v_cmpx_gt_u32_e64 s0, v0
	s_cbranch_execz .LBB497_13
; %bb.8:
	v_mov_b32_e32 v1, 0
	s_cmp_eq_u64 s[14:15], 0
	v_mov_b32_e32 v2, v1
	s_cbranch_scc1 .LBB497_12
; %bb.9:
	v_lshlrev_b32_e32 v2, 3, v0
	s_lshl_b64 s[0:1], s[12:13], 3
	v_mov_b32_e32 v6, s14
	s_add_u32 s0, s7, s0
	s_addc_u32 s1, s16, s1
	v_add_co_u32 v2, s0, s0, v2
	v_add_co_ci_u32_e64 v3, null, s1, 0, s0
	v_mov_b32_e32 v7, s15
	s_mov_b32 s5, 0
	flat_load_dwordx2 v[4:5], v[2:3]
	v_mov_b32_e32 v2, 0
	v_mov_b32_e32 v3, 0
	s_inst_prefetch 0x1
	.p2align	6
.LBB497_10:                             ; =>This Inner Loop Header: Depth=1
	v_sub_co_u32 v8, vcc_lo, v6, v2
	v_sub_co_ci_u32_e64 v9, null, v7, v3, vcc_lo
	v_lshrrev_b64 v[10:11], 1, v[8:9]
	v_lshrrev_b64 v[8:9], 6, v[8:9]
	v_add_co_u32 v10, vcc_lo, v10, v2
	v_add_co_ci_u32_e64 v11, null, v11, v3, vcc_lo
	v_add_co_u32 v8, vcc_lo, v10, v8
	v_add_co_ci_u32_e64 v9, null, v11, v9, vcc_lo
	v_lshlrev_b64 v[10:11], 3, v[8:9]
	v_add_co_u32 v10, vcc_lo, s10, v10
	v_add_co_ci_u32_e64 v11, null, s11, v11, vcc_lo
	v_add_co_u32 v12, vcc_lo, v8, 1
	v_add_co_ci_u32_e64 v13, null, 0, v9, vcc_lo
	global_load_dwordx2 v[10:11], v[10:11], off
	s_waitcnt vmcnt(0) lgkmcnt(0)
	v_cmp_ge_i32_e32 vcc_lo, v4, v10
	v_cmp_lt_i32_e64 s0, v11, v5
	v_cmp_lt_i32_e64 s1, v10, v4
	s_and_b32 s0, vcc_lo, s0
	s_or_b32 vcc_lo, s1, s0
	v_cndmask_b32_e32 v7, v9, v7, vcc_lo
	v_cndmask_b32_e32 v6, v8, v6, vcc_lo
	;; [unrolled: 1-line block ×4, first 2 shown]
	v_cmp_ge_u64_e32 vcc_lo, v[2:3], v[6:7]
	s_or_b32 s5, vcc_lo, s5
	s_andn2_b32 exec_lo, exec_lo, s5
	s_cbranch_execnz .LBB497_10
; %bb.11:
	s_inst_prefetch 0x2
	s_or_b32 exec_lo, exec_lo, s5
.LBB497_12:
	s_or_b32 s6, s6, exec_lo
.LBB497_13:
	s_or_b32 exec_lo, exec_lo, s4
.LBB497_14:
	s_and_saveexec_b32 s0, s6
	s_cbranch_execnz .LBB497_16
; %bb.15:
	s_endpgm
.LBB497_16:
	s_lshl_b64 s[0:1], s[2:3], 2
	v_lshlrev_b64 v[0:1], 2, v[0:1]
	s_add_u32 s2, s8, s0
	s_addc_u32 s3, s9, s1
	s_lshl_b64 s[0:1], s[12:13], 2
	s_add_u32 s0, s2, s0
	s_addc_u32 s1, s3, s1
	v_add_co_u32 v0, vcc_lo, s0, v0
	v_add_co_ci_u32_e64 v1, null, s1, v1, vcc_lo
	flat_store_dword v[0:1], v2
	s_endpgm
	.section	.rodata,"a",@progbits
	.p2align	6, 0x0
	.amdhsa_kernel _ZN7rocprim17ROCPRIM_400000_NS6detail17trampoline_kernelINS0_14default_configENS1_27lower_bound_config_selectorIN6thrust23THRUST_200600_302600_NS5tupleIiiNS6_9null_typeES8_S8_S8_S8_S8_S8_S8_EEiEEZNS1_14transform_implILb0ES3_SA_NS6_6detail15normal_iteratorINS6_10device_ptrIS9_EEEENSD_INSE_IiEEEEZNS1_13binary_searchIS3_SA_SG_SG_SI_NS1_21lower_bound_search_opENSC_16wrapped_functionINS0_4lessIvEEbEEEE10hipError_tPvRmT1_T2_T3_mmT4_T5_P12ihipStream_tbEUlRKS9_E_EESP_ST_SU_mSV_SY_bEUlT_E_NS1_11comp_targetILNS1_3genE8ELNS1_11target_archE1030ELNS1_3gpuE2ELNS1_3repE0EEENS1_30default_config_static_selectorELNS0_4arch9wavefront6targetE0EEEvSS_
		.amdhsa_group_segment_fixed_size 0
		.amdhsa_private_segment_fixed_size 0
		.amdhsa_kernarg_size 312
		.amdhsa_user_sgpr_count 6
		.amdhsa_user_sgpr_private_segment_buffer 1
		.amdhsa_user_sgpr_dispatch_ptr 0
		.amdhsa_user_sgpr_queue_ptr 0
		.amdhsa_user_sgpr_kernarg_segment_ptr 1
		.amdhsa_user_sgpr_dispatch_id 0
		.amdhsa_user_sgpr_flat_scratch_init 0
		.amdhsa_user_sgpr_private_segment_size 0
		.amdhsa_wavefront_size32 1
		.amdhsa_uses_dynamic_stack 0
		.amdhsa_system_sgpr_private_segment_wavefront_offset 0
		.amdhsa_system_sgpr_workgroup_id_x 1
		.amdhsa_system_sgpr_workgroup_id_y 0
		.amdhsa_system_sgpr_workgroup_id_z 0
		.amdhsa_system_sgpr_workgroup_info 0
		.amdhsa_system_vgpr_workitem_id 0
		.amdhsa_next_free_vgpr 14
		.amdhsa_next_free_sgpr 18
		.amdhsa_reserve_vcc 1
		.amdhsa_reserve_flat_scratch 0
		.amdhsa_float_round_mode_32 0
		.amdhsa_float_round_mode_16_64 0
		.amdhsa_float_denorm_mode_32 3
		.amdhsa_float_denorm_mode_16_64 3
		.amdhsa_dx10_clamp 1
		.amdhsa_ieee_mode 1
		.amdhsa_fp16_overflow 0
		.amdhsa_workgroup_processor_mode 1
		.amdhsa_memory_ordered 1
		.amdhsa_forward_progress 1
		.amdhsa_shared_vgpr_count 0
		.amdhsa_exception_fp_ieee_invalid_op 0
		.amdhsa_exception_fp_denorm_src 0
		.amdhsa_exception_fp_ieee_div_zero 0
		.amdhsa_exception_fp_ieee_overflow 0
		.amdhsa_exception_fp_ieee_underflow 0
		.amdhsa_exception_fp_ieee_inexact 0
		.amdhsa_exception_int_div_zero 0
	.end_amdhsa_kernel
	.section	.text._ZN7rocprim17ROCPRIM_400000_NS6detail17trampoline_kernelINS0_14default_configENS1_27lower_bound_config_selectorIN6thrust23THRUST_200600_302600_NS5tupleIiiNS6_9null_typeES8_S8_S8_S8_S8_S8_S8_EEiEEZNS1_14transform_implILb0ES3_SA_NS6_6detail15normal_iteratorINS6_10device_ptrIS9_EEEENSD_INSE_IiEEEEZNS1_13binary_searchIS3_SA_SG_SG_SI_NS1_21lower_bound_search_opENSC_16wrapped_functionINS0_4lessIvEEbEEEE10hipError_tPvRmT1_T2_T3_mmT4_T5_P12ihipStream_tbEUlRKS9_E_EESP_ST_SU_mSV_SY_bEUlT_E_NS1_11comp_targetILNS1_3genE8ELNS1_11target_archE1030ELNS1_3gpuE2ELNS1_3repE0EEENS1_30default_config_static_selectorELNS0_4arch9wavefront6targetE0EEEvSS_,"axG",@progbits,_ZN7rocprim17ROCPRIM_400000_NS6detail17trampoline_kernelINS0_14default_configENS1_27lower_bound_config_selectorIN6thrust23THRUST_200600_302600_NS5tupleIiiNS6_9null_typeES8_S8_S8_S8_S8_S8_S8_EEiEEZNS1_14transform_implILb0ES3_SA_NS6_6detail15normal_iteratorINS6_10device_ptrIS9_EEEENSD_INSE_IiEEEEZNS1_13binary_searchIS3_SA_SG_SG_SI_NS1_21lower_bound_search_opENSC_16wrapped_functionINS0_4lessIvEEbEEEE10hipError_tPvRmT1_T2_T3_mmT4_T5_P12ihipStream_tbEUlRKS9_E_EESP_ST_SU_mSV_SY_bEUlT_E_NS1_11comp_targetILNS1_3genE8ELNS1_11target_archE1030ELNS1_3gpuE2ELNS1_3repE0EEENS1_30default_config_static_selectorELNS0_4arch9wavefront6targetE0EEEvSS_,comdat
.Lfunc_end497:
	.size	_ZN7rocprim17ROCPRIM_400000_NS6detail17trampoline_kernelINS0_14default_configENS1_27lower_bound_config_selectorIN6thrust23THRUST_200600_302600_NS5tupleIiiNS6_9null_typeES8_S8_S8_S8_S8_S8_S8_EEiEEZNS1_14transform_implILb0ES3_SA_NS6_6detail15normal_iteratorINS6_10device_ptrIS9_EEEENSD_INSE_IiEEEEZNS1_13binary_searchIS3_SA_SG_SG_SI_NS1_21lower_bound_search_opENSC_16wrapped_functionINS0_4lessIvEEbEEEE10hipError_tPvRmT1_T2_T3_mmT4_T5_P12ihipStream_tbEUlRKS9_E_EESP_ST_SU_mSV_SY_bEUlT_E_NS1_11comp_targetILNS1_3genE8ELNS1_11target_archE1030ELNS1_3gpuE2ELNS1_3repE0EEENS1_30default_config_static_selectorELNS0_4arch9wavefront6targetE0EEEvSS_, .Lfunc_end497-_ZN7rocprim17ROCPRIM_400000_NS6detail17trampoline_kernelINS0_14default_configENS1_27lower_bound_config_selectorIN6thrust23THRUST_200600_302600_NS5tupleIiiNS6_9null_typeES8_S8_S8_S8_S8_S8_S8_EEiEEZNS1_14transform_implILb0ES3_SA_NS6_6detail15normal_iteratorINS6_10device_ptrIS9_EEEENSD_INSE_IiEEEEZNS1_13binary_searchIS3_SA_SG_SG_SI_NS1_21lower_bound_search_opENSC_16wrapped_functionINS0_4lessIvEEbEEEE10hipError_tPvRmT1_T2_T3_mmT4_T5_P12ihipStream_tbEUlRKS9_E_EESP_ST_SU_mSV_SY_bEUlT_E_NS1_11comp_targetILNS1_3genE8ELNS1_11target_archE1030ELNS1_3gpuE2ELNS1_3repE0EEENS1_30default_config_static_selectorELNS0_4arch9wavefront6targetE0EEEvSS_
                                        ; -- End function
	.set _ZN7rocprim17ROCPRIM_400000_NS6detail17trampoline_kernelINS0_14default_configENS1_27lower_bound_config_selectorIN6thrust23THRUST_200600_302600_NS5tupleIiiNS6_9null_typeES8_S8_S8_S8_S8_S8_S8_EEiEEZNS1_14transform_implILb0ES3_SA_NS6_6detail15normal_iteratorINS6_10device_ptrIS9_EEEENSD_INSE_IiEEEEZNS1_13binary_searchIS3_SA_SG_SG_SI_NS1_21lower_bound_search_opENSC_16wrapped_functionINS0_4lessIvEEbEEEE10hipError_tPvRmT1_T2_T3_mmT4_T5_P12ihipStream_tbEUlRKS9_E_EESP_ST_SU_mSV_SY_bEUlT_E_NS1_11comp_targetILNS1_3genE8ELNS1_11target_archE1030ELNS1_3gpuE2ELNS1_3repE0EEENS1_30default_config_static_selectorELNS0_4arch9wavefront6targetE0EEEvSS_.num_vgpr, 14
	.set _ZN7rocprim17ROCPRIM_400000_NS6detail17trampoline_kernelINS0_14default_configENS1_27lower_bound_config_selectorIN6thrust23THRUST_200600_302600_NS5tupleIiiNS6_9null_typeES8_S8_S8_S8_S8_S8_S8_EEiEEZNS1_14transform_implILb0ES3_SA_NS6_6detail15normal_iteratorINS6_10device_ptrIS9_EEEENSD_INSE_IiEEEEZNS1_13binary_searchIS3_SA_SG_SG_SI_NS1_21lower_bound_search_opENSC_16wrapped_functionINS0_4lessIvEEbEEEE10hipError_tPvRmT1_T2_T3_mmT4_T5_P12ihipStream_tbEUlRKS9_E_EESP_ST_SU_mSV_SY_bEUlT_E_NS1_11comp_targetILNS1_3genE8ELNS1_11target_archE1030ELNS1_3gpuE2ELNS1_3repE0EEENS1_30default_config_static_selectorELNS0_4arch9wavefront6targetE0EEEvSS_.num_agpr, 0
	.set _ZN7rocprim17ROCPRIM_400000_NS6detail17trampoline_kernelINS0_14default_configENS1_27lower_bound_config_selectorIN6thrust23THRUST_200600_302600_NS5tupleIiiNS6_9null_typeES8_S8_S8_S8_S8_S8_S8_EEiEEZNS1_14transform_implILb0ES3_SA_NS6_6detail15normal_iteratorINS6_10device_ptrIS9_EEEENSD_INSE_IiEEEEZNS1_13binary_searchIS3_SA_SG_SG_SI_NS1_21lower_bound_search_opENSC_16wrapped_functionINS0_4lessIvEEbEEEE10hipError_tPvRmT1_T2_T3_mmT4_T5_P12ihipStream_tbEUlRKS9_E_EESP_ST_SU_mSV_SY_bEUlT_E_NS1_11comp_targetILNS1_3genE8ELNS1_11target_archE1030ELNS1_3gpuE2ELNS1_3repE0EEENS1_30default_config_static_selectorELNS0_4arch9wavefront6targetE0EEEvSS_.numbered_sgpr, 18
	.set _ZN7rocprim17ROCPRIM_400000_NS6detail17trampoline_kernelINS0_14default_configENS1_27lower_bound_config_selectorIN6thrust23THRUST_200600_302600_NS5tupleIiiNS6_9null_typeES8_S8_S8_S8_S8_S8_S8_EEiEEZNS1_14transform_implILb0ES3_SA_NS6_6detail15normal_iteratorINS6_10device_ptrIS9_EEEENSD_INSE_IiEEEEZNS1_13binary_searchIS3_SA_SG_SG_SI_NS1_21lower_bound_search_opENSC_16wrapped_functionINS0_4lessIvEEbEEEE10hipError_tPvRmT1_T2_T3_mmT4_T5_P12ihipStream_tbEUlRKS9_E_EESP_ST_SU_mSV_SY_bEUlT_E_NS1_11comp_targetILNS1_3genE8ELNS1_11target_archE1030ELNS1_3gpuE2ELNS1_3repE0EEENS1_30default_config_static_selectorELNS0_4arch9wavefront6targetE0EEEvSS_.num_named_barrier, 0
	.set _ZN7rocprim17ROCPRIM_400000_NS6detail17trampoline_kernelINS0_14default_configENS1_27lower_bound_config_selectorIN6thrust23THRUST_200600_302600_NS5tupleIiiNS6_9null_typeES8_S8_S8_S8_S8_S8_S8_EEiEEZNS1_14transform_implILb0ES3_SA_NS6_6detail15normal_iteratorINS6_10device_ptrIS9_EEEENSD_INSE_IiEEEEZNS1_13binary_searchIS3_SA_SG_SG_SI_NS1_21lower_bound_search_opENSC_16wrapped_functionINS0_4lessIvEEbEEEE10hipError_tPvRmT1_T2_T3_mmT4_T5_P12ihipStream_tbEUlRKS9_E_EESP_ST_SU_mSV_SY_bEUlT_E_NS1_11comp_targetILNS1_3genE8ELNS1_11target_archE1030ELNS1_3gpuE2ELNS1_3repE0EEENS1_30default_config_static_selectorELNS0_4arch9wavefront6targetE0EEEvSS_.private_seg_size, 0
	.set _ZN7rocprim17ROCPRIM_400000_NS6detail17trampoline_kernelINS0_14default_configENS1_27lower_bound_config_selectorIN6thrust23THRUST_200600_302600_NS5tupleIiiNS6_9null_typeES8_S8_S8_S8_S8_S8_S8_EEiEEZNS1_14transform_implILb0ES3_SA_NS6_6detail15normal_iteratorINS6_10device_ptrIS9_EEEENSD_INSE_IiEEEEZNS1_13binary_searchIS3_SA_SG_SG_SI_NS1_21lower_bound_search_opENSC_16wrapped_functionINS0_4lessIvEEbEEEE10hipError_tPvRmT1_T2_T3_mmT4_T5_P12ihipStream_tbEUlRKS9_E_EESP_ST_SU_mSV_SY_bEUlT_E_NS1_11comp_targetILNS1_3genE8ELNS1_11target_archE1030ELNS1_3gpuE2ELNS1_3repE0EEENS1_30default_config_static_selectorELNS0_4arch9wavefront6targetE0EEEvSS_.uses_vcc, 1
	.set _ZN7rocprim17ROCPRIM_400000_NS6detail17trampoline_kernelINS0_14default_configENS1_27lower_bound_config_selectorIN6thrust23THRUST_200600_302600_NS5tupleIiiNS6_9null_typeES8_S8_S8_S8_S8_S8_S8_EEiEEZNS1_14transform_implILb0ES3_SA_NS6_6detail15normal_iteratorINS6_10device_ptrIS9_EEEENSD_INSE_IiEEEEZNS1_13binary_searchIS3_SA_SG_SG_SI_NS1_21lower_bound_search_opENSC_16wrapped_functionINS0_4lessIvEEbEEEE10hipError_tPvRmT1_T2_T3_mmT4_T5_P12ihipStream_tbEUlRKS9_E_EESP_ST_SU_mSV_SY_bEUlT_E_NS1_11comp_targetILNS1_3genE8ELNS1_11target_archE1030ELNS1_3gpuE2ELNS1_3repE0EEENS1_30default_config_static_selectorELNS0_4arch9wavefront6targetE0EEEvSS_.uses_flat_scratch, 0
	.set _ZN7rocprim17ROCPRIM_400000_NS6detail17trampoline_kernelINS0_14default_configENS1_27lower_bound_config_selectorIN6thrust23THRUST_200600_302600_NS5tupleIiiNS6_9null_typeES8_S8_S8_S8_S8_S8_S8_EEiEEZNS1_14transform_implILb0ES3_SA_NS6_6detail15normal_iteratorINS6_10device_ptrIS9_EEEENSD_INSE_IiEEEEZNS1_13binary_searchIS3_SA_SG_SG_SI_NS1_21lower_bound_search_opENSC_16wrapped_functionINS0_4lessIvEEbEEEE10hipError_tPvRmT1_T2_T3_mmT4_T5_P12ihipStream_tbEUlRKS9_E_EESP_ST_SU_mSV_SY_bEUlT_E_NS1_11comp_targetILNS1_3genE8ELNS1_11target_archE1030ELNS1_3gpuE2ELNS1_3repE0EEENS1_30default_config_static_selectorELNS0_4arch9wavefront6targetE0EEEvSS_.has_dyn_sized_stack, 0
	.set _ZN7rocprim17ROCPRIM_400000_NS6detail17trampoline_kernelINS0_14default_configENS1_27lower_bound_config_selectorIN6thrust23THRUST_200600_302600_NS5tupleIiiNS6_9null_typeES8_S8_S8_S8_S8_S8_S8_EEiEEZNS1_14transform_implILb0ES3_SA_NS6_6detail15normal_iteratorINS6_10device_ptrIS9_EEEENSD_INSE_IiEEEEZNS1_13binary_searchIS3_SA_SG_SG_SI_NS1_21lower_bound_search_opENSC_16wrapped_functionINS0_4lessIvEEbEEEE10hipError_tPvRmT1_T2_T3_mmT4_T5_P12ihipStream_tbEUlRKS9_E_EESP_ST_SU_mSV_SY_bEUlT_E_NS1_11comp_targetILNS1_3genE8ELNS1_11target_archE1030ELNS1_3gpuE2ELNS1_3repE0EEENS1_30default_config_static_selectorELNS0_4arch9wavefront6targetE0EEEvSS_.has_recursion, 0
	.set _ZN7rocprim17ROCPRIM_400000_NS6detail17trampoline_kernelINS0_14default_configENS1_27lower_bound_config_selectorIN6thrust23THRUST_200600_302600_NS5tupleIiiNS6_9null_typeES8_S8_S8_S8_S8_S8_S8_EEiEEZNS1_14transform_implILb0ES3_SA_NS6_6detail15normal_iteratorINS6_10device_ptrIS9_EEEENSD_INSE_IiEEEEZNS1_13binary_searchIS3_SA_SG_SG_SI_NS1_21lower_bound_search_opENSC_16wrapped_functionINS0_4lessIvEEbEEEE10hipError_tPvRmT1_T2_T3_mmT4_T5_P12ihipStream_tbEUlRKS9_E_EESP_ST_SU_mSV_SY_bEUlT_E_NS1_11comp_targetILNS1_3genE8ELNS1_11target_archE1030ELNS1_3gpuE2ELNS1_3repE0EEENS1_30default_config_static_selectorELNS0_4arch9wavefront6targetE0EEEvSS_.has_indirect_call, 0
	.section	.AMDGPU.csdata,"",@progbits
; Kernel info:
; codeLenInByte = 776
; TotalNumSgprs: 20
; NumVgprs: 14
; ScratchSize: 0
; MemoryBound: 0
; FloatMode: 240
; IeeeMode: 1
; LDSByteSize: 0 bytes/workgroup (compile time only)
; SGPRBlocks: 0
; VGPRBlocks: 1
; NumSGPRsForWavesPerEU: 20
; NumVGPRsForWavesPerEU: 14
; Occupancy: 16
; WaveLimiterHint : 0
; COMPUTE_PGM_RSRC2:SCRATCH_EN: 0
; COMPUTE_PGM_RSRC2:USER_SGPR: 6
; COMPUTE_PGM_RSRC2:TRAP_HANDLER: 0
; COMPUTE_PGM_RSRC2:TGID_X_EN: 1
; COMPUTE_PGM_RSRC2:TGID_Y_EN: 0
; COMPUTE_PGM_RSRC2:TGID_Z_EN: 0
; COMPUTE_PGM_RSRC2:TIDIG_COMP_CNT: 0
	.section	.text._ZN6thrust23THRUST_200600_302600_NS11hip_rocprim14__parallel_for6kernelILj256ENS1_20__uninitialized_copy7functorINS0_10device_ptrINS0_5tupleIiiNS0_9null_typeES8_S8_S8_S8_S8_S8_S8_EEEENS0_7pointerIS9_NS1_3tagENS0_11use_defaultESD_EEEEmLj1EEEvT0_T1_SH_,"axG",@progbits,_ZN6thrust23THRUST_200600_302600_NS11hip_rocprim14__parallel_for6kernelILj256ENS1_20__uninitialized_copy7functorINS0_10device_ptrINS0_5tupleIiiNS0_9null_typeES8_S8_S8_S8_S8_S8_S8_EEEENS0_7pointerIS9_NS1_3tagENS0_11use_defaultESD_EEEEmLj1EEEvT0_T1_SH_,comdat
	.protected	_ZN6thrust23THRUST_200600_302600_NS11hip_rocprim14__parallel_for6kernelILj256ENS1_20__uninitialized_copy7functorINS0_10device_ptrINS0_5tupleIiiNS0_9null_typeES8_S8_S8_S8_S8_S8_S8_EEEENS0_7pointerIS9_NS1_3tagENS0_11use_defaultESD_EEEEmLj1EEEvT0_T1_SH_ ; -- Begin function _ZN6thrust23THRUST_200600_302600_NS11hip_rocprim14__parallel_for6kernelILj256ENS1_20__uninitialized_copy7functorINS0_10device_ptrINS0_5tupleIiiNS0_9null_typeES8_S8_S8_S8_S8_S8_S8_EEEENS0_7pointerIS9_NS1_3tagENS0_11use_defaultESD_EEEEmLj1EEEvT0_T1_SH_
	.globl	_ZN6thrust23THRUST_200600_302600_NS11hip_rocprim14__parallel_for6kernelILj256ENS1_20__uninitialized_copy7functorINS0_10device_ptrINS0_5tupleIiiNS0_9null_typeES8_S8_S8_S8_S8_S8_S8_EEEENS0_7pointerIS9_NS1_3tagENS0_11use_defaultESD_EEEEmLj1EEEvT0_T1_SH_
	.p2align	8
	.type	_ZN6thrust23THRUST_200600_302600_NS11hip_rocprim14__parallel_for6kernelILj256ENS1_20__uninitialized_copy7functorINS0_10device_ptrINS0_5tupleIiiNS0_9null_typeES8_S8_S8_S8_S8_S8_S8_EEEENS0_7pointerIS9_NS1_3tagENS0_11use_defaultESD_EEEEmLj1EEEvT0_T1_SH_,@function
_ZN6thrust23THRUST_200600_302600_NS11hip_rocprim14__parallel_for6kernelILj256ENS1_20__uninitialized_copy7functorINS0_10device_ptrINS0_5tupleIiiNS0_9null_typeES8_S8_S8_S8_S8_S8_S8_EEEENS0_7pointerIS9_NS1_3tagENS0_11use_defaultESD_EEEEmLj1EEEvT0_T1_SH_: ; @_ZN6thrust23THRUST_200600_302600_NS11hip_rocprim14__parallel_for6kernelILj256ENS1_20__uninitialized_copy7functorINS0_10device_ptrINS0_5tupleIiiNS0_9null_typeES8_S8_S8_S8_S8_S8_S8_EEEENS0_7pointerIS9_NS1_3tagENS0_11use_defaultESD_EEEEmLj1EEEvT0_T1_SH_
; %bb.0:
	s_load_dwordx8 s[8:15], s[4:5], 0x0
	s_lshl_b32 s0, s6, 8
	s_waitcnt lgkmcnt(0)
	s_add_u32 s2, s14, s0
	s_addc_u32 s3, s15, 0
	s_sub_u32 s0, s12, s2
	s_subb_u32 s1, s13, s3
	v_cmp_lt_u64_e64 s1, 0xff, s[0:1]
	s_and_b32 vcc_lo, exec_lo, s1
	s_mov_b32 s1, -1
	s_cbranch_vccz .LBB498_3
; %bb.1:
	s_andn2_b32 vcc_lo, exec_lo, s1
	s_cbranch_vccz .LBB498_6
.LBB498_2:
	s_endpgm
.LBB498_3:
	v_cmp_gt_u32_e32 vcc_lo, s0, v0
	s_and_saveexec_b32 s0, vcc_lo
	s_cbranch_execz .LBB498_5
; %bb.4:
	v_add_co_u32 v1, s1, s2, v0
	v_add_co_ci_u32_e64 v2, null, s3, 0, s1
	v_lshlrev_b64 v[1:2], 3, v[1:2]
	v_add_co_u32 v3, vcc_lo, s8, v1
	v_add_co_ci_u32_e64 v4, null, s9, v2, vcc_lo
	v_add_co_u32 v1, vcc_lo, s10, v1
	v_add_co_ci_u32_e64 v2, null, s11, v2, vcc_lo
	flat_load_dwordx2 v[3:4], v[3:4]
	s_waitcnt vmcnt(0) lgkmcnt(0)
	flat_store_dwordx2 v[1:2], v[3:4]
.LBB498_5:
	s_or_b32 exec_lo, exec_lo, s0
	s_cbranch_execnz .LBB498_2
.LBB498_6:
	v_add_co_u32 v0, s0, s2, v0
	v_add_co_ci_u32_e64 v1, null, s3, 0, s0
	v_lshlrev_b64 v[0:1], 3, v[0:1]
	v_add_co_u32 v2, vcc_lo, s8, v0
	v_add_co_ci_u32_e64 v3, null, s9, v1, vcc_lo
	v_add_co_u32 v0, vcc_lo, s10, v0
	v_add_co_ci_u32_e64 v1, null, s11, v1, vcc_lo
	flat_load_dwordx2 v[2:3], v[2:3]
	s_waitcnt vmcnt(0) lgkmcnt(0)
	flat_store_dwordx2 v[0:1], v[2:3]
	s_endpgm
	.section	.rodata,"a",@progbits
	.p2align	6, 0x0
	.amdhsa_kernel _ZN6thrust23THRUST_200600_302600_NS11hip_rocprim14__parallel_for6kernelILj256ENS1_20__uninitialized_copy7functorINS0_10device_ptrINS0_5tupleIiiNS0_9null_typeES8_S8_S8_S8_S8_S8_S8_EEEENS0_7pointerIS9_NS1_3tagENS0_11use_defaultESD_EEEEmLj1EEEvT0_T1_SH_
		.amdhsa_group_segment_fixed_size 0
		.amdhsa_private_segment_fixed_size 0
		.amdhsa_kernarg_size 32
		.amdhsa_user_sgpr_count 6
		.amdhsa_user_sgpr_private_segment_buffer 1
		.amdhsa_user_sgpr_dispatch_ptr 0
		.amdhsa_user_sgpr_queue_ptr 0
		.amdhsa_user_sgpr_kernarg_segment_ptr 1
		.amdhsa_user_sgpr_dispatch_id 0
		.amdhsa_user_sgpr_flat_scratch_init 0
		.amdhsa_user_sgpr_private_segment_size 0
		.amdhsa_wavefront_size32 1
		.amdhsa_uses_dynamic_stack 0
		.amdhsa_system_sgpr_private_segment_wavefront_offset 0
		.amdhsa_system_sgpr_workgroup_id_x 1
		.amdhsa_system_sgpr_workgroup_id_y 0
		.amdhsa_system_sgpr_workgroup_id_z 0
		.amdhsa_system_sgpr_workgroup_info 0
		.amdhsa_system_vgpr_workitem_id 0
		.amdhsa_next_free_vgpr 5
		.amdhsa_next_free_sgpr 16
		.amdhsa_reserve_vcc 1
		.amdhsa_reserve_flat_scratch 0
		.amdhsa_float_round_mode_32 0
		.amdhsa_float_round_mode_16_64 0
		.amdhsa_float_denorm_mode_32 3
		.amdhsa_float_denorm_mode_16_64 3
		.amdhsa_dx10_clamp 1
		.amdhsa_ieee_mode 1
		.amdhsa_fp16_overflow 0
		.amdhsa_workgroup_processor_mode 1
		.amdhsa_memory_ordered 1
		.amdhsa_forward_progress 1
		.amdhsa_shared_vgpr_count 0
		.amdhsa_exception_fp_ieee_invalid_op 0
		.amdhsa_exception_fp_denorm_src 0
		.amdhsa_exception_fp_ieee_div_zero 0
		.amdhsa_exception_fp_ieee_overflow 0
		.amdhsa_exception_fp_ieee_underflow 0
		.amdhsa_exception_fp_ieee_inexact 0
		.amdhsa_exception_int_div_zero 0
	.end_amdhsa_kernel
	.section	.text._ZN6thrust23THRUST_200600_302600_NS11hip_rocprim14__parallel_for6kernelILj256ENS1_20__uninitialized_copy7functorINS0_10device_ptrINS0_5tupleIiiNS0_9null_typeES8_S8_S8_S8_S8_S8_S8_EEEENS0_7pointerIS9_NS1_3tagENS0_11use_defaultESD_EEEEmLj1EEEvT0_T1_SH_,"axG",@progbits,_ZN6thrust23THRUST_200600_302600_NS11hip_rocprim14__parallel_for6kernelILj256ENS1_20__uninitialized_copy7functorINS0_10device_ptrINS0_5tupleIiiNS0_9null_typeES8_S8_S8_S8_S8_S8_S8_EEEENS0_7pointerIS9_NS1_3tagENS0_11use_defaultESD_EEEEmLj1EEEvT0_T1_SH_,comdat
.Lfunc_end498:
	.size	_ZN6thrust23THRUST_200600_302600_NS11hip_rocprim14__parallel_for6kernelILj256ENS1_20__uninitialized_copy7functorINS0_10device_ptrINS0_5tupleIiiNS0_9null_typeES8_S8_S8_S8_S8_S8_S8_EEEENS0_7pointerIS9_NS1_3tagENS0_11use_defaultESD_EEEEmLj1EEEvT0_T1_SH_, .Lfunc_end498-_ZN6thrust23THRUST_200600_302600_NS11hip_rocprim14__parallel_for6kernelILj256ENS1_20__uninitialized_copy7functorINS0_10device_ptrINS0_5tupleIiiNS0_9null_typeES8_S8_S8_S8_S8_S8_S8_EEEENS0_7pointerIS9_NS1_3tagENS0_11use_defaultESD_EEEEmLj1EEEvT0_T1_SH_
                                        ; -- End function
	.set _ZN6thrust23THRUST_200600_302600_NS11hip_rocprim14__parallel_for6kernelILj256ENS1_20__uninitialized_copy7functorINS0_10device_ptrINS0_5tupleIiiNS0_9null_typeES8_S8_S8_S8_S8_S8_S8_EEEENS0_7pointerIS9_NS1_3tagENS0_11use_defaultESD_EEEEmLj1EEEvT0_T1_SH_.num_vgpr, 5
	.set _ZN6thrust23THRUST_200600_302600_NS11hip_rocprim14__parallel_for6kernelILj256ENS1_20__uninitialized_copy7functorINS0_10device_ptrINS0_5tupleIiiNS0_9null_typeES8_S8_S8_S8_S8_S8_S8_EEEENS0_7pointerIS9_NS1_3tagENS0_11use_defaultESD_EEEEmLj1EEEvT0_T1_SH_.num_agpr, 0
	.set _ZN6thrust23THRUST_200600_302600_NS11hip_rocprim14__parallel_for6kernelILj256ENS1_20__uninitialized_copy7functorINS0_10device_ptrINS0_5tupleIiiNS0_9null_typeES8_S8_S8_S8_S8_S8_S8_EEEENS0_7pointerIS9_NS1_3tagENS0_11use_defaultESD_EEEEmLj1EEEvT0_T1_SH_.numbered_sgpr, 16
	.set _ZN6thrust23THRUST_200600_302600_NS11hip_rocprim14__parallel_for6kernelILj256ENS1_20__uninitialized_copy7functorINS0_10device_ptrINS0_5tupleIiiNS0_9null_typeES8_S8_S8_S8_S8_S8_S8_EEEENS0_7pointerIS9_NS1_3tagENS0_11use_defaultESD_EEEEmLj1EEEvT0_T1_SH_.num_named_barrier, 0
	.set _ZN6thrust23THRUST_200600_302600_NS11hip_rocprim14__parallel_for6kernelILj256ENS1_20__uninitialized_copy7functorINS0_10device_ptrINS0_5tupleIiiNS0_9null_typeES8_S8_S8_S8_S8_S8_S8_EEEENS0_7pointerIS9_NS1_3tagENS0_11use_defaultESD_EEEEmLj1EEEvT0_T1_SH_.private_seg_size, 0
	.set _ZN6thrust23THRUST_200600_302600_NS11hip_rocprim14__parallel_for6kernelILj256ENS1_20__uninitialized_copy7functorINS0_10device_ptrINS0_5tupleIiiNS0_9null_typeES8_S8_S8_S8_S8_S8_S8_EEEENS0_7pointerIS9_NS1_3tagENS0_11use_defaultESD_EEEEmLj1EEEvT0_T1_SH_.uses_vcc, 1
	.set _ZN6thrust23THRUST_200600_302600_NS11hip_rocprim14__parallel_for6kernelILj256ENS1_20__uninitialized_copy7functorINS0_10device_ptrINS0_5tupleIiiNS0_9null_typeES8_S8_S8_S8_S8_S8_S8_EEEENS0_7pointerIS9_NS1_3tagENS0_11use_defaultESD_EEEEmLj1EEEvT0_T1_SH_.uses_flat_scratch, 0
	.set _ZN6thrust23THRUST_200600_302600_NS11hip_rocprim14__parallel_for6kernelILj256ENS1_20__uninitialized_copy7functorINS0_10device_ptrINS0_5tupleIiiNS0_9null_typeES8_S8_S8_S8_S8_S8_S8_EEEENS0_7pointerIS9_NS1_3tagENS0_11use_defaultESD_EEEEmLj1EEEvT0_T1_SH_.has_dyn_sized_stack, 0
	.set _ZN6thrust23THRUST_200600_302600_NS11hip_rocprim14__parallel_for6kernelILj256ENS1_20__uninitialized_copy7functorINS0_10device_ptrINS0_5tupleIiiNS0_9null_typeES8_S8_S8_S8_S8_S8_S8_EEEENS0_7pointerIS9_NS1_3tagENS0_11use_defaultESD_EEEEmLj1EEEvT0_T1_SH_.has_recursion, 0
	.set _ZN6thrust23THRUST_200600_302600_NS11hip_rocprim14__parallel_for6kernelILj256ENS1_20__uninitialized_copy7functorINS0_10device_ptrINS0_5tupleIiiNS0_9null_typeES8_S8_S8_S8_S8_S8_S8_EEEENS0_7pointerIS9_NS1_3tagENS0_11use_defaultESD_EEEEmLj1EEEvT0_T1_SH_.has_indirect_call, 0
	.section	.AMDGPU.csdata,"",@progbits
; Kernel info:
; codeLenInByte = 244
; TotalNumSgprs: 18
; NumVgprs: 5
; ScratchSize: 0
; MemoryBound: 0
; FloatMode: 240
; IeeeMode: 1
; LDSByteSize: 0 bytes/workgroup (compile time only)
; SGPRBlocks: 0
; VGPRBlocks: 0
; NumSGPRsForWavesPerEU: 18
; NumVGPRsForWavesPerEU: 5
; Occupancy: 16
; WaveLimiterHint : 0
; COMPUTE_PGM_RSRC2:SCRATCH_EN: 0
; COMPUTE_PGM_RSRC2:USER_SGPR: 6
; COMPUTE_PGM_RSRC2:TRAP_HANDLER: 0
; COMPUTE_PGM_RSRC2:TGID_X_EN: 1
; COMPUTE_PGM_RSRC2:TGID_Y_EN: 0
; COMPUTE_PGM_RSRC2:TGID_Z_EN: 0
; COMPUTE_PGM_RSRC2:TIDIG_COMP_CNT: 0
	.section	.text._ZN6thrust23THRUST_200600_302600_NS11hip_rocprim14__parallel_for6kernelILj256ENS1_20__uninitialized_fill7functorINS0_10device_ptrIiEEiEEmLj1EEEvT0_T1_SA_,"axG",@progbits,_ZN6thrust23THRUST_200600_302600_NS11hip_rocprim14__parallel_for6kernelILj256ENS1_20__uninitialized_fill7functorINS0_10device_ptrIiEEiEEmLj1EEEvT0_T1_SA_,comdat
	.protected	_ZN6thrust23THRUST_200600_302600_NS11hip_rocprim14__parallel_for6kernelILj256ENS1_20__uninitialized_fill7functorINS0_10device_ptrIiEEiEEmLj1EEEvT0_T1_SA_ ; -- Begin function _ZN6thrust23THRUST_200600_302600_NS11hip_rocprim14__parallel_for6kernelILj256ENS1_20__uninitialized_fill7functorINS0_10device_ptrIiEEiEEmLj1EEEvT0_T1_SA_
	.globl	_ZN6thrust23THRUST_200600_302600_NS11hip_rocprim14__parallel_for6kernelILj256ENS1_20__uninitialized_fill7functorINS0_10device_ptrIiEEiEEmLj1EEEvT0_T1_SA_
	.p2align	8
	.type	_ZN6thrust23THRUST_200600_302600_NS11hip_rocprim14__parallel_for6kernelILj256ENS1_20__uninitialized_fill7functorINS0_10device_ptrIiEEiEEmLj1EEEvT0_T1_SA_,@function
_ZN6thrust23THRUST_200600_302600_NS11hip_rocprim14__parallel_for6kernelILj256ENS1_20__uninitialized_fill7functorINS0_10device_ptrIiEEiEEmLj1EEEvT0_T1_SA_: ; @_ZN6thrust23THRUST_200600_302600_NS11hip_rocprim14__parallel_for6kernelILj256ENS1_20__uninitialized_fill7functorINS0_10device_ptrIiEEiEEmLj1EEEvT0_T1_SA_
; %bb.0:
	s_clause 0x2
	s_load_dwordx4 s[8:11], s[4:5], 0x10
	s_load_dwordx2 s[0:1], s[4:5], 0x0
	s_load_dword s7, s[4:5], 0x8
	s_lshl_b32 s2, s6, 8
	s_waitcnt lgkmcnt(0)
	s_add_u32 s2, s10, s2
	s_addc_u32 s3, s11, 0
	s_sub_u32 s4, s8, s2
	s_subb_u32 s5, s9, s3
	v_cmp_lt_u64_e64 s5, 0xff, s[4:5]
	s_and_b32 vcc_lo, exec_lo, s5
	s_mov_b32 s5, -1
	s_cbranch_vccz .LBB499_3
; %bb.1:
	s_andn2_b32 vcc_lo, exec_lo, s5
	s_cbranch_vccz .LBB499_6
.LBB499_2:
	s_endpgm
.LBB499_3:
	v_cmp_gt_u32_e32 vcc_lo, s4, v0
	s_and_saveexec_b32 s4, vcc_lo
	s_cbranch_execz .LBB499_5
; %bb.4:
	v_lshlrev_b32_e32 v1, 2, v0
	s_lshl_b64 s[8:9], s[2:3], 2
	v_mov_b32_e32 v3, s7
	s_add_u32 s5, s0, s8
	s_addc_u32 s6, s1, s9
	v_add_co_u32 v1, s5, s5, v1
	v_add_co_ci_u32_e64 v2, null, s6, 0, s5
	flat_store_dword v[1:2], v3
.LBB499_5:
	s_or_b32 exec_lo, exec_lo, s4
	s_cbranch_execnz .LBB499_2
.LBB499_6:
	v_lshlrev_b32_e32 v0, 2, v0
	s_lshl_b64 s[2:3], s[2:3], 2
	v_mov_b32_e32 v2, s7
	s_add_u32 s0, s0, s2
	s_addc_u32 s1, s1, s3
	v_add_co_u32 v0, s0, s0, v0
	v_add_co_ci_u32_e64 v1, null, s1, 0, s0
	flat_store_dword v[0:1], v2
	s_endpgm
	.section	.rodata,"a",@progbits
	.p2align	6, 0x0
	.amdhsa_kernel _ZN6thrust23THRUST_200600_302600_NS11hip_rocprim14__parallel_for6kernelILj256ENS1_20__uninitialized_fill7functorINS0_10device_ptrIiEEiEEmLj1EEEvT0_T1_SA_
		.amdhsa_group_segment_fixed_size 0
		.amdhsa_private_segment_fixed_size 0
		.amdhsa_kernarg_size 32
		.amdhsa_user_sgpr_count 6
		.amdhsa_user_sgpr_private_segment_buffer 1
		.amdhsa_user_sgpr_dispatch_ptr 0
		.amdhsa_user_sgpr_queue_ptr 0
		.amdhsa_user_sgpr_kernarg_segment_ptr 1
		.amdhsa_user_sgpr_dispatch_id 0
		.amdhsa_user_sgpr_flat_scratch_init 0
		.amdhsa_user_sgpr_private_segment_size 0
		.amdhsa_wavefront_size32 1
		.amdhsa_uses_dynamic_stack 0
		.amdhsa_system_sgpr_private_segment_wavefront_offset 0
		.amdhsa_system_sgpr_workgroup_id_x 1
		.amdhsa_system_sgpr_workgroup_id_y 0
		.amdhsa_system_sgpr_workgroup_id_z 0
		.amdhsa_system_sgpr_workgroup_info 0
		.amdhsa_system_vgpr_workitem_id 0
		.amdhsa_next_free_vgpr 4
		.amdhsa_next_free_sgpr 12
		.amdhsa_reserve_vcc 1
		.amdhsa_reserve_flat_scratch 0
		.amdhsa_float_round_mode_32 0
		.amdhsa_float_round_mode_16_64 0
		.amdhsa_float_denorm_mode_32 3
		.amdhsa_float_denorm_mode_16_64 3
		.amdhsa_dx10_clamp 1
		.amdhsa_ieee_mode 1
		.amdhsa_fp16_overflow 0
		.amdhsa_workgroup_processor_mode 1
		.amdhsa_memory_ordered 1
		.amdhsa_forward_progress 1
		.amdhsa_shared_vgpr_count 0
		.amdhsa_exception_fp_ieee_invalid_op 0
		.amdhsa_exception_fp_denorm_src 0
		.amdhsa_exception_fp_ieee_div_zero 0
		.amdhsa_exception_fp_ieee_overflow 0
		.amdhsa_exception_fp_ieee_underflow 0
		.amdhsa_exception_fp_ieee_inexact 0
		.amdhsa_exception_int_div_zero 0
	.end_amdhsa_kernel
	.section	.text._ZN6thrust23THRUST_200600_302600_NS11hip_rocprim14__parallel_for6kernelILj256ENS1_20__uninitialized_fill7functorINS0_10device_ptrIiEEiEEmLj1EEEvT0_T1_SA_,"axG",@progbits,_ZN6thrust23THRUST_200600_302600_NS11hip_rocprim14__parallel_for6kernelILj256ENS1_20__uninitialized_fill7functorINS0_10device_ptrIiEEiEEmLj1EEEvT0_T1_SA_,comdat
.Lfunc_end499:
	.size	_ZN6thrust23THRUST_200600_302600_NS11hip_rocprim14__parallel_for6kernelILj256ENS1_20__uninitialized_fill7functorINS0_10device_ptrIiEEiEEmLj1EEEvT0_T1_SA_, .Lfunc_end499-_ZN6thrust23THRUST_200600_302600_NS11hip_rocprim14__parallel_for6kernelILj256ENS1_20__uninitialized_fill7functorINS0_10device_ptrIiEEiEEmLj1EEEvT0_T1_SA_
                                        ; -- End function
	.set _ZN6thrust23THRUST_200600_302600_NS11hip_rocprim14__parallel_for6kernelILj256ENS1_20__uninitialized_fill7functorINS0_10device_ptrIiEEiEEmLj1EEEvT0_T1_SA_.num_vgpr, 4
	.set _ZN6thrust23THRUST_200600_302600_NS11hip_rocprim14__parallel_for6kernelILj256ENS1_20__uninitialized_fill7functorINS0_10device_ptrIiEEiEEmLj1EEEvT0_T1_SA_.num_agpr, 0
	.set _ZN6thrust23THRUST_200600_302600_NS11hip_rocprim14__parallel_for6kernelILj256ENS1_20__uninitialized_fill7functorINS0_10device_ptrIiEEiEEmLj1EEEvT0_T1_SA_.numbered_sgpr, 12
	.set _ZN6thrust23THRUST_200600_302600_NS11hip_rocprim14__parallel_for6kernelILj256ENS1_20__uninitialized_fill7functorINS0_10device_ptrIiEEiEEmLj1EEEvT0_T1_SA_.num_named_barrier, 0
	.set _ZN6thrust23THRUST_200600_302600_NS11hip_rocprim14__parallel_for6kernelILj256ENS1_20__uninitialized_fill7functorINS0_10device_ptrIiEEiEEmLj1EEEvT0_T1_SA_.private_seg_size, 0
	.set _ZN6thrust23THRUST_200600_302600_NS11hip_rocprim14__parallel_for6kernelILj256ENS1_20__uninitialized_fill7functorINS0_10device_ptrIiEEiEEmLj1EEEvT0_T1_SA_.uses_vcc, 1
	.set _ZN6thrust23THRUST_200600_302600_NS11hip_rocprim14__parallel_for6kernelILj256ENS1_20__uninitialized_fill7functorINS0_10device_ptrIiEEiEEmLj1EEEvT0_T1_SA_.uses_flat_scratch, 0
	.set _ZN6thrust23THRUST_200600_302600_NS11hip_rocprim14__parallel_for6kernelILj256ENS1_20__uninitialized_fill7functorINS0_10device_ptrIiEEiEEmLj1EEEvT0_T1_SA_.has_dyn_sized_stack, 0
	.set _ZN6thrust23THRUST_200600_302600_NS11hip_rocprim14__parallel_for6kernelILj256ENS1_20__uninitialized_fill7functorINS0_10device_ptrIiEEiEEmLj1EEEvT0_T1_SA_.has_recursion, 0
	.set _ZN6thrust23THRUST_200600_302600_NS11hip_rocprim14__parallel_for6kernelILj256ENS1_20__uninitialized_fill7functorINS0_10device_ptrIiEEiEEmLj1EEEvT0_T1_SA_.has_indirect_call, 0
	.section	.AMDGPU.csdata,"",@progbits
; Kernel info:
; codeLenInByte = 200
; TotalNumSgprs: 14
; NumVgprs: 4
; ScratchSize: 0
; MemoryBound: 0
; FloatMode: 240
; IeeeMode: 1
; LDSByteSize: 0 bytes/workgroup (compile time only)
; SGPRBlocks: 0
; VGPRBlocks: 0
; NumSGPRsForWavesPerEU: 14
; NumVGPRsForWavesPerEU: 4
; Occupancy: 16
; WaveLimiterHint : 0
; COMPUTE_PGM_RSRC2:SCRATCH_EN: 0
; COMPUTE_PGM_RSRC2:USER_SGPR: 6
; COMPUTE_PGM_RSRC2:TRAP_HANDLER: 0
; COMPUTE_PGM_RSRC2:TGID_X_EN: 1
; COMPUTE_PGM_RSRC2:TGID_Y_EN: 0
; COMPUTE_PGM_RSRC2:TGID_Z_EN: 0
; COMPUTE_PGM_RSRC2:TIDIG_COMP_CNT: 0
	.section	.text._ZN7rocprim17ROCPRIM_400000_NS6detail17trampoline_kernelINS0_14default_configENS1_27upper_bound_config_selectorIdlEEZNS1_14transform_implILb0ES3_S5_N6thrust23THRUST_200600_302600_NS6detail15normal_iteratorINS8_7pointerIdNS8_11hip_rocprim5par_tENS8_11use_defaultESE_EEEENSA_INSB_IlSD_SE_SE_EEEEZNS1_13binary_searchIS3_S5_NSA_INS8_10device_ptrIdEEEESG_SI_NS1_21upper_bound_search_opENS9_16wrapped_functionINS8_6system6detail7generic6detail18binary_search_lessEbEEEE10hipError_tPvRmT1_T2_T3_mmT4_T5_P12ihipStream_tbEUlRKdE_EESV_SZ_S10_mS11_S14_bEUlT_E_NS1_11comp_targetILNS1_3genE0ELNS1_11target_archE4294967295ELNS1_3gpuE0ELNS1_3repE0EEENS1_30default_config_static_selectorELNS0_4arch9wavefront6targetE0EEEvSY_,"axG",@progbits,_ZN7rocprim17ROCPRIM_400000_NS6detail17trampoline_kernelINS0_14default_configENS1_27upper_bound_config_selectorIdlEEZNS1_14transform_implILb0ES3_S5_N6thrust23THRUST_200600_302600_NS6detail15normal_iteratorINS8_7pointerIdNS8_11hip_rocprim5par_tENS8_11use_defaultESE_EEEENSA_INSB_IlSD_SE_SE_EEEEZNS1_13binary_searchIS3_S5_NSA_INS8_10device_ptrIdEEEESG_SI_NS1_21upper_bound_search_opENS9_16wrapped_functionINS8_6system6detail7generic6detail18binary_search_lessEbEEEE10hipError_tPvRmT1_T2_T3_mmT4_T5_P12ihipStream_tbEUlRKdE_EESV_SZ_S10_mS11_S14_bEUlT_E_NS1_11comp_targetILNS1_3genE0ELNS1_11target_archE4294967295ELNS1_3gpuE0ELNS1_3repE0EEENS1_30default_config_static_selectorELNS0_4arch9wavefront6targetE0EEEvSY_,comdat
	.protected	_ZN7rocprim17ROCPRIM_400000_NS6detail17trampoline_kernelINS0_14default_configENS1_27upper_bound_config_selectorIdlEEZNS1_14transform_implILb0ES3_S5_N6thrust23THRUST_200600_302600_NS6detail15normal_iteratorINS8_7pointerIdNS8_11hip_rocprim5par_tENS8_11use_defaultESE_EEEENSA_INSB_IlSD_SE_SE_EEEEZNS1_13binary_searchIS3_S5_NSA_INS8_10device_ptrIdEEEESG_SI_NS1_21upper_bound_search_opENS9_16wrapped_functionINS8_6system6detail7generic6detail18binary_search_lessEbEEEE10hipError_tPvRmT1_T2_T3_mmT4_T5_P12ihipStream_tbEUlRKdE_EESV_SZ_S10_mS11_S14_bEUlT_E_NS1_11comp_targetILNS1_3genE0ELNS1_11target_archE4294967295ELNS1_3gpuE0ELNS1_3repE0EEENS1_30default_config_static_selectorELNS0_4arch9wavefront6targetE0EEEvSY_ ; -- Begin function _ZN7rocprim17ROCPRIM_400000_NS6detail17trampoline_kernelINS0_14default_configENS1_27upper_bound_config_selectorIdlEEZNS1_14transform_implILb0ES3_S5_N6thrust23THRUST_200600_302600_NS6detail15normal_iteratorINS8_7pointerIdNS8_11hip_rocprim5par_tENS8_11use_defaultESE_EEEENSA_INSB_IlSD_SE_SE_EEEEZNS1_13binary_searchIS3_S5_NSA_INS8_10device_ptrIdEEEESG_SI_NS1_21upper_bound_search_opENS9_16wrapped_functionINS8_6system6detail7generic6detail18binary_search_lessEbEEEE10hipError_tPvRmT1_T2_T3_mmT4_T5_P12ihipStream_tbEUlRKdE_EESV_SZ_S10_mS11_S14_bEUlT_E_NS1_11comp_targetILNS1_3genE0ELNS1_11target_archE4294967295ELNS1_3gpuE0ELNS1_3repE0EEENS1_30default_config_static_selectorELNS0_4arch9wavefront6targetE0EEEvSY_
	.globl	_ZN7rocprim17ROCPRIM_400000_NS6detail17trampoline_kernelINS0_14default_configENS1_27upper_bound_config_selectorIdlEEZNS1_14transform_implILb0ES3_S5_N6thrust23THRUST_200600_302600_NS6detail15normal_iteratorINS8_7pointerIdNS8_11hip_rocprim5par_tENS8_11use_defaultESE_EEEENSA_INSB_IlSD_SE_SE_EEEEZNS1_13binary_searchIS3_S5_NSA_INS8_10device_ptrIdEEEESG_SI_NS1_21upper_bound_search_opENS9_16wrapped_functionINS8_6system6detail7generic6detail18binary_search_lessEbEEEE10hipError_tPvRmT1_T2_T3_mmT4_T5_P12ihipStream_tbEUlRKdE_EESV_SZ_S10_mS11_S14_bEUlT_E_NS1_11comp_targetILNS1_3genE0ELNS1_11target_archE4294967295ELNS1_3gpuE0ELNS1_3repE0EEENS1_30default_config_static_selectorELNS0_4arch9wavefront6targetE0EEEvSY_
	.p2align	8
	.type	_ZN7rocprim17ROCPRIM_400000_NS6detail17trampoline_kernelINS0_14default_configENS1_27upper_bound_config_selectorIdlEEZNS1_14transform_implILb0ES3_S5_N6thrust23THRUST_200600_302600_NS6detail15normal_iteratorINS8_7pointerIdNS8_11hip_rocprim5par_tENS8_11use_defaultESE_EEEENSA_INSB_IlSD_SE_SE_EEEEZNS1_13binary_searchIS3_S5_NSA_INS8_10device_ptrIdEEEESG_SI_NS1_21upper_bound_search_opENS9_16wrapped_functionINS8_6system6detail7generic6detail18binary_search_lessEbEEEE10hipError_tPvRmT1_T2_T3_mmT4_T5_P12ihipStream_tbEUlRKdE_EESV_SZ_S10_mS11_S14_bEUlT_E_NS1_11comp_targetILNS1_3genE0ELNS1_11target_archE4294967295ELNS1_3gpuE0ELNS1_3repE0EEENS1_30default_config_static_selectorELNS0_4arch9wavefront6targetE0EEEvSY_,@function
_ZN7rocprim17ROCPRIM_400000_NS6detail17trampoline_kernelINS0_14default_configENS1_27upper_bound_config_selectorIdlEEZNS1_14transform_implILb0ES3_S5_N6thrust23THRUST_200600_302600_NS6detail15normal_iteratorINS8_7pointerIdNS8_11hip_rocprim5par_tENS8_11use_defaultESE_EEEENSA_INSB_IlSD_SE_SE_EEEEZNS1_13binary_searchIS3_S5_NSA_INS8_10device_ptrIdEEEESG_SI_NS1_21upper_bound_search_opENS9_16wrapped_functionINS8_6system6detail7generic6detail18binary_search_lessEbEEEE10hipError_tPvRmT1_T2_T3_mmT4_T5_P12ihipStream_tbEUlRKdE_EESV_SZ_S10_mS11_S14_bEUlT_E_NS1_11comp_targetILNS1_3genE0ELNS1_11target_archE4294967295ELNS1_3gpuE0ELNS1_3repE0EEENS1_30default_config_static_selectorELNS0_4arch9wavefront6targetE0EEEvSY_: ; @_ZN7rocprim17ROCPRIM_400000_NS6detail17trampoline_kernelINS0_14default_configENS1_27upper_bound_config_selectorIdlEEZNS1_14transform_implILb0ES3_S5_N6thrust23THRUST_200600_302600_NS6detail15normal_iteratorINS8_7pointerIdNS8_11hip_rocprim5par_tENS8_11use_defaultESE_EEEENSA_INSB_IlSD_SE_SE_EEEEZNS1_13binary_searchIS3_S5_NSA_INS8_10device_ptrIdEEEESG_SI_NS1_21upper_bound_search_opENS9_16wrapped_functionINS8_6system6detail7generic6detail18binary_search_lessEbEEEE10hipError_tPvRmT1_T2_T3_mmT4_T5_P12ihipStream_tbEUlRKdE_EESV_SZ_S10_mS11_S14_bEUlT_E_NS1_11comp_targetILNS1_3genE0ELNS1_11target_archE4294967295ELNS1_3gpuE0ELNS1_3repE0EEENS1_30default_config_static_selectorELNS0_4arch9wavefront6targetE0EEEvSY_
; %bb.0:
	.section	.rodata,"a",@progbits
	.p2align	6, 0x0
	.amdhsa_kernel _ZN7rocprim17ROCPRIM_400000_NS6detail17trampoline_kernelINS0_14default_configENS1_27upper_bound_config_selectorIdlEEZNS1_14transform_implILb0ES3_S5_N6thrust23THRUST_200600_302600_NS6detail15normal_iteratorINS8_7pointerIdNS8_11hip_rocprim5par_tENS8_11use_defaultESE_EEEENSA_INSB_IlSD_SE_SE_EEEEZNS1_13binary_searchIS3_S5_NSA_INS8_10device_ptrIdEEEESG_SI_NS1_21upper_bound_search_opENS9_16wrapped_functionINS8_6system6detail7generic6detail18binary_search_lessEbEEEE10hipError_tPvRmT1_T2_T3_mmT4_T5_P12ihipStream_tbEUlRKdE_EESV_SZ_S10_mS11_S14_bEUlT_E_NS1_11comp_targetILNS1_3genE0ELNS1_11target_archE4294967295ELNS1_3gpuE0ELNS1_3repE0EEENS1_30default_config_static_selectorELNS0_4arch9wavefront6targetE0EEEvSY_
		.amdhsa_group_segment_fixed_size 0
		.amdhsa_private_segment_fixed_size 0
		.amdhsa_kernarg_size 56
		.amdhsa_user_sgpr_count 6
		.amdhsa_user_sgpr_private_segment_buffer 1
		.amdhsa_user_sgpr_dispatch_ptr 0
		.amdhsa_user_sgpr_queue_ptr 0
		.amdhsa_user_sgpr_kernarg_segment_ptr 1
		.amdhsa_user_sgpr_dispatch_id 0
		.amdhsa_user_sgpr_flat_scratch_init 0
		.amdhsa_user_sgpr_private_segment_size 0
		.amdhsa_wavefront_size32 1
		.amdhsa_uses_dynamic_stack 0
		.amdhsa_system_sgpr_private_segment_wavefront_offset 0
		.amdhsa_system_sgpr_workgroup_id_x 1
		.amdhsa_system_sgpr_workgroup_id_y 0
		.amdhsa_system_sgpr_workgroup_id_z 0
		.amdhsa_system_sgpr_workgroup_info 0
		.amdhsa_system_vgpr_workitem_id 0
		.amdhsa_next_free_vgpr 1
		.amdhsa_next_free_sgpr 1
		.amdhsa_reserve_vcc 0
		.amdhsa_reserve_flat_scratch 0
		.amdhsa_float_round_mode_32 0
		.amdhsa_float_round_mode_16_64 0
		.amdhsa_float_denorm_mode_32 3
		.amdhsa_float_denorm_mode_16_64 3
		.amdhsa_dx10_clamp 1
		.amdhsa_ieee_mode 1
		.amdhsa_fp16_overflow 0
		.amdhsa_workgroup_processor_mode 1
		.amdhsa_memory_ordered 1
		.amdhsa_forward_progress 1
		.amdhsa_shared_vgpr_count 0
		.amdhsa_exception_fp_ieee_invalid_op 0
		.amdhsa_exception_fp_denorm_src 0
		.amdhsa_exception_fp_ieee_div_zero 0
		.amdhsa_exception_fp_ieee_overflow 0
		.amdhsa_exception_fp_ieee_underflow 0
		.amdhsa_exception_fp_ieee_inexact 0
		.amdhsa_exception_int_div_zero 0
	.end_amdhsa_kernel
	.section	.text._ZN7rocprim17ROCPRIM_400000_NS6detail17trampoline_kernelINS0_14default_configENS1_27upper_bound_config_selectorIdlEEZNS1_14transform_implILb0ES3_S5_N6thrust23THRUST_200600_302600_NS6detail15normal_iteratorINS8_7pointerIdNS8_11hip_rocprim5par_tENS8_11use_defaultESE_EEEENSA_INSB_IlSD_SE_SE_EEEEZNS1_13binary_searchIS3_S5_NSA_INS8_10device_ptrIdEEEESG_SI_NS1_21upper_bound_search_opENS9_16wrapped_functionINS8_6system6detail7generic6detail18binary_search_lessEbEEEE10hipError_tPvRmT1_T2_T3_mmT4_T5_P12ihipStream_tbEUlRKdE_EESV_SZ_S10_mS11_S14_bEUlT_E_NS1_11comp_targetILNS1_3genE0ELNS1_11target_archE4294967295ELNS1_3gpuE0ELNS1_3repE0EEENS1_30default_config_static_selectorELNS0_4arch9wavefront6targetE0EEEvSY_,"axG",@progbits,_ZN7rocprim17ROCPRIM_400000_NS6detail17trampoline_kernelINS0_14default_configENS1_27upper_bound_config_selectorIdlEEZNS1_14transform_implILb0ES3_S5_N6thrust23THRUST_200600_302600_NS6detail15normal_iteratorINS8_7pointerIdNS8_11hip_rocprim5par_tENS8_11use_defaultESE_EEEENSA_INSB_IlSD_SE_SE_EEEEZNS1_13binary_searchIS3_S5_NSA_INS8_10device_ptrIdEEEESG_SI_NS1_21upper_bound_search_opENS9_16wrapped_functionINS8_6system6detail7generic6detail18binary_search_lessEbEEEE10hipError_tPvRmT1_T2_T3_mmT4_T5_P12ihipStream_tbEUlRKdE_EESV_SZ_S10_mS11_S14_bEUlT_E_NS1_11comp_targetILNS1_3genE0ELNS1_11target_archE4294967295ELNS1_3gpuE0ELNS1_3repE0EEENS1_30default_config_static_selectorELNS0_4arch9wavefront6targetE0EEEvSY_,comdat
.Lfunc_end500:
	.size	_ZN7rocprim17ROCPRIM_400000_NS6detail17trampoline_kernelINS0_14default_configENS1_27upper_bound_config_selectorIdlEEZNS1_14transform_implILb0ES3_S5_N6thrust23THRUST_200600_302600_NS6detail15normal_iteratorINS8_7pointerIdNS8_11hip_rocprim5par_tENS8_11use_defaultESE_EEEENSA_INSB_IlSD_SE_SE_EEEEZNS1_13binary_searchIS3_S5_NSA_INS8_10device_ptrIdEEEESG_SI_NS1_21upper_bound_search_opENS9_16wrapped_functionINS8_6system6detail7generic6detail18binary_search_lessEbEEEE10hipError_tPvRmT1_T2_T3_mmT4_T5_P12ihipStream_tbEUlRKdE_EESV_SZ_S10_mS11_S14_bEUlT_E_NS1_11comp_targetILNS1_3genE0ELNS1_11target_archE4294967295ELNS1_3gpuE0ELNS1_3repE0EEENS1_30default_config_static_selectorELNS0_4arch9wavefront6targetE0EEEvSY_, .Lfunc_end500-_ZN7rocprim17ROCPRIM_400000_NS6detail17trampoline_kernelINS0_14default_configENS1_27upper_bound_config_selectorIdlEEZNS1_14transform_implILb0ES3_S5_N6thrust23THRUST_200600_302600_NS6detail15normal_iteratorINS8_7pointerIdNS8_11hip_rocprim5par_tENS8_11use_defaultESE_EEEENSA_INSB_IlSD_SE_SE_EEEEZNS1_13binary_searchIS3_S5_NSA_INS8_10device_ptrIdEEEESG_SI_NS1_21upper_bound_search_opENS9_16wrapped_functionINS8_6system6detail7generic6detail18binary_search_lessEbEEEE10hipError_tPvRmT1_T2_T3_mmT4_T5_P12ihipStream_tbEUlRKdE_EESV_SZ_S10_mS11_S14_bEUlT_E_NS1_11comp_targetILNS1_3genE0ELNS1_11target_archE4294967295ELNS1_3gpuE0ELNS1_3repE0EEENS1_30default_config_static_selectorELNS0_4arch9wavefront6targetE0EEEvSY_
                                        ; -- End function
	.set _ZN7rocprim17ROCPRIM_400000_NS6detail17trampoline_kernelINS0_14default_configENS1_27upper_bound_config_selectorIdlEEZNS1_14transform_implILb0ES3_S5_N6thrust23THRUST_200600_302600_NS6detail15normal_iteratorINS8_7pointerIdNS8_11hip_rocprim5par_tENS8_11use_defaultESE_EEEENSA_INSB_IlSD_SE_SE_EEEEZNS1_13binary_searchIS3_S5_NSA_INS8_10device_ptrIdEEEESG_SI_NS1_21upper_bound_search_opENS9_16wrapped_functionINS8_6system6detail7generic6detail18binary_search_lessEbEEEE10hipError_tPvRmT1_T2_T3_mmT4_T5_P12ihipStream_tbEUlRKdE_EESV_SZ_S10_mS11_S14_bEUlT_E_NS1_11comp_targetILNS1_3genE0ELNS1_11target_archE4294967295ELNS1_3gpuE0ELNS1_3repE0EEENS1_30default_config_static_selectorELNS0_4arch9wavefront6targetE0EEEvSY_.num_vgpr, 0
	.set _ZN7rocprim17ROCPRIM_400000_NS6detail17trampoline_kernelINS0_14default_configENS1_27upper_bound_config_selectorIdlEEZNS1_14transform_implILb0ES3_S5_N6thrust23THRUST_200600_302600_NS6detail15normal_iteratorINS8_7pointerIdNS8_11hip_rocprim5par_tENS8_11use_defaultESE_EEEENSA_INSB_IlSD_SE_SE_EEEEZNS1_13binary_searchIS3_S5_NSA_INS8_10device_ptrIdEEEESG_SI_NS1_21upper_bound_search_opENS9_16wrapped_functionINS8_6system6detail7generic6detail18binary_search_lessEbEEEE10hipError_tPvRmT1_T2_T3_mmT4_T5_P12ihipStream_tbEUlRKdE_EESV_SZ_S10_mS11_S14_bEUlT_E_NS1_11comp_targetILNS1_3genE0ELNS1_11target_archE4294967295ELNS1_3gpuE0ELNS1_3repE0EEENS1_30default_config_static_selectorELNS0_4arch9wavefront6targetE0EEEvSY_.num_agpr, 0
	.set _ZN7rocprim17ROCPRIM_400000_NS6detail17trampoline_kernelINS0_14default_configENS1_27upper_bound_config_selectorIdlEEZNS1_14transform_implILb0ES3_S5_N6thrust23THRUST_200600_302600_NS6detail15normal_iteratorINS8_7pointerIdNS8_11hip_rocprim5par_tENS8_11use_defaultESE_EEEENSA_INSB_IlSD_SE_SE_EEEEZNS1_13binary_searchIS3_S5_NSA_INS8_10device_ptrIdEEEESG_SI_NS1_21upper_bound_search_opENS9_16wrapped_functionINS8_6system6detail7generic6detail18binary_search_lessEbEEEE10hipError_tPvRmT1_T2_T3_mmT4_T5_P12ihipStream_tbEUlRKdE_EESV_SZ_S10_mS11_S14_bEUlT_E_NS1_11comp_targetILNS1_3genE0ELNS1_11target_archE4294967295ELNS1_3gpuE0ELNS1_3repE0EEENS1_30default_config_static_selectorELNS0_4arch9wavefront6targetE0EEEvSY_.numbered_sgpr, 0
	.set _ZN7rocprim17ROCPRIM_400000_NS6detail17trampoline_kernelINS0_14default_configENS1_27upper_bound_config_selectorIdlEEZNS1_14transform_implILb0ES3_S5_N6thrust23THRUST_200600_302600_NS6detail15normal_iteratorINS8_7pointerIdNS8_11hip_rocprim5par_tENS8_11use_defaultESE_EEEENSA_INSB_IlSD_SE_SE_EEEEZNS1_13binary_searchIS3_S5_NSA_INS8_10device_ptrIdEEEESG_SI_NS1_21upper_bound_search_opENS9_16wrapped_functionINS8_6system6detail7generic6detail18binary_search_lessEbEEEE10hipError_tPvRmT1_T2_T3_mmT4_T5_P12ihipStream_tbEUlRKdE_EESV_SZ_S10_mS11_S14_bEUlT_E_NS1_11comp_targetILNS1_3genE0ELNS1_11target_archE4294967295ELNS1_3gpuE0ELNS1_3repE0EEENS1_30default_config_static_selectorELNS0_4arch9wavefront6targetE0EEEvSY_.num_named_barrier, 0
	.set _ZN7rocprim17ROCPRIM_400000_NS6detail17trampoline_kernelINS0_14default_configENS1_27upper_bound_config_selectorIdlEEZNS1_14transform_implILb0ES3_S5_N6thrust23THRUST_200600_302600_NS6detail15normal_iteratorINS8_7pointerIdNS8_11hip_rocprim5par_tENS8_11use_defaultESE_EEEENSA_INSB_IlSD_SE_SE_EEEEZNS1_13binary_searchIS3_S5_NSA_INS8_10device_ptrIdEEEESG_SI_NS1_21upper_bound_search_opENS9_16wrapped_functionINS8_6system6detail7generic6detail18binary_search_lessEbEEEE10hipError_tPvRmT1_T2_T3_mmT4_T5_P12ihipStream_tbEUlRKdE_EESV_SZ_S10_mS11_S14_bEUlT_E_NS1_11comp_targetILNS1_3genE0ELNS1_11target_archE4294967295ELNS1_3gpuE0ELNS1_3repE0EEENS1_30default_config_static_selectorELNS0_4arch9wavefront6targetE0EEEvSY_.private_seg_size, 0
	.set _ZN7rocprim17ROCPRIM_400000_NS6detail17trampoline_kernelINS0_14default_configENS1_27upper_bound_config_selectorIdlEEZNS1_14transform_implILb0ES3_S5_N6thrust23THRUST_200600_302600_NS6detail15normal_iteratorINS8_7pointerIdNS8_11hip_rocprim5par_tENS8_11use_defaultESE_EEEENSA_INSB_IlSD_SE_SE_EEEEZNS1_13binary_searchIS3_S5_NSA_INS8_10device_ptrIdEEEESG_SI_NS1_21upper_bound_search_opENS9_16wrapped_functionINS8_6system6detail7generic6detail18binary_search_lessEbEEEE10hipError_tPvRmT1_T2_T3_mmT4_T5_P12ihipStream_tbEUlRKdE_EESV_SZ_S10_mS11_S14_bEUlT_E_NS1_11comp_targetILNS1_3genE0ELNS1_11target_archE4294967295ELNS1_3gpuE0ELNS1_3repE0EEENS1_30default_config_static_selectorELNS0_4arch9wavefront6targetE0EEEvSY_.uses_vcc, 0
	.set _ZN7rocprim17ROCPRIM_400000_NS6detail17trampoline_kernelINS0_14default_configENS1_27upper_bound_config_selectorIdlEEZNS1_14transform_implILb0ES3_S5_N6thrust23THRUST_200600_302600_NS6detail15normal_iteratorINS8_7pointerIdNS8_11hip_rocprim5par_tENS8_11use_defaultESE_EEEENSA_INSB_IlSD_SE_SE_EEEEZNS1_13binary_searchIS3_S5_NSA_INS8_10device_ptrIdEEEESG_SI_NS1_21upper_bound_search_opENS9_16wrapped_functionINS8_6system6detail7generic6detail18binary_search_lessEbEEEE10hipError_tPvRmT1_T2_T3_mmT4_T5_P12ihipStream_tbEUlRKdE_EESV_SZ_S10_mS11_S14_bEUlT_E_NS1_11comp_targetILNS1_3genE0ELNS1_11target_archE4294967295ELNS1_3gpuE0ELNS1_3repE0EEENS1_30default_config_static_selectorELNS0_4arch9wavefront6targetE0EEEvSY_.uses_flat_scratch, 0
	.set _ZN7rocprim17ROCPRIM_400000_NS6detail17trampoline_kernelINS0_14default_configENS1_27upper_bound_config_selectorIdlEEZNS1_14transform_implILb0ES3_S5_N6thrust23THRUST_200600_302600_NS6detail15normal_iteratorINS8_7pointerIdNS8_11hip_rocprim5par_tENS8_11use_defaultESE_EEEENSA_INSB_IlSD_SE_SE_EEEEZNS1_13binary_searchIS3_S5_NSA_INS8_10device_ptrIdEEEESG_SI_NS1_21upper_bound_search_opENS9_16wrapped_functionINS8_6system6detail7generic6detail18binary_search_lessEbEEEE10hipError_tPvRmT1_T2_T3_mmT4_T5_P12ihipStream_tbEUlRKdE_EESV_SZ_S10_mS11_S14_bEUlT_E_NS1_11comp_targetILNS1_3genE0ELNS1_11target_archE4294967295ELNS1_3gpuE0ELNS1_3repE0EEENS1_30default_config_static_selectorELNS0_4arch9wavefront6targetE0EEEvSY_.has_dyn_sized_stack, 0
	.set _ZN7rocprim17ROCPRIM_400000_NS6detail17trampoline_kernelINS0_14default_configENS1_27upper_bound_config_selectorIdlEEZNS1_14transform_implILb0ES3_S5_N6thrust23THRUST_200600_302600_NS6detail15normal_iteratorINS8_7pointerIdNS8_11hip_rocprim5par_tENS8_11use_defaultESE_EEEENSA_INSB_IlSD_SE_SE_EEEEZNS1_13binary_searchIS3_S5_NSA_INS8_10device_ptrIdEEEESG_SI_NS1_21upper_bound_search_opENS9_16wrapped_functionINS8_6system6detail7generic6detail18binary_search_lessEbEEEE10hipError_tPvRmT1_T2_T3_mmT4_T5_P12ihipStream_tbEUlRKdE_EESV_SZ_S10_mS11_S14_bEUlT_E_NS1_11comp_targetILNS1_3genE0ELNS1_11target_archE4294967295ELNS1_3gpuE0ELNS1_3repE0EEENS1_30default_config_static_selectorELNS0_4arch9wavefront6targetE0EEEvSY_.has_recursion, 0
	.set _ZN7rocprim17ROCPRIM_400000_NS6detail17trampoline_kernelINS0_14default_configENS1_27upper_bound_config_selectorIdlEEZNS1_14transform_implILb0ES3_S5_N6thrust23THRUST_200600_302600_NS6detail15normal_iteratorINS8_7pointerIdNS8_11hip_rocprim5par_tENS8_11use_defaultESE_EEEENSA_INSB_IlSD_SE_SE_EEEEZNS1_13binary_searchIS3_S5_NSA_INS8_10device_ptrIdEEEESG_SI_NS1_21upper_bound_search_opENS9_16wrapped_functionINS8_6system6detail7generic6detail18binary_search_lessEbEEEE10hipError_tPvRmT1_T2_T3_mmT4_T5_P12ihipStream_tbEUlRKdE_EESV_SZ_S10_mS11_S14_bEUlT_E_NS1_11comp_targetILNS1_3genE0ELNS1_11target_archE4294967295ELNS1_3gpuE0ELNS1_3repE0EEENS1_30default_config_static_selectorELNS0_4arch9wavefront6targetE0EEEvSY_.has_indirect_call, 0
	.section	.AMDGPU.csdata,"",@progbits
; Kernel info:
; codeLenInByte = 0
; TotalNumSgprs: 0
; NumVgprs: 0
; ScratchSize: 0
; MemoryBound: 0
; FloatMode: 240
; IeeeMode: 1
; LDSByteSize: 0 bytes/workgroup (compile time only)
; SGPRBlocks: 0
; VGPRBlocks: 0
; NumSGPRsForWavesPerEU: 1
; NumVGPRsForWavesPerEU: 1
; Occupancy: 16
; WaveLimiterHint : 0
; COMPUTE_PGM_RSRC2:SCRATCH_EN: 0
; COMPUTE_PGM_RSRC2:USER_SGPR: 6
; COMPUTE_PGM_RSRC2:TRAP_HANDLER: 0
; COMPUTE_PGM_RSRC2:TGID_X_EN: 1
; COMPUTE_PGM_RSRC2:TGID_Y_EN: 0
; COMPUTE_PGM_RSRC2:TGID_Z_EN: 0
; COMPUTE_PGM_RSRC2:TIDIG_COMP_CNT: 0
	.section	.text._ZN7rocprim17ROCPRIM_400000_NS6detail17trampoline_kernelINS0_14default_configENS1_27upper_bound_config_selectorIdlEEZNS1_14transform_implILb0ES3_S5_N6thrust23THRUST_200600_302600_NS6detail15normal_iteratorINS8_7pointerIdNS8_11hip_rocprim5par_tENS8_11use_defaultESE_EEEENSA_INSB_IlSD_SE_SE_EEEEZNS1_13binary_searchIS3_S5_NSA_INS8_10device_ptrIdEEEESG_SI_NS1_21upper_bound_search_opENS9_16wrapped_functionINS8_6system6detail7generic6detail18binary_search_lessEbEEEE10hipError_tPvRmT1_T2_T3_mmT4_T5_P12ihipStream_tbEUlRKdE_EESV_SZ_S10_mS11_S14_bEUlT_E_NS1_11comp_targetILNS1_3genE5ELNS1_11target_archE942ELNS1_3gpuE9ELNS1_3repE0EEENS1_30default_config_static_selectorELNS0_4arch9wavefront6targetE0EEEvSY_,"axG",@progbits,_ZN7rocprim17ROCPRIM_400000_NS6detail17trampoline_kernelINS0_14default_configENS1_27upper_bound_config_selectorIdlEEZNS1_14transform_implILb0ES3_S5_N6thrust23THRUST_200600_302600_NS6detail15normal_iteratorINS8_7pointerIdNS8_11hip_rocprim5par_tENS8_11use_defaultESE_EEEENSA_INSB_IlSD_SE_SE_EEEEZNS1_13binary_searchIS3_S5_NSA_INS8_10device_ptrIdEEEESG_SI_NS1_21upper_bound_search_opENS9_16wrapped_functionINS8_6system6detail7generic6detail18binary_search_lessEbEEEE10hipError_tPvRmT1_T2_T3_mmT4_T5_P12ihipStream_tbEUlRKdE_EESV_SZ_S10_mS11_S14_bEUlT_E_NS1_11comp_targetILNS1_3genE5ELNS1_11target_archE942ELNS1_3gpuE9ELNS1_3repE0EEENS1_30default_config_static_selectorELNS0_4arch9wavefront6targetE0EEEvSY_,comdat
	.protected	_ZN7rocprim17ROCPRIM_400000_NS6detail17trampoline_kernelINS0_14default_configENS1_27upper_bound_config_selectorIdlEEZNS1_14transform_implILb0ES3_S5_N6thrust23THRUST_200600_302600_NS6detail15normal_iteratorINS8_7pointerIdNS8_11hip_rocprim5par_tENS8_11use_defaultESE_EEEENSA_INSB_IlSD_SE_SE_EEEEZNS1_13binary_searchIS3_S5_NSA_INS8_10device_ptrIdEEEESG_SI_NS1_21upper_bound_search_opENS9_16wrapped_functionINS8_6system6detail7generic6detail18binary_search_lessEbEEEE10hipError_tPvRmT1_T2_T3_mmT4_T5_P12ihipStream_tbEUlRKdE_EESV_SZ_S10_mS11_S14_bEUlT_E_NS1_11comp_targetILNS1_3genE5ELNS1_11target_archE942ELNS1_3gpuE9ELNS1_3repE0EEENS1_30default_config_static_selectorELNS0_4arch9wavefront6targetE0EEEvSY_ ; -- Begin function _ZN7rocprim17ROCPRIM_400000_NS6detail17trampoline_kernelINS0_14default_configENS1_27upper_bound_config_selectorIdlEEZNS1_14transform_implILb0ES3_S5_N6thrust23THRUST_200600_302600_NS6detail15normal_iteratorINS8_7pointerIdNS8_11hip_rocprim5par_tENS8_11use_defaultESE_EEEENSA_INSB_IlSD_SE_SE_EEEEZNS1_13binary_searchIS3_S5_NSA_INS8_10device_ptrIdEEEESG_SI_NS1_21upper_bound_search_opENS9_16wrapped_functionINS8_6system6detail7generic6detail18binary_search_lessEbEEEE10hipError_tPvRmT1_T2_T3_mmT4_T5_P12ihipStream_tbEUlRKdE_EESV_SZ_S10_mS11_S14_bEUlT_E_NS1_11comp_targetILNS1_3genE5ELNS1_11target_archE942ELNS1_3gpuE9ELNS1_3repE0EEENS1_30default_config_static_selectorELNS0_4arch9wavefront6targetE0EEEvSY_
	.globl	_ZN7rocprim17ROCPRIM_400000_NS6detail17trampoline_kernelINS0_14default_configENS1_27upper_bound_config_selectorIdlEEZNS1_14transform_implILb0ES3_S5_N6thrust23THRUST_200600_302600_NS6detail15normal_iteratorINS8_7pointerIdNS8_11hip_rocprim5par_tENS8_11use_defaultESE_EEEENSA_INSB_IlSD_SE_SE_EEEEZNS1_13binary_searchIS3_S5_NSA_INS8_10device_ptrIdEEEESG_SI_NS1_21upper_bound_search_opENS9_16wrapped_functionINS8_6system6detail7generic6detail18binary_search_lessEbEEEE10hipError_tPvRmT1_T2_T3_mmT4_T5_P12ihipStream_tbEUlRKdE_EESV_SZ_S10_mS11_S14_bEUlT_E_NS1_11comp_targetILNS1_3genE5ELNS1_11target_archE942ELNS1_3gpuE9ELNS1_3repE0EEENS1_30default_config_static_selectorELNS0_4arch9wavefront6targetE0EEEvSY_
	.p2align	8
	.type	_ZN7rocprim17ROCPRIM_400000_NS6detail17trampoline_kernelINS0_14default_configENS1_27upper_bound_config_selectorIdlEEZNS1_14transform_implILb0ES3_S5_N6thrust23THRUST_200600_302600_NS6detail15normal_iteratorINS8_7pointerIdNS8_11hip_rocprim5par_tENS8_11use_defaultESE_EEEENSA_INSB_IlSD_SE_SE_EEEEZNS1_13binary_searchIS3_S5_NSA_INS8_10device_ptrIdEEEESG_SI_NS1_21upper_bound_search_opENS9_16wrapped_functionINS8_6system6detail7generic6detail18binary_search_lessEbEEEE10hipError_tPvRmT1_T2_T3_mmT4_T5_P12ihipStream_tbEUlRKdE_EESV_SZ_S10_mS11_S14_bEUlT_E_NS1_11comp_targetILNS1_3genE5ELNS1_11target_archE942ELNS1_3gpuE9ELNS1_3repE0EEENS1_30default_config_static_selectorELNS0_4arch9wavefront6targetE0EEEvSY_,@function
_ZN7rocprim17ROCPRIM_400000_NS6detail17trampoline_kernelINS0_14default_configENS1_27upper_bound_config_selectorIdlEEZNS1_14transform_implILb0ES3_S5_N6thrust23THRUST_200600_302600_NS6detail15normal_iteratorINS8_7pointerIdNS8_11hip_rocprim5par_tENS8_11use_defaultESE_EEEENSA_INSB_IlSD_SE_SE_EEEEZNS1_13binary_searchIS3_S5_NSA_INS8_10device_ptrIdEEEESG_SI_NS1_21upper_bound_search_opENS9_16wrapped_functionINS8_6system6detail7generic6detail18binary_search_lessEbEEEE10hipError_tPvRmT1_T2_T3_mmT4_T5_P12ihipStream_tbEUlRKdE_EESV_SZ_S10_mS11_S14_bEUlT_E_NS1_11comp_targetILNS1_3genE5ELNS1_11target_archE942ELNS1_3gpuE9ELNS1_3repE0EEENS1_30default_config_static_selectorELNS0_4arch9wavefront6targetE0EEEvSY_: ; @_ZN7rocprim17ROCPRIM_400000_NS6detail17trampoline_kernelINS0_14default_configENS1_27upper_bound_config_selectorIdlEEZNS1_14transform_implILb0ES3_S5_N6thrust23THRUST_200600_302600_NS6detail15normal_iteratorINS8_7pointerIdNS8_11hip_rocprim5par_tENS8_11use_defaultESE_EEEENSA_INSB_IlSD_SE_SE_EEEEZNS1_13binary_searchIS3_S5_NSA_INS8_10device_ptrIdEEEESG_SI_NS1_21upper_bound_search_opENS9_16wrapped_functionINS8_6system6detail7generic6detail18binary_search_lessEbEEEE10hipError_tPvRmT1_T2_T3_mmT4_T5_P12ihipStream_tbEUlRKdE_EESV_SZ_S10_mS11_S14_bEUlT_E_NS1_11comp_targetILNS1_3genE5ELNS1_11target_archE942ELNS1_3gpuE9ELNS1_3repE0EEENS1_30default_config_static_selectorELNS0_4arch9wavefront6targetE0EEEvSY_
; %bb.0:
	.section	.rodata,"a",@progbits
	.p2align	6, 0x0
	.amdhsa_kernel _ZN7rocprim17ROCPRIM_400000_NS6detail17trampoline_kernelINS0_14default_configENS1_27upper_bound_config_selectorIdlEEZNS1_14transform_implILb0ES3_S5_N6thrust23THRUST_200600_302600_NS6detail15normal_iteratorINS8_7pointerIdNS8_11hip_rocprim5par_tENS8_11use_defaultESE_EEEENSA_INSB_IlSD_SE_SE_EEEEZNS1_13binary_searchIS3_S5_NSA_INS8_10device_ptrIdEEEESG_SI_NS1_21upper_bound_search_opENS9_16wrapped_functionINS8_6system6detail7generic6detail18binary_search_lessEbEEEE10hipError_tPvRmT1_T2_T3_mmT4_T5_P12ihipStream_tbEUlRKdE_EESV_SZ_S10_mS11_S14_bEUlT_E_NS1_11comp_targetILNS1_3genE5ELNS1_11target_archE942ELNS1_3gpuE9ELNS1_3repE0EEENS1_30default_config_static_selectorELNS0_4arch9wavefront6targetE0EEEvSY_
		.amdhsa_group_segment_fixed_size 0
		.amdhsa_private_segment_fixed_size 0
		.amdhsa_kernarg_size 56
		.amdhsa_user_sgpr_count 6
		.amdhsa_user_sgpr_private_segment_buffer 1
		.amdhsa_user_sgpr_dispatch_ptr 0
		.amdhsa_user_sgpr_queue_ptr 0
		.amdhsa_user_sgpr_kernarg_segment_ptr 1
		.amdhsa_user_sgpr_dispatch_id 0
		.amdhsa_user_sgpr_flat_scratch_init 0
		.amdhsa_user_sgpr_private_segment_size 0
		.amdhsa_wavefront_size32 1
		.amdhsa_uses_dynamic_stack 0
		.amdhsa_system_sgpr_private_segment_wavefront_offset 0
		.amdhsa_system_sgpr_workgroup_id_x 1
		.amdhsa_system_sgpr_workgroup_id_y 0
		.amdhsa_system_sgpr_workgroup_id_z 0
		.amdhsa_system_sgpr_workgroup_info 0
		.amdhsa_system_vgpr_workitem_id 0
		.amdhsa_next_free_vgpr 1
		.amdhsa_next_free_sgpr 1
		.amdhsa_reserve_vcc 0
		.amdhsa_reserve_flat_scratch 0
		.amdhsa_float_round_mode_32 0
		.amdhsa_float_round_mode_16_64 0
		.amdhsa_float_denorm_mode_32 3
		.amdhsa_float_denorm_mode_16_64 3
		.amdhsa_dx10_clamp 1
		.amdhsa_ieee_mode 1
		.amdhsa_fp16_overflow 0
		.amdhsa_workgroup_processor_mode 1
		.amdhsa_memory_ordered 1
		.amdhsa_forward_progress 1
		.amdhsa_shared_vgpr_count 0
		.amdhsa_exception_fp_ieee_invalid_op 0
		.amdhsa_exception_fp_denorm_src 0
		.amdhsa_exception_fp_ieee_div_zero 0
		.amdhsa_exception_fp_ieee_overflow 0
		.amdhsa_exception_fp_ieee_underflow 0
		.amdhsa_exception_fp_ieee_inexact 0
		.amdhsa_exception_int_div_zero 0
	.end_amdhsa_kernel
	.section	.text._ZN7rocprim17ROCPRIM_400000_NS6detail17trampoline_kernelINS0_14default_configENS1_27upper_bound_config_selectorIdlEEZNS1_14transform_implILb0ES3_S5_N6thrust23THRUST_200600_302600_NS6detail15normal_iteratorINS8_7pointerIdNS8_11hip_rocprim5par_tENS8_11use_defaultESE_EEEENSA_INSB_IlSD_SE_SE_EEEEZNS1_13binary_searchIS3_S5_NSA_INS8_10device_ptrIdEEEESG_SI_NS1_21upper_bound_search_opENS9_16wrapped_functionINS8_6system6detail7generic6detail18binary_search_lessEbEEEE10hipError_tPvRmT1_T2_T3_mmT4_T5_P12ihipStream_tbEUlRKdE_EESV_SZ_S10_mS11_S14_bEUlT_E_NS1_11comp_targetILNS1_3genE5ELNS1_11target_archE942ELNS1_3gpuE9ELNS1_3repE0EEENS1_30default_config_static_selectorELNS0_4arch9wavefront6targetE0EEEvSY_,"axG",@progbits,_ZN7rocprim17ROCPRIM_400000_NS6detail17trampoline_kernelINS0_14default_configENS1_27upper_bound_config_selectorIdlEEZNS1_14transform_implILb0ES3_S5_N6thrust23THRUST_200600_302600_NS6detail15normal_iteratorINS8_7pointerIdNS8_11hip_rocprim5par_tENS8_11use_defaultESE_EEEENSA_INSB_IlSD_SE_SE_EEEEZNS1_13binary_searchIS3_S5_NSA_INS8_10device_ptrIdEEEESG_SI_NS1_21upper_bound_search_opENS9_16wrapped_functionINS8_6system6detail7generic6detail18binary_search_lessEbEEEE10hipError_tPvRmT1_T2_T3_mmT4_T5_P12ihipStream_tbEUlRKdE_EESV_SZ_S10_mS11_S14_bEUlT_E_NS1_11comp_targetILNS1_3genE5ELNS1_11target_archE942ELNS1_3gpuE9ELNS1_3repE0EEENS1_30default_config_static_selectorELNS0_4arch9wavefront6targetE0EEEvSY_,comdat
.Lfunc_end501:
	.size	_ZN7rocprim17ROCPRIM_400000_NS6detail17trampoline_kernelINS0_14default_configENS1_27upper_bound_config_selectorIdlEEZNS1_14transform_implILb0ES3_S5_N6thrust23THRUST_200600_302600_NS6detail15normal_iteratorINS8_7pointerIdNS8_11hip_rocprim5par_tENS8_11use_defaultESE_EEEENSA_INSB_IlSD_SE_SE_EEEEZNS1_13binary_searchIS3_S5_NSA_INS8_10device_ptrIdEEEESG_SI_NS1_21upper_bound_search_opENS9_16wrapped_functionINS8_6system6detail7generic6detail18binary_search_lessEbEEEE10hipError_tPvRmT1_T2_T3_mmT4_T5_P12ihipStream_tbEUlRKdE_EESV_SZ_S10_mS11_S14_bEUlT_E_NS1_11comp_targetILNS1_3genE5ELNS1_11target_archE942ELNS1_3gpuE9ELNS1_3repE0EEENS1_30default_config_static_selectorELNS0_4arch9wavefront6targetE0EEEvSY_, .Lfunc_end501-_ZN7rocprim17ROCPRIM_400000_NS6detail17trampoline_kernelINS0_14default_configENS1_27upper_bound_config_selectorIdlEEZNS1_14transform_implILb0ES3_S5_N6thrust23THRUST_200600_302600_NS6detail15normal_iteratorINS8_7pointerIdNS8_11hip_rocprim5par_tENS8_11use_defaultESE_EEEENSA_INSB_IlSD_SE_SE_EEEEZNS1_13binary_searchIS3_S5_NSA_INS8_10device_ptrIdEEEESG_SI_NS1_21upper_bound_search_opENS9_16wrapped_functionINS8_6system6detail7generic6detail18binary_search_lessEbEEEE10hipError_tPvRmT1_T2_T3_mmT4_T5_P12ihipStream_tbEUlRKdE_EESV_SZ_S10_mS11_S14_bEUlT_E_NS1_11comp_targetILNS1_3genE5ELNS1_11target_archE942ELNS1_3gpuE9ELNS1_3repE0EEENS1_30default_config_static_selectorELNS0_4arch9wavefront6targetE0EEEvSY_
                                        ; -- End function
	.set _ZN7rocprim17ROCPRIM_400000_NS6detail17trampoline_kernelINS0_14default_configENS1_27upper_bound_config_selectorIdlEEZNS1_14transform_implILb0ES3_S5_N6thrust23THRUST_200600_302600_NS6detail15normal_iteratorINS8_7pointerIdNS8_11hip_rocprim5par_tENS8_11use_defaultESE_EEEENSA_INSB_IlSD_SE_SE_EEEEZNS1_13binary_searchIS3_S5_NSA_INS8_10device_ptrIdEEEESG_SI_NS1_21upper_bound_search_opENS9_16wrapped_functionINS8_6system6detail7generic6detail18binary_search_lessEbEEEE10hipError_tPvRmT1_T2_T3_mmT4_T5_P12ihipStream_tbEUlRKdE_EESV_SZ_S10_mS11_S14_bEUlT_E_NS1_11comp_targetILNS1_3genE5ELNS1_11target_archE942ELNS1_3gpuE9ELNS1_3repE0EEENS1_30default_config_static_selectorELNS0_4arch9wavefront6targetE0EEEvSY_.num_vgpr, 0
	.set _ZN7rocprim17ROCPRIM_400000_NS6detail17trampoline_kernelINS0_14default_configENS1_27upper_bound_config_selectorIdlEEZNS1_14transform_implILb0ES3_S5_N6thrust23THRUST_200600_302600_NS6detail15normal_iteratorINS8_7pointerIdNS8_11hip_rocprim5par_tENS8_11use_defaultESE_EEEENSA_INSB_IlSD_SE_SE_EEEEZNS1_13binary_searchIS3_S5_NSA_INS8_10device_ptrIdEEEESG_SI_NS1_21upper_bound_search_opENS9_16wrapped_functionINS8_6system6detail7generic6detail18binary_search_lessEbEEEE10hipError_tPvRmT1_T2_T3_mmT4_T5_P12ihipStream_tbEUlRKdE_EESV_SZ_S10_mS11_S14_bEUlT_E_NS1_11comp_targetILNS1_3genE5ELNS1_11target_archE942ELNS1_3gpuE9ELNS1_3repE0EEENS1_30default_config_static_selectorELNS0_4arch9wavefront6targetE0EEEvSY_.num_agpr, 0
	.set _ZN7rocprim17ROCPRIM_400000_NS6detail17trampoline_kernelINS0_14default_configENS1_27upper_bound_config_selectorIdlEEZNS1_14transform_implILb0ES3_S5_N6thrust23THRUST_200600_302600_NS6detail15normal_iteratorINS8_7pointerIdNS8_11hip_rocprim5par_tENS8_11use_defaultESE_EEEENSA_INSB_IlSD_SE_SE_EEEEZNS1_13binary_searchIS3_S5_NSA_INS8_10device_ptrIdEEEESG_SI_NS1_21upper_bound_search_opENS9_16wrapped_functionINS8_6system6detail7generic6detail18binary_search_lessEbEEEE10hipError_tPvRmT1_T2_T3_mmT4_T5_P12ihipStream_tbEUlRKdE_EESV_SZ_S10_mS11_S14_bEUlT_E_NS1_11comp_targetILNS1_3genE5ELNS1_11target_archE942ELNS1_3gpuE9ELNS1_3repE0EEENS1_30default_config_static_selectorELNS0_4arch9wavefront6targetE0EEEvSY_.numbered_sgpr, 0
	.set _ZN7rocprim17ROCPRIM_400000_NS6detail17trampoline_kernelINS0_14default_configENS1_27upper_bound_config_selectorIdlEEZNS1_14transform_implILb0ES3_S5_N6thrust23THRUST_200600_302600_NS6detail15normal_iteratorINS8_7pointerIdNS8_11hip_rocprim5par_tENS8_11use_defaultESE_EEEENSA_INSB_IlSD_SE_SE_EEEEZNS1_13binary_searchIS3_S5_NSA_INS8_10device_ptrIdEEEESG_SI_NS1_21upper_bound_search_opENS9_16wrapped_functionINS8_6system6detail7generic6detail18binary_search_lessEbEEEE10hipError_tPvRmT1_T2_T3_mmT4_T5_P12ihipStream_tbEUlRKdE_EESV_SZ_S10_mS11_S14_bEUlT_E_NS1_11comp_targetILNS1_3genE5ELNS1_11target_archE942ELNS1_3gpuE9ELNS1_3repE0EEENS1_30default_config_static_selectorELNS0_4arch9wavefront6targetE0EEEvSY_.num_named_barrier, 0
	.set _ZN7rocprim17ROCPRIM_400000_NS6detail17trampoline_kernelINS0_14default_configENS1_27upper_bound_config_selectorIdlEEZNS1_14transform_implILb0ES3_S5_N6thrust23THRUST_200600_302600_NS6detail15normal_iteratorINS8_7pointerIdNS8_11hip_rocprim5par_tENS8_11use_defaultESE_EEEENSA_INSB_IlSD_SE_SE_EEEEZNS1_13binary_searchIS3_S5_NSA_INS8_10device_ptrIdEEEESG_SI_NS1_21upper_bound_search_opENS9_16wrapped_functionINS8_6system6detail7generic6detail18binary_search_lessEbEEEE10hipError_tPvRmT1_T2_T3_mmT4_T5_P12ihipStream_tbEUlRKdE_EESV_SZ_S10_mS11_S14_bEUlT_E_NS1_11comp_targetILNS1_3genE5ELNS1_11target_archE942ELNS1_3gpuE9ELNS1_3repE0EEENS1_30default_config_static_selectorELNS0_4arch9wavefront6targetE0EEEvSY_.private_seg_size, 0
	.set _ZN7rocprim17ROCPRIM_400000_NS6detail17trampoline_kernelINS0_14default_configENS1_27upper_bound_config_selectorIdlEEZNS1_14transform_implILb0ES3_S5_N6thrust23THRUST_200600_302600_NS6detail15normal_iteratorINS8_7pointerIdNS8_11hip_rocprim5par_tENS8_11use_defaultESE_EEEENSA_INSB_IlSD_SE_SE_EEEEZNS1_13binary_searchIS3_S5_NSA_INS8_10device_ptrIdEEEESG_SI_NS1_21upper_bound_search_opENS9_16wrapped_functionINS8_6system6detail7generic6detail18binary_search_lessEbEEEE10hipError_tPvRmT1_T2_T3_mmT4_T5_P12ihipStream_tbEUlRKdE_EESV_SZ_S10_mS11_S14_bEUlT_E_NS1_11comp_targetILNS1_3genE5ELNS1_11target_archE942ELNS1_3gpuE9ELNS1_3repE0EEENS1_30default_config_static_selectorELNS0_4arch9wavefront6targetE0EEEvSY_.uses_vcc, 0
	.set _ZN7rocprim17ROCPRIM_400000_NS6detail17trampoline_kernelINS0_14default_configENS1_27upper_bound_config_selectorIdlEEZNS1_14transform_implILb0ES3_S5_N6thrust23THRUST_200600_302600_NS6detail15normal_iteratorINS8_7pointerIdNS8_11hip_rocprim5par_tENS8_11use_defaultESE_EEEENSA_INSB_IlSD_SE_SE_EEEEZNS1_13binary_searchIS3_S5_NSA_INS8_10device_ptrIdEEEESG_SI_NS1_21upper_bound_search_opENS9_16wrapped_functionINS8_6system6detail7generic6detail18binary_search_lessEbEEEE10hipError_tPvRmT1_T2_T3_mmT4_T5_P12ihipStream_tbEUlRKdE_EESV_SZ_S10_mS11_S14_bEUlT_E_NS1_11comp_targetILNS1_3genE5ELNS1_11target_archE942ELNS1_3gpuE9ELNS1_3repE0EEENS1_30default_config_static_selectorELNS0_4arch9wavefront6targetE0EEEvSY_.uses_flat_scratch, 0
	.set _ZN7rocprim17ROCPRIM_400000_NS6detail17trampoline_kernelINS0_14default_configENS1_27upper_bound_config_selectorIdlEEZNS1_14transform_implILb0ES3_S5_N6thrust23THRUST_200600_302600_NS6detail15normal_iteratorINS8_7pointerIdNS8_11hip_rocprim5par_tENS8_11use_defaultESE_EEEENSA_INSB_IlSD_SE_SE_EEEEZNS1_13binary_searchIS3_S5_NSA_INS8_10device_ptrIdEEEESG_SI_NS1_21upper_bound_search_opENS9_16wrapped_functionINS8_6system6detail7generic6detail18binary_search_lessEbEEEE10hipError_tPvRmT1_T2_T3_mmT4_T5_P12ihipStream_tbEUlRKdE_EESV_SZ_S10_mS11_S14_bEUlT_E_NS1_11comp_targetILNS1_3genE5ELNS1_11target_archE942ELNS1_3gpuE9ELNS1_3repE0EEENS1_30default_config_static_selectorELNS0_4arch9wavefront6targetE0EEEvSY_.has_dyn_sized_stack, 0
	.set _ZN7rocprim17ROCPRIM_400000_NS6detail17trampoline_kernelINS0_14default_configENS1_27upper_bound_config_selectorIdlEEZNS1_14transform_implILb0ES3_S5_N6thrust23THRUST_200600_302600_NS6detail15normal_iteratorINS8_7pointerIdNS8_11hip_rocprim5par_tENS8_11use_defaultESE_EEEENSA_INSB_IlSD_SE_SE_EEEEZNS1_13binary_searchIS3_S5_NSA_INS8_10device_ptrIdEEEESG_SI_NS1_21upper_bound_search_opENS9_16wrapped_functionINS8_6system6detail7generic6detail18binary_search_lessEbEEEE10hipError_tPvRmT1_T2_T3_mmT4_T5_P12ihipStream_tbEUlRKdE_EESV_SZ_S10_mS11_S14_bEUlT_E_NS1_11comp_targetILNS1_3genE5ELNS1_11target_archE942ELNS1_3gpuE9ELNS1_3repE0EEENS1_30default_config_static_selectorELNS0_4arch9wavefront6targetE0EEEvSY_.has_recursion, 0
	.set _ZN7rocprim17ROCPRIM_400000_NS6detail17trampoline_kernelINS0_14default_configENS1_27upper_bound_config_selectorIdlEEZNS1_14transform_implILb0ES3_S5_N6thrust23THRUST_200600_302600_NS6detail15normal_iteratorINS8_7pointerIdNS8_11hip_rocprim5par_tENS8_11use_defaultESE_EEEENSA_INSB_IlSD_SE_SE_EEEEZNS1_13binary_searchIS3_S5_NSA_INS8_10device_ptrIdEEEESG_SI_NS1_21upper_bound_search_opENS9_16wrapped_functionINS8_6system6detail7generic6detail18binary_search_lessEbEEEE10hipError_tPvRmT1_T2_T3_mmT4_T5_P12ihipStream_tbEUlRKdE_EESV_SZ_S10_mS11_S14_bEUlT_E_NS1_11comp_targetILNS1_3genE5ELNS1_11target_archE942ELNS1_3gpuE9ELNS1_3repE0EEENS1_30default_config_static_selectorELNS0_4arch9wavefront6targetE0EEEvSY_.has_indirect_call, 0
	.section	.AMDGPU.csdata,"",@progbits
; Kernel info:
; codeLenInByte = 0
; TotalNumSgprs: 0
; NumVgprs: 0
; ScratchSize: 0
; MemoryBound: 0
; FloatMode: 240
; IeeeMode: 1
; LDSByteSize: 0 bytes/workgroup (compile time only)
; SGPRBlocks: 0
; VGPRBlocks: 0
; NumSGPRsForWavesPerEU: 1
; NumVGPRsForWavesPerEU: 1
; Occupancy: 16
; WaveLimiterHint : 0
; COMPUTE_PGM_RSRC2:SCRATCH_EN: 0
; COMPUTE_PGM_RSRC2:USER_SGPR: 6
; COMPUTE_PGM_RSRC2:TRAP_HANDLER: 0
; COMPUTE_PGM_RSRC2:TGID_X_EN: 1
; COMPUTE_PGM_RSRC2:TGID_Y_EN: 0
; COMPUTE_PGM_RSRC2:TGID_Z_EN: 0
; COMPUTE_PGM_RSRC2:TIDIG_COMP_CNT: 0
	.section	.text._ZN7rocprim17ROCPRIM_400000_NS6detail17trampoline_kernelINS0_14default_configENS1_27upper_bound_config_selectorIdlEEZNS1_14transform_implILb0ES3_S5_N6thrust23THRUST_200600_302600_NS6detail15normal_iteratorINS8_7pointerIdNS8_11hip_rocprim5par_tENS8_11use_defaultESE_EEEENSA_INSB_IlSD_SE_SE_EEEEZNS1_13binary_searchIS3_S5_NSA_INS8_10device_ptrIdEEEESG_SI_NS1_21upper_bound_search_opENS9_16wrapped_functionINS8_6system6detail7generic6detail18binary_search_lessEbEEEE10hipError_tPvRmT1_T2_T3_mmT4_T5_P12ihipStream_tbEUlRKdE_EESV_SZ_S10_mS11_S14_bEUlT_E_NS1_11comp_targetILNS1_3genE4ELNS1_11target_archE910ELNS1_3gpuE8ELNS1_3repE0EEENS1_30default_config_static_selectorELNS0_4arch9wavefront6targetE0EEEvSY_,"axG",@progbits,_ZN7rocprim17ROCPRIM_400000_NS6detail17trampoline_kernelINS0_14default_configENS1_27upper_bound_config_selectorIdlEEZNS1_14transform_implILb0ES3_S5_N6thrust23THRUST_200600_302600_NS6detail15normal_iteratorINS8_7pointerIdNS8_11hip_rocprim5par_tENS8_11use_defaultESE_EEEENSA_INSB_IlSD_SE_SE_EEEEZNS1_13binary_searchIS3_S5_NSA_INS8_10device_ptrIdEEEESG_SI_NS1_21upper_bound_search_opENS9_16wrapped_functionINS8_6system6detail7generic6detail18binary_search_lessEbEEEE10hipError_tPvRmT1_T2_T3_mmT4_T5_P12ihipStream_tbEUlRKdE_EESV_SZ_S10_mS11_S14_bEUlT_E_NS1_11comp_targetILNS1_3genE4ELNS1_11target_archE910ELNS1_3gpuE8ELNS1_3repE0EEENS1_30default_config_static_selectorELNS0_4arch9wavefront6targetE0EEEvSY_,comdat
	.protected	_ZN7rocprim17ROCPRIM_400000_NS6detail17trampoline_kernelINS0_14default_configENS1_27upper_bound_config_selectorIdlEEZNS1_14transform_implILb0ES3_S5_N6thrust23THRUST_200600_302600_NS6detail15normal_iteratorINS8_7pointerIdNS8_11hip_rocprim5par_tENS8_11use_defaultESE_EEEENSA_INSB_IlSD_SE_SE_EEEEZNS1_13binary_searchIS3_S5_NSA_INS8_10device_ptrIdEEEESG_SI_NS1_21upper_bound_search_opENS9_16wrapped_functionINS8_6system6detail7generic6detail18binary_search_lessEbEEEE10hipError_tPvRmT1_T2_T3_mmT4_T5_P12ihipStream_tbEUlRKdE_EESV_SZ_S10_mS11_S14_bEUlT_E_NS1_11comp_targetILNS1_3genE4ELNS1_11target_archE910ELNS1_3gpuE8ELNS1_3repE0EEENS1_30default_config_static_selectorELNS0_4arch9wavefront6targetE0EEEvSY_ ; -- Begin function _ZN7rocprim17ROCPRIM_400000_NS6detail17trampoline_kernelINS0_14default_configENS1_27upper_bound_config_selectorIdlEEZNS1_14transform_implILb0ES3_S5_N6thrust23THRUST_200600_302600_NS6detail15normal_iteratorINS8_7pointerIdNS8_11hip_rocprim5par_tENS8_11use_defaultESE_EEEENSA_INSB_IlSD_SE_SE_EEEEZNS1_13binary_searchIS3_S5_NSA_INS8_10device_ptrIdEEEESG_SI_NS1_21upper_bound_search_opENS9_16wrapped_functionINS8_6system6detail7generic6detail18binary_search_lessEbEEEE10hipError_tPvRmT1_T2_T3_mmT4_T5_P12ihipStream_tbEUlRKdE_EESV_SZ_S10_mS11_S14_bEUlT_E_NS1_11comp_targetILNS1_3genE4ELNS1_11target_archE910ELNS1_3gpuE8ELNS1_3repE0EEENS1_30default_config_static_selectorELNS0_4arch9wavefront6targetE0EEEvSY_
	.globl	_ZN7rocprim17ROCPRIM_400000_NS6detail17trampoline_kernelINS0_14default_configENS1_27upper_bound_config_selectorIdlEEZNS1_14transform_implILb0ES3_S5_N6thrust23THRUST_200600_302600_NS6detail15normal_iteratorINS8_7pointerIdNS8_11hip_rocprim5par_tENS8_11use_defaultESE_EEEENSA_INSB_IlSD_SE_SE_EEEEZNS1_13binary_searchIS3_S5_NSA_INS8_10device_ptrIdEEEESG_SI_NS1_21upper_bound_search_opENS9_16wrapped_functionINS8_6system6detail7generic6detail18binary_search_lessEbEEEE10hipError_tPvRmT1_T2_T3_mmT4_T5_P12ihipStream_tbEUlRKdE_EESV_SZ_S10_mS11_S14_bEUlT_E_NS1_11comp_targetILNS1_3genE4ELNS1_11target_archE910ELNS1_3gpuE8ELNS1_3repE0EEENS1_30default_config_static_selectorELNS0_4arch9wavefront6targetE0EEEvSY_
	.p2align	8
	.type	_ZN7rocprim17ROCPRIM_400000_NS6detail17trampoline_kernelINS0_14default_configENS1_27upper_bound_config_selectorIdlEEZNS1_14transform_implILb0ES3_S5_N6thrust23THRUST_200600_302600_NS6detail15normal_iteratorINS8_7pointerIdNS8_11hip_rocprim5par_tENS8_11use_defaultESE_EEEENSA_INSB_IlSD_SE_SE_EEEEZNS1_13binary_searchIS3_S5_NSA_INS8_10device_ptrIdEEEESG_SI_NS1_21upper_bound_search_opENS9_16wrapped_functionINS8_6system6detail7generic6detail18binary_search_lessEbEEEE10hipError_tPvRmT1_T2_T3_mmT4_T5_P12ihipStream_tbEUlRKdE_EESV_SZ_S10_mS11_S14_bEUlT_E_NS1_11comp_targetILNS1_3genE4ELNS1_11target_archE910ELNS1_3gpuE8ELNS1_3repE0EEENS1_30default_config_static_selectorELNS0_4arch9wavefront6targetE0EEEvSY_,@function
_ZN7rocprim17ROCPRIM_400000_NS6detail17trampoline_kernelINS0_14default_configENS1_27upper_bound_config_selectorIdlEEZNS1_14transform_implILb0ES3_S5_N6thrust23THRUST_200600_302600_NS6detail15normal_iteratorINS8_7pointerIdNS8_11hip_rocprim5par_tENS8_11use_defaultESE_EEEENSA_INSB_IlSD_SE_SE_EEEEZNS1_13binary_searchIS3_S5_NSA_INS8_10device_ptrIdEEEESG_SI_NS1_21upper_bound_search_opENS9_16wrapped_functionINS8_6system6detail7generic6detail18binary_search_lessEbEEEE10hipError_tPvRmT1_T2_T3_mmT4_T5_P12ihipStream_tbEUlRKdE_EESV_SZ_S10_mS11_S14_bEUlT_E_NS1_11comp_targetILNS1_3genE4ELNS1_11target_archE910ELNS1_3gpuE8ELNS1_3repE0EEENS1_30default_config_static_selectorELNS0_4arch9wavefront6targetE0EEEvSY_: ; @_ZN7rocprim17ROCPRIM_400000_NS6detail17trampoline_kernelINS0_14default_configENS1_27upper_bound_config_selectorIdlEEZNS1_14transform_implILb0ES3_S5_N6thrust23THRUST_200600_302600_NS6detail15normal_iteratorINS8_7pointerIdNS8_11hip_rocprim5par_tENS8_11use_defaultESE_EEEENSA_INSB_IlSD_SE_SE_EEEEZNS1_13binary_searchIS3_S5_NSA_INS8_10device_ptrIdEEEESG_SI_NS1_21upper_bound_search_opENS9_16wrapped_functionINS8_6system6detail7generic6detail18binary_search_lessEbEEEE10hipError_tPvRmT1_T2_T3_mmT4_T5_P12ihipStream_tbEUlRKdE_EESV_SZ_S10_mS11_S14_bEUlT_E_NS1_11comp_targetILNS1_3genE4ELNS1_11target_archE910ELNS1_3gpuE8ELNS1_3repE0EEENS1_30default_config_static_selectorELNS0_4arch9wavefront6targetE0EEEvSY_
; %bb.0:
	.section	.rodata,"a",@progbits
	.p2align	6, 0x0
	.amdhsa_kernel _ZN7rocprim17ROCPRIM_400000_NS6detail17trampoline_kernelINS0_14default_configENS1_27upper_bound_config_selectorIdlEEZNS1_14transform_implILb0ES3_S5_N6thrust23THRUST_200600_302600_NS6detail15normal_iteratorINS8_7pointerIdNS8_11hip_rocprim5par_tENS8_11use_defaultESE_EEEENSA_INSB_IlSD_SE_SE_EEEEZNS1_13binary_searchIS3_S5_NSA_INS8_10device_ptrIdEEEESG_SI_NS1_21upper_bound_search_opENS9_16wrapped_functionINS8_6system6detail7generic6detail18binary_search_lessEbEEEE10hipError_tPvRmT1_T2_T3_mmT4_T5_P12ihipStream_tbEUlRKdE_EESV_SZ_S10_mS11_S14_bEUlT_E_NS1_11comp_targetILNS1_3genE4ELNS1_11target_archE910ELNS1_3gpuE8ELNS1_3repE0EEENS1_30default_config_static_selectorELNS0_4arch9wavefront6targetE0EEEvSY_
		.amdhsa_group_segment_fixed_size 0
		.amdhsa_private_segment_fixed_size 0
		.amdhsa_kernarg_size 56
		.amdhsa_user_sgpr_count 6
		.amdhsa_user_sgpr_private_segment_buffer 1
		.amdhsa_user_sgpr_dispatch_ptr 0
		.amdhsa_user_sgpr_queue_ptr 0
		.amdhsa_user_sgpr_kernarg_segment_ptr 1
		.amdhsa_user_sgpr_dispatch_id 0
		.amdhsa_user_sgpr_flat_scratch_init 0
		.amdhsa_user_sgpr_private_segment_size 0
		.amdhsa_wavefront_size32 1
		.amdhsa_uses_dynamic_stack 0
		.amdhsa_system_sgpr_private_segment_wavefront_offset 0
		.amdhsa_system_sgpr_workgroup_id_x 1
		.amdhsa_system_sgpr_workgroup_id_y 0
		.amdhsa_system_sgpr_workgroup_id_z 0
		.amdhsa_system_sgpr_workgroup_info 0
		.amdhsa_system_vgpr_workitem_id 0
		.amdhsa_next_free_vgpr 1
		.amdhsa_next_free_sgpr 1
		.amdhsa_reserve_vcc 0
		.amdhsa_reserve_flat_scratch 0
		.amdhsa_float_round_mode_32 0
		.amdhsa_float_round_mode_16_64 0
		.amdhsa_float_denorm_mode_32 3
		.amdhsa_float_denorm_mode_16_64 3
		.amdhsa_dx10_clamp 1
		.amdhsa_ieee_mode 1
		.amdhsa_fp16_overflow 0
		.amdhsa_workgroup_processor_mode 1
		.amdhsa_memory_ordered 1
		.amdhsa_forward_progress 1
		.amdhsa_shared_vgpr_count 0
		.amdhsa_exception_fp_ieee_invalid_op 0
		.amdhsa_exception_fp_denorm_src 0
		.amdhsa_exception_fp_ieee_div_zero 0
		.amdhsa_exception_fp_ieee_overflow 0
		.amdhsa_exception_fp_ieee_underflow 0
		.amdhsa_exception_fp_ieee_inexact 0
		.amdhsa_exception_int_div_zero 0
	.end_amdhsa_kernel
	.section	.text._ZN7rocprim17ROCPRIM_400000_NS6detail17trampoline_kernelINS0_14default_configENS1_27upper_bound_config_selectorIdlEEZNS1_14transform_implILb0ES3_S5_N6thrust23THRUST_200600_302600_NS6detail15normal_iteratorINS8_7pointerIdNS8_11hip_rocprim5par_tENS8_11use_defaultESE_EEEENSA_INSB_IlSD_SE_SE_EEEEZNS1_13binary_searchIS3_S5_NSA_INS8_10device_ptrIdEEEESG_SI_NS1_21upper_bound_search_opENS9_16wrapped_functionINS8_6system6detail7generic6detail18binary_search_lessEbEEEE10hipError_tPvRmT1_T2_T3_mmT4_T5_P12ihipStream_tbEUlRKdE_EESV_SZ_S10_mS11_S14_bEUlT_E_NS1_11comp_targetILNS1_3genE4ELNS1_11target_archE910ELNS1_3gpuE8ELNS1_3repE0EEENS1_30default_config_static_selectorELNS0_4arch9wavefront6targetE0EEEvSY_,"axG",@progbits,_ZN7rocprim17ROCPRIM_400000_NS6detail17trampoline_kernelINS0_14default_configENS1_27upper_bound_config_selectorIdlEEZNS1_14transform_implILb0ES3_S5_N6thrust23THRUST_200600_302600_NS6detail15normal_iteratorINS8_7pointerIdNS8_11hip_rocprim5par_tENS8_11use_defaultESE_EEEENSA_INSB_IlSD_SE_SE_EEEEZNS1_13binary_searchIS3_S5_NSA_INS8_10device_ptrIdEEEESG_SI_NS1_21upper_bound_search_opENS9_16wrapped_functionINS8_6system6detail7generic6detail18binary_search_lessEbEEEE10hipError_tPvRmT1_T2_T3_mmT4_T5_P12ihipStream_tbEUlRKdE_EESV_SZ_S10_mS11_S14_bEUlT_E_NS1_11comp_targetILNS1_3genE4ELNS1_11target_archE910ELNS1_3gpuE8ELNS1_3repE0EEENS1_30default_config_static_selectorELNS0_4arch9wavefront6targetE0EEEvSY_,comdat
.Lfunc_end502:
	.size	_ZN7rocprim17ROCPRIM_400000_NS6detail17trampoline_kernelINS0_14default_configENS1_27upper_bound_config_selectorIdlEEZNS1_14transform_implILb0ES3_S5_N6thrust23THRUST_200600_302600_NS6detail15normal_iteratorINS8_7pointerIdNS8_11hip_rocprim5par_tENS8_11use_defaultESE_EEEENSA_INSB_IlSD_SE_SE_EEEEZNS1_13binary_searchIS3_S5_NSA_INS8_10device_ptrIdEEEESG_SI_NS1_21upper_bound_search_opENS9_16wrapped_functionINS8_6system6detail7generic6detail18binary_search_lessEbEEEE10hipError_tPvRmT1_T2_T3_mmT4_T5_P12ihipStream_tbEUlRKdE_EESV_SZ_S10_mS11_S14_bEUlT_E_NS1_11comp_targetILNS1_3genE4ELNS1_11target_archE910ELNS1_3gpuE8ELNS1_3repE0EEENS1_30default_config_static_selectorELNS0_4arch9wavefront6targetE0EEEvSY_, .Lfunc_end502-_ZN7rocprim17ROCPRIM_400000_NS6detail17trampoline_kernelINS0_14default_configENS1_27upper_bound_config_selectorIdlEEZNS1_14transform_implILb0ES3_S5_N6thrust23THRUST_200600_302600_NS6detail15normal_iteratorINS8_7pointerIdNS8_11hip_rocprim5par_tENS8_11use_defaultESE_EEEENSA_INSB_IlSD_SE_SE_EEEEZNS1_13binary_searchIS3_S5_NSA_INS8_10device_ptrIdEEEESG_SI_NS1_21upper_bound_search_opENS9_16wrapped_functionINS8_6system6detail7generic6detail18binary_search_lessEbEEEE10hipError_tPvRmT1_T2_T3_mmT4_T5_P12ihipStream_tbEUlRKdE_EESV_SZ_S10_mS11_S14_bEUlT_E_NS1_11comp_targetILNS1_3genE4ELNS1_11target_archE910ELNS1_3gpuE8ELNS1_3repE0EEENS1_30default_config_static_selectorELNS0_4arch9wavefront6targetE0EEEvSY_
                                        ; -- End function
	.set _ZN7rocprim17ROCPRIM_400000_NS6detail17trampoline_kernelINS0_14default_configENS1_27upper_bound_config_selectorIdlEEZNS1_14transform_implILb0ES3_S5_N6thrust23THRUST_200600_302600_NS6detail15normal_iteratorINS8_7pointerIdNS8_11hip_rocprim5par_tENS8_11use_defaultESE_EEEENSA_INSB_IlSD_SE_SE_EEEEZNS1_13binary_searchIS3_S5_NSA_INS8_10device_ptrIdEEEESG_SI_NS1_21upper_bound_search_opENS9_16wrapped_functionINS8_6system6detail7generic6detail18binary_search_lessEbEEEE10hipError_tPvRmT1_T2_T3_mmT4_T5_P12ihipStream_tbEUlRKdE_EESV_SZ_S10_mS11_S14_bEUlT_E_NS1_11comp_targetILNS1_3genE4ELNS1_11target_archE910ELNS1_3gpuE8ELNS1_3repE0EEENS1_30default_config_static_selectorELNS0_4arch9wavefront6targetE0EEEvSY_.num_vgpr, 0
	.set _ZN7rocprim17ROCPRIM_400000_NS6detail17trampoline_kernelINS0_14default_configENS1_27upper_bound_config_selectorIdlEEZNS1_14transform_implILb0ES3_S5_N6thrust23THRUST_200600_302600_NS6detail15normal_iteratorINS8_7pointerIdNS8_11hip_rocprim5par_tENS8_11use_defaultESE_EEEENSA_INSB_IlSD_SE_SE_EEEEZNS1_13binary_searchIS3_S5_NSA_INS8_10device_ptrIdEEEESG_SI_NS1_21upper_bound_search_opENS9_16wrapped_functionINS8_6system6detail7generic6detail18binary_search_lessEbEEEE10hipError_tPvRmT1_T2_T3_mmT4_T5_P12ihipStream_tbEUlRKdE_EESV_SZ_S10_mS11_S14_bEUlT_E_NS1_11comp_targetILNS1_3genE4ELNS1_11target_archE910ELNS1_3gpuE8ELNS1_3repE0EEENS1_30default_config_static_selectorELNS0_4arch9wavefront6targetE0EEEvSY_.num_agpr, 0
	.set _ZN7rocprim17ROCPRIM_400000_NS6detail17trampoline_kernelINS0_14default_configENS1_27upper_bound_config_selectorIdlEEZNS1_14transform_implILb0ES3_S5_N6thrust23THRUST_200600_302600_NS6detail15normal_iteratorINS8_7pointerIdNS8_11hip_rocprim5par_tENS8_11use_defaultESE_EEEENSA_INSB_IlSD_SE_SE_EEEEZNS1_13binary_searchIS3_S5_NSA_INS8_10device_ptrIdEEEESG_SI_NS1_21upper_bound_search_opENS9_16wrapped_functionINS8_6system6detail7generic6detail18binary_search_lessEbEEEE10hipError_tPvRmT1_T2_T3_mmT4_T5_P12ihipStream_tbEUlRKdE_EESV_SZ_S10_mS11_S14_bEUlT_E_NS1_11comp_targetILNS1_3genE4ELNS1_11target_archE910ELNS1_3gpuE8ELNS1_3repE0EEENS1_30default_config_static_selectorELNS0_4arch9wavefront6targetE0EEEvSY_.numbered_sgpr, 0
	.set _ZN7rocprim17ROCPRIM_400000_NS6detail17trampoline_kernelINS0_14default_configENS1_27upper_bound_config_selectorIdlEEZNS1_14transform_implILb0ES3_S5_N6thrust23THRUST_200600_302600_NS6detail15normal_iteratorINS8_7pointerIdNS8_11hip_rocprim5par_tENS8_11use_defaultESE_EEEENSA_INSB_IlSD_SE_SE_EEEEZNS1_13binary_searchIS3_S5_NSA_INS8_10device_ptrIdEEEESG_SI_NS1_21upper_bound_search_opENS9_16wrapped_functionINS8_6system6detail7generic6detail18binary_search_lessEbEEEE10hipError_tPvRmT1_T2_T3_mmT4_T5_P12ihipStream_tbEUlRKdE_EESV_SZ_S10_mS11_S14_bEUlT_E_NS1_11comp_targetILNS1_3genE4ELNS1_11target_archE910ELNS1_3gpuE8ELNS1_3repE0EEENS1_30default_config_static_selectorELNS0_4arch9wavefront6targetE0EEEvSY_.num_named_barrier, 0
	.set _ZN7rocprim17ROCPRIM_400000_NS6detail17trampoline_kernelINS0_14default_configENS1_27upper_bound_config_selectorIdlEEZNS1_14transform_implILb0ES3_S5_N6thrust23THRUST_200600_302600_NS6detail15normal_iteratorINS8_7pointerIdNS8_11hip_rocprim5par_tENS8_11use_defaultESE_EEEENSA_INSB_IlSD_SE_SE_EEEEZNS1_13binary_searchIS3_S5_NSA_INS8_10device_ptrIdEEEESG_SI_NS1_21upper_bound_search_opENS9_16wrapped_functionINS8_6system6detail7generic6detail18binary_search_lessEbEEEE10hipError_tPvRmT1_T2_T3_mmT4_T5_P12ihipStream_tbEUlRKdE_EESV_SZ_S10_mS11_S14_bEUlT_E_NS1_11comp_targetILNS1_3genE4ELNS1_11target_archE910ELNS1_3gpuE8ELNS1_3repE0EEENS1_30default_config_static_selectorELNS0_4arch9wavefront6targetE0EEEvSY_.private_seg_size, 0
	.set _ZN7rocprim17ROCPRIM_400000_NS6detail17trampoline_kernelINS0_14default_configENS1_27upper_bound_config_selectorIdlEEZNS1_14transform_implILb0ES3_S5_N6thrust23THRUST_200600_302600_NS6detail15normal_iteratorINS8_7pointerIdNS8_11hip_rocprim5par_tENS8_11use_defaultESE_EEEENSA_INSB_IlSD_SE_SE_EEEEZNS1_13binary_searchIS3_S5_NSA_INS8_10device_ptrIdEEEESG_SI_NS1_21upper_bound_search_opENS9_16wrapped_functionINS8_6system6detail7generic6detail18binary_search_lessEbEEEE10hipError_tPvRmT1_T2_T3_mmT4_T5_P12ihipStream_tbEUlRKdE_EESV_SZ_S10_mS11_S14_bEUlT_E_NS1_11comp_targetILNS1_3genE4ELNS1_11target_archE910ELNS1_3gpuE8ELNS1_3repE0EEENS1_30default_config_static_selectorELNS0_4arch9wavefront6targetE0EEEvSY_.uses_vcc, 0
	.set _ZN7rocprim17ROCPRIM_400000_NS6detail17trampoline_kernelINS0_14default_configENS1_27upper_bound_config_selectorIdlEEZNS1_14transform_implILb0ES3_S5_N6thrust23THRUST_200600_302600_NS6detail15normal_iteratorINS8_7pointerIdNS8_11hip_rocprim5par_tENS8_11use_defaultESE_EEEENSA_INSB_IlSD_SE_SE_EEEEZNS1_13binary_searchIS3_S5_NSA_INS8_10device_ptrIdEEEESG_SI_NS1_21upper_bound_search_opENS9_16wrapped_functionINS8_6system6detail7generic6detail18binary_search_lessEbEEEE10hipError_tPvRmT1_T2_T3_mmT4_T5_P12ihipStream_tbEUlRKdE_EESV_SZ_S10_mS11_S14_bEUlT_E_NS1_11comp_targetILNS1_3genE4ELNS1_11target_archE910ELNS1_3gpuE8ELNS1_3repE0EEENS1_30default_config_static_selectorELNS0_4arch9wavefront6targetE0EEEvSY_.uses_flat_scratch, 0
	.set _ZN7rocprim17ROCPRIM_400000_NS6detail17trampoline_kernelINS0_14default_configENS1_27upper_bound_config_selectorIdlEEZNS1_14transform_implILb0ES3_S5_N6thrust23THRUST_200600_302600_NS6detail15normal_iteratorINS8_7pointerIdNS8_11hip_rocprim5par_tENS8_11use_defaultESE_EEEENSA_INSB_IlSD_SE_SE_EEEEZNS1_13binary_searchIS3_S5_NSA_INS8_10device_ptrIdEEEESG_SI_NS1_21upper_bound_search_opENS9_16wrapped_functionINS8_6system6detail7generic6detail18binary_search_lessEbEEEE10hipError_tPvRmT1_T2_T3_mmT4_T5_P12ihipStream_tbEUlRKdE_EESV_SZ_S10_mS11_S14_bEUlT_E_NS1_11comp_targetILNS1_3genE4ELNS1_11target_archE910ELNS1_3gpuE8ELNS1_3repE0EEENS1_30default_config_static_selectorELNS0_4arch9wavefront6targetE0EEEvSY_.has_dyn_sized_stack, 0
	.set _ZN7rocprim17ROCPRIM_400000_NS6detail17trampoline_kernelINS0_14default_configENS1_27upper_bound_config_selectorIdlEEZNS1_14transform_implILb0ES3_S5_N6thrust23THRUST_200600_302600_NS6detail15normal_iteratorINS8_7pointerIdNS8_11hip_rocprim5par_tENS8_11use_defaultESE_EEEENSA_INSB_IlSD_SE_SE_EEEEZNS1_13binary_searchIS3_S5_NSA_INS8_10device_ptrIdEEEESG_SI_NS1_21upper_bound_search_opENS9_16wrapped_functionINS8_6system6detail7generic6detail18binary_search_lessEbEEEE10hipError_tPvRmT1_T2_T3_mmT4_T5_P12ihipStream_tbEUlRKdE_EESV_SZ_S10_mS11_S14_bEUlT_E_NS1_11comp_targetILNS1_3genE4ELNS1_11target_archE910ELNS1_3gpuE8ELNS1_3repE0EEENS1_30default_config_static_selectorELNS0_4arch9wavefront6targetE0EEEvSY_.has_recursion, 0
	.set _ZN7rocprim17ROCPRIM_400000_NS6detail17trampoline_kernelINS0_14default_configENS1_27upper_bound_config_selectorIdlEEZNS1_14transform_implILb0ES3_S5_N6thrust23THRUST_200600_302600_NS6detail15normal_iteratorINS8_7pointerIdNS8_11hip_rocprim5par_tENS8_11use_defaultESE_EEEENSA_INSB_IlSD_SE_SE_EEEEZNS1_13binary_searchIS3_S5_NSA_INS8_10device_ptrIdEEEESG_SI_NS1_21upper_bound_search_opENS9_16wrapped_functionINS8_6system6detail7generic6detail18binary_search_lessEbEEEE10hipError_tPvRmT1_T2_T3_mmT4_T5_P12ihipStream_tbEUlRKdE_EESV_SZ_S10_mS11_S14_bEUlT_E_NS1_11comp_targetILNS1_3genE4ELNS1_11target_archE910ELNS1_3gpuE8ELNS1_3repE0EEENS1_30default_config_static_selectorELNS0_4arch9wavefront6targetE0EEEvSY_.has_indirect_call, 0
	.section	.AMDGPU.csdata,"",@progbits
; Kernel info:
; codeLenInByte = 0
; TotalNumSgprs: 0
; NumVgprs: 0
; ScratchSize: 0
; MemoryBound: 0
; FloatMode: 240
; IeeeMode: 1
; LDSByteSize: 0 bytes/workgroup (compile time only)
; SGPRBlocks: 0
; VGPRBlocks: 0
; NumSGPRsForWavesPerEU: 1
; NumVGPRsForWavesPerEU: 1
; Occupancy: 16
; WaveLimiterHint : 0
; COMPUTE_PGM_RSRC2:SCRATCH_EN: 0
; COMPUTE_PGM_RSRC2:USER_SGPR: 6
; COMPUTE_PGM_RSRC2:TRAP_HANDLER: 0
; COMPUTE_PGM_RSRC2:TGID_X_EN: 1
; COMPUTE_PGM_RSRC2:TGID_Y_EN: 0
; COMPUTE_PGM_RSRC2:TGID_Z_EN: 0
; COMPUTE_PGM_RSRC2:TIDIG_COMP_CNT: 0
	.section	.text._ZN7rocprim17ROCPRIM_400000_NS6detail17trampoline_kernelINS0_14default_configENS1_27upper_bound_config_selectorIdlEEZNS1_14transform_implILb0ES3_S5_N6thrust23THRUST_200600_302600_NS6detail15normal_iteratorINS8_7pointerIdNS8_11hip_rocprim5par_tENS8_11use_defaultESE_EEEENSA_INSB_IlSD_SE_SE_EEEEZNS1_13binary_searchIS3_S5_NSA_INS8_10device_ptrIdEEEESG_SI_NS1_21upper_bound_search_opENS9_16wrapped_functionINS8_6system6detail7generic6detail18binary_search_lessEbEEEE10hipError_tPvRmT1_T2_T3_mmT4_T5_P12ihipStream_tbEUlRKdE_EESV_SZ_S10_mS11_S14_bEUlT_E_NS1_11comp_targetILNS1_3genE3ELNS1_11target_archE908ELNS1_3gpuE7ELNS1_3repE0EEENS1_30default_config_static_selectorELNS0_4arch9wavefront6targetE0EEEvSY_,"axG",@progbits,_ZN7rocprim17ROCPRIM_400000_NS6detail17trampoline_kernelINS0_14default_configENS1_27upper_bound_config_selectorIdlEEZNS1_14transform_implILb0ES3_S5_N6thrust23THRUST_200600_302600_NS6detail15normal_iteratorINS8_7pointerIdNS8_11hip_rocprim5par_tENS8_11use_defaultESE_EEEENSA_INSB_IlSD_SE_SE_EEEEZNS1_13binary_searchIS3_S5_NSA_INS8_10device_ptrIdEEEESG_SI_NS1_21upper_bound_search_opENS9_16wrapped_functionINS8_6system6detail7generic6detail18binary_search_lessEbEEEE10hipError_tPvRmT1_T2_T3_mmT4_T5_P12ihipStream_tbEUlRKdE_EESV_SZ_S10_mS11_S14_bEUlT_E_NS1_11comp_targetILNS1_3genE3ELNS1_11target_archE908ELNS1_3gpuE7ELNS1_3repE0EEENS1_30default_config_static_selectorELNS0_4arch9wavefront6targetE0EEEvSY_,comdat
	.protected	_ZN7rocprim17ROCPRIM_400000_NS6detail17trampoline_kernelINS0_14default_configENS1_27upper_bound_config_selectorIdlEEZNS1_14transform_implILb0ES3_S5_N6thrust23THRUST_200600_302600_NS6detail15normal_iteratorINS8_7pointerIdNS8_11hip_rocprim5par_tENS8_11use_defaultESE_EEEENSA_INSB_IlSD_SE_SE_EEEEZNS1_13binary_searchIS3_S5_NSA_INS8_10device_ptrIdEEEESG_SI_NS1_21upper_bound_search_opENS9_16wrapped_functionINS8_6system6detail7generic6detail18binary_search_lessEbEEEE10hipError_tPvRmT1_T2_T3_mmT4_T5_P12ihipStream_tbEUlRKdE_EESV_SZ_S10_mS11_S14_bEUlT_E_NS1_11comp_targetILNS1_3genE3ELNS1_11target_archE908ELNS1_3gpuE7ELNS1_3repE0EEENS1_30default_config_static_selectorELNS0_4arch9wavefront6targetE0EEEvSY_ ; -- Begin function _ZN7rocprim17ROCPRIM_400000_NS6detail17trampoline_kernelINS0_14default_configENS1_27upper_bound_config_selectorIdlEEZNS1_14transform_implILb0ES3_S5_N6thrust23THRUST_200600_302600_NS6detail15normal_iteratorINS8_7pointerIdNS8_11hip_rocprim5par_tENS8_11use_defaultESE_EEEENSA_INSB_IlSD_SE_SE_EEEEZNS1_13binary_searchIS3_S5_NSA_INS8_10device_ptrIdEEEESG_SI_NS1_21upper_bound_search_opENS9_16wrapped_functionINS8_6system6detail7generic6detail18binary_search_lessEbEEEE10hipError_tPvRmT1_T2_T3_mmT4_T5_P12ihipStream_tbEUlRKdE_EESV_SZ_S10_mS11_S14_bEUlT_E_NS1_11comp_targetILNS1_3genE3ELNS1_11target_archE908ELNS1_3gpuE7ELNS1_3repE0EEENS1_30default_config_static_selectorELNS0_4arch9wavefront6targetE0EEEvSY_
	.globl	_ZN7rocprim17ROCPRIM_400000_NS6detail17trampoline_kernelINS0_14default_configENS1_27upper_bound_config_selectorIdlEEZNS1_14transform_implILb0ES3_S5_N6thrust23THRUST_200600_302600_NS6detail15normal_iteratorINS8_7pointerIdNS8_11hip_rocprim5par_tENS8_11use_defaultESE_EEEENSA_INSB_IlSD_SE_SE_EEEEZNS1_13binary_searchIS3_S5_NSA_INS8_10device_ptrIdEEEESG_SI_NS1_21upper_bound_search_opENS9_16wrapped_functionINS8_6system6detail7generic6detail18binary_search_lessEbEEEE10hipError_tPvRmT1_T2_T3_mmT4_T5_P12ihipStream_tbEUlRKdE_EESV_SZ_S10_mS11_S14_bEUlT_E_NS1_11comp_targetILNS1_3genE3ELNS1_11target_archE908ELNS1_3gpuE7ELNS1_3repE0EEENS1_30default_config_static_selectorELNS0_4arch9wavefront6targetE0EEEvSY_
	.p2align	8
	.type	_ZN7rocprim17ROCPRIM_400000_NS6detail17trampoline_kernelINS0_14default_configENS1_27upper_bound_config_selectorIdlEEZNS1_14transform_implILb0ES3_S5_N6thrust23THRUST_200600_302600_NS6detail15normal_iteratorINS8_7pointerIdNS8_11hip_rocprim5par_tENS8_11use_defaultESE_EEEENSA_INSB_IlSD_SE_SE_EEEEZNS1_13binary_searchIS3_S5_NSA_INS8_10device_ptrIdEEEESG_SI_NS1_21upper_bound_search_opENS9_16wrapped_functionINS8_6system6detail7generic6detail18binary_search_lessEbEEEE10hipError_tPvRmT1_T2_T3_mmT4_T5_P12ihipStream_tbEUlRKdE_EESV_SZ_S10_mS11_S14_bEUlT_E_NS1_11comp_targetILNS1_3genE3ELNS1_11target_archE908ELNS1_3gpuE7ELNS1_3repE0EEENS1_30default_config_static_selectorELNS0_4arch9wavefront6targetE0EEEvSY_,@function
_ZN7rocprim17ROCPRIM_400000_NS6detail17trampoline_kernelINS0_14default_configENS1_27upper_bound_config_selectorIdlEEZNS1_14transform_implILb0ES3_S5_N6thrust23THRUST_200600_302600_NS6detail15normal_iteratorINS8_7pointerIdNS8_11hip_rocprim5par_tENS8_11use_defaultESE_EEEENSA_INSB_IlSD_SE_SE_EEEEZNS1_13binary_searchIS3_S5_NSA_INS8_10device_ptrIdEEEESG_SI_NS1_21upper_bound_search_opENS9_16wrapped_functionINS8_6system6detail7generic6detail18binary_search_lessEbEEEE10hipError_tPvRmT1_T2_T3_mmT4_T5_P12ihipStream_tbEUlRKdE_EESV_SZ_S10_mS11_S14_bEUlT_E_NS1_11comp_targetILNS1_3genE3ELNS1_11target_archE908ELNS1_3gpuE7ELNS1_3repE0EEENS1_30default_config_static_selectorELNS0_4arch9wavefront6targetE0EEEvSY_: ; @_ZN7rocprim17ROCPRIM_400000_NS6detail17trampoline_kernelINS0_14default_configENS1_27upper_bound_config_selectorIdlEEZNS1_14transform_implILb0ES3_S5_N6thrust23THRUST_200600_302600_NS6detail15normal_iteratorINS8_7pointerIdNS8_11hip_rocprim5par_tENS8_11use_defaultESE_EEEENSA_INSB_IlSD_SE_SE_EEEEZNS1_13binary_searchIS3_S5_NSA_INS8_10device_ptrIdEEEESG_SI_NS1_21upper_bound_search_opENS9_16wrapped_functionINS8_6system6detail7generic6detail18binary_search_lessEbEEEE10hipError_tPvRmT1_T2_T3_mmT4_T5_P12ihipStream_tbEUlRKdE_EESV_SZ_S10_mS11_S14_bEUlT_E_NS1_11comp_targetILNS1_3genE3ELNS1_11target_archE908ELNS1_3gpuE7ELNS1_3repE0EEENS1_30default_config_static_selectorELNS0_4arch9wavefront6targetE0EEEvSY_
; %bb.0:
	.section	.rodata,"a",@progbits
	.p2align	6, 0x0
	.amdhsa_kernel _ZN7rocprim17ROCPRIM_400000_NS6detail17trampoline_kernelINS0_14default_configENS1_27upper_bound_config_selectorIdlEEZNS1_14transform_implILb0ES3_S5_N6thrust23THRUST_200600_302600_NS6detail15normal_iteratorINS8_7pointerIdNS8_11hip_rocprim5par_tENS8_11use_defaultESE_EEEENSA_INSB_IlSD_SE_SE_EEEEZNS1_13binary_searchIS3_S5_NSA_INS8_10device_ptrIdEEEESG_SI_NS1_21upper_bound_search_opENS9_16wrapped_functionINS8_6system6detail7generic6detail18binary_search_lessEbEEEE10hipError_tPvRmT1_T2_T3_mmT4_T5_P12ihipStream_tbEUlRKdE_EESV_SZ_S10_mS11_S14_bEUlT_E_NS1_11comp_targetILNS1_3genE3ELNS1_11target_archE908ELNS1_3gpuE7ELNS1_3repE0EEENS1_30default_config_static_selectorELNS0_4arch9wavefront6targetE0EEEvSY_
		.amdhsa_group_segment_fixed_size 0
		.amdhsa_private_segment_fixed_size 0
		.amdhsa_kernarg_size 56
		.amdhsa_user_sgpr_count 6
		.amdhsa_user_sgpr_private_segment_buffer 1
		.amdhsa_user_sgpr_dispatch_ptr 0
		.amdhsa_user_sgpr_queue_ptr 0
		.amdhsa_user_sgpr_kernarg_segment_ptr 1
		.amdhsa_user_sgpr_dispatch_id 0
		.amdhsa_user_sgpr_flat_scratch_init 0
		.amdhsa_user_sgpr_private_segment_size 0
		.amdhsa_wavefront_size32 1
		.amdhsa_uses_dynamic_stack 0
		.amdhsa_system_sgpr_private_segment_wavefront_offset 0
		.amdhsa_system_sgpr_workgroup_id_x 1
		.amdhsa_system_sgpr_workgroup_id_y 0
		.amdhsa_system_sgpr_workgroup_id_z 0
		.amdhsa_system_sgpr_workgroup_info 0
		.amdhsa_system_vgpr_workitem_id 0
		.amdhsa_next_free_vgpr 1
		.amdhsa_next_free_sgpr 1
		.amdhsa_reserve_vcc 0
		.amdhsa_reserve_flat_scratch 0
		.amdhsa_float_round_mode_32 0
		.amdhsa_float_round_mode_16_64 0
		.amdhsa_float_denorm_mode_32 3
		.amdhsa_float_denorm_mode_16_64 3
		.amdhsa_dx10_clamp 1
		.amdhsa_ieee_mode 1
		.amdhsa_fp16_overflow 0
		.amdhsa_workgroup_processor_mode 1
		.amdhsa_memory_ordered 1
		.amdhsa_forward_progress 1
		.amdhsa_shared_vgpr_count 0
		.amdhsa_exception_fp_ieee_invalid_op 0
		.amdhsa_exception_fp_denorm_src 0
		.amdhsa_exception_fp_ieee_div_zero 0
		.amdhsa_exception_fp_ieee_overflow 0
		.amdhsa_exception_fp_ieee_underflow 0
		.amdhsa_exception_fp_ieee_inexact 0
		.amdhsa_exception_int_div_zero 0
	.end_amdhsa_kernel
	.section	.text._ZN7rocprim17ROCPRIM_400000_NS6detail17trampoline_kernelINS0_14default_configENS1_27upper_bound_config_selectorIdlEEZNS1_14transform_implILb0ES3_S5_N6thrust23THRUST_200600_302600_NS6detail15normal_iteratorINS8_7pointerIdNS8_11hip_rocprim5par_tENS8_11use_defaultESE_EEEENSA_INSB_IlSD_SE_SE_EEEEZNS1_13binary_searchIS3_S5_NSA_INS8_10device_ptrIdEEEESG_SI_NS1_21upper_bound_search_opENS9_16wrapped_functionINS8_6system6detail7generic6detail18binary_search_lessEbEEEE10hipError_tPvRmT1_T2_T3_mmT4_T5_P12ihipStream_tbEUlRKdE_EESV_SZ_S10_mS11_S14_bEUlT_E_NS1_11comp_targetILNS1_3genE3ELNS1_11target_archE908ELNS1_3gpuE7ELNS1_3repE0EEENS1_30default_config_static_selectorELNS0_4arch9wavefront6targetE0EEEvSY_,"axG",@progbits,_ZN7rocprim17ROCPRIM_400000_NS6detail17trampoline_kernelINS0_14default_configENS1_27upper_bound_config_selectorIdlEEZNS1_14transform_implILb0ES3_S5_N6thrust23THRUST_200600_302600_NS6detail15normal_iteratorINS8_7pointerIdNS8_11hip_rocprim5par_tENS8_11use_defaultESE_EEEENSA_INSB_IlSD_SE_SE_EEEEZNS1_13binary_searchIS3_S5_NSA_INS8_10device_ptrIdEEEESG_SI_NS1_21upper_bound_search_opENS9_16wrapped_functionINS8_6system6detail7generic6detail18binary_search_lessEbEEEE10hipError_tPvRmT1_T2_T3_mmT4_T5_P12ihipStream_tbEUlRKdE_EESV_SZ_S10_mS11_S14_bEUlT_E_NS1_11comp_targetILNS1_3genE3ELNS1_11target_archE908ELNS1_3gpuE7ELNS1_3repE0EEENS1_30default_config_static_selectorELNS0_4arch9wavefront6targetE0EEEvSY_,comdat
.Lfunc_end503:
	.size	_ZN7rocprim17ROCPRIM_400000_NS6detail17trampoline_kernelINS0_14default_configENS1_27upper_bound_config_selectorIdlEEZNS1_14transform_implILb0ES3_S5_N6thrust23THRUST_200600_302600_NS6detail15normal_iteratorINS8_7pointerIdNS8_11hip_rocprim5par_tENS8_11use_defaultESE_EEEENSA_INSB_IlSD_SE_SE_EEEEZNS1_13binary_searchIS3_S5_NSA_INS8_10device_ptrIdEEEESG_SI_NS1_21upper_bound_search_opENS9_16wrapped_functionINS8_6system6detail7generic6detail18binary_search_lessEbEEEE10hipError_tPvRmT1_T2_T3_mmT4_T5_P12ihipStream_tbEUlRKdE_EESV_SZ_S10_mS11_S14_bEUlT_E_NS1_11comp_targetILNS1_3genE3ELNS1_11target_archE908ELNS1_3gpuE7ELNS1_3repE0EEENS1_30default_config_static_selectorELNS0_4arch9wavefront6targetE0EEEvSY_, .Lfunc_end503-_ZN7rocprim17ROCPRIM_400000_NS6detail17trampoline_kernelINS0_14default_configENS1_27upper_bound_config_selectorIdlEEZNS1_14transform_implILb0ES3_S5_N6thrust23THRUST_200600_302600_NS6detail15normal_iteratorINS8_7pointerIdNS8_11hip_rocprim5par_tENS8_11use_defaultESE_EEEENSA_INSB_IlSD_SE_SE_EEEEZNS1_13binary_searchIS3_S5_NSA_INS8_10device_ptrIdEEEESG_SI_NS1_21upper_bound_search_opENS9_16wrapped_functionINS8_6system6detail7generic6detail18binary_search_lessEbEEEE10hipError_tPvRmT1_T2_T3_mmT4_T5_P12ihipStream_tbEUlRKdE_EESV_SZ_S10_mS11_S14_bEUlT_E_NS1_11comp_targetILNS1_3genE3ELNS1_11target_archE908ELNS1_3gpuE7ELNS1_3repE0EEENS1_30default_config_static_selectorELNS0_4arch9wavefront6targetE0EEEvSY_
                                        ; -- End function
	.set _ZN7rocprim17ROCPRIM_400000_NS6detail17trampoline_kernelINS0_14default_configENS1_27upper_bound_config_selectorIdlEEZNS1_14transform_implILb0ES3_S5_N6thrust23THRUST_200600_302600_NS6detail15normal_iteratorINS8_7pointerIdNS8_11hip_rocprim5par_tENS8_11use_defaultESE_EEEENSA_INSB_IlSD_SE_SE_EEEEZNS1_13binary_searchIS3_S5_NSA_INS8_10device_ptrIdEEEESG_SI_NS1_21upper_bound_search_opENS9_16wrapped_functionINS8_6system6detail7generic6detail18binary_search_lessEbEEEE10hipError_tPvRmT1_T2_T3_mmT4_T5_P12ihipStream_tbEUlRKdE_EESV_SZ_S10_mS11_S14_bEUlT_E_NS1_11comp_targetILNS1_3genE3ELNS1_11target_archE908ELNS1_3gpuE7ELNS1_3repE0EEENS1_30default_config_static_selectorELNS0_4arch9wavefront6targetE0EEEvSY_.num_vgpr, 0
	.set _ZN7rocprim17ROCPRIM_400000_NS6detail17trampoline_kernelINS0_14default_configENS1_27upper_bound_config_selectorIdlEEZNS1_14transform_implILb0ES3_S5_N6thrust23THRUST_200600_302600_NS6detail15normal_iteratorINS8_7pointerIdNS8_11hip_rocprim5par_tENS8_11use_defaultESE_EEEENSA_INSB_IlSD_SE_SE_EEEEZNS1_13binary_searchIS3_S5_NSA_INS8_10device_ptrIdEEEESG_SI_NS1_21upper_bound_search_opENS9_16wrapped_functionINS8_6system6detail7generic6detail18binary_search_lessEbEEEE10hipError_tPvRmT1_T2_T3_mmT4_T5_P12ihipStream_tbEUlRKdE_EESV_SZ_S10_mS11_S14_bEUlT_E_NS1_11comp_targetILNS1_3genE3ELNS1_11target_archE908ELNS1_3gpuE7ELNS1_3repE0EEENS1_30default_config_static_selectorELNS0_4arch9wavefront6targetE0EEEvSY_.num_agpr, 0
	.set _ZN7rocprim17ROCPRIM_400000_NS6detail17trampoline_kernelINS0_14default_configENS1_27upper_bound_config_selectorIdlEEZNS1_14transform_implILb0ES3_S5_N6thrust23THRUST_200600_302600_NS6detail15normal_iteratorINS8_7pointerIdNS8_11hip_rocprim5par_tENS8_11use_defaultESE_EEEENSA_INSB_IlSD_SE_SE_EEEEZNS1_13binary_searchIS3_S5_NSA_INS8_10device_ptrIdEEEESG_SI_NS1_21upper_bound_search_opENS9_16wrapped_functionINS8_6system6detail7generic6detail18binary_search_lessEbEEEE10hipError_tPvRmT1_T2_T3_mmT4_T5_P12ihipStream_tbEUlRKdE_EESV_SZ_S10_mS11_S14_bEUlT_E_NS1_11comp_targetILNS1_3genE3ELNS1_11target_archE908ELNS1_3gpuE7ELNS1_3repE0EEENS1_30default_config_static_selectorELNS0_4arch9wavefront6targetE0EEEvSY_.numbered_sgpr, 0
	.set _ZN7rocprim17ROCPRIM_400000_NS6detail17trampoline_kernelINS0_14default_configENS1_27upper_bound_config_selectorIdlEEZNS1_14transform_implILb0ES3_S5_N6thrust23THRUST_200600_302600_NS6detail15normal_iteratorINS8_7pointerIdNS8_11hip_rocprim5par_tENS8_11use_defaultESE_EEEENSA_INSB_IlSD_SE_SE_EEEEZNS1_13binary_searchIS3_S5_NSA_INS8_10device_ptrIdEEEESG_SI_NS1_21upper_bound_search_opENS9_16wrapped_functionINS8_6system6detail7generic6detail18binary_search_lessEbEEEE10hipError_tPvRmT1_T2_T3_mmT4_T5_P12ihipStream_tbEUlRKdE_EESV_SZ_S10_mS11_S14_bEUlT_E_NS1_11comp_targetILNS1_3genE3ELNS1_11target_archE908ELNS1_3gpuE7ELNS1_3repE0EEENS1_30default_config_static_selectorELNS0_4arch9wavefront6targetE0EEEvSY_.num_named_barrier, 0
	.set _ZN7rocprim17ROCPRIM_400000_NS6detail17trampoline_kernelINS0_14default_configENS1_27upper_bound_config_selectorIdlEEZNS1_14transform_implILb0ES3_S5_N6thrust23THRUST_200600_302600_NS6detail15normal_iteratorINS8_7pointerIdNS8_11hip_rocprim5par_tENS8_11use_defaultESE_EEEENSA_INSB_IlSD_SE_SE_EEEEZNS1_13binary_searchIS3_S5_NSA_INS8_10device_ptrIdEEEESG_SI_NS1_21upper_bound_search_opENS9_16wrapped_functionINS8_6system6detail7generic6detail18binary_search_lessEbEEEE10hipError_tPvRmT1_T2_T3_mmT4_T5_P12ihipStream_tbEUlRKdE_EESV_SZ_S10_mS11_S14_bEUlT_E_NS1_11comp_targetILNS1_3genE3ELNS1_11target_archE908ELNS1_3gpuE7ELNS1_3repE0EEENS1_30default_config_static_selectorELNS0_4arch9wavefront6targetE0EEEvSY_.private_seg_size, 0
	.set _ZN7rocprim17ROCPRIM_400000_NS6detail17trampoline_kernelINS0_14default_configENS1_27upper_bound_config_selectorIdlEEZNS1_14transform_implILb0ES3_S5_N6thrust23THRUST_200600_302600_NS6detail15normal_iteratorINS8_7pointerIdNS8_11hip_rocprim5par_tENS8_11use_defaultESE_EEEENSA_INSB_IlSD_SE_SE_EEEEZNS1_13binary_searchIS3_S5_NSA_INS8_10device_ptrIdEEEESG_SI_NS1_21upper_bound_search_opENS9_16wrapped_functionINS8_6system6detail7generic6detail18binary_search_lessEbEEEE10hipError_tPvRmT1_T2_T3_mmT4_T5_P12ihipStream_tbEUlRKdE_EESV_SZ_S10_mS11_S14_bEUlT_E_NS1_11comp_targetILNS1_3genE3ELNS1_11target_archE908ELNS1_3gpuE7ELNS1_3repE0EEENS1_30default_config_static_selectorELNS0_4arch9wavefront6targetE0EEEvSY_.uses_vcc, 0
	.set _ZN7rocprim17ROCPRIM_400000_NS6detail17trampoline_kernelINS0_14default_configENS1_27upper_bound_config_selectorIdlEEZNS1_14transform_implILb0ES3_S5_N6thrust23THRUST_200600_302600_NS6detail15normal_iteratorINS8_7pointerIdNS8_11hip_rocprim5par_tENS8_11use_defaultESE_EEEENSA_INSB_IlSD_SE_SE_EEEEZNS1_13binary_searchIS3_S5_NSA_INS8_10device_ptrIdEEEESG_SI_NS1_21upper_bound_search_opENS9_16wrapped_functionINS8_6system6detail7generic6detail18binary_search_lessEbEEEE10hipError_tPvRmT1_T2_T3_mmT4_T5_P12ihipStream_tbEUlRKdE_EESV_SZ_S10_mS11_S14_bEUlT_E_NS1_11comp_targetILNS1_3genE3ELNS1_11target_archE908ELNS1_3gpuE7ELNS1_3repE0EEENS1_30default_config_static_selectorELNS0_4arch9wavefront6targetE0EEEvSY_.uses_flat_scratch, 0
	.set _ZN7rocprim17ROCPRIM_400000_NS6detail17trampoline_kernelINS0_14default_configENS1_27upper_bound_config_selectorIdlEEZNS1_14transform_implILb0ES3_S5_N6thrust23THRUST_200600_302600_NS6detail15normal_iteratorINS8_7pointerIdNS8_11hip_rocprim5par_tENS8_11use_defaultESE_EEEENSA_INSB_IlSD_SE_SE_EEEEZNS1_13binary_searchIS3_S5_NSA_INS8_10device_ptrIdEEEESG_SI_NS1_21upper_bound_search_opENS9_16wrapped_functionINS8_6system6detail7generic6detail18binary_search_lessEbEEEE10hipError_tPvRmT1_T2_T3_mmT4_T5_P12ihipStream_tbEUlRKdE_EESV_SZ_S10_mS11_S14_bEUlT_E_NS1_11comp_targetILNS1_3genE3ELNS1_11target_archE908ELNS1_3gpuE7ELNS1_3repE0EEENS1_30default_config_static_selectorELNS0_4arch9wavefront6targetE0EEEvSY_.has_dyn_sized_stack, 0
	.set _ZN7rocprim17ROCPRIM_400000_NS6detail17trampoline_kernelINS0_14default_configENS1_27upper_bound_config_selectorIdlEEZNS1_14transform_implILb0ES3_S5_N6thrust23THRUST_200600_302600_NS6detail15normal_iteratorINS8_7pointerIdNS8_11hip_rocprim5par_tENS8_11use_defaultESE_EEEENSA_INSB_IlSD_SE_SE_EEEEZNS1_13binary_searchIS3_S5_NSA_INS8_10device_ptrIdEEEESG_SI_NS1_21upper_bound_search_opENS9_16wrapped_functionINS8_6system6detail7generic6detail18binary_search_lessEbEEEE10hipError_tPvRmT1_T2_T3_mmT4_T5_P12ihipStream_tbEUlRKdE_EESV_SZ_S10_mS11_S14_bEUlT_E_NS1_11comp_targetILNS1_3genE3ELNS1_11target_archE908ELNS1_3gpuE7ELNS1_3repE0EEENS1_30default_config_static_selectorELNS0_4arch9wavefront6targetE0EEEvSY_.has_recursion, 0
	.set _ZN7rocprim17ROCPRIM_400000_NS6detail17trampoline_kernelINS0_14default_configENS1_27upper_bound_config_selectorIdlEEZNS1_14transform_implILb0ES3_S5_N6thrust23THRUST_200600_302600_NS6detail15normal_iteratorINS8_7pointerIdNS8_11hip_rocprim5par_tENS8_11use_defaultESE_EEEENSA_INSB_IlSD_SE_SE_EEEEZNS1_13binary_searchIS3_S5_NSA_INS8_10device_ptrIdEEEESG_SI_NS1_21upper_bound_search_opENS9_16wrapped_functionINS8_6system6detail7generic6detail18binary_search_lessEbEEEE10hipError_tPvRmT1_T2_T3_mmT4_T5_P12ihipStream_tbEUlRKdE_EESV_SZ_S10_mS11_S14_bEUlT_E_NS1_11comp_targetILNS1_3genE3ELNS1_11target_archE908ELNS1_3gpuE7ELNS1_3repE0EEENS1_30default_config_static_selectorELNS0_4arch9wavefront6targetE0EEEvSY_.has_indirect_call, 0
	.section	.AMDGPU.csdata,"",@progbits
; Kernel info:
; codeLenInByte = 0
; TotalNumSgprs: 0
; NumVgprs: 0
; ScratchSize: 0
; MemoryBound: 0
; FloatMode: 240
; IeeeMode: 1
; LDSByteSize: 0 bytes/workgroup (compile time only)
; SGPRBlocks: 0
; VGPRBlocks: 0
; NumSGPRsForWavesPerEU: 1
; NumVGPRsForWavesPerEU: 1
; Occupancy: 16
; WaveLimiterHint : 0
; COMPUTE_PGM_RSRC2:SCRATCH_EN: 0
; COMPUTE_PGM_RSRC2:USER_SGPR: 6
; COMPUTE_PGM_RSRC2:TRAP_HANDLER: 0
; COMPUTE_PGM_RSRC2:TGID_X_EN: 1
; COMPUTE_PGM_RSRC2:TGID_Y_EN: 0
; COMPUTE_PGM_RSRC2:TGID_Z_EN: 0
; COMPUTE_PGM_RSRC2:TIDIG_COMP_CNT: 0
	.section	.text._ZN7rocprim17ROCPRIM_400000_NS6detail17trampoline_kernelINS0_14default_configENS1_27upper_bound_config_selectorIdlEEZNS1_14transform_implILb0ES3_S5_N6thrust23THRUST_200600_302600_NS6detail15normal_iteratorINS8_7pointerIdNS8_11hip_rocprim5par_tENS8_11use_defaultESE_EEEENSA_INSB_IlSD_SE_SE_EEEEZNS1_13binary_searchIS3_S5_NSA_INS8_10device_ptrIdEEEESG_SI_NS1_21upper_bound_search_opENS9_16wrapped_functionINS8_6system6detail7generic6detail18binary_search_lessEbEEEE10hipError_tPvRmT1_T2_T3_mmT4_T5_P12ihipStream_tbEUlRKdE_EESV_SZ_S10_mS11_S14_bEUlT_E_NS1_11comp_targetILNS1_3genE2ELNS1_11target_archE906ELNS1_3gpuE6ELNS1_3repE0EEENS1_30default_config_static_selectorELNS0_4arch9wavefront6targetE0EEEvSY_,"axG",@progbits,_ZN7rocprim17ROCPRIM_400000_NS6detail17trampoline_kernelINS0_14default_configENS1_27upper_bound_config_selectorIdlEEZNS1_14transform_implILb0ES3_S5_N6thrust23THRUST_200600_302600_NS6detail15normal_iteratorINS8_7pointerIdNS8_11hip_rocprim5par_tENS8_11use_defaultESE_EEEENSA_INSB_IlSD_SE_SE_EEEEZNS1_13binary_searchIS3_S5_NSA_INS8_10device_ptrIdEEEESG_SI_NS1_21upper_bound_search_opENS9_16wrapped_functionINS8_6system6detail7generic6detail18binary_search_lessEbEEEE10hipError_tPvRmT1_T2_T3_mmT4_T5_P12ihipStream_tbEUlRKdE_EESV_SZ_S10_mS11_S14_bEUlT_E_NS1_11comp_targetILNS1_3genE2ELNS1_11target_archE906ELNS1_3gpuE6ELNS1_3repE0EEENS1_30default_config_static_selectorELNS0_4arch9wavefront6targetE0EEEvSY_,comdat
	.protected	_ZN7rocprim17ROCPRIM_400000_NS6detail17trampoline_kernelINS0_14default_configENS1_27upper_bound_config_selectorIdlEEZNS1_14transform_implILb0ES3_S5_N6thrust23THRUST_200600_302600_NS6detail15normal_iteratorINS8_7pointerIdNS8_11hip_rocprim5par_tENS8_11use_defaultESE_EEEENSA_INSB_IlSD_SE_SE_EEEEZNS1_13binary_searchIS3_S5_NSA_INS8_10device_ptrIdEEEESG_SI_NS1_21upper_bound_search_opENS9_16wrapped_functionINS8_6system6detail7generic6detail18binary_search_lessEbEEEE10hipError_tPvRmT1_T2_T3_mmT4_T5_P12ihipStream_tbEUlRKdE_EESV_SZ_S10_mS11_S14_bEUlT_E_NS1_11comp_targetILNS1_3genE2ELNS1_11target_archE906ELNS1_3gpuE6ELNS1_3repE0EEENS1_30default_config_static_selectorELNS0_4arch9wavefront6targetE0EEEvSY_ ; -- Begin function _ZN7rocprim17ROCPRIM_400000_NS6detail17trampoline_kernelINS0_14default_configENS1_27upper_bound_config_selectorIdlEEZNS1_14transform_implILb0ES3_S5_N6thrust23THRUST_200600_302600_NS6detail15normal_iteratorINS8_7pointerIdNS8_11hip_rocprim5par_tENS8_11use_defaultESE_EEEENSA_INSB_IlSD_SE_SE_EEEEZNS1_13binary_searchIS3_S5_NSA_INS8_10device_ptrIdEEEESG_SI_NS1_21upper_bound_search_opENS9_16wrapped_functionINS8_6system6detail7generic6detail18binary_search_lessEbEEEE10hipError_tPvRmT1_T2_T3_mmT4_T5_P12ihipStream_tbEUlRKdE_EESV_SZ_S10_mS11_S14_bEUlT_E_NS1_11comp_targetILNS1_3genE2ELNS1_11target_archE906ELNS1_3gpuE6ELNS1_3repE0EEENS1_30default_config_static_selectorELNS0_4arch9wavefront6targetE0EEEvSY_
	.globl	_ZN7rocprim17ROCPRIM_400000_NS6detail17trampoline_kernelINS0_14default_configENS1_27upper_bound_config_selectorIdlEEZNS1_14transform_implILb0ES3_S5_N6thrust23THRUST_200600_302600_NS6detail15normal_iteratorINS8_7pointerIdNS8_11hip_rocprim5par_tENS8_11use_defaultESE_EEEENSA_INSB_IlSD_SE_SE_EEEEZNS1_13binary_searchIS3_S5_NSA_INS8_10device_ptrIdEEEESG_SI_NS1_21upper_bound_search_opENS9_16wrapped_functionINS8_6system6detail7generic6detail18binary_search_lessEbEEEE10hipError_tPvRmT1_T2_T3_mmT4_T5_P12ihipStream_tbEUlRKdE_EESV_SZ_S10_mS11_S14_bEUlT_E_NS1_11comp_targetILNS1_3genE2ELNS1_11target_archE906ELNS1_3gpuE6ELNS1_3repE0EEENS1_30default_config_static_selectorELNS0_4arch9wavefront6targetE0EEEvSY_
	.p2align	8
	.type	_ZN7rocprim17ROCPRIM_400000_NS6detail17trampoline_kernelINS0_14default_configENS1_27upper_bound_config_selectorIdlEEZNS1_14transform_implILb0ES3_S5_N6thrust23THRUST_200600_302600_NS6detail15normal_iteratorINS8_7pointerIdNS8_11hip_rocprim5par_tENS8_11use_defaultESE_EEEENSA_INSB_IlSD_SE_SE_EEEEZNS1_13binary_searchIS3_S5_NSA_INS8_10device_ptrIdEEEESG_SI_NS1_21upper_bound_search_opENS9_16wrapped_functionINS8_6system6detail7generic6detail18binary_search_lessEbEEEE10hipError_tPvRmT1_T2_T3_mmT4_T5_P12ihipStream_tbEUlRKdE_EESV_SZ_S10_mS11_S14_bEUlT_E_NS1_11comp_targetILNS1_3genE2ELNS1_11target_archE906ELNS1_3gpuE6ELNS1_3repE0EEENS1_30default_config_static_selectorELNS0_4arch9wavefront6targetE0EEEvSY_,@function
_ZN7rocprim17ROCPRIM_400000_NS6detail17trampoline_kernelINS0_14default_configENS1_27upper_bound_config_selectorIdlEEZNS1_14transform_implILb0ES3_S5_N6thrust23THRUST_200600_302600_NS6detail15normal_iteratorINS8_7pointerIdNS8_11hip_rocprim5par_tENS8_11use_defaultESE_EEEENSA_INSB_IlSD_SE_SE_EEEEZNS1_13binary_searchIS3_S5_NSA_INS8_10device_ptrIdEEEESG_SI_NS1_21upper_bound_search_opENS9_16wrapped_functionINS8_6system6detail7generic6detail18binary_search_lessEbEEEE10hipError_tPvRmT1_T2_T3_mmT4_T5_P12ihipStream_tbEUlRKdE_EESV_SZ_S10_mS11_S14_bEUlT_E_NS1_11comp_targetILNS1_3genE2ELNS1_11target_archE906ELNS1_3gpuE6ELNS1_3repE0EEENS1_30default_config_static_selectorELNS0_4arch9wavefront6targetE0EEEvSY_: ; @_ZN7rocprim17ROCPRIM_400000_NS6detail17trampoline_kernelINS0_14default_configENS1_27upper_bound_config_selectorIdlEEZNS1_14transform_implILb0ES3_S5_N6thrust23THRUST_200600_302600_NS6detail15normal_iteratorINS8_7pointerIdNS8_11hip_rocprim5par_tENS8_11use_defaultESE_EEEENSA_INSB_IlSD_SE_SE_EEEEZNS1_13binary_searchIS3_S5_NSA_INS8_10device_ptrIdEEEESG_SI_NS1_21upper_bound_search_opENS9_16wrapped_functionINS8_6system6detail7generic6detail18binary_search_lessEbEEEE10hipError_tPvRmT1_T2_T3_mmT4_T5_P12ihipStream_tbEUlRKdE_EESV_SZ_S10_mS11_S14_bEUlT_E_NS1_11comp_targetILNS1_3genE2ELNS1_11target_archE906ELNS1_3gpuE6ELNS1_3repE0EEENS1_30default_config_static_selectorELNS0_4arch9wavefront6targetE0EEEvSY_
; %bb.0:
	.section	.rodata,"a",@progbits
	.p2align	6, 0x0
	.amdhsa_kernel _ZN7rocprim17ROCPRIM_400000_NS6detail17trampoline_kernelINS0_14default_configENS1_27upper_bound_config_selectorIdlEEZNS1_14transform_implILb0ES3_S5_N6thrust23THRUST_200600_302600_NS6detail15normal_iteratorINS8_7pointerIdNS8_11hip_rocprim5par_tENS8_11use_defaultESE_EEEENSA_INSB_IlSD_SE_SE_EEEEZNS1_13binary_searchIS3_S5_NSA_INS8_10device_ptrIdEEEESG_SI_NS1_21upper_bound_search_opENS9_16wrapped_functionINS8_6system6detail7generic6detail18binary_search_lessEbEEEE10hipError_tPvRmT1_T2_T3_mmT4_T5_P12ihipStream_tbEUlRKdE_EESV_SZ_S10_mS11_S14_bEUlT_E_NS1_11comp_targetILNS1_3genE2ELNS1_11target_archE906ELNS1_3gpuE6ELNS1_3repE0EEENS1_30default_config_static_selectorELNS0_4arch9wavefront6targetE0EEEvSY_
		.amdhsa_group_segment_fixed_size 0
		.amdhsa_private_segment_fixed_size 0
		.amdhsa_kernarg_size 56
		.amdhsa_user_sgpr_count 6
		.amdhsa_user_sgpr_private_segment_buffer 1
		.amdhsa_user_sgpr_dispatch_ptr 0
		.amdhsa_user_sgpr_queue_ptr 0
		.amdhsa_user_sgpr_kernarg_segment_ptr 1
		.amdhsa_user_sgpr_dispatch_id 0
		.amdhsa_user_sgpr_flat_scratch_init 0
		.amdhsa_user_sgpr_private_segment_size 0
		.amdhsa_wavefront_size32 1
		.amdhsa_uses_dynamic_stack 0
		.amdhsa_system_sgpr_private_segment_wavefront_offset 0
		.amdhsa_system_sgpr_workgroup_id_x 1
		.amdhsa_system_sgpr_workgroup_id_y 0
		.amdhsa_system_sgpr_workgroup_id_z 0
		.amdhsa_system_sgpr_workgroup_info 0
		.amdhsa_system_vgpr_workitem_id 0
		.amdhsa_next_free_vgpr 1
		.amdhsa_next_free_sgpr 1
		.amdhsa_reserve_vcc 0
		.amdhsa_reserve_flat_scratch 0
		.amdhsa_float_round_mode_32 0
		.amdhsa_float_round_mode_16_64 0
		.amdhsa_float_denorm_mode_32 3
		.amdhsa_float_denorm_mode_16_64 3
		.amdhsa_dx10_clamp 1
		.amdhsa_ieee_mode 1
		.amdhsa_fp16_overflow 0
		.amdhsa_workgroup_processor_mode 1
		.amdhsa_memory_ordered 1
		.amdhsa_forward_progress 1
		.amdhsa_shared_vgpr_count 0
		.amdhsa_exception_fp_ieee_invalid_op 0
		.amdhsa_exception_fp_denorm_src 0
		.amdhsa_exception_fp_ieee_div_zero 0
		.amdhsa_exception_fp_ieee_overflow 0
		.amdhsa_exception_fp_ieee_underflow 0
		.amdhsa_exception_fp_ieee_inexact 0
		.amdhsa_exception_int_div_zero 0
	.end_amdhsa_kernel
	.section	.text._ZN7rocprim17ROCPRIM_400000_NS6detail17trampoline_kernelINS0_14default_configENS1_27upper_bound_config_selectorIdlEEZNS1_14transform_implILb0ES3_S5_N6thrust23THRUST_200600_302600_NS6detail15normal_iteratorINS8_7pointerIdNS8_11hip_rocprim5par_tENS8_11use_defaultESE_EEEENSA_INSB_IlSD_SE_SE_EEEEZNS1_13binary_searchIS3_S5_NSA_INS8_10device_ptrIdEEEESG_SI_NS1_21upper_bound_search_opENS9_16wrapped_functionINS8_6system6detail7generic6detail18binary_search_lessEbEEEE10hipError_tPvRmT1_T2_T3_mmT4_T5_P12ihipStream_tbEUlRKdE_EESV_SZ_S10_mS11_S14_bEUlT_E_NS1_11comp_targetILNS1_3genE2ELNS1_11target_archE906ELNS1_3gpuE6ELNS1_3repE0EEENS1_30default_config_static_selectorELNS0_4arch9wavefront6targetE0EEEvSY_,"axG",@progbits,_ZN7rocprim17ROCPRIM_400000_NS6detail17trampoline_kernelINS0_14default_configENS1_27upper_bound_config_selectorIdlEEZNS1_14transform_implILb0ES3_S5_N6thrust23THRUST_200600_302600_NS6detail15normal_iteratorINS8_7pointerIdNS8_11hip_rocprim5par_tENS8_11use_defaultESE_EEEENSA_INSB_IlSD_SE_SE_EEEEZNS1_13binary_searchIS3_S5_NSA_INS8_10device_ptrIdEEEESG_SI_NS1_21upper_bound_search_opENS9_16wrapped_functionINS8_6system6detail7generic6detail18binary_search_lessEbEEEE10hipError_tPvRmT1_T2_T3_mmT4_T5_P12ihipStream_tbEUlRKdE_EESV_SZ_S10_mS11_S14_bEUlT_E_NS1_11comp_targetILNS1_3genE2ELNS1_11target_archE906ELNS1_3gpuE6ELNS1_3repE0EEENS1_30default_config_static_selectorELNS0_4arch9wavefront6targetE0EEEvSY_,comdat
.Lfunc_end504:
	.size	_ZN7rocprim17ROCPRIM_400000_NS6detail17trampoline_kernelINS0_14default_configENS1_27upper_bound_config_selectorIdlEEZNS1_14transform_implILb0ES3_S5_N6thrust23THRUST_200600_302600_NS6detail15normal_iteratorINS8_7pointerIdNS8_11hip_rocprim5par_tENS8_11use_defaultESE_EEEENSA_INSB_IlSD_SE_SE_EEEEZNS1_13binary_searchIS3_S5_NSA_INS8_10device_ptrIdEEEESG_SI_NS1_21upper_bound_search_opENS9_16wrapped_functionINS8_6system6detail7generic6detail18binary_search_lessEbEEEE10hipError_tPvRmT1_T2_T3_mmT4_T5_P12ihipStream_tbEUlRKdE_EESV_SZ_S10_mS11_S14_bEUlT_E_NS1_11comp_targetILNS1_3genE2ELNS1_11target_archE906ELNS1_3gpuE6ELNS1_3repE0EEENS1_30default_config_static_selectorELNS0_4arch9wavefront6targetE0EEEvSY_, .Lfunc_end504-_ZN7rocprim17ROCPRIM_400000_NS6detail17trampoline_kernelINS0_14default_configENS1_27upper_bound_config_selectorIdlEEZNS1_14transform_implILb0ES3_S5_N6thrust23THRUST_200600_302600_NS6detail15normal_iteratorINS8_7pointerIdNS8_11hip_rocprim5par_tENS8_11use_defaultESE_EEEENSA_INSB_IlSD_SE_SE_EEEEZNS1_13binary_searchIS3_S5_NSA_INS8_10device_ptrIdEEEESG_SI_NS1_21upper_bound_search_opENS9_16wrapped_functionINS8_6system6detail7generic6detail18binary_search_lessEbEEEE10hipError_tPvRmT1_T2_T3_mmT4_T5_P12ihipStream_tbEUlRKdE_EESV_SZ_S10_mS11_S14_bEUlT_E_NS1_11comp_targetILNS1_3genE2ELNS1_11target_archE906ELNS1_3gpuE6ELNS1_3repE0EEENS1_30default_config_static_selectorELNS0_4arch9wavefront6targetE0EEEvSY_
                                        ; -- End function
	.set _ZN7rocprim17ROCPRIM_400000_NS6detail17trampoline_kernelINS0_14default_configENS1_27upper_bound_config_selectorIdlEEZNS1_14transform_implILb0ES3_S5_N6thrust23THRUST_200600_302600_NS6detail15normal_iteratorINS8_7pointerIdNS8_11hip_rocprim5par_tENS8_11use_defaultESE_EEEENSA_INSB_IlSD_SE_SE_EEEEZNS1_13binary_searchIS3_S5_NSA_INS8_10device_ptrIdEEEESG_SI_NS1_21upper_bound_search_opENS9_16wrapped_functionINS8_6system6detail7generic6detail18binary_search_lessEbEEEE10hipError_tPvRmT1_T2_T3_mmT4_T5_P12ihipStream_tbEUlRKdE_EESV_SZ_S10_mS11_S14_bEUlT_E_NS1_11comp_targetILNS1_3genE2ELNS1_11target_archE906ELNS1_3gpuE6ELNS1_3repE0EEENS1_30default_config_static_selectorELNS0_4arch9wavefront6targetE0EEEvSY_.num_vgpr, 0
	.set _ZN7rocprim17ROCPRIM_400000_NS6detail17trampoline_kernelINS0_14default_configENS1_27upper_bound_config_selectorIdlEEZNS1_14transform_implILb0ES3_S5_N6thrust23THRUST_200600_302600_NS6detail15normal_iteratorINS8_7pointerIdNS8_11hip_rocprim5par_tENS8_11use_defaultESE_EEEENSA_INSB_IlSD_SE_SE_EEEEZNS1_13binary_searchIS3_S5_NSA_INS8_10device_ptrIdEEEESG_SI_NS1_21upper_bound_search_opENS9_16wrapped_functionINS8_6system6detail7generic6detail18binary_search_lessEbEEEE10hipError_tPvRmT1_T2_T3_mmT4_T5_P12ihipStream_tbEUlRKdE_EESV_SZ_S10_mS11_S14_bEUlT_E_NS1_11comp_targetILNS1_3genE2ELNS1_11target_archE906ELNS1_3gpuE6ELNS1_3repE0EEENS1_30default_config_static_selectorELNS0_4arch9wavefront6targetE0EEEvSY_.num_agpr, 0
	.set _ZN7rocprim17ROCPRIM_400000_NS6detail17trampoline_kernelINS0_14default_configENS1_27upper_bound_config_selectorIdlEEZNS1_14transform_implILb0ES3_S5_N6thrust23THRUST_200600_302600_NS6detail15normal_iteratorINS8_7pointerIdNS8_11hip_rocprim5par_tENS8_11use_defaultESE_EEEENSA_INSB_IlSD_SE_SE_EEEEZNS1_13binary_searchIS3_S5_NSA_INS8_10device_ptrIdEEEESG_SI_NS1_21upper_bound_search_opENS9_16wrapped_functionINS8_6system6detail7generic6detail18binary_search_lessEbEEEE10hipError_tPvRmT1_T2_T3_mmT4_T5_P12ihipStream_tbEUlRKdE_EESV_SZ_S10_mS11_S14_bEUlT_E_NS1_11comp_targetILNS1_3genE2ELNS1_11target_archE906ELNS1_3gpuE6ELNS1_3repE0EEENS1_30default_config_static_selectorELNS0_4arch9wavefront6targetE0EEEvSY_.numbered_sgpr, 0
	.set _ZN7rocprim17ROCPRIM_400000_NS6detail17trampoline_kernelINS0_14default_configENS1_27upper_bound_config_selectorIdlEEZNS1_14transform_implILb0ES3_S5_N6thrust23THRUST_200600_302600_NS6detail15normal_iteratorINS8_7pointerIdNS8_11hip_rocprim5par_tENS8_11use_defaultESE_EEEENSA_INSB_IlSD_SE_SE_EEEEZNS1_13binary_searchIS3_S5_NSA_INS8_10device_ptrIdEEEESG_SI_NS1_21upper_bound_search_opENS9_16wrapped_functionINS8_6system6detail7generic6detail18binary_search_lessEbEEEE10hipError_tPvRmT1_T2_T3_mmT4_T5_P12ihipStream_tbEUlRKdE_EESV_SZ_S10_mS11_S14_bEUlT_E_NS1_11comp_targetILNS1_3genE2ELNS1_11target_archE906ELNS1_3gpuE6ELNS1_3repE0EEENS1_30default_config_static_selectorELNS0_4arch9wavefront6targetE0EEEvSY_.num_named_barrier, 0
	.set _ZN7rocprim17ROCPRIM_400000_NS6detail17trampoline_kernelINS0_14default_configENS1_27upper_bound_config_selectorIdlEEZNS1_14transform_implILb0ES3_S5_N6thrust23THRUST_200600_302600_NS6detail15normal_iteratorINS8_7pointerIdNS8_11hip_rocprim5par_tENS8_11use_defaultESE_EEEENSA_INSB_IlSD_SE_SE_EEEEZNS1_13binary_searchIS3_S5_NSA_INS8_10device_ptrIdEEEESG_SI_NS1_21upper_bound_search_opENS9_16wrapped_functionINS8_6system6detail7generic6detail18binary_search_lessEbEEEE10hipError_tPvRmT1_T2_T3_mmT4_T5_P12ihipStream_tbEUlRKdE_EESV_SZ_S10_mS11_S14_bEUlT_E_NS1_11comp_targetILNS1_3genE2ELNS1_11target_archE906ELNS1_3gpuE6ELNS1_3repE0EEENS1_30default_config_static_selectorELNS0_4arch9wavefront6targetE0EEEvSY_.private_seg_size, 0
	.set _ZN7rocprim17ROCPRIM_400000_NS6detail17trampoline_kernelINS0_14default_configENS1_27upper_bound_config_selectorIdlEEZNS1_14transform_implILb0ES3_S5_N6thrust23THRUST_200600_302600_NS6detail15normal_iteratorINS8_7pointerIdNS8_11hip_rocprim5par_tENS8_11use_defaultESE_EEEENSA_INSB_IlSD_SE_SE_EEEEZNS1_13binary_searchIS3_S5_NSA_INS8_10device_ptrIdEEEESG_SI_NS1_21upper_bound_search_opENS9_16wrapped_functionINS8_6system6detail7generic6detail18binary_search_lessEbEEEE10hipError_tPvRmT1_T2_T3_mmT4_T5_P12ihipStream_tbEUlRKdE_EESV_SZ_S10_mS11_S14_bEUlT_E_NS1_11comp_targetILNS1_3genE2ELNS1_11target_archE906ELNS1_3gpuE6ELNS1_3repE0EEENS1_30default_config_static_selectorELNS0_4arch9wavefront6targetE0EEEvSY_.uses_vcc, 0
	.set _ZN7rocprim17ROCPRIM_400000_NS6detail17trampoline_kernelINS0_14default_configENS1_27upper_bound_config_selectorIdlEEZNS1_14transform_implILb0ES3_S5_N6thrust23THRUST_200600_302600_NS6detail15normal_iteratorINS8_7pointerIdNS8_11hip_rocprim5par_tENS8_11use_defaultESE_EEEENSA_INSB_IlSD_SE_SE_EEEEZNS1_13binary_searchIS3_S5_NSA_INS8_10device_ptrIdEEEESG_SI_NS1_21upper_bound_search_opENS9_16wrapped_functionINS8_6system6detail7generic6detail18binary_search_lessEbEEEE10hipError_tPvRmT1_T2_T3_mmT4_T5_P12ihipStream_tbEUlRKdE_EESV_SZ_S10_mS11_S14_bEUlT_E_NS1_11comp_targetILNS1_3genE2ELNS1_11target_archE906ELNS1_3gpuE6ELNS1_3repE0EEENS1_30default_config_static_selectorELNS0_4arch9wavefront6targetE0EEEvSY_.uses_flat_scratch, 0
	.set _ZN7rocprim17ROCPRIM_400000_NS6detail17trampoline_kernelINS0_14default_configENS1_27upper_bound_config_selectorIdlEEZNS1_14transform_implILb0ES3_S5_N6thrust23THRUST_200600_302600_NS6detail15normal_iteratorINS8_7pointerIdNS8_11hip_rocprim5par_tENS8_11use_defaultESE_EEEENSA_INSB_IlSD_SE_SE_EEEEZNS1_13binary_searchIS3_S5_NSA_INS8_10device_ptrIdEEEESG_SI_NS1_21upper_bound_search_opENS9_16wrapped_functionINS8_6system6detail7generic6detail18binary_search_lessEbEEEE10hipError_tPvRmT1_T2_T3_mmT4_T5_P12ihipStream_tbEUlRKdE_EESV_SZ_S10_mS11_S14_bEUlT_E_NS1_11comp_targetILNS1_3genE2ELNS1_11target_archE906ELNS1_3gpuE6ELNS1_3repE0EEENS1_30default_config_static_selectorELNS0_4arch9wavefront6targetE0EEEvSY_.has_dyn_sized_stack, 0
	.set _ZN7rocprim17ROCPRIM_400000_NS6detail17trampoline_kernelINS0_14default_configENS1_27upper_bound_config_selectorIdlEEZNS1_14transform_implILb0ES3_S5_N6thrust23THRUST_200600_302600_NS6detail15normal_iteratorINS8_7pointerIdNS8_11hip_rocprim5par_tENS8_11use_defaultESE_EEEENSA_INSB_IlSD_SE_SE_EEEEZNS1_13binary_searchIS3_S5_NSA_INS8_10device_ptrIdEEEESG_SI_NS1_21upper_bound_search_opENS9_16wrapped_functionINS8_6system6detail7generic6detail18binary_search_lessEbEEEE10hipError_tPvRmT1_T2_T3_mmT4_T5_P12ihipStream_tbEUlRKdE_EESV_SZ_S10_mS11_S14_bEUlT_E_NS1_11comp_targetILNS1_3genE2ELNS1_11target_archE906ELNS1_3gpuE6ELNS1_3repE0EEENS1_30default_config_static_selectorELNS0_4arch9wavefront6targetE0EEEvSY_.has_recursion, 0
	.set _ZN7rocprim17ROCPRIM_400000_NS6detail17trampoline_kernelINS0_14default_configENS1_27upper_bound_config_selectorIdlEEZNS1_14transform_implILb0ES3_S5_N6thrust23THRUST_200600_302600_NS6detail15normal_iteratorINS8_7pointerIdNS8_11hip_rocprim5par_tENS8_11use_defaultESE_EEEENSA_INSB_IlSD_SE_SE_EEEEZNS1_13binary_searchIS3_S5_NSA_INS8_10device_ptrIdEEEESG_SI_NS1_21upper_bound_search_opENS9_16wrapped_functionINS8_6system6detail7generic6detail18binary_search_lessEbEEEE10hipError_tPvRmT1_T2_T3_mmT4_T5_P12ihipStream_tbEUlRKdE_EESV_SZ_S10_mS11_S14_bEUlT_E_NS1_11comp_targetILNS1_3genE2ELNS1_11target_archE906ELNS1_3gpuE6ELNS1_3repE0EEENS1_30default_config_static_selectorELNS0_4arch9wavefront6targetE0EEEvSY_.has_indirect_call, 0
	.section	.AMDGPU.csdata,"",@progbits
; Kernel info:
; codeLenInByte = 0
; TotalNumSgprs: 0
; NumVgprs: 0
; ScratchSize: 0
; MemoryBound: 0
; FloatMode: 240
; IeeeMode: 1
; LDSByteSize: 0 bytes/workgroup (compile time only)
; SGPRBlocks: 0
; VGPRBlocks: 0
; NumSGPRsForWavesPerEU: 1
; NumVGPRsForWavesPerEU: 1
; Occupancy: 16
; WaveLimiterHint : 0
; COMPUTE_PGM_RSRC2:SCRATCH_EN: 0
; COMPUTE_PGM_RSRC2:USER_SGPR: 6
; COMPUTE_PGM_RSRC2:TRAP_HANDLER: 0
; COMPUTE_PGM_RSRC2:TGID_X_EN: 1
; COMPUTE_PGM_RSRC2:TGID_Y_EN: 0
; COMPUTE_PGM_RSRC2:TGID_Z_EN: 0
; COMPUTE_PGM_RSRC2:TIDIG_COMP_CNT: 0
	.section	.text._ZN7rocprim17ROCPRIM_400000_NS6detail17trampoline_kernelINS0_14default_configENS1_27upper_bound_config_selectorIdlEEZNS1_14transform_implILb0ES3_S5_N6thrust23THRUST_200600_302600_NS6detail15normal_iteratorINS8_7pointerIdNS8_11hip_rocprim5par_tENS8_11use_defaultESE_EEEENSA_INSB_IlSD_SE_SE_EEEEZNS1_13binary_searchIS3_S5_NSA_INS8_10device_ptrIdEEEESG_SI_NS1_21upper_bound_search_opENS9_16wrapped_functionINS8_6system6detail7generic6detail18binary_search_lessEbEEEE10hipError_tPvRmT1_T2_T3_mmT4_T5_P12ihipStream_tbEUlRKdE_EESV_SZ_S10_mS11_S14_bEUlT_E_NS1_11comp_targetILNS1_3genE10ELNS1_11target_archE1201ELNS1_3gpuE5ELNS1_3repE0EEENS1_30default_config_static_selectorELNS0_4arch9wavefront6targetE0EEEvSY_,"axG",@progbits,_ZN7rocprim17ROCPRIM_400000_NS6detail17trampoline_kernelINS0_14default_configENS1_27upper_bound_config_selectorIdlEEZNS1_14transform_implILb0ES3_S5_N6thrust23THRUST_200600_302600_NS6detail15normal_iteratorINS8_7pointerIdNS8_11hip_rocprim5par_tENS8_11use_defaultESE_EEEENSA_INSB_IlSD_SE_SE_EEEEZNS1_13binary_searchIS3_S5_NSA_INS8_10device_ptrIdEEEESG_SI_NS1_21upper_bound_search_opENS9_16wrapped_functionINS8_6system6detail7generic6detail18binary_search_lessEbEEEE10hipError_tPvRmT1_T2_T3_mmT4_T5_P12ihipStream_tbEUlRKdE_EESV_SZ_S10_mS11_S14_bEUlT_E_NS1_11comp_targetILNS1_3genE10ELNS1_11target_archE1201ELNS1_3gpuE5ELNS1_3repE0EEENS1_30default_config_static_selectorELNS0_4arch9wavefront6targetE0EEEvSY_,comdat
	.protected	_ZN7rocprim17ROCPRIM_400000_NS6detail17trampoline_kernelINS0_14default_configENS1_27upper_bound_config_selectorIdlEEZNS1_14transform_implILb0ES3_S5_N6thrust23THRUST_200600_302600_NS6detail15normal_iteratorINS8_7pointerIdNS8_11hip_rocprim5par_tENS8_11use_defaultESE_EEEENSA_INSB_IlSD_SE_SE_EEEEZNS1_13binary_searchIS3_S5_NSA_INS8_10device_ptrIdEEEESG_SI_NS1_21upper_bound_search_opENS9_16wrapped_functionINS8_6system6detail7generic6detail18binary_search_lessEbEEEE10hipError_tPvRmT1_T2_T3_mmT4_T5_P12ihipStream_tbEUlRKdE_EESV_SZ_S10_mS11_S14_bEUlT_E_NS1_11comp_targetILNS1_3genE10ELNS1_11target_archE1201ELNS1_3gpuE5ELNS1_3repE0EEENS1_30default_config_static_selectorELNS0_4arch9wavefront6targetE0EEEvSY_ ; -- Begin function _ZN7rocprim17ROCPRIM_400000_NS6detail17trampoline_kernelINS0_14default_configENS1_27upper_bound_config_selectorIdlEEZNS1_14transform_implILb0ES3_S5_N6thrust23THRUST_200600_302600_NS6detail15normal_iteratorINS8_7pointerIdNS8_11hip_rocprim5par_tENS8_11use_defaultESE_EEEENSA_INSB_IlSD_SE_SE_EEEEZNS1_13binary_searchIS3_S5_NSA_INS8_10device_ptrIdEEEESG_SI_NS1_21upper_bound_search_opENS9_16wrapped_functionINS8_6system6detail7generic6detail18binary_search_lessEbEEEE10hipError_tPvRmT1_T2_T3_mmT4_T5_P12ihipStream_tbEUlRKdE_EESV_SZ_S10_mS11_S14_bEUlT_E_NS1_11comp_targetILNS1_3genE10ELNS1_11target_archE1201ELNS1_3gpuE5ELNS1_3repE0EEENS1_30default_config_static_selectorELNS0_4arch9wavefront6targetE0EEEvSY_
	.globl	_ZN7rocprim17ROCPRIM_400000_NS6detail17trampoline_kernelINS0_14default_configENS1_27upper_bound_config_selectorIdlEEZNS1_14transform_implILb0ES3_S5_N6thrust23THRUST_200600_302600_NS6detail15normal_iteratorINS8_7pointerIdNS8_11hip_rocprim5par_tENS8_11use_defaultESE_EEEENSA_INSB_IlSD_SE_SE_EEEEZNS1_13binary_searchIS3_S5_NSA_INS8_10device_ptrIdEEEESG_SI_NS1_21upper_bound_search_opENS9_16wrapped_functionINS8_6system6detail7generic6detail18binary_search_lessEbEEEE10hipError_tPvRmT1_T2_T3_mmT4_T5_P12ihipStream_tbEUlRKdE_EESV_SZ_S10_mS11_S14_bEUlT_E_NS1_11comp_targetILNS1_3genE10ELNS1_11target_archE1201ELNS1_3gpuE5ELNS1_3repE0EEENS1_30default_config_static_selectorELNS0_4arch9wavefront6targetE0EEEvSY_
	.p2align	8
	.type	_ZN7rocprim17ROCPRIM_400000_NS6detail17trampoline_kernelINS0_14default_configENS1_27upper_bound_config_selectorIdlEEZNS1_14transform_implILb0ES3_S5_N6thrust23THRUST_200600_302600_NS6detail15normal_iteratorINS8_7pointerIdNS8_11hip_rocprim5par_tENS8_11use_defaultESE_EEEENSA_INSB_IlSD_SE_SE_EEEEZNS1_13binary_searchIS3_S5_NSA_INS8_10device_ptrIdEEEESG_SI_NS1_21upper_bound_search_opENS9_16wrapped_functionINS8_6system6detail7generic6detail18binary_search_lessEbEEEE10hipError_tPvRmT1_T2_T3_mmT4_T5_P12ihipStream_tbEUlRKdE_EESV_SZ_S10_mS11_S14_bEUlT_E_NS1_11comp_targetILNS1_3genE10ELNS1_11target_archE1201ELNS1_3gpuE5ELNS1_3repE0EEENS1_30default_config_static_selectorELNS0_4arch9wavefront6targetE0EEEvSY_,@function
_ZN7rocprim17ROCPRIM_400000_NS6detail17trampoline_kernelINS0_14default_configENS1_27upper_bound_config_selectorIdlEEZNS1_14transform_implILb0ES3_S5_N6thrust23THRUST_200600_302600_NS6detail15normal_iteratorINS8_7pointerIdNS8_11hip_rocprim5par_tENS8_11use_defaultESE_EEEENSA_INSB_IlSD_SE_SE_EEEEZNS1_13binary_searchIS3_S5_NSA_INS8_10device_ptrIdEEEESG_SI_NS1_21upper_bound_search_opENS9_16wrapped_functionINS8_6system6detail7generic6detail18binary_search_lessEbEEEE10hipError_tPvRmT1_T2_T3_mmT4_T5_P12ihipStream_tbEUlRKdE_EESV_SZ_S10_mS11_S14_bEUlT_E_NS1_11comp_targetILNS1_3genE10ELNS1_11target_archE1201ELNS1_3gpuE5ELNS1_3repE0EEENS1_30default_config_static_selectorELNS0_4arch9wavefront6targetE0EEEvSY_: ; @_ZN7rocprim17ROCPRIM_400000_NS6detail17trampoline_kernelINS0_14default_configENS1_27upper_bound_config_selectorIdlEEZNS1_14transform_implILb0ES3_S5_N6thrust23THRUST_200600_302600_NS6detail15normal_iteratorINS8_7pointerIdNS8_11hip_rocprim5par_tENS8_11use_defaultESE_EEEENSA_INSB_IlSD_SE_SE_EEEEZNS1_13binary_searchIS3_S5_NSA_INS8_10device_ptrIdEEEESG_SI_NS1_21upper_bound_search_opENS9_16wrapped_functionINS8_6system6detail7generic6detail18binary_search_lessEbEEEE10hipError_tPvRmT1_T2_T3_mmT4_T5_P12ihipStream_tbEUlRKdE_EESV_SZ_S10_mS11_S14_bEUlT_E_NS1_11comp_targetILNS1_3genE10ELNS1_11target_archE1201ELNS1_3gpuE5ELNS1_3repE0EEENS1_30default_config_static_selectorELNS0_4arch9wavefront6targetE0EEEvSY_
; %bb.0:
	.section	.rodata,"a",@progbits
	.p2align	6, 0x0
	.amdhsa_kernel _ZN7rocprim17ROCPRIM_400000_NS6detail17trampoline_kernelINS0_14default_configENS1_27upper_bound_config_selectorIdlEEZNS1_14transform_implILb0ES3_S5_N6thrust23THRUST_200600_302600_NS6detail15normal_iteratorINS8_7pointerIdNS8_11hip_rocprim5par_tENS8_11use_defaultESE_EEEENSA_INSB_IlSD_SE_SE_EEEEZNS1_13binary_searchIS3_S5_NSA_INS8_10device_ptrIdEEEESG_SI_NS1_21upper_bound_search_opENS9_16wrapped_functionINS8_6system6detail7generic6detail18binary_search_lessEbEEEE10hipError_tPvRmT1_T2_T3_mmT4_T5_P12ihipStream_tbEUlRKdE_EESV_SZ_S10_mS11_S14_bEUlT_E_NS1_11comp_targetILNS1_3genE10ELNS1_11target_archE1201ELNS1_3gpuE5ELNS1_3repE0EEENS1_30default_config_static_selectorELNS0_4arch9wavefront6targetE0EEEvSY_
		.amdhsa_group_segment_fixed_size 0
		.amdhsa_private_segment_fixed_size 0
		.amdhsa_kernarg_size 56
		.amdhsa_user_sgpr_count 6
		.amdhsa_user_sgpr_private_segment_buffer 1
		.amdhsa_user_sgpr_dispatch_ptr 0
		.amdhsa_user_sgpr_queue_ptr 0
		.amdhsa_user_sgpr_kernarg_segment_ptr 1
		.amdhsa_user_sgpr_dispatch_id 0
		.amdhsa_user_sgpr_flat_scratch_init 0
		.amdhsa_user_sgpr_private_segment_size 0
		.amdhsa_wavefront_size32 1
		.amdhsa_uses_dynamic_stack 0
		.amdhsa_system_sgpr_private_segment_wavefront_offset 0
		.amdhsa_system_sgpr_workgroup_id_x 1
		.amdhsa_system_sgpr_workgroup_id_y 0
		.amdhsa_system_sgpr_workgroup_id_z 0
		.amdhsa_system_sgpr_workgroup_info 0
		.amdhsa_system_vgpr_workitem_id 0
		.amdhsa_next_free_vgpr 1
		.amdhsa_next_free_sgpr 1
		.amdhsa_reserve_vcc 0
		.amdhsa_reserve_flat_scratch 0
		.amdhsa_float_round_mode_32 0
		.amdhsa_float_round_mode_16_64 0
		.amdhsa_float_denorm_mode_32 3
		.amdhsa_float_denorm_mode_16_64 3
		.amdhsa_dx10_clamp 1
		.amdhsa_ieee_mode 1
		.amdhsa_fp16_overflow 0
		.amdhsa_workgroup_processor_mode 1
		.amdhsa_memory_ordered 1
		.amdhsa_forward_progress 1
		.amdhsa_shared_vgpr_count 0
		.amdhsa_exception_fp_ieee_invalid_op 0
		.amdhsa_exception_fp_denorm_src 0
		.amdhsa_exception_fp_ieee_div_zero 0
		.amdhsa_exception_fp_ieee_overflow 0
		.amdhsa_exception_fp_ieee_underflow 0
		.amdhsa_exception_fp_ieee_inexact 0
		.amdhsa_exception_int_div_zero 0
	.end_amdhsa_kernel
	.section	.text._ZN7rocprim17ROCPRIM_400000_NS6detail17trampoline_kernelINS0_14default_configENS1_27upper_bound_config_selectorIdlEEZNS1_14transform_implILb0ES3_S5_N6thrust23THRUST_200600_302600_NS6detail15normal_iteratorINS8_7pointerIdNS8_11hip_rocprim5par_tENS8_11use_defaultESE_EEEENSA_INSB_IlSD_SE_SE_EEEEZNS1_13binary_searchIS3_S5_NSA_INS8_10device_ptrIdEEEESG_SI_NS1_21upper_bound_search_opENS9_16wrapped_functionINS8_6system6detail7generic6detail18binary_search_lessEbEEEE10hipError_tPvRmT1_T2_T3_mmT4_T5_P12ihipStream_tbEUlRKdE_EESV_SZ_S10_mS11_S14_bEUlT_E_NS1_11comp_targetILNS1_3genE10ELNS1_11target_archE1201ELNS1_3gpuE5ELNS1_3repE0EEENS1_30default_config_static_selectorELNS0_4arch9wavefront6targetE0EEEvSY_,"axG",@progbits,_ZN7rocprim17ROCPRIM_400000_NS6detail17trampoline_kernelINS0_14default_configENS1_27upper_bound_config_selectorIdlEEZNS1_14transform_implILb0ES3_S5_N6thrust23THRUST_200600_302600_NS6detail15normal_iteratorINS8_7pointerIdNS8_11hip_rocprim5par_tENS8_11use_defaultESE_EEEENSA_INSB_IlSD_SE_SE_EEEEZNS1_13binary_searchIS3_S5_NSA_INS8_10device_ptrIdEEEESG_SI_NS1_21upper_bound_search_opENS9_16wrapped_functionINS8_6system6detail7generic6detail18binary_search_lessEbEEEE10hipError_tPvRmT1_T2_T3_mmT4_T5_P12ihipStream_tbEUlRKdE_EESV_SZ_S10_mS11_S14_bEUlT_E_NS1_11comp_targetILNS1_3genE10ELNS1_11target_archE1201ELNS1_3gpuE5ELNS1_3repE0EEENS1_30default_config_static_selectorELNS0_4arch9wavefront6targetE0EEEvSY_,comdat
.Lfunc_end505:
	.size	_ZN7rocprim17ROCPRIM_400000_NS6detail17trampoline_kernelINS0_14default_configENS1_27upper_bound_config_selectorIdlEEZNS1_14transform_implILb0ES3_S5_N6thrust23THRUST_200600_302600_NS6detail15normal_iteratorINS8_7pointerIdNS8_11hip_rocprim5par_tENS8_11use_defaultESE_EEEENSA_INSB_IlSD_SE_SE_EEEEZNS1_13binary_searchIS3_S5_NSA_INS8_10device_ptrIdEEEESG_SI_NS1_21upper_bound_search_opENS9_16wrapped_functionINS8_6system6detail7generic6detail18binary_search_lessEbEEEE10hipError_tPvRmT1_T2_T3_mmT4_T5_P12ihipStream_tbEUlRKdE_EESV_SZ_S10_mS11_S14_bEUlT_E_NS1_11comp_targetILNS1_3genE10ELNS1_11target_archE1201ELNS1_3gpuE5ELNS1_3repE0EEENS1_30default_config_static_selectorELNS0_4arch9wavefront6targetE0EEEvSY_, .Lfunc_end505-_ZN7rocprim17ROCPRIM_400000_NS6detail17trampoline_kernelINS0_14default_configENS1_27upper_bound_config_selectorIdlEEZNS1_14transform_implILb0ES3_S5_N6thrust23THRUST_200600_302600_NS6detail15normal_iteratorINS8_7pointerIdNS8_11hip_rocprim5par_tENS8_11use_defaultESE_EEEENSA_INSB_IlSD_SE_SE_EEEEZNS1_13binary_searchIS3_S5_NSA_INS8_10device_ptrIdEEEESG_SI_NS1_21upper_bound_search_opENS9_16wrapped_functionINS8_6system6detail7generic6detail18binary_search_lessEbEEEE10hipError_tPvRmT1_T2_T3_mmT4_T5_P12ihipStream_tbEUlRKdE_EESV_SZ_S10_mS11_S14_bEUlT_E_NS1_11comp_targetILNS1_3genE10ELNS1_11target_archE1201ELNS1_3gpuE5ELNS1_3repE0EEENS1_30default_config_static_selectorELNS0_4arch9wavefront6targetE0EEEvSY_
                                        ; -- End function
	.set _ZN7rocprim17ROCPRIM_400000_NS6detail17trampoline_kernelINS0_14default_configENS1_27upper_bound_config_selectorIdlEEZNS1_14transform_implILb0ES3_S5_N6thrust23THRUST_200600_302600_NS6detail15normal_iteratorINS8_7pointerIdNS8_11hip_rocprim5par_tENS8_11use_defaultESE_EEEENSA_INSB_IlSD_SE_SE_EEEEZNS1_13binary_searchIS3_S5_NSA_INS8_10device_ptrIdEEEESG_SI_NS1_21upper_bound_search_opENS9_16wrapped_functionINS8_6system6detail7generic6detail18binary_search_lessEbEEEE10hipError_tPvRmT1_T2_T3_mmT4_T5_P12ihipStream_tbEUlRKdE_EESV_SZ_S10_mS11_S14_bEUlT_E_NS1_11comp_targetILNS1_3genE10ELNS1_11target_archE1201ELNS1_3gpuE5ELNS1_3repE0EEENS1_30default_config_static_selectorELNS0_4arch9wavefront6targetE0EEEvSY_.num_vgpr, 0
	.set _ZN7rocprim17ROCPRIM_400000_NS6detail17trampoline_kernelINS0_14default_configENS1_27upper_bound_config_selectorIdlEEZNS1_14transform_implILb0ES3_S5_N6thrust23THRUST_200600_302600_NS6detail15normal_iteratorINS8_7pointerIdNS8_11hip_rocprim5par_tENS8_11use_defaultESE_EEEENSA_INSB_IlSD_SE_SE_EEEEZNS1_13binary_searchIS3_S5_NSA_INS8_10device_ptrIdEEEESG_SI_NS1_21upper_bound_search_opENS9_16wrapped_functionINS8_6system6detail7generic6detail18binary_search_lessEbEEEE10hipError_tPvRmT1_T2_T3_mmT4_T5_P12ihipStream_tbEUlRKdE_EESV_SZ_S10_mS11_S14_bEUlT_E_NS1_11comp_targetILNS1_3genE10ELNS1_11target_archE1201ELNS1_3gpuE5ELNS1_3repE0EEENS1_30default_config_static_selectorELNS0_4arch9wavefront6targetE0EEEvSY_.num_agpr, 0
	.set _ZN7rocprim17ROCPRIM_400000_NS6detail17trampoline_kernelINS0_14default_configENS1_27upper_bound_config_selectorIdlEEZNS1_14transform_implILb0ES3_S5_N6thrust23THRUST_200600_302600_NS6detail15normal_iteratorINS8_7pointerIdNS8_11hip_rocprim5par_tENS8_11use_defaultESE_EEEENSA_INSB_IlSD_SE_SE_EEEEZNS1_13binary_searchIS3_S5_NSA_INS8_10device_ptrIdEEEESG_SI_NS1_21upper_bound_search_opENS9_16wrapped_functionINS8_6system6detail7generic6detail18binary_search_lessEbEEEE10hipError_tPvRmT1_T2_T3_mmT4_T5_P12ihipStream_tbEUlRKdE_EESV_SZ_S10_mS11_S14_bEUlT_E_NS1_11comp_targetILNS1_3genE10ELNS1_11target_archE1201ELNS1_3gpuE5ELNS1_3repE0EEENS1_30default_config_static_selectorELNS0_4arch9wavefront6targetE0EEEvSY_.numbered_sgpr, 0
	.set _ZN7rocprim17ROCPRIM_400000_NS6detail17trampoline_kernelINS0_14default_configENS1_27upper_bound_config_selectorIdlEEZNS1_14transform_implILb0ES3_S5_N6thrust23THRUST_200600_302600_NS6detail15normal_iteratorINS8_7pointerIdNS8_11hip_rocprim5par_tENS8_11use_defaultESE_EEEENSA_INSB_IlSD_SE_SE_EEEEZNS1_13binary_searchIS3_S5_NSA_INS8_10device_ptrIdEEEESG_SI_NS1_21upper_bound_search_opENS9_16wrapped_functionINS8_6system6detail7generic6detail18binary_search_lessEbEEEE10hipError_tPvRmT1_T2_T3_mmT4_T5_P12ihipStream_tbEUlRKdE_EESV_SZ_S10_mS11_S14_bEUlT_E_NS1_11comp_targetILNS1_3genE10ELNS1_11target_archE1201ELNS1_3gpuE5ELNS1_3repE0EEENS1_30default_config_static_selectorELNS0_4arch9wavefront6targetE0EEEvSY_.num_named_barrier, 0
	.set _ZN7rocprim17ROCPRIM_400000_NS6detail17trampoline_kernelINS0_14default_configENS1_27upper_bound_config_selectorIdlEEZNS1_14transform_implILb0ES3_S5_N6thrust23THRUST_200600_302600_NS6detail15normal_iteratorINS8_7pointerIdNS8_11hip_rocprim5par_tENS8_11use_defaultESE_EEEENSA_INSB_IlSD_SE_SE_EEEEZNS1_13binary_searchIS3_S5_NSA_INS8_10device_ptrIdEEEESG_SI_NS1_21upper_bound_search_opENS9_16wrapped_functionINS8_6system6detail7generic6detail18binary_search_lessEbEEEE10hipError_tPvRmT1_T2_T3_mmT4_T5_P12ihipStream_tbEUlRKdE_EESV_SZ_S10_mS11_S14_bEUlT_E_NS1_11comp_targetILNS1_3genE10ELNS1_11target_archE1201ELNS1_3gpuE5ELNS1_3repE0EEENS1_30default_config_static_selectorELNS0_4arch9wavefront6targetE0EEEvSY_.private_seg_size, 0
	.set _ZN7rocprim17ROCPRIM_400000_NS6detail17trampoline_kernelINS0_14default_configENS1_27upper_bound_config_selectorIdlEEZNS1_14transform_implILb0ES3_S5_N6thrust23THRUST_200600_302600_NS6detail15normal_iteratorINS8_7pointerIdNS8_11hip_rocprim5par_tENS8_11use_defaultESE_EEEENSA_INSB_IlSD_SE_SE_EEEEZNS1_13binary_searchIS3_S5_NSA_INS8_10device_ptrIdEEEESG_SI_NS1_21upper_bound_search_opENS9_16wrapped_functionINS8_6system6detail7generic6detail18binary_search_lessEbEEEE10hipError_tPvRmT1_T2_T3_mmT4_T5_P12ihipStream_tbEUlRKdE_EESV_SZ_S10_mS11_S14_bEUlT_E_NS1_11comp_targetILNS1_3genE10ELNS1_11target_archE1201ELNS1_3gpuE5ELNS1_3repE0EEENS1_30default_config_static_selectorELNS0_4arch9wavefront6targetE0EEEvSY_.uses_vcc, 0
	.set _ZN7rocprim17ROCPRIM_400000_NS6detail17trampoline_kernelINS0_14default_configENS1_27upper_bound_config_selectorIdlEEZNS1_14transform_implILb0ES3_S5_N6thrust23THRUST_200600_302600_NS6detail15normal_iteratorINS8_7pointerIdNS8_11hip_rocprim5par_tENS8_11use_defaultESE_EEEENSA_INSB_IlSD_SE_SE_EEEEZNS1_13binary_searchIS3_S5_NSA_INS8_10device_ptrIdEEEESG_SI_NS1_21upper_bound_search_opENS9_16wrapped_functionINS8_6system6detail7generic6detail18binary_search_lessEbEEEE10hipError_tPvRmT1_T2_T3_mmT4_T5_P12ihipStream_tbEUlRKdE_EESV_SZ_S10_mS11_S14_bEUlT_E_NS1_11comp_targetILNS1_3genE10ELNS1_11target_archE1201ELNS1_3gpuE5ELNS1_3repE0EEENS1_30default_config_static_selectorELNS0_4arch9wavefront6targetE0EEEvSY_.uses_flat_scratch, 0
	.set _ZN7rocprim17ROCPRIM_400000_NS6detail17trampoline_kernelINS0_14default_configENS1_27upper_bound_config_selectorIdlEEZNS1_14transform_implILb0ES3_S5_N6thrust23THRUST_200600_302600_NS6detail15normal_iteratorINS8_7pointerIdNS8_11hip_rocprim5par_tENS8_11use_defaultESE_EEEENSA_INSB_IlSD_SE_SE_EEEEZNS1_13binary_searchIS3_S5_NSA_INS8_10device_ptrIdEEEESG_SI_NS1_21upper_bound_search_opENS9_16wrapped_functionINS8_6system6detail7generic6detail18binary_search_lessEbEEEE10hipError_tPvRmT1_T2_T3_mmT4_T5_P12ihipStream_tbEUlRKdE_EESV_SZ_S10_mS11_S14_bEUlT_E_NS1_11comp_targetILNS1_3genE10ELNS1_11target_archE1201ELNS1_3gpuE5ELNS1_3repE0EEENS1_30default_config_static_selectorELNS0_4arch9wavefront6targetE0EEEvSY_.has_dyn_sized_stack, 0
	.set _ZN7rocprim17ROCPRIM_400000_NS6detail17trampoline_kernelINS0_14default_configENS1_27upper_bound_config_selectorIdlEEZNS1_14transform_implILb0ES3_S5_N6thrust23THRUST_200600_302600_NS6detail15normal_iteratorINS8_7pointerIdNS8_11hip_rocprim5par_tENS8_11use_defaultESE_EEEENSA_INSB_IlSD_SE_SE_EEEEZNS1_13binary_searchIS3_S5_NSA_INS8_10device_ptrIdEEEESG_SI_NS1_21upper_bound_search_opENS9_16wrapped_functionINS8_6system6detail7generic6detail18binary_search_lessEbEEEE10hipError_tPvRmT1_T2_T3_mmT4_T5_P12ihipStream_tbEUlRKdE_EESV_SZ_S10_mS11_S14_bEUlT_E_NS1_11comp_targetILNS1_3genE10ELNS1_11target_archE1201ELNS1_3gpuE5ELNS1_3repE0EEENS1_30default_config_static_selectorELNS0_4arch9wavefront6targetE0EEEvSY_.has_recursion, 0
	.set _ZN7rocprim17ROCPRIM_400000_NS6detail17trampoline_kernelINS0_14default_configENS1_27upper_bound_config_selectorIdlEEZNS1_14transform_implILb0ES3_S5_N6thrust23THRUST_200600_302600_NS6detail15normal_iteratorINS8_7pointerIdNS8_11hip_rocprim5par_tENS8_11use_defaultESE_EEEENSA_INSB_IlSD_SE_SE_EEEEZNS1_13binary_searchIS3_S5_NSA_INS8_10device_ptrIdEEEESG_SI_NS1_21upper_bound_search_opENS9_16wrapped_functionINS8_6system6detail7generic6detail18binary_search_lessEbEEEE10hipError_tPvRmT1_T2_T3_mmT4_T5_P12ihipStream_tbEUlRKdE_EESV_SZ_S10_mS11_S14_bEUlT_E_NS1_11comp_targetILNS1_3genE10ELNS1_11target_archE1201ELNS1_3gpuE5ELNS1_3repE0EEENS1_30default_config_static_selectorELNS0_4arch9wavefront6targetE0EEEvSY_.has_indirect_call, 0
	.section	.AMDGPU.csdata,"",@progbits
; Kernel info:
; codeLenInByte = 0
; TotalNumSgprs: 0
; NumVgprs: 0
; ScratchSize: 0
; MemoryBound: 0
; FloatMode: 240
; IeeeMode: 1
; LDSByteSize: 0 bytes/workgroup (compile time only)
; SGPRBlocks: 0
; VGPRBlocks: 0
; NumSGPRsForWavesPerEU: 1
; NumVGPRsForWavesPerEU: 1
; Occupancy: 16
; WaveLimiterHint : 0
; COMPUTE_PGM_RSRC2:SCRATCH_EN: 0
; COMPUTE_PGM_RSRC2:USER_SGPR: 6
; COMPUTE_PGM_RSRC2:TRAP_HANDLER: 0
; COMPUTE_PGM_RSRC2:TGID_X_EN: 1
; COMPUTE_PGM_RSRC2:TGID_Y_EN: 0
; COMPUTE_PGM_RSRC2:TGID_Z_EN: 0
; COMPUTE_PGM_RSRC2:TIDIG_COMP_CNT: 0
	.section	.text._ZN7rocprim17ROCPRIM_400000_NS6detail17trampoline_kernelINS0_14default_configENS1_27upper_bound_config_selectorIdlEEZNS1_14transform_implILb0ES3_S5_N6thrust23THRUST_200600_302600_NS6detail15normal_iteratorINS8_7pointerIdNS8_11hip_rocprim5par_tENS8_11use_defaultESE_EEEENSA_INSB_IlSD_SE_SE_EEEEZNS1_13binary_searchIS3_S5_NSA_INS8_10device_ptrIdEEEESG_SI_NS1_21upper_bound_search_opENS9_16wrapped_functionINS8_6system6detail7generic6detail18binary_search_lessEbEEEE10hipError_tPvRmT1_T2_T3_mmT4_T5_P12ihipStream_tbEUlRKdE_EESV_SZ_S10_mS11_S14_bEUlT_E_NS1_11comp_targetILNS1_3genE10ELNS1_11target_archE1200ELNS1_3gpuE4ELNS1_3repE0EEENS1_30default_config_static_selectorELNS0_4arch9wavefront6targetE0EEEvSY_,"axG",@progbits,_ZN7rocprim17ROCPRIM_400000_NS6detail17trampoline_kernelINS0_14default_configENS1_27upper_bound_config_selectorIdlEEZNS1_14transform_implILb0ES3_S5_N6thrust23THRUST_200600_302600_NS6detail15normal_iteratorINS8_7pointerIdNS8_11hip_rocprim5par_tENS8_11use_defaultESE_EEEENSA_INSB_IlSD_SE_SE_EEEEZNS1_13binary_searchIS3_S5_NSA_INS8_10device_ptrIdEEEESG_SI_NS1_21upper_bound_search_opENS9_16wrapped_functionINS8_6system6detail7generic6detail18binary_search_lessEbEEEE10hipError_tPvRmT1_T2_T3_mmT4_T5_P12ihipStream_tbEUlRKdE_EESV_SZ_S10_mS11_S14_bEUlT_E_NS1_11comp_targetILNS1_3genE10ELNS1_11target_archE1200ELNS1_3gpuE4ELNS1_3repE0EEENS1_30default_config_static_selectorELNS0_4arch9wavefront6targetE0EEEvSY_,comdat
	.protected	_ZN7rocprim17ROCPRIM_400000_NS6detail17trampoline_kernelINS0_14default_configENS1_27upper_bound_config_selectorIdlEEZNS1_14transform_implILb0ES3_S5_N6thrust23THRUST_200600_302600_NS6detail15normal_iteratorINS8_7pointerIdNS8_11hip_rocprim5par_tENS8_11use_defaultESE_EEEENSA_INSB_IlSD_SE_SE_EEEEZNS1_13binary_searchIS3_S5_NSA_INS8_10device_ptrIdEEEESG_SI_NS1_21upper_bound_search_opENS9_16wrapped_functionINS8_6system6detail7generic6detail18binary_search_lessEbEEEE10hipError_tPvRmT1_T2_T3_mmT4_T5_P12ihipStream_tbEUlRKdE_EESV_SZ_S10_mS11_S14_bEUlT_E_NS1_11comp_targetILNS1_3genE10ELNS1_11target_archE1200ELNS1_3gpuE4ELNS1_3repE0EEENS1_30default_config_static_selectorELNS0_4arch9wavefront6targetE0EEEvSY_ ; -- Begin function _ZN7rocprim17ROCPRIM_400000_NS6detail17trampoline_kernelINS0_14default_configENS1_27upper_bound_config_selectorIdlEEZNS1_14transform_implILb0ES3_S5_N6thrust23THRUST_200600_302600_NS6detail15normal_iteratorINS8_7pointerIdNS8_11hip_rocprim5par_tENS8_11use_defaultESE_EEEENSA_INSB_IlSD_SE_SE_EEEEZNS1_13binary_searchIS3_S5_NSA_INS8_10device_ptrIdEEEESG_SI_NS1_21upper_bound_search_opENS9_16wrapped_functionINS8_6system6detail7generic6detail18binary_search_lessEbEEEE10hipError_tPvRmT1_T2_T3_mmT4_T5_P12ihipStream_tbEUlRKdE_EESV_SZ_S10_mS11_S14_bEUlT_E_NS1_11comp_targetILNS1_3genE10ELNS1_11target_archE1200ELNS1_3gpuE4ELNS1_3repE0EEENS1_30default_config_static_selectorELNS0_4arch9wavefront6targetE0EEEvSY_
	.globl	_ZN7rocprim17ROCPRIM_400000_NS6detail17trampoline_kernelINS0_14default_configENS1_27upper_bound_config_selectorIdlEEZNS1_14transform_implILb0ES3_S5_N6thrust23THRUST_200600_302600_NS6detail15normal_iteratorINS8_7pointerIdNS8_11hip_rocprim5par_tENS8_11use_defaultESE_EEEENSA_INSB_IlSD_SE_SE_EEEEZNS1_13binary_searchIS3_S5_NSA_INS8_10device_ptrIdEEEESG_SI_NS1_21upper_bound_search_opENS9_16wrapped_functionINS8_6system6detail7generic6detail18binary_search_lessEbEEEE10hipError_tPvRmT1_T2_T3_mmT4_T5_P12ihipStream_tbEUlRKdE_EESV_SZ_S10_mS11_S14_bEUlT_E_NS1_11comp_targetILNS1_3genE10ELNS1_11target_archE1200ELNS1_3gpuE4ELNS1_3repE0EEENS1_30default_config_static_selectorELNS0_4arch9wavefront6targetE0EEEvSY_
	.p2align	8
	.type	_ZN7rocprim17ROCPRIM_400000_NS6detail17trampoline_kernelINS0_14default_configENS1_27upper_bound_config_selectorIdlEEZNS1_14transform_implILb0ES3_S5_N6thrust23THRUST_200600_302600_NS6detail15normal_iteratorINS8_7pointerIdNS8_11hip_rocprim5par_tENS8_11use_defaultESE_EEEENSA_INSB_IlSD_SE_SE_EEEEZNS1_13binary_searchIS3_S5_NSA_INS8_10device_ptrIdEEEESG_SI_NS1_21upper_bound_search_opENS9_16wrapped_functionINS8_6system6detail7generic6detail18binary_search_lessEbEEEE10hipError_tPvRmT1_T2_T3_mmT4_T5_P12ihipStream_tbEUlRKdE_EESV_SZ_S10_mS11_S14_bEUlT_E_NS1_11comp_targetILNS1_3genE10ELNS1_11target_archE1200ELNS1_3gpuE4ELNS1_3repE0EEENS1_30default_config_static_selectorELNS0_4arch9wavefront6targetE0EEEvSY_,@function
_ZN7rocprim17ROCPRIM_400000_NS6detail17trampoline_kernelINS0_14default_configENS1_27upper_bound_config_selectorIdlEEZNS1_14transform_implILb0ES3_S5_N6thrust23THRUST_200600_302600_NS6detail15normal_iteratorINS8_7pointerIdNS8_11hip_rocprim5par_tENS8_11use_defaultESE_EEEENSA_INSB_IlSD_SE_SE_EEEEZNS1_13binary_searchIS3_S5_NSA_INS8_10device_ptrIdEEEESG_SI_NS1_21upper_bound_search_opENS9_16wrapped_functionINS8_6system6detail7generic6detail18binary_search_lessEbEEEE10hipError_tPvRmT1_T2_T3_mmT4_T5_P12ihipStream_tbEUlRKdE_EESV_SZ_S10_mS11_S14_bEUlT_E_NS1_11comp_targetILNS1_3genE10ELNS1_11target_archE1200ELNS1_3gpuE4ELNS1_3repE0EEENS1_30default_config_static_selectorELNS0_4arch9wavefront6targetE0EEEvSY_: ; @_ZN7rocprim17ROCPRIM_400000_NS6detail17trampoline_kernelINS0_14default_configENS1_27upper_bound_config_selectorIdlEEZNS1_14transform_implILb0ES3_S5_N6thrust23THRUST_200600_302600_NS6detail15normal_iteratorINS8_7pointerIdNS8_11hip_rocprim5par_tENS8_11use_defaultESE_EEEENSA_INSB_IlSD_SE_SE_EEEEZNS1_13binary_searchIS3_S5_NSA_INS8_10device_ptrIdEEEESG_SI_NS1_21upper_bound_search_opENS9_16wrapped_functionINS8_6system6detail7generic6detail18binary_search_lessEbEEEE10hipError_tPvRmT1_T2_T3_mmT4_T5_P12ihipStream_tbEUlRKdE_EESV_SZ_S10_mS11_S14_bEUlT_E_NS1_11comp_targetILNS1_3genE10ELNS1_11target_archE1200ELNS1_3gpuE4ELNS1_3repE0EEENS1_30default_config_static_selectorELNS0_4arch9wavefront6targetE0EEEvSY_
; %bb.0:
	.section	.rodata,"a",@progbits
	.p2align	6, 0x0
	.amdhsa_kernel _ZN7rocprim17ROCPRIM_400000_NS6detail17trampoline_kernelINS0_14default_configENS1_27upper_bound_config_selectorIdlEEZNS1_14transform_implILb0ES3_S5_N6thrust23THRUST_200600_302600_NS6detail15normal_iteratorINS8_7pointerIdNS8_11hip_rocprim5par_tENS8_11use_defaultESE_EEEENSA_INSB_IlSD_SE_SE_EEEEZNS1_13binary_searchIS3_S5_NSA_INS8_10device_ptrIdEEEESG_SI_NS1_21upper_bound_search_opENS9_16wrapped_functionINS8_6system6detail7generic6detail18binary_search_lessEbEEEE10hipError_tPvRmT1_T2_T3_mmT4_T5_P12ihipStream_tbEUlRKdE_EESV_SZ_S10_mS11_S14_bEUlT_E_NS1_11comp_targetILNS1_3genE10ELNS1_11target_archE1200ELNS1_3gpuE4ELNS1_3repE0EEENS1_30default_config_static_selectorELNS0_4arch9wavefront6targetE0EEEvSY_
		.amdhsa_group_segment_fixed_size 0
		.amdhsa_private_segment_fixed_size 0
		.amdhsa_kernarg_size 56
		.amdhsa_user_sgpr_count 6
		.amdhsa_user_sgpr_private_segment_buffer 1
		.amdhsa_user_sgpr_dispatch_ptr 0
		.amdhsa_user_sgpr_queue_ptr 0
		.amdhsa_user_sgpr_kernarg_segment_ptr 1
		.amdhsa_user_sgpr_dispatch_id 0
		.amdhsa_user_sgpr_flat_scratch_init 0
		.amdhsa_user_sgpr_private_segment_size 0
		.amdhsa_wavefront_size32 1
		.amdhsa_uses_dynamic_stack 0
		.amdhsa_system_sgpr_private_segment_wavefront_offset 0
		.amdhsa_system_sgpr_workgroup_id_x 1
		.amdhsa_system_sgpr_workgroup_id_y 0
		.amdhsa_system_sgpr_workgroup_id_z 0
		.amdhsa_system_sgpr_workgroup_info 0
		.amdhsa_system_vgpr_workitem_id 0
		.amdhsa_next_free_vgpr 1
		.amdhsa_next_free_sgpr 1
		.amdhsa_reserve_vcc 0
		.amdhsa_reserve_flat_scratch 0
		.amdhsa_float_round_mode_32 0
		.amdhsa_float_round_mode_16_64 0
		.amdhsa_float_denorm_mode_32 3
		.amdhsa_float_denorm_mode_16_64 3
		.amdhsa_dx10_clamp 1
		.amdhsa_ieee_mode 1
		.amdhsa_fp16_overflow 0
		.amdhsa_workgroup_processor_mode 1
		.amdhsa_memory_ordered 1
		.amdhsa_forward_progress 1
		.amdhsa_shared_vgpr_count 0
		.amdhsa_exception_fp_ieee_invalid_op 0
		.amdhsa_exception_fp_denorm_src 0
		.amdhsa_exception_fp_ieee_div_zero 0
		.amdhsa_exception_fp_ieee_overflow 0
		.amdhsa_exception_fp_ieee_underflow 0
		.amdhsa_exception_fp_ieee_inexact 0
		.amdhsa_exception_int_div_zero 0
	.end_amdhsa_kernel
	.section	.text._ZN7rocprim17ROCPRIM_400000_NS6detail17trampoline_kernelINS0_14default_configENS1_27upper_bound_config_selectorIdlEEZNS1_14transform_implILb0ES3_S5_N6thrust23THRUST_200600_302600_NS6detail15normal_iteratorINS8_7pointerIdNS8_11hip_rocprim5par_tENS8_11use_defaultESE_EEEENSA_INSB_IlSD_SE_SE_EEEEZNS1_13binary_searchIS3_S5_NSA_INS8_10device_ptrIdEEEESG_SI_NS1_21upper_bound_search_opENS9_16wrapped_functionINS8_6system6detail7generic6detail18binary_search_lessEbEEEE10hipError_tPvRmT1_T2_T3_mmT4_T5_P12ihipStream_tbEUlRKdE_EESV_SZ_S10_mS11_S14_bEUlT_E_NS1_11comp_targetILNS1_3genE10ELNS1_11target_archE1200ELNS1_3gpuE4ELNS1_3repE0EEENS1_30default_config_static_selectorELNS0_4arch9wavefront6targetE0EEEvSY_,"axG",@progbits,_ZN7rocprim17ROCPRIM_400000_NS6detail17trampoline_kernelINS0_14default_configENS1_27upper_bound_config_selectorIdlEEZNS1_14transform_implILb0ES3_S5_N6thrust23THRUST_200600_302600_NS6detail15normal_iteratorINS8_7pointerIdNS8_11hip_rocprim5par_tENS8_11use_defaultESE_EEEENSA_INSB_IlSD_SE_SE_EEEEZNS1_13binary_searchIS3_S5_NSA_INS8_10device_ptrIdEEEESG_SI_NS1_21upper_bound_search_opENS9_16wrapped_functionINS8_6system6detail7generic6detail18binary_search_lessEbEEEE10hipError_tPvRmT1_T2_T3_mmT4_T5_P12ihipStream_tbEUlRKdE_EESV_SZ_S10_mS11_S14_bEUlT_E_NS1_11comp_targetILNS1_3genE10ELNS1_11target_archE1200ELNS1_3gpuE4ELNS1_3repE0EEENS1_30default_config_static_selectorELNS0_4arch9wavefront6targetE0EEEvSY_,comdat
.Lfunc_end506:
	.size	_ZN7rocprim17ROCPRIM_400000_NS6detail17trampoline_kernelINS0_14default_configENS1_27upper_bound_config_selectorIdlEEZNS1_14transform_implILb0ES3_S5_N6thrust23THRUST_200600_302600_NS6detail15normal_iteratorINS8_7pointerIdNS8_11hip_rocprim5par_tENS8_11use_defaultESE_EEEENSA_INSB_IlSD_SE_SE_EEEEZNS1_13binary_searchIS3_S5_NSA_INS8_10device_ptrIdEEEESG_SI_NS1_21upper_bound_search_opENS9_16wrapped_functionINS8_6system6detail7generic6detail18binary_search_lessEbEEEE10hipError_tPvRmT1_T2_T3_mmT4_T5_P12ihipStream_tbEUlRKdE_EESV_SZ_S10_mS11_S14_bEUlT_E_NS1_11comp_targetILNS1_3genE10ELNS1_11target_archE1200ELNS1_3gpuE4ELNS1_3repE0EEENS1_30default_config_static_selectorELNS0_4arch9wavefront6targetE0EEEvSY_, .Lfunc_end506-_ZN7rocprim17ROCPRIM_400000_NS6detail17trampoline_kernelINS0_14default_configENS1_27upper_bound_config_selectorIdlEEZNS1_14transform_implILb0ES3_S5_N6thrust23THRUST_200600_302600_NS6detail15normal_iteratorINS8_7pointerIdNS8_11hip_rocprim5par_tENS8_11use_defaultESE_EEEENSA_INSB_IlSD_SE_SE_EEEEZNS1_13binary_searchIS3_S5_NSA_INS8_10device_ptrIdEEEESG_SI_NS1_21upper_bound_search_opENS9_16wrapped_functionINS8_6system6detail7generic6detail18binary_search_lessEbEEEE10hipError_tPvRmT1_T2_T3_mmT4_T5_P12ihipStream_tbEUlRKdE_EESV_SZ_S10_mS11_S14_bEUlT_E_NS1_11comp_targetILNS1_3genE10ELNS1_11target_archE1200ELNS1_3gpuE4ELNS1_3repE0EEENS1_30default_config_static_selectorELNS0_4arch9wavefront6targetE0EEEvSY_
                                        ; -- End function
	.set _ZN7rocprim17ROCPRIM_400000_NS6detail17trampoline_kernelINS0_14default_configENS1_27upper_bound_config_selectorIdlEEZNS1_14transform_implILb0ES3_S5_N6thrust23THRUST_200600_302600_NS6detail15normal_iteratorINS8_7pointerIdNS8_11hip_rocprim5par_tENS8_11use_defaultESE_EEEENSA_INSB_IlSD_SE_SE_EEEEZNS1_13binary_searchIS3_S5_NSA_INS8_10device_ptrIdEEEESG_SI_NS1_21upper_bound_search_opENS9_16wrapped_functionINS8_6system6detail7generic6detail18binary_search_lessEbEEEE10hipError_tPvRmT1_T2_T3_mmT4_T5_P12ihipStream_tbEUlRKdE_EESV_SZ_S10_mS11_S14_bEUlT_E_NS1_11comp_targetILNS1_3genE10ELNS1_11target_archE1200ELNS1_3gpuE4ELNS1_3repE0EEENS1_30default_config_static_selectorELNS0_4arch9wavefront6targetE0EEEvSY_.num_vgpr, 0
	.set _ZN7rocprim17ROCPRIM_400000_NS6detail17trampoline_kernelINS0_14default_configENS1_27upper_bound_config_selectorIdlEEZNS1_14transform_implILb0ES3_S5_N6thrust23THRUST_200600_302600_NS6detail15normal_iteratorINS8_7pointerIdNS8_11hip_rocprim5par_tENS8_11use_defaultESE_EEEENSA_INSB_IlSD_SE_SE_EEEEZNS1_13binary_searchIS3_S5_NSA_INS8_10device_ptrIdEEEESG_SI_NS1_21upper_bound_search_opENS9_16wrapped_functionINS8_6system6detail7generic6detail18binary_search_lessEbEEEE10hipError_tPvRmT1_T2_T3_mmT4_T5_P12ihipStream_tbEUlRKdE_EESV_SZ_S10_mS11_S14_bEUlT_E_NS1_11comp_targetILNS1_3genE10ELNS1_11target_archE1200ELNS1_3gpuE4ELNS1_3repE0EEENS1_30default_config_static_selectorELNS0_4arch9wavefront6targetE0EEEvSY_.num_agpr, 0
	.set _ZN7rocprim17ROCPRIM_400000_NS6detail17trampoline_kernelINS0_14default_configENS1_27upper_bound_config_selectorIdlEEZNS1_14transform_implILb0ES3_S5_N6thrust23THRUST_200600_302600_NS6detail15normal_iteratorINS8_7pointerIdNS8_11hip_rocprim5par_tENS8_11use_defaultESE_EEEENSA_INSB_IlSD_SE_SE_EEEEZNS1_13binary_searchIS3_S5_NSA_INS8_10device_ptrIdEEEESG_SI_NS1_21upper_bound_search_opENS9_16wrapped_functionINS8_6system6detail7generic6detail18binary_search_lessEbEEEE10hipError_tPvRmT1_T2_T3_mmT4_T5_P12ihipStream_tbEUlRKdE_EESV_SZ_S10_mS11_S14_bEUlT_E_NS1_11comp_targetILNS1_3genE10ELNS1_11target_archE1200ELNS1_3gpuE4ELNS1_3repE0EEENS1_30default_config_static_selectorELNS0_4arch9wavefront6targetE0EEEvSY_.numbered_sgpr, 0
	.set _ZN7rocprim17ROCPRIM_400000_NS6detail17trampoline_kernelINS0_14default_configENS1_27upper_bound_config_selectorIdlEEZNS1_14transform_implILb0ES3_S5_N6thrust23THRUST_200600_302600_NS6detail15normal_iteratorINS8_7pointerIdNS8_11hip_rocprim5par_tENS8_11use_defaultESE_EEEENSA_INSB_IlSD_SE_SE_EEEEZNS1_13binary_searchIS3_S5_NSA_INS8_10device_ptrIdEEEESG_SI_NS1_21upper_bound_search_opENS9_16wrapped_functionINS8_6system6detail7generic6detail18binary_search_lessEbEEEE10hipError_tPvRmT1_T2_T3_mmT4_T5_P12ihipStream_tbEUlRKdE_EESV_SZ_S10_mS11_S14_bEUlT_E_NS1_11comp_targetILNS1_3genE10ELNS1_11target_archE1200ELNS1_3gpuE4ELNS1_3repE0EEENS1_30default_config_static_selectorELNS0_4arch9wavefront6targetE0EEEvSY_.num_named_barrier, 0
	.set _ZN7rocprim17ROCPRIM_400000_NS6detail17trampoline_kernelINS0_14default_configENS1_27upper_bound_config_selectorIdlEEZNS1_14transform_implILb0ES3_S5_N6thrust23THRUST_200600_302600_NS6detail15normal_iteratorINS8_7pointerIdNS8_11hip_rocprim5par_tENS8_11use_defaultESE_EEEENSA_INSB_IlSD_SE_SE_EEEEZNS1_13binary_searchIS3_S5_NSA_INS8_10device_ptrIdEEEESG_SI_NS1_21upper_bound_search_opENS9_16wrapped_functionINS8_6system6detail7generic6detail18binary_search_lessEbEEEE10hipError_tPvRmT1_T2_T3_mmT4_T5_P12ihipStream_tbEUlRKdE_EESV_SZ_S10_mS11_S14_bEUlT_E_NS1_11comp_targetILNS1_3genE10ELNS1_11target_archE1200ELNS1_3gpuE4ELNS1_3repE0EEENS1_30default_config_static_selectorELNS0_4arch9wavefront6targetE0EEEvSY_.private_seg_size, 0
	.set _ZN7rocprim17ROCPRIM_400000_NS6detail17trampoline_kernelINS0_14default_configENS1_27upper_bound_config_selectorIdlEEZNS1_14transform_implILb0ES3_S5_N6thrust23THRUST_200600_302600_NS6detail15normal_iteratorINS8_7pointerIdNS8_11hip_rocprim5par_tENS8_11use_defaultESE_EEEENSA_INSB_IlSD_SE_SE_EEEEZNS1_13binary_searchIS3_S5_NSA_INS8_10device_ptrIdEEEESG_SI_NS1_21upper_bound_search_opENS9_16wrapped_functionINS8_6system6detail7generic6detail18binary_search_lessEbEEEE10hipError_tPvRmT1_T2_T3_mmT4_T5_P12ihipStream_tbEUlRKdE_EESV_SZ_S10_mS11_S14_bEUlT_E_NS1_11comp_targetILNS1_3genE10ELNS1_11target_archE1200ELNS1_3gpuE4ELNS1_3repE0EEENS1_30default_config_static_selectorELNS0_4arch9wavefront6targetE0EEEvSY_.uses_vcc, 0
	.set _ZN7rocprim17ROCPRIM_400000_NS6detail17trampoline_kernelINS0_14default_configENS1_27upper_bound_config_selectorIdlEEZNS1_14transform_implILb0ES3_S5_N6thrust23THRUST_200600_302600_NS6detail15normal_iteratorINS8_7pointerIdNS8_11hip_rocprim5par_tENS8_11use_defaultESE_EEEENSA_INSB_IlSD_SE_SE_EEEEZNS1_13binary_searchIS3_S5_NSA_INS8_10device_ptrIdEEEESG_SI_NS1_21upper_bound_search_opENS9_16wrapped_functionINS8_6system6detail7generic6detail18binary_search_lessEbEEEE10hipError_tPvRmT1_T2_T3_mmT4_T5_P12ihipStream_tbEUlRKdE_EESV_SZ_S10_mS11_S14_bEUlT_E_NS1_11comp_targetILNS1_3genE10ELNS1_11target_archE1200ELNS1_3gpuE4ELNS1_3repE0EEENS1_30default_config_static_selectorELNS0_4arch9wavefront6targetE0EEEvSY_.uses_flat_scratch, 0
	.set _ZN7rocprim17ROCPRIM_400000_NS6detail17trampoline_kernelINS0_14default_configENS1_27upper_bound_config_selectorIdlEEZNS1_14transform_implILb0ES3_S5_N6thrust23THRUST_200600_302600_NS6detail15normal_iteratorINS8_7pointerIdNS8_11hip_rocprim5par_tENS8_11use_defaultESE_EEEENSA_INSB_IlSD_SE_SE_EEEEZNS1_13binary_searchIS3_S5_NSA_INS8_10device_ptrIdEEEESG_SI_NS1_21upper_bound_search_opENS9_16wrapped_functionINS8_6system6detail7generic6detail18binary_search_lessEbEEEE10hipError_tPvRmT1_T2_T3_mmT4_T5_P12ihipStream_tbEUlRKdE_EESV_SZ_S10_mS11_S14_bEUlT_E_NS1_11comp_targetILNS1_3genE10ELNS1_11target_archE1200ELNS1_3gpuE4ELNS1_3repE0EEENS1_30default_config_static_selectorELNS0_4arch9wavefront6targetE0EEEvSY_.has_dyn_sized_stack, 0
	.set _ZN7rocprim17ROCPRIM_400000_NS6detail17trampoline_kernelINS0_14default_configENS1_27upper_bound_config_selectorIdlEEZNS1_14transform_implILb0ES3_S5_N6thrust23THRUST_200600_302600_NS6detail15normal_iteratorINS8_7pointerIdNS8_11hip_rocprim5par_tENS8_11use_defaultESE_EEEENSA_INSB_IlSD_SE_SE_EEEEZNS1_13binary_searchIS3_S5_NSA_INS8_10device_ptrIdEEEESG_SI_NS1_21upper_bound_search_opENS9_16wrapped_functionINS8_6system6detail7generic6detail18binary_search_lessEbEEEE10hipError_tPvRmT1_T2_T3_mmT4_T5_P12ihipStream_tbEUlRKdE_EESV_SZ_S10_mS11_S14_bEUlT_E_NS1_11comp_targetILNS1_3genE10ELNS1_11target_archE1200ELNS1_3gpuE4ELNS1_3repE0EEENS1_30default_config_static_selectorELNS0_4arch9wavefront6targetE0EEEvSY_.has_recursion, 0
	.set _ZN7rocprim17ROCPRIM_400000_NS6detail17trampoline_kernelINS0_14default_configENS1_27upper_bound_config_selectorIdlEEZNS1_14transform_implILb0ES3_S5_N6thrust23THRUST_200600_302600_NS6detail15normal_iteratorINS8_7pointerIdNS8_11hip_rocprim5par_tENS8_11use_defaultESE_EEEENSA_INSB_IlSD_SE_SE_EEEEZNS1_13binary_searchIS3_S5_NSA_INS8_10device_ptrIdEEEESG_SI_NS1_21upper_bound_search_opENS9_16wrapped_functionINS8_6system6detail7generic6detail18binary_search_lessEbEEEE10hipError_tPvRmT1_T2_T3_mmT4_T5_P12ihipStream_tbEUlRKdE_EESV_SZ_S10_mS11_S14_bEUlT_E_NS1_11comp_targetILNS1_3genE10ELNS1_11target_archE1200ELNS1_3gpuE4ELNS1_3repE0EEENS1_30default_config_static_selectorELNS0_4arch9wavefront6targetE0EEEvSY_.has_indirect_call, 0
	.section	.AMDGPU.csdata,"",@progbits
; Kernel info:
; codeLenInByte = 0
; TotalNumSgprs: 0
; NumVgprs: 0
; ScratchSize: 0
; MemoryBound: 0
; FloatMode: 240
; IeeeMode: 1
; LDSByteSize: 0 bytes/workgroup (compile time only)
; SGPRBlocks: 0
; VGPRBlocks: 0
; NumSGPRsForWavesPerEU: 1
; NumVGPRsForWavesPerEU: 1
; Occupancy: 16
; WaveLimiterHint : 0
; COMPUTE_PGM_RSRC2:SCRATCH_EN: 0
; COMPUTE_PGM_RSRC2:USER_SGPR: 6
; COMPUTE_PGM_RSRC2:TRAP_HANDLER: 0
; COMPUTE_PGM_RSRC2:TGID_X_EN: 1
; COMPUTE_PGM_RSRC2:TGID_Y_EN: 0
; COMPUTE_PGM_RSRC2:TGID_Z_EN: 0
; COMPUTE_PGM_RSRC2:TIDIG_COMP_CNT: 0
	.section	.text._ZN7rocprim17ROCPRIM_400000_NS6detail17trampoline_kernelINS0_14default_configENS1_27upper_bound_config_selectorIdlEEZNS1_14transform_implILb0ES3_S5_N6thrust23THRUST_200600_302600_NS6detail15normal_iteratorINS8_7pointerIdNS8_11hip_rocprim5par_tENS8_11use_defaultESE_EEEENSA_INSB_IlSD_SE_SE_EEEEZNS1_13binary_searchIS3_S5_NSA_INS8_10device_ptrIdEEEESG_SI_NS1_21upper_bound_search_opENS9_16wrapped_functionINS8_6system6detail7generic6detail18binary_search_lessEbEEEE10hipError_tPvRmT1_T2_T3_mmT4_T5_P12ihipStream_tbEUlRKdE_EESV_SZ_S10_mS11_S14_bEUlT_E_NS1_11comp_targetILNS1_3genE9ELNS1_11target_archE1100ELNS1_3gpuE3ELNS1_3repE0EEENS1_30default_config_static_selectorELNS0_4arch9wavefront6targetE0EEEvSY_,"axG",@progbits,_ZN7rocprim17ROCPRIM_400000_NS6detail17trampoline_kernelINS0_14default_configENS1_27upper_bound_config_selectorIdlEEZNS1_14transform_implILb0ES3_S5_N6thrust23THRUST_200600_302600_NS6detail15normal_iteratorINS8_7pointerIdNS8_11hip_rocprim5par_tENS8_11use_defaultESE_EEEENSA_INSB_IlSD_SE_SE_EEEEZNS1_13binary_searchIS3_S5_NSA_INS8_10device_ptrIdEEEESG_SI_NS1_21upper_bound_search_opENS9_16wrapped_functionINS8_6system6detail7generic6detail18binary_search_lessEbEEEE10hipError_tPvRmT1_T2_T3_mmT4_T5_P12ihipStream_tbEUlRKdE_EESV_SZ_S10_mS11_S14_bEUlT_E_NS1_11comp_targetILNS1_3genE9ELNS1_11target_archE1100ELNS1_3gpuE3ELNS1_3repE0EEENS1_30default_config_static_selectorELNS0_4arch9wavefront6targetE0EEEvSY_,comdat
	.protected	_ZN7rocprim17ROCPRIM_400000_NS6detail17trampoline_kernelINS0_14default_configENS1_27upper_bound_config_selectorIdlEEZNS1_14transform_implILb0ES3_S5_N6thrust23THRUST_200600_302600_NS6detail15normal_iteratorINS8_7pointerIdNS8_11hip_rocprim5par_tENS8_11use_defaultESE_EEEENSA_INSB_IlSD_SE_SE_EEEEZNS1_13binary_searchIS3_S5_NSA_INS8_10device_ptrIdEEEESG_SI_NS1_21upper_bound_search_opENS9_16wrapped_functionINS8_6system6detail7generic6detail18binary_search_lessEbEEEE10hipError_tPvRmT1_T2_T3_mmT4_T5_P12ihipStream_tbEUlRKdE_EESV_SZ_S10_mS11_S14_bEUlT_E_NS1_11comp_targetILNS1_3genE9ELNS1_11target_archE1100ELNS1_3gpuE3ELNS1_3repE0EEENS1_30default_config_static_selectorELNS0_4arch9wavefront6targetE0EEEvSY_ ; -- Begin function _ZN7rocprim17ROCPRIM_400000_NS6detail17trampoline_kernelINS0_14default_configENS1_27upper_bound_config_selectorIdlEEZNS1_14transform_implILb0ES3_S5_N6thrust23THRUST_200600_302600_NS6detail15normal_iteratorINS8_7pointerIdNS8_11hip_rocprim5par_tENS8_11use_defaultESE_EEEENSA_INSB_IlSD_SE_SE_EEEEZNS1_13binary_searchIS3_S5_NSA_INS8_10device_ptrIdEEEESG_SI_NS1_21upper_bound_search_opENS9_16wrapped_functionINS8_6system6detail7generic6detail18binary_search_lessEbEEEE10hipError_tPvRmT1_T2_T3_mmT4_T5_P12ihipStream_tbEUlRKdE_EESV_SZ_S10_mS11_S14_bEUlT_E_NS1_11comp_targetILNS1_3genE9ELNS1_11target_archE1100ELNS1_3gpuE3ELNS1_3repE0EEENS1_30default_config_static_selectorELNS0_4arch9wavefront6targetE0EEEvSY_
	.globl	_ZN7rocprim17ROCPRIM_400000_NS6detail17trampoline_kernelINS0_14default_configENS1_27upper_bound_config_selectorIdlEEZNS1_14transform_implILb0ES3_S5_N6thrust23THRUST_200600_302600_NS6detail15normal_iteratorINS8_7pointerIdNS8_11hip_rocprim5par_tENS8_11use_defaultESE_EEEENSA_INSB_IlSD_SE_SE_EEEEZNS1_13binary_searchIS3_S5_NSA_INS8_10device_ptrIdEEEESG_SI_NS1_21upper_bound_search_opENS9_16wrapped_functionINS8_6system6detail7generic6detail18binary_search_lessEbEEEE10hipError_tPvRmT1_T2_T3_mmT4_T5_P12ihipStream_tbEUlRKdE_EESV_SZ_S10_mS11_S14_bEUlT_E_NS1_11comp_targetILNS1_3genE9ELNS1_11target_archE1100ELNS1_3gpuE3ELNS1_3repE0EEENS1_30default_config_static_selectorELNS0_4arch9wavefront6targetE0EEEvSY_
	.p2align	8
	.type	_ZN7rocprim17ROCPRIM_400000_NS6detail17trampoline_kernelINS0_14default_configENS1_27upper_bound_config_selectorIdlEEZNS1_14transform_implILb0ES3_S5_N6thrust23THRUST_200600_302600_NS6detail15normal_iteratorINS8_7pointerIdNS8_11hip_rocprim5par_tENS8_11use_defaultESE_EEEENSA_INSB_IlSD_SE_SE_EEEEZNS1_13binary_searchIS3_S5_NSA_INS8_10device_ptrIdEEEESG_SI_NS1_21upper_bound_search_opENS9_16wrapped_functionINS8_6system6detail7generic6detail18binary_search_lessEbEEEE10hipError_tPvRmT1_T2_T3_mmT4_T5_P12ihipStream_tbEUlRKdE_EESV_SZ_S10_mS11_S14_bEUlT_E_NS1_11comp_targetILNS1_3genE9ELNS1_11target_archE1100ELNS1_3gpuE3ELNS1_3repE0EEENS1_30default_config_static_selectorELNS0_4arch9wavefront6targetE0EEEvSY_,@function
_ZN7rocprim17ROCPRIM_400000_NS6detail17trampoline_kernelINS0_14default_configENS1_27upper_bound_config_selectorIdlEEZNS1_14transform_implILb0ES3_S5_N6thrust23THRUST_200600_302600_NS6detail15normal_iteratorINS8_7pointerIdNS8_11hip_rocprim5par_tENS8_11use_defaultESE_EEEENSA_INSB_IlSD_SE_SE_EEEEZNS1_13binary_searchIS3_S5_NSA_INS8_10device_ptrIdEEEESG_SI_NS1_21upper_bound_search_opENS9_16wrapped_functionINS8_6system6detail7generic6detail18binary_search_lessEbEEEE10hipError_tPvRmT1_T2_T3_mmT4_T5_P12ihipStream_tbEUlRKdE_EESV_SZ_S10_mS11_S14_bEUlT_E_NS1_11comp_targetILNS1_3genE9ELNS1_11target_archE1100ELNS1_3gpuE3ELNS1_3repE0EEENS1_30default_config_static_selectorELNS0_4arch9wavefront6targetE0EEEvSY_: ; @_ZN7rocprim17ROCPRIM_400000_NS6detail17trampoline_kernelINS0_14default_configENS1_27upper_bound_config_selectorIdlEEZNS1_14transform_implILb0ES3_S5_N6thrust23THRUST_200600_302600_NS6detail15normal_iteratorINS8_7pointerIdNS8_11hip_rocprim5par_tENS8_11use_defaultESE_EEEENSA_INSB_IlSD_SE_SE_EEEEZNS1_13binary_searchIS3_S5_NSA_INS8_10device_ptrIdEEEESG_SI_NS1_21upper_bound_search_opENS9_16wrapped_functionINS8_6system6detail7generic6detail18binary_search_lessEbEEEE10hipError_tPvRmT1_T2_T3_mmT4_T5_P12ihipStream_tbEUlRKdE_EESV_SZ_S10_mS11_S14_bEUlT_E_NS1_11comp_targetILNS1_3genE9ELNS1_11target_archE1100ELNS1_3gpuE3ELNS1_3repE0EEENS1_30default_config_static_selectorELNS0_4arch9wavefront6targetE0EEEvSY_
; %bb.0:
	.section	.rodata,"a",@progbits
	.p2align	6, 0x0
	.amdhsa_kernel _ZN7rocprim17ROCPRIM_400000_NS6detail17trampoline_kernelINS0_14default_configENS1_27upper_bound_config_selectorIdlEEZNS1_14transform_implILb0ES3_S5_N6thrust23THRUST_200600_302600_NS6detail15normal_iteratorINS8_7pointerIdNS8_11hip_rocprim5par_tENS8_11use_defaultESE_EEEENSA_INSB_IlSD_SE_SE_EEEEZNS1_13binary_searchIS3_S5_NSA_INS8_10device_ptrIdEEEESG_SI_NS1_21upper_bound_search_opENS9_16wrapped_functionINS8_6system6detail7generic6detail18binary_search_lessEbEEEE10hipError_tPvRmT1_T2_T3_mmT4_T5_P12ihipStream_tbEUlRKdE_EESV_SZ_S10_mS11_S14_bEUlT_E_NS1_11comp_targetILNS1_3genE9ELNS1_11target_archE1100ELNS1_3gpuE3ELNS1_3repE0EEENS1_30default_config_static_selectorELNS0_4arch9wavefront6targetE0EEEvSY_
		.amdhsa_group_segment_fixed_size 0
		.amdhsa_private_segment_fixed_size 0
		.amdhsa_kernarg_size 56
		.amdhsa_user_sgpr_count 6
		.amdhsa_user_sgpr_private_segment_buffer 1
		.amdhsa_user_sgpr_dispatch_ptr 0
		.amdhsa_user_sgpr_queue_ptr 0
		.amdhsa_user_sgpr_kernarg_segment_ptr 1
		.amdhsa_user_sgpr_dispatch_id 0
		.amdhsa_user_sgpr_flat_scratch_init 0
		.amdhsa_user_sgpr_private_segment_size 0
		.amdhsa_wavefront_size32 1
		.amdhsa_uses_dynamic_stack 0
		.amdhsa_system_sgpr_private_segment_wavefront_offset 0
		.amdhsa_system_sgpr_workgroup_id_x 1
		.amdhsa_system_sgpr_workgroup_id_y 0
		.amdhsa_system_sgpr_workgroup_id_z 0
		.amdhsa_system_sgpr_workgroup_info 0
		.amdhsa_system_vgpr_workitem_id 0
		.amdhsa_next_free_vgpr 1
		.amdhsa_next_free_sgpr 1
		.amdhsa_reserve_vcc 0
		.amdhsa_reserve_flat_scratch 0
		.amdhsa_float_round_mode_32 0
		.amdhsa_float_round_mode_16_64 0
		.amdhsa_float_denorm_mode_32 3
		.amdhsa_float_denorm_mode_16_64 3
		.amdhsa_dx10_clamp 1
		.amdhsa_ieee_mode 1
		.amdhsa_fp16_overflow 0
		.amdhsa_workgroup_processor_mode 1
		.amdhsa_memory_ordered 1
		.amdhsa_forward_progress 1
		.amdhsa_shared_vgpr_count 0
		.amdhsa_exception_fp_ieee_invalid_op 0
		.amdhsa_exception_fp_denorm_src 0
		.amdhsa_exception_fp_ieee_div_zero 0
		.amdhsa_exception_fp_ieee_overflow 0
		.amdhsa_exception_fp_ieee_underflow 0
		.amdhsa_exception_fp_ieee_inexact 0
		.amdhsa_exception_int_div_zero 0
	.end_amdhsa_kernel
	.section	.text._ZN7rocprim17ROCPRIM_400000_NS6detail17trampoline_kernelINS0_14default_configENS1_27upper_bound_config_selectorIdlEEZNS1_14transform_implILb0ES3_S5_N6thrust23THRUST_200600_302600_NS6detail15normal_iteratorINS8_7pointerIdNS8_11hip_rocprim5par_tENS8_11use_defaultESE_EEEENSA_INSB_IlSD_SE_SE_EEEEZNS1_13binary_searchIS3_S5_NSA_INS8_10device_ptrIdEEEESG_SI_NS1_21upper_bound_search_opENS9_16wrapped_functionINS8_6system6detail7generic6detail18binary_search_lessEbEEEE10hipError_tPvRmT1_T2_T3_mmT4_T5_P12ihipStream_tbEUlRKdE_EESV_SZ_S10_mS11_S14_bEUlT_E_NS1_11comp_targetILNS1_3genE9ELNS1_11target_archE1100ELNS1_3gpuE3ELNS1_3repE0EEENS1_30default_config_static_selectorELNS0_4arch9wavefront6targetE0EEEvSY_,"axG",@progbits,_ZN7rocprim17ROCPRIM_400000_NS6detail17trampoline_kernelINS0_14default_configENS1_27upper_bound_config_selectorIdlEEZNS1_14transform_implILb0ES3_S5_N6thrust23THRUST_200600_302600_NS6detail15normal_iteratorINS8_7pointerIdNS8_11hip_rocprim5par_tENS8_11use_defaultESE_EEEENSA_INSB_IlSD_SE_SE_EEEEZNS1_13binary_searchIS3_S5_NSA_INS8_10device_ptrIdEEEESG_SI_NS1_21upper_bound_search_opENS9_16wrapped_functionINS8_6system6detail7generic6detail18binary_search_lessEbEEEE10hipError_tPvRmT1_T2_T3_mmT4_T5_P12ihipStream_tbEUlRKdE_EESV_SZ_S10_mS11_S14_bEUlT_E_NS1_11comp_targetILNS1_3genE9ELNS1_11target_archE1100ELNS1_3gpuE3ELNS1_3repE0EEENS1_30default_config_static_selectorELNS0_4arch9wavefront6targetE0EEEvSY_,comdat
.Lfunc_end507:
	.size	_ZN7rocprim17ROCPRIM_400000_NS6detail17trampoline_kernelINS0_14default_configENS1_27upper_bound_config_selectorIdlEEZNS1_14transform_implILb0ES3_S5_N6thrust23THRUST_200600_302600_NS6detail15normal_iteratorINS8_7pointerIdNS8_11hip_rocprim5par_tENS8_11use_defaultESE_EEEENSA_INSB_IlSD_SE_SE_EEEEZNS1_13binary_searchIS3_S5_NSA_INS8_10device_ptrIdEEEESG_SI_NS1_21upper_bound_search_opENS9_16wrapped_functionINS8_6system6detail7generic6detail18binary_search_lessEbEEEE10hipError_tPvRmT1_T2_T3_mmT4_T5_P12ihipStream_tbEUlRKdE_EESV_SZ_S10_mS11_S14_bEUlT_E_NS1_11comp_targetILNS1_3genE9ELNS1_11target_archE1100ELNS1_3gpuE3ELNS1_3repE0EEENS1_30default_config_static_selectorELNS0_4arch9wavefront6targetE0EEEvSY_, .Lfunc_end507-_ZN7rocprim17ROCPRIM_400000_NS6detail17trampoline_kernelINS0_14default_configENS1_27upper_bound_config_selectorIdlEEZNS1_14transform_implILb0ES3_S5_N6thrust23THRUST_200600_302600_NS6detail15normal_iteratorINS8_7pointerIdNS8_11hip_rocprim5par_tENS8_11use_defaultESE_EEEENSA_INSB_IlSD_SE_SE_EEEEZNS1_13binary_searchIS3_S5_NSA_INS8_10device_ptrIdEEEESG_SI_NS1_21upper_bound_search_opENS9_16wrapped_functionINS8_6system6detail7generic6detail18binary_search_lessEbEEEE10hipError_tPvRmT1_T2_T3_mmT4_T5_P12ihipStream_tbEUlRKdE_EESV_SZ_S10_mS11_S14_bEUlT_E_NS1_11comp_targetILNS1_3genE9ELNS1_11target_archE1100ELNS1_3gpuE3ELNS1_3repE0EEENS1_30default_config_static_selectorELNS0_4arch9wavefront6targetE0EEEvSY_
                                        ; -- End function
	.set _ZN7rocprim17ROCPRIM_400000_NS6detail17trampoline_kernelINS0_14default_configENS1_27upper_bound_config_selectorIdlEEZNS1_14transform_implILb0ES3_S5_N6thrust23THRUST_200600_302600_NS6detail15normal_iteratorINS8_7pointerIdNS8_11hip_rocprim5par_tENS8_11use_defaultESE_EEEENSA_INSB_IlSD_SE_SE_EEEEZNS1_13binary_searchIS3_S5_NSA_INS8_10device_ptrIdEEEESG_SI_NS1_21upper_bound_search_opENS9_16wrapped_functionINS8_6system6detail7generic6detail18binary_search_lessEbEEEE10hipError_tPvRmT1_T2_T3_mmT4_T5_P12ihipStream_tbEUlRKdE_EESV_SZ_S10_mS11_S14_bEUlT_E_NS1_11comp_targetILNS1_3genE9ELNS1_11target_archE1100ELNS1_3gpuE3ELNS1_3repE0EEENS1_30default_config_static_selectorELNS0_4arch9wavefront6targetE0EEEvSY_.num_vgpr, 0
	.set _ZN7rocprim17ROCPRIM_400000_NS6detail17trampoline_kernelINS0_14default_configENS1_27upper_bound_config_selectorIdlEEZNS1_14transform_implILb0ES3_S5_N6thrust23THRUST_200600_302600_NS6detail15normal_iteratorINS8_7pointerIdNS8_11hip_rocprim5par_tENS8_11use_defaultESE_EEEENSA_INSB_IlSD_SE_SE_EEEEZNS1_13binary_searchIS3_S5_NSA_INS8_10device_ptrIdEEEESG_SI_NS1_21upper_bound_search_opENS9_16wrapped_functionINS8_6system6detail7generic6detail18binary_search_lessEbEEEE10hipError_tPvRmT1_T2_T3_mmT4_T5_P12ihipStream_tbEUlRKdE_EESV_SZ_S10_mS11_S14_bEUlT_E_NS1_11comp_targetILNS1_3genE9ELNS1_11target_archE1100ELNS1_3gpuE3ELNS1_3repE0EEENS1_30default_config_static_selectorELNS0_4arch9wavefront6targetE0EEEvSY_.num_agpr, 0
	.set _ZN7rocprim17ROCPRIM_400000_NS6detail17trampoline_kernelINS0_14default_configENS1_27upper_bound_config_selectorIdlEEZNS1_14transform_implILb0ES3_S5_N6thrust23THRUST_200600_302600_NS6detail15normal_iteratorINS8_7pointerIdNS8_11hip_rocprim5par_tENS8_11use_defaultESE_EEEENSA_INSB_IlSD_SE_SE_EEEEZNS1_13binary_searchIS3_S5_NSA_INS8_10device_ptrIdEEEESG_SI_NS1_21upper_bound_search_opENS9_16wrapped_functionINS8_6system6detail7generic6detail18binary_search_lessEbEEEE10hipError_tPvRmT1_T2_T3_mmT4_T5_P12ihipStream_tbEUlRKdE_EESV_SZ_S10_mS11_S14_bEUlT_E_NS1_11comp_targetILNS1_3genE9ELNS1_11target_archE1100ELNS1_3gpuE3ELNS1_3repE0EEENS1_30default_config_static_selectorELNS0_4arch9wavefront6targetE0EEEvSY_.numbered_sgpr, 0
	.set _ZN7rocprim17ROCPRIM_400000_NS6detail17trampoline_kernelINS0_14default_configENS1_27upper_bound_config_selectorIdlEEZNS1_14transform_implILb0ES3_S5_N6thrust23THRUST_200600_302600_NS6detail15normal_iteratorINS8_7pointerIdNS8_11hip_rocprim5par_tENS8_11use_defaultESE_EEEENSA_INSB_IlSD_SE_SE_EEEEZNS1_13binary_searchIS3_S5_NSA_INS8_10device_ptrIdEEEESG_SI_NS1_21upper_bound_search_opENS9_16wrapped_functionINS8_6system6detail7generic6detail18binary_search_lessEbEEEE10hipError_tPvRmT1_T2_T3_mmT4_T5_P12ihipStream_tbEUlRKdE_EESV_SZ_S10_mS11_S14_bEUlT_E_NS1_11comp_targetILNS1_3genE9ELNS1_11target_archE1100ELNS1_3gpuE3ELNS1_3repE0EEENS1_30default_config_static_selectorELNS0_4arch9wavefront6targetE0EEEvSY_.num_named_barrier, 0
	.set _ZN7rocprim17ROCPRIM_400000_NS6detail17trampoline_kernelINS0_14default_configENS1_27upper_bound_config_selectorIdlEEZNS1_14transform_implILb0ES3_S5_N6thrust23THRUST_200600_302600_NS6detail15normal_iteratorINS8_7pointerIdNS8_11hip_rocprim5par_tENS8_11use_defaultESE_EEEENSA_INSB_IlSD_SE_SE_EEEEZNS1_13binary_searchIS3_S5_NSA_INS8_10device_ptrIdEEEESG_SI_NS1_21upper_bound_search_opENS9_16wrapped_functionINS8_6system6detail7generic6detail18binary_search_lessEbEEEE10hipError_tPvRmT1_T2_T3_mmT4_T5_P12ihipStream_tbEUlRKdE_EESV_SZ_S10_mS11_S14_bEUlT_E_NS1_11comp_targetILNS1_3genE9ELNS1_11target_archE1100ELNS1_3gpuE3ELNS1_3repE0EEENS1_30default_config_static_selectorELNS0_4arch9wavefront6targetE0EEEvSY_.private_seg_size, 0
	.set _ZN7rocprim17ROCPRIM_400000_NS6detail17trampoline_kernelINS0_14default_configENS1_27upper_bound_config_selectorIdlEEZNS1_14transform_implILb0ES3_S5_N6thrust23THRUST_200600_302600_NS6detail15normal_iteratorINS8_7pointerIdNS8_11hip_rocprim5par_tENS8_11use_defaultESE_EEEENSA_INSB_IlSD_SE_SE_EEEEZNS1_13binary_searchIS3_S5_NSA_INS8_10device_ptrIdEEEESG_SI_NS1_21upper_bound_search_opENS9_16wrapped_functionINS8_6system6detail7generic6detail18binary_search_lessEbEEEE10hipError_tPvRmT1_T2_T3_mmT4_T5_P12ihipStream_tbEUlRKdE_EESV_SZ_S10_mS11_S14_bEUlT_E_NS1_11comp_targetILNS1_3genE9ELNS1_11target_archE1100ELNS1_3gpuE3ELNS1_3repE0EEENS1_30default_config_static_selectorELNS0_4arch9wavefront6targetE0EEEvSY_.uses_vcc, 0
	.set _ZN7rocprim17ROCPRIM_400000_NS6detail17trampoline_kernelINS0_14default_configENS1_27upper_bound_config_selectorIdlEEZNS1_14transform_implILb0ES3_S5_N6thrust23THRUST_200600_302600_NS6detail15normal_iteratorINS8_7pointerIdNS8_11hip_rocprim5par_tENS8_11use_defaultESE_EEEENSA_INSB_IlSD_SE_SE_EEEEZNS1_13binary_searchIS3_S5_NSA_INS8_10device_ptrIdEEEESG_SI_NS1_21upper_bound_search_opENS9_16wrapped_functionINS8_6system6detail7generic6detail18binary_search_lessEbEEEE10hipError_tPvRmT1_T2_T3_mmT4_T5_P12ihipStream_tbEUlRKdE_EESV_SZ_S10_mS11_S14_bEUlT_E_NS1_11comp_targetILNS1_3genE9ELNS1_11target_archE1100ELNS1_3gpuE3ELNS1_3repE0EEENS1_30default_config_static_selectorELNS0_4arch9wavefront6targetE0EEEvSY_.uses_flat_scratch, 0
	.set _ZN7rocprim17ROCPRIM_400000_NS6detail17trampoline_kernelINS0_14default_configENS1_27upper_bound_config_selectorIdlEEZNS1_14transform_implILb0ES3_S5_N6thrust23THRUST_200600_302600_NS6detail15normal_iteratorINS8_7pointerIdNS8_11hip_rocprim5par_tENS8_11use_defaultESE_EEEENSA_INSB_IlSD_SE_SE_EEEEZNS1_13binary_searchIS3_S5_NSA_INS8_10device_ptrIdEEEESG_SI_NS1_21upper_bound_search_opENS9_16wrapped_functionINS8_6system6detail7generic6detail18binary_search_lessEbEEEE10hipError_tPvRmT1_T2_T3_mmT4_T5_P12ihipStream_tbEUlRKdE_EESV_SZ_S10_mS11_S14_bEUlT_E_NS1_11comp_targetILNS1_3genE9ELNS1_11target_archE1100ELNS1_3gpuE3ELNS1_3repE0EEENS1_30default_config_static_selectorELNS0_4arch9wavefront6targetE0EEEvSY_.has_dyn_sized_stack, 0
	.set _ZN7rocprim17ROCPRIM_400000_NS6detail17trampoline_kernelINS0_14default_configENS1_27upper_bound_config_selectorIdlEEZNS1_14transform_implILb0ES3_S5_N6thrust23THRUST_200600_302600_NS6detail15normal_iteratorINS8_7pointerIdNS8_11hip_rocprim5par_tENS8_11use_defaultESE_EEEENSA_INSB_IlSD_SE_SE_EEEEZNS1_13binary_searchIS3_S5_NSA_INS8_10device_ptrIdEEEESG_SI_NS1_21upper_bound_search_opENS9_16wrapped_functionINS8_6system6detail7generic6detail18binary_search_lessEbEEEE10hipError_tPvRmT1_T2_T3_mmT4_T5_P12ihipStream_tbEUlRKdE_EESV_SZ_S10_mS11_S14_bEUlT_E_NS1_11comp_targetILNS1_3genE9ELNS1_11target_archE1100ELNS1_3gpuE3ELNS1_3repE0EEENS1_30default_config_static_selectorELNS0_4arch9wavefront6targetE0EEEvSY_.has_recursion, 0
	.set _ZN7rocprim17ROCPRIM_400000_NS6detail17trampoline_kernelINS0_14default_configENS1_27upper_bound_config_selectorIdlEEZNS1_14transform_implILb0ES3_S5_N6thrust23THRUST_200600_302600_NS6detail15normal_iteratorINS8_7pointerIdNS8_11hip_rocprim5par_tENS8_11use_defaultESE_EEEENSA_INSB_IlSD_SE_SE_EEEEZNS1_13binary_searchIS3_S5_NSA_INS8_10device_ptrIdEEEESG_SI_NS1_21upper_bound_search_opENS9_16wrapped_functionINS8_6system6detail7generic6detail18binary_search_lessEbEEEE10hipError_tPvRmT1_T2_T3_mmT4_T5_P12ihipStream_tbEUlRKdE_EESV_SZ_S10_mS11_S14_bEUlT_E_NS1_11comp_targetILNS1_3genE9ELNS1_11target_archE1100ELNS1_3gpuE3ELNS1_3repE0EEENS1_30default_config_static_selectorELNS0_4arch9wavefront6targetE0EEEvSY_.has_indirect_call, 0
	.section	.AMDGPU.csdata,"",@progbits
; Kernel info:
; codeLenInByte = 0
; TotalNumSgprs: 0
; NumVgprs: 0
; ScratchSize: 0
; MemoryBound: 0
; FloatMode: 240
; IeeeMode: 1
; LDSByteSize: 0 bytes/workgroup (compile time only)
; SGPRBlocks: 0
; VGPRBlocks: 0
; NumSGPRsForWavesPerEU: 1
; NumVGPRsForWavesPerEU: 1
; Occupancy: 16
; WaveLimiterHint : 0
; COMPUTE_PGM_RSRC2:SCRATCH_EN: 0
; COMPUTE_PGM_RSRC2:USER_SGPR: 6
; COMPUTE_PGM_RSRC2:TRAP_HANDLER: 0
; COMPUTE_PGM_RSRC2:TGID_X_EN: 1
; COMPUTE_PGM_RSRC2:TGID_Y_EN: 0
; COMPUTE_PGM_RSRC2:TGID_Z_EN: 0
; COMPUTE_PGM_RSRC2:TIDIG_COMP_CNT: 0
	.section	.text._ZN7rocprim17ROCPRIM_400000_NS6detail17trampoline_kernelINS0_14default_configENS1_27upper_bound_config_selectorIdlEEZNS1_14transform_implILb0ES3_S5_N6thrust23THRUST_200600_302600_NS6detail15normal_iteratorINS8_7pointerIdNS8_11hip_rocprim5par_tENS8_11use_defaultESE_EEEENSA_INSB_IlSD_SE_SE_EEEEZNS1_13binary_searchIS3_S5_NSA_INS8_10device_ptrIdEEEESG_SI_NS1_21upper_bound_search_opENS9_16wrapped_functionINS8_6system6detail7generic6detail18binary_search_lessEbEEEE10hipError_tPvRmT1_T2_T3_mmT4_T5_P12ihipStream_tbEUlRKdE_EESV_SZ_S10_mS11_S14_bEUlT_E_NS1_11comp_targetILNS1_3genE8ELNS1_11target_archE1030ELNS1_3gpuE2ELNS1_3repE0EEENS1_30default_config_static_selectorELNS0_4arch9wavefront6targetE0EEEvSY_,"axG",@progbits,_ZN7rocprim17ROCPRIM_400000_NS6detail17trampoline_kernelINS0_14default_configENS1_27upper_bound_config_selectorIdlEEZNS1_14transform_implILb0ES3_S5_N6thrust23THRUST_200600_302600_NS6detail15normal_iteratorINS8_7pointerIdNS8_11hip_rocprim5par_tENS8_11use_defaultESE_EEEENSA_INSB_IlSD_SE_SE_EEEEZNS1_13binary_searchIS3_S5_NSA_INS8_10device_ptrIdEEEESG_SI_NS1_21upper_bound_search_opENS9_16wrapped_functionINS8_6system6detail7generic6detail18binary_search_lessEbEEEE10hipError_tPvRmT1_T2_T3_mmT4_T5_P12ihipStream_tbEUlRKdE_EESV_SZ_S10_mS11_S14_bEUlT_E_NS1_11comp_targetILNS1_3genE8ELNS1_11target_archE1030ELNS1_3gpuE2ELNS1_3repE0EEENS1_30default_config_static_selectorELNS0_4arch9wavefront6targetE0EEEvSY_,comdat
	.protected	_ZN7rocprim17ROCPRIM_400000_NS6detail17trampoline_kernelINS0_14default_configENS1_27upper_bound_config_selectorIdlEEZNS1_14transform_implILb0ES3_S5_N6thrust23THRUST_200600_302600_NS6detail15normal_iteratorINS8_7pointerIdNS8_11hip_rocprim5par_tENS8_11use_defaultESE_EEEENSA_INSB_IlSD_SE_SE_EEEEZNS1_13binary_searchIS3_S5_NSA_INS8_10device_ptrIdEEEESG_SI_NS1_21upper_bound_search_opENS9_16wrapped_functionINS8_6system6detail7generic6detail18binary_search_lessEbEEEE10hipError_tPvRmT1_T2_T3_mmT4_T5_P12ihipStream_tbEUlRKdE_EESV_SZ_S10_mS11_S14_bEUlT_E_NS1_11comp_targetILNS1_3genE8ELNS1_11target_archE1030ELNS1_3gpuE2ELNS1_3repE0EEENS1_30default_config_static_selectorELNS0_4arch9wavefront6targetE0EEEvSY_ ; -- Begin function _ZN7rocprim17ROCPRIM_400000_NS6detail17trampoline_kernelINS0_14default_configENS1_27upper_bound_config_selectorIdlEEZNS1_14transform_implILb0ES3_S5_N6thrust23THRUST_200600_302600_NS6detail15normal_iteratorINS8_7pointerIdNS8_11hip_rocprim5par_tENS8_11use_defaultESE_EEEENSA_INSB_IlSD_SE_SE_EEEEZNS1_13binary_searchIS3_S5_NSA_INS8_10device_ptrIdEEEESG_SI_NS1_21upper_bound_search_opENS9_16wrapped_functionINS8_6system6detail7generic6detail18binary_search_lessEbEEEE10hipError_tPvRmT1_T2_T3_mmT4_T5_P12ihipStream_tbEUlRKdE_EESV_SZ_S10_mS11_S14_bEUlT_E_NS1_11comp_targetILNS1_3genE8ELNS1_11target_archE1030ELNS1_3gpuE2ELNS1_3repE0EEENS1_30default_config_static_selectorELNS0_4arch9wavefront6targetE0EEEvSY_
	.globl	_ZN7rocprim17ROCPRIM_400000_NS6detail17trampoline_kernelINS0_14default_configENS1_27upper_bound_config_selectorIdlEEZNS1_14transform_implILb0ES3_S5_N6thrust23THRUST_200600_302600_NS6detail15normal_iteratorINS8_7pointerIdNS8_11hip_rocprim5par_tENS8_11use_defaultESE_EEEENSA_INSB_IlSD_SE_SE_EEEEZNS1_13binary_searchIS3_S5_NSA_INS8_10device_ptrIdEEEESG_SI_NS1_21upper_bound_search_opENS9_16wrapped_functionINS8_6system6detail7generic6detail18binary_search_lessEbEEEE10hipError_tPvRmT1_T2_T3_mmT4_T5_P12ihipStream_tbEUlRKdE_EESV_SZ_S10_mS11_S14_bEUlT_E_NS1_11comp_targetILNS1_3genE8ELNS1_11target_archE1030ELNS1_3gpuE2ELNS1_3repE0EEENS1_30default_config_static_selectorELNS0_4arch9wavefront6targetE0EEEvSY_
	.p2align	8
	.type	_ZN7rocprim17ROCPRIM_400000_NS6detail17trampoline_kernelINS0_14default_configENS1_27upper_bound_config_selectorIdlEEZNS1_14transform_implILb0ES3_S5_N6thrust23THRUST_200600_302600_NS6detail15normal_iteratorINS8_7pointerIdNS8_11hip_rocprim5par_tENS8_11use_defaultESE_EEEENSA_INSB_IlSD_SE_SE_EEEEZNS1_13binary_searchIS3_S5_NSA_INS8_10device_ptrIdEEEESG_SI_NS1_21upper_bound_search_opENS9_16wrapped_functionINS8_6system6detail7generic6detail18binary_search_lessEbEEEE10hipError_tPvRmT1_T2_T3_mmT4_T5_P12ihipStream_tbEUlRKdE_EESV_SZ_S10_mS11_S14_bEUlT_E_NS1_11comp_targetILNS1_3genE8ELNS1_11target_archE1030ELNS1_3gpuE2ELNS1_3repE0EEENS1_30default_config_static_selectorELNS0_4arch9wavefront6targetE0EEEvSY_,@function
_ZN7rocprim17ROCPRIM_400000_NS6detail17trampoline_kernelINS0_14default_configENS1_27upper_bound_config_selectorIdlEEZNS1_14transform_implILb0ES3_S5_N6thrust23THRUST_200600_302600_NS6detail15normal_iteratorINS8_7pointerIdNS8_11hip_rocprim5par_tENS8_11use_defaultESE_EEEENSA_INSB_IlSD_SE_SE_EEEEZNS1_13binary_searchIS3_S5_NSA_INS8_10device_ptrIdEEEESG_SI_NS1_21upper_bound_search_opENS9_16wrapped_functionINS8_6system6detail7generic6detail18binary_search_lessEbEEEE10hipError_tPvRmT1_T2_T3_mmT4_T5_P12ihipStream_tbEUlRKdE_EESV_SZ_S10_mS11_S14_bEUlT_E_NS1_11comp_targetILNS1_3genE8ELNS1_11target_archE1030ELNS1_3gpuE2ELNS1_3repE0EEENS1_30default_config_static_selectorELNS0_4arch9wavefront6targetE0EEEvSY_: ; @_ZN7rocprim17ROCPRIM_400000_NS6detail17trampoline_kernelINS0_14default_configENS1_27upper_bound_config_selectorIdlEEZNS1_14transform_implILb0ES3_S5_N6thrust23THRUST_200600_302600_NS6detail15normal_iteratorINS8_7pointerIdNS8_11hip_rocprim5par_tENS8_11use_defaultESE_EEEENSA_INSB_IlSD_SE_SE_EEEEZNS1_13binary_searchIS3_S5_NSA_INS8_10device_ptrIdEEEESG_SI_NS1_21upper_bound_search_opENS9_16wrapped_functionINS8_6system6detail7generic6detail18binary_search_lessEbEEEE10hipError_tPvRmT1_T2_T3_mmT4_T5_P12ihipStream_tbEUlRKdE_EESV_SZ_S10_mS11_S14_bEUlT_E_NS1_11comp_targetILNS1_3genE8ELNS1_11target_archE1030ELNS1_3gpuE2ELNS1_3repE0EEENS1_30default_config_static_selectorELNS0_4arch9wavefront6targetE0EEEvSY_
; %bb.0:
	s_clause 0x3
	s_load_dwordx4 s[16:19], s[4:5], 0x0
	s_load_dwordx4 s[0:3], s[4:5], 0x18
	s_load_dword s15, s[4:5], 0x38
	s_load_dwordx2 s[10:11], s[4:5], 0x28
	s_waitcnt lgkmcnt(0)
	s_lshl_b64 s[8:9], s[18:19], 3
	s_add_u32 s13, s16, s8
	s_addc_u32 s14, s17, s9
	s_add_u32 s7, s0, s8
	s_addc_u32 s12, s1, s9
	s_add_i32 s15, s15, -1
	s_lshl_b32 s8, s6, 8
	s_mov_b32 s9, 0
	s_cmp_lg_u32 s6, s15
	s_mov_b32 s0, -1
	s_cbranch_scc0 .LBB508_7
; %bb.1:
	s_cmp_eq_u64 s[10:11], 0
	s_cbranch_scc1 .LBB508_5
; %bb.2:
	v_lshlrev_b32_e32 v1, 3, v0
	s_lshl_b64 s[0:1], s[8:9], 3
	v_mov_b32_e32 v5, s10
	s_add_u32 s0, s13, s0
	s_addc_u32 s1, s14, s1
	v_add_co_u32 v1, s0, s0, v1
	v_add_co_ci_u32_e64 v2, null, s1, 0, s0
	v_mov_b32_e32 v6, s11
	s_mov_b32 s1, 0
	flat_load_dwordx2 v[3:4], v[1:2]
	v_mov_b32_e32 v1, 0
	v_mov_b32_e32 v2, 0
	s_inst_prefetch 0x1
	.p2align	6
.LBB508_3:                              ; =>This Inner Loop Header: Depth=1
	v_sub_co_u32 v7, vcc_lo, v5, v1
	v_sub_co_ci_u32_e64 v8, null, v6, v2, vcc_lo
	v_lshrrev_b64 v[9:10], 1, v[7:8]
	v_lshrrev_b64 v[7:8], 6, v[7:8]
	v_add_co_u32 v9, vcc_lo, v9, v1
	v_add_co_ci_u32_e64 v10, null, v10, v2, vcc_lo
	v_add_co_u32 v7, vcc_lo, v9, v7
	v_add_co_ci_u32_e64 v8, null, v10, v8, vcc_lo
	v_lshlrev_b64 v[9:10], 3, v[7:8]
	v_add_co_u32 v9, vcc_lo, s2, v9
	v_add_co_ci_u32_e64 v10, null, s3, v10, vcc_lo
	global_load_dwordx2 v[9:10], v[9:10], off
	s_waitcnt vmcnt(0) lgkmcnt(0)
	v_cmp_lt_f64_e32 vcc_lo, v[3:4], v[9:10]
	v_add_co_u32 v9, s0, v7, 1
	v_add_co_ci_u32_e64 v10, null, 0, v8, s0
	v_cndmask_b32_e32 v6, v6, v8, vcc_lo
	v_cndmask_b32_e32 v5, v5, v7, vcc_lo
	;; [unrolled: 1-line block ×4, first 2 shown]
	v_cmp_ge_u64_e32 vcc_lo, v[1:2], v[5:6]
	s_or_b32 s1, vcc_lo, s1
	s_andn2_b32 exec_lo, exec_lo, s1
	s_cbranch_execnz .LBB508_3
; %bb.4:
	s_inst_prefetch 0x2
	s_or_b32 exec_lo, exec_lo, s1
	s_branch .LBB508_6
.LBB508_5:
	v_mov_b32_e32 v1, 0
	v_mov_b32_e32 v2, 0
.LBB508_6:
	v_lshlrev_b32_e32 v3, 3, v0
	s_lshl_b64 s[0:1], s[8:9], 3
	s_add_u32 s0, s7, s0
	s_addc_u32 s1, s12, s1
	v_add_co_u32 v3, s0, s0, v3
	v_add_co_ci_u32_e64 v4, null, s1, 0, s0
	s_mov_b32 s0, 0
	flat_store_dwordx2 v[3:4], v[1:2]
.LBB508_7:
	s_and_b32 vcc_lo, exec_lo, s0
	s_cbranch_vccz .LBB508_16
; %bb.8:
	s_load_dword s0, s[4:5], 0x10
                                        ; implicit-def: $vgpr3_vgpr4
	s_waitcnt lgkmcnt(0)
	s_sub_i32 s1, s0, s8
	v_cmp_le_u32_e64 s0, s1, v0
	v_cmp_gt_u32_e32 vcc_lo, s1, v0
	s_and_saveexec_b32 s1, vcc_lo
	s_cbranch_execz .LBB508_10
; %bb.9:
	v_lshlrev_b32_e32 v1, 3, v0
	s_lshl_b64 s[4:5], s[8:9], 3
	s_add_u32 s4, s13, s4
	s_addc_u32 s5, s14, s5
	v_add_co_u32 v1, s4, s4, v1
	v_add_co_ci_u32_e64 v2, null, s5, 0, s4
	flat_load_dwordx2 v[3:4], v[1:2]
.LBB508_10:
	s_or_b32 exec_lo, exec_lo, s1
	s_cmp_lg_u64 s[10:11], 0
	v_mov_b32_e32 v1, 0
	v_mov_b32_e32 v2, 0
	s_cselect_b32 s1, -1, 0
	s_xor_b32 s0, s0, -1
	s_and_b32 s0, s0, s1
	s_and_saveexec_b32 s4, s0
	s_cbranch_execz .LBB508_14
; %bb.11:
	v_mov_b32_e32 v1, 0
	v_mov_b32_e32 v5, s10
	;; [unrolled: 1-line block ×4, first 2 shown]
	s_mov_b32 s5, 0
	s_inst_prefetch 0x1
	.p2align	6
.LBB508_12:                             ; =>This Inner Loop Header: Depth=1
	v_sub_co_u32 v7, s0, v5, v1
	v_sub_co_ci_u32_e64 v8, null, v6, v2, s0
	v_lshrrev_b64 v[9:10], 1, v[7:8]
	v_lshrrev_b64 v[7:8], 6, v[7:8]
	v_add_co_u32 v9, s0, v9, v1
	v_add_co_ci_u32_e64 v10, null, v10, v2, s0
	v_add_co_u32 v7, s0, v9, v7
	v_add_co_ci_u32_e64 v8, null, v10, v8, s0
	v_lshlrev_b64 v[9:10], 3, v[7:8]
	v_add_co_u32 v9, s0, s2, v9
	v_add_co_ci_u32_e64 v10, null, s3, v10, s0
	global_load_dwordx2 v[9:10], v[9:10], off
	s_waitcnt vmcnt(0) lgkmcnt(0)
	v_cmp_lt_f64_e64 s0, v[3:4], v[9:10]
	v_add_co_u32 v9, s1, v7, 1
	v_add_co_ci_u32_e64 v10, null, 0, v8, s1
	v_cndmask_b32_e64 v6, v6, v8, s0
	v_cndmask_b32_e64 v5, v5, v7, s0
	;; [unrolled: 1-line block ×4, first 2 shown]
	v_cmp_ge_u64_e64 s0, v[1:2], v[5:6]
	s_or_b32 s5, s0, s5
	s_andn2_b32 exec_lo, exec_lo, s5
	s_cbranch_execnz .LBB508_12
; %bb.13:
	s_inst_prefetch 0x2
	s_or_b32 exec_lo, exec_lo, s5
.LBB508_14:
	s_or_b32 exec_lo, exec_lo, s4
	s_and_saveexec_b32 s0, vcc_lo
	s_cbranch_execz .LBB508_16
; %bb.15:
	v_lshlrev_b32_e32 v0, 3, v0
	s_lshl_b64 s[0:1], s[8:9], 3
	s_add_u32 s0, s7, s0
	s_addc_u32 s1, s12, s1
	s_waitcnt vmcnt(0) lgkmcnt(0)
	v_add_co_u32 v3, s0, s0, v0
	v_add_co_ci_u32_e64 v4, null, s1, 0, s0
	flat_store_dwordx2 v[3:4], v[1:2]
.LBB508_16:
	s_endpgm
	.section	.rodata,"a",@progbits
	.p2align	6, 0x0
	.amdhsa_kernel _ZN7rocprim17ROCPRIM_400000_NS6detail17trampoline_kernelINS0_14default_configENS1_27upper_bound_config_selectorIdlEEZNS1_14transform_implILb0ES3_S5_N6thrust23THRUST_200600_302600_NS6detail15normal_iteratorINS8_7pointerIdNS8_11hip_rocprim5par_tENS8_11use_defaultESE_EEEENSA_INSB_IlSD_SE_SE_EEEEZNS1_13binary_searchIS3_S5_NSA_INS8_10device_ptrIdEEEESG_SI_NS1_21upper_bound_search_opENS9_16wrapped_functionINS8_6system6detail7generic6detail18binary_search_lessEbEEEE10hipError_tPvRmT1_T2_T3_mmT4_T5_P12ihipStream_tbEUlRKdE_EESV_SZ_S10_mS11_S14_bEUlT_E_NS1_11comp_targetILNS1_3genE8ELNS1_11target_archE1030ELNS1_3gpuE2ELNS1_3repE0EEENS1_30default_config_static_selectorELNS0_4arch9wavefront6targetE0EEEvSY_
		.amdhsa_group_segment_fixed_size 0
		.amdhsa_private_segment_fixed_size 0
		.amdhsa_kernarg_size 312
		.amdhsa_user_sgpr_count 6
		.amdhsa_user_sgpr_private_segment_buffer 1
		.amdhsa_user_sgpr_dispatch_ptr 0
		.amdhsa_user_sgpr_queue_ptr 0
		.amdhsa_user_sgpr_kernarg_segment_ptr 1
		.amdhsa_user_sgpr_dispatch_id 0
		.amdhsa_user_sgpr_flat_scratch_init 0
		.amdhsa_user_sgpr_private_segment_size 0
		.amdhsa_wavefront_size32 1
		.amdhsa_uses_dynamic_stack 0
		.amdhsa_system_sgpr_private_segment_wavefront_offset 0
		.amdhsa_system_sgpr_workgroup_id_x 1
		.amdhsa_system_sgpr_workgroup_id_y 0
		.amdhsa_system_sgpr_workgroup_id_z 0
		.amdhsa_system_sgpr_workgroup_info 0
		.amdhsa_system_vgpr_workitem_id 0
		.amdhsa_next_free_vgpr 11
		.amdhsa_next_free_sgpr 20
		.amdhsa_reserve_vcc 1
		.amdhsa_reserve_flat_scratch 0
		.amdhsa_float_round_mode_32 0
		.amdhsa_float_round_mode_16_64 0
		.amdhsa_float_denorm_mode_32 3
		.amdhsa_float_denorm_mode_16_64 3
		.amdhsa_dx10_clamp 1
		.amdhsa_ieee_mode 1
		.amdhsa_fp16_overflow 0
		.amdhsa_workgroup_processor_mode 1
		.amdhsa_memory_ordered 1
		.amdhsa_forward_progress 1
		.amdhsa_shared_vgpr_count 0
		.amdhsa_exception_fp_ieee_invalid_op 0
		.amdhsa_exception_fp_denorm_src 0
		.amdhsa_exception_fp_ieee_div_zero 0
		.amdhsa_exception_fp_ieee_overflow 0
		.amdhsa_exception_fp_ieee_underflow 0
		.amdhsa_exception_fp_ieee_inexact 0
		.amdhsa_exception_int_div_zero 0
	.end_amdhsa_kernel
	.section	.text._ZN7rocprim17ROCPRIM_400000_NS6detail17trampoline_kernelINS0_14default_configENS1_27upper_bound_config_selectorIdlEEZNS1_14transform_implILb0ES3_S5_N6thrust23THRUST_200600_302600_NS6detail15normal_iteratorINS8_7pointerIdNS8_11hip_rocprim5par_tENS8_11use_defaultESE_EEEENSA_INSB_IlSD_SE_SE_EEEEZNS1_13binary_searchIS3_S5_NSA_INS8_10device_ptrIdEEEESG_SI_NS1_21upper_bound_search_opENS9_16wrapped_functionINS8_6system6detail7generic6detail18binary_search_lessEbEEEE10hipError_tPvRmT1_T2_T3_mmT4_T5_P12ihipStream_tbEUlRKdE_EESV_SZ_S10_mS11_S14_bEUlT_E_NS1_11comp_targetILNS1_3genE8ELNS1_11target_archE1030ELNS1_3gpuE2ELNS1_3repE0EEENS1_30default_config_static_selectorELNS0_4arch9wavefront6targetE0EEEvSY_,"axG",@progbits,_ZN7rocprim17ROCPRIM_400000_NS6detail17trampoline_kernelINS0_14default_configENS1_27upper_bound_config_selectorIdlEEZNS1_14transform_implILb0ES3_S5_N6thrust23THRUST_200600_302600_NS6detail15normal_iteratorINS8_7pointerIdNS8_11hip_rocprim5par_tENS8_11use_defaultESE_EEEENSA_INSB_IlSD_SE_SE_EEEEZNS1_13binary_searchIS3_S5_NSA_INS8_10device_ptrIdEEEESG_SI_NS1_21upper_bound_search_opENS9_16wrapped_functionINS8_6system6detail7generic6detail18binary_search_lessEbEEEE10hipError_tPvRmT1_T2_T3_mmT4_T5_P12ihipStream_tbEUlRKdE_EESV_SZ_S10_mS11_S14_bEUlT_E_NS1_11comp_targetILNS1_3genE8ELNS1_11target_archE1030ELNS1_3gpuE2ELNS1_3repE0EEENS1_30default_config_static_selectorELNS0_4arch9wavefront6targetE0EEEvSY_,comdat
.Lfunc_end508:
	.size	_ZN7rocprim17ROCPRIM_400000_NS6detail17trampoline_kernelINS0_14default_configENS1_27upper_bound_config_selectorIdlEEZNS1_14transform_implILb0ES3_S5_N6thrust23THRUST_200600_302600_NS6detail15normal_iteratorINS8_7pointerIdNS8_11hip_rocprim5par_tENS8_11use_defaultESE_EEEENSA_INSB_IlSD_SE_SE_EEEEZNS1_13binary_searchIS3_S5_NSA_INS8_10device_ptrIdEEEESG_SI_NS1_21upper_bound_search_opENS9_16wrapped_functionINS8_6system6detail7generic6detail18binary_search_lessEbEEEE10hipError_tPvRmT1_T2_T3_mmT4_T5_P12ihipStream_tbEUlRKdE_EESV_SZ_S10_mS11_S14_bEUlT_E_NS1_11comp_targetILNS1_3genE8ELNS1_11target_archE1030ELNS1_3gpuE2ELNS1_3repE0EEENS1_30default_config_static_selectorELNS0_4arch9wavefront6targetE0EEEvSY_, .Lfunc_end508-_ZN7rocprim17ROCPRIM_400000_NS6detail17trampoline_kernelINS0_14default_configENS1_27upper_bound_config_selectorIdlEEZNS1_14transform_implILb0ES3_S5_N6thrust23THRUST_200600_302600_NS6detail15normal_iteratorINS8_7pointerIdNS8_11hip_rocprim5par_tENS8_11use_defaultESE_EEEENSA_INSB_IlSD_SE_SE_EEEEZNS1_13binary_searchIS3_S5_NSA_INS8_10device_ptrIdEEEESG_SI_NS1_21upper_bound_search_opENS9_16wrapped_functionINS8_6system6detail7generic6detail18binary_search_lessEbEEEE10hipError_tPvRmT1_T2_T3_mmT4_T5_P12ihipStream_tbEUlRKdE_EESV_SZ_S10_mS11_S14_bEUlT_E_NS1_11comp_targetILNS1_3genE8ELNS1_11target_archE1030ELNS1_3gpuE2ELNS1_3repE0EEENS1_30default_config_static_selectorELNS0_4arch9wavefront6targetE0EEEvSY_
                                        ; -- End function
	.set _ZN7rocprim17ROCPRIM_400000_NS6detail17trampoline_kernelINS0_14default_configENS1_27upper_bound_config_selectorIdlEEZNS1_14transform_implILb0ES3_S5_N6thrust23THRUST_200600_302600_NS6detail15normal_iteratorINS8_7pointerIdNS8_11hip_rocprim5par_tENS8_11use_defaultESE_EEEENSA_INSB_IlSD_SE_SE_EEEEZNS1_13binary_searchIS3_S5_NSA_INS8_10device_ptrIdEEEESG_SI_NS1_21upper_bound_search_opENS9_16wrapped_functionINS8_6system6detail7generic6detail18binary_search_lessEbEEEE10hipError_tPvRmT1_T2_T3_mmT4_T5_P12ihipStream_tbEUlRKdE_EESV_SZ_S10_mS11_S14_bEUlT_E_NS1_11comp_targetILNS1_3genE8ELNS1_11target_archE1030ELNS1_3gpuE2ELNS1_3repE0EEENS1_30default_config_static_selectorELNS0_4arch9wavefront6targetE0EEEvSY_.num_vgpr, 11
	.set _ZN7rocprim17ROCPRIM_400000_NS6detail17trampoline_kernelINS0_14default_configENS1_27upper_bound_config_selectorIdlEEZNS1_14transform_implILb0ES3_S5_N6thrust23THRUST_200600_302600_NS6detail15normal_iteratorINS8_7pointerIdNS8_11hip_rocprim5par_tENS8_11use_defaultESE_EEEENSA_INSB_IlSD_SE_SE_EEEEZNS1_13binary_searchIS3_S5_NSA_INS8_10device_ptrIdEEEESG_SI_NS1_21upper_bound_search_opENS9_16wrapped_functionINS8_6system6detail7generic6detail18binary_search_lessEbEEEE10hipError_tPvRmT1_T2_T3_mmT4_T5_P12ihipStream_tbEUlRKdE_EESV_SZ_S10_mS11_S14_bEUlT_E_NS1_11comp_targetILNS1_3genE8ELNS1_11target_archE1030ELNS1_3gpuE2ELNS1_3repE0EEENS1_30default_config_static_selectorELNS0_4arch9wavefront6targetE0EEEvSY_.num_agpr, 0
	.set _ZN7rocprim17ROCPRIM_400000_NS6detail17trampoline_kernelINS0_14default_configENS1_27upper_bound_config_selectorIdlEEZNS1_14transform_implILb0ES3_S5_N6thrust23THRUST_200600_302600_NS6detail15normal_iteratorINS8_7pointerIdNS8_11hip_rocprim5par_tENS8_11use_defaultESE_EEEENSA_INSB_IlSD_SE_SE_EEEEZNS1_13binary_searchIS3_S5_NSA_INS8_10device_ptrIdEEEESG_SI_NS1_21upper_bound_search_opENS9_16wrapped_functionINS8_6system6detail7generic6detail18binary_search_lessEbEEEE10hipError_tPvRmT1_T2_T3_mmT4_T5_P12ihipStream_tbEUlRKdE_EESV_SZ_S10_mS11_S14_bEUlT_E_NS1_11comp_targetILNS1_3genE8ELNS1_11target_archE1030ELNS1_3gpuE2ELNS1_3repE0EEENS1_30default_config_static_selectorELNS0_4arch9wavefront6targetE0EEEvSY_.numbered_sgpr, 20
	.set _ZN7rocprim17ROCPRIM_400000_NS6detail17trampoline_kernelINS0_14default_configENS1_27upper_bound_config_selectorIdlEEZNS1_14transform_implILb0ES3_S5_N6thrust23THRUST_200600_302600_NS6detail15normal_iteratorINS8_7pointerIdNS8_11hip_rocprim5par_tENS8_11use_defaultESE_EEEENSA_INSB_IlSD_SE_SE_EEEEZNS1_13binary_searchIS3_S5_NSA_INS8_10device_ptrIdEEEESG_SI_NS1_21upper_bound_search_opENS9_16wrapped_functionINS8_6system6detail7generic6detail18binary_search_lessEbEEEE10hipError_tPvRmT1_T2_T3_mmT4_T5_P12ihipStream_tbEUlRKdE_EESV_SZ_S10_mS11_S14_bEUlT_E_NS1_11comp_targetILNS1_3genE8ELNS1_11target_archE1030ELNS1_3gpuE2ELNS1_3repE0EEENS1_30default_config_static_selectorELNS0_4arch9wavefront6targetE0EEEvSY_.num_named_barrier, 0
	.set _ZN7rocprim17ROCPRIM_400000_NS6detail17trampoline_kernelINS0_14default_configENS1_27upper_bound_config_selectorIdlEEZNS1_14transform_implILb0ES3_S5_N6thrust23THRUST_200600_302600_NS6detail15normal_iteratorINS8_7pointerIdNS8_11hip_rocprim5par_tENS8_11use_defaultESE_EEEENSA_INSB_IlSD_SE_SE_EEEEZNS1_13binary_searchIS3_S5_NSA_INS8_10device_ptrIdEEEESG_SI_NS1_21upper_bound_search_opENS9_16wrapped_functionINS8_6system6detail7generic6detail18binary_search_lessEbEEEE10hipError_tPvRmT1_T2_T3_mmT4_T5_P12ihipStream_tbEUlRKdE_EESV_SZ_S10_mS11_S14_bEUlT_E_NS1_11comp_targetILNS1_3genE8ELNS1_11target_archE1030ELNS1_3gpuE2ELNS1_3repE0EEENS1_30default_config_static_selectorELNS0_4arch9wavefront6targetE0EEEvSY_.private_seg_size, 0
	.set _ZN7rocprim17ROCPRIM_400000_NS6detail17trampoline_kernelINS0_14default_configENS1_27upper_bound_config_selectorIdlEEZNS1_14transform_implILb0ES3_S5_N6thrust23THRUST_200600_302600_NS6detail15normal_iteratorINS8_7pointerIdNS8_11hip_rocprim5par_tENS8_11use_defaultESE_EEEENSA_INSB_IlSD_SE_SE_EEEEZNS1_13binary_searchIS3_S5_NSA_INS8_10device_ptrIdEEEESG_SI_NS1_21upper_bound_search_opENS9_16wrapped_functionINS8_6system6detail7generic6detail18binary_search_lessEbEEEE10hipError_tPvRmT1_T2_T3_mmT4_T5_P12ihipStream_tbEUlRKdE_EESV_SZ_S10_mS11_S14_bEUlT_E_NS1_11comp_targetILNS1_3genE8ELNS1_11target_archE1030ELNS1_3gpuE2ELNS1_3repE0EEENS1_30default_config_static_selectorELNS0_4arch9wavefront6targetE0EEEvSY_.uses_vcc, 1
	.set _ZN7rocprim17ROCPRIM_400000_NS6detail17trampoline_kernelINS0_14default_configENS1_27upper_bound_config_selectorIdlEEZNS1_14transform_implILb0ES3_S5_N6thrust23THRUST_200600_302600_NS6detail15normal_iteratorINS8_7pointerIdNS8_11hip_rocprim5par_tENS8_11use_defaultESE_EEEENSA_INSB_IlSD_SE_SE_EEEEZNS1_13binary_searchIS3_S5_NSA_INS8_10device_ptrIdEEEESG_SI_NS1_21upper_bound_search_opENS9_16wrapped_functionINS8_6system6detail7generic6detail18binary_search_lessEbEEEE10hipError_tPvRmT1_T2_T3_mmT4_T5_P12ihipStream_tbEUlRKdE_EESV_SZ_S10_mS11_S14_bEUlT_E_NS1_11comp_targetILNS1_3genE8ELNS1_11target_archE1030ELNS1_3gpuE2ELNS1_3repE0EEENS1_30default_config_static_selectorELNS0_4arch9wavefront6targetE0EEEvSY_.uses_flat_scratch, 0
	.set _ZN7rocprim17ROCPRIM_400000_NS6detail17trampoline_kernelINS0_14default_configENS1_27upper_bound_config_selectorIdlEEZNS1_14transform_implILb0ES3_S5_N6thrust23THRUST_200600_302600_NS6detail15normal_iteratorINS8_7pointerIdNS8_11hip_rocprim5par_tENS8_11use_defaultESE_EEEENSA_INSB_IlSD_SE_SE_EEEEZNS1_13binary_searchIS3_S5_NSA_INS8_10device_ptrIdEEEESG_SI_NS1_21upper_bound_search_opENS9_16wrapped_functionINS8_6system6detail7generic6detail18binary_search_lessEbEEEE10hipError_tPvRmT1_T2_T3_mmT4_T5_P12ihipStream_tbEUlRKdE_EESV_SZ_S10_mS11_S14_bEUlT_E_NS1_11comp_targetILNS1_3genE8ELNS1_11target_archE1030ELNS1_3gpuE2ELNS1_3repE0EEENS1_30default_config_static_selectorELNS0_4arch9wavefront6targetE0EEEvSY_.has_dyn_sized_stack, 0
	.set _ZN7rocprim17ROCPRIM_400000_NS6detail17trampoline_kernelINS0_14default_configENS1_27upper_bound_config_selectorIdlEEZNS1_14transform_implILb0ES3_S5_N6thrust23THRUST_200600_302600_NS6detail15normal_iteratorINS8_7pointerIdNS8_11hip_rocprim5par_tENS8_11use_defaultESE_EEEENSA_INSB_IlSD_SE_SE_EEEEZNS1_13binary_searchIS3_S5_NSA_INS8_10device_ptrIdEEEESG_SI_NS1_21upper_bound_search_opENS9_16wrapped_functionINS8_6system6detail7generic6detail18binary_search_lessEbEEEE10hipError_tPvRmT1_T2_T3_mmT4_T5_P12ihipStream_tbEUlRKdE_EESV_SZ_S10_mS11_S14_bEUlT_E_NS1_11comp_targetILNS1_3genE8ELNS1_11target_archE1030ELNS1_3gpuE2ELNS1_3repE0EEENS1_30default_config_static_selectorELNS0_4arch9wavefront6targetE0EEEvSY_.has_recursion, 0
	.set _ZN7rocprim17ROCPRIM_400000_NS6detail17trampoline_kernelINS0_14default_configENS1_27upper_bound_config_selectorIdlEEZNS1_14transform_implILb0ES3_S5_N6thrust23THRUST_200600_302600_NS6detail15normal_iteratorINS8_7pointerIdNS8_11hip_rocprim5par_tENS8_11use_defaultESE_EEEENSA_INSB_IlSD_SE_SE_EEEEZNS1_13binary_searchIS3_S5_NSA_INS8_10device_ptrIdEEEESG_SI_NS1_21upper_bound_search_opENS9_16wrapped_functionINS8_6system6detail7generic6detail18binary_search_lessEbEEEE10hipError_tPvRmT1_T2_T3_mmT4_T5_P12ihipStream_tbEUlRKdE_EESV_SZ_S10_mS11_S14_bEUlT_E_NS1_11comp_targetILNS1_3genE8ELNS1_11target_archE1030ELNS1_3gpuE2ELNS1_3repE0EEENS1_30default_config_static_selectorELNS0_4arch9wavefront6targetE0EEEvSY_.has_indirect_call, 0
	.section	.AMDGPU.csdata,"",@progbits
; Kernel info:
; codeLenInByte = 820
; TotalNumSgprs: 22
; NumVgprs: 11
; ScratchSize: 0
; MemoryBound: 0
; FloatMode: 240
; IeeeMode: 1
; LDSByteSize: 0 bytes/workgroup (compile time only)
; SGPRBlocks: 0
; VGPRBlocks: 1
; NumSGPRsForWavesPerEU: 22
; NumVGPRsForWavesPerEU: 11
; Occupancy: 16
; WaveLimiterHint : 0
; COMPUTE_PGM_RSRC2:SCRATCH_EN: 0
; COMPUTE_PGM_RSRC2:USER_SGPR: 6
; COMPUTE_PGM_RSRC2:TRAP_HANDLER: 0
; COMPUTE_PGM_RSRC2:TGID_X_EN: 1
; COMPUTE_PGM_RSRC2:TGID_Y_EN: 0
; COMPUTE_PGM_RSRC2:TGID_Z_EN: 0
; COMPUTE_PGM_RSRC2:TIDIG_COMP_CNT: 0
	.section	.text._ZN7rocprim17ROCPRIM_400000_NS6detail17trampoline_kernelINS0_14default_configENS1_27upper_bound_config_selectorIflEEZNS1_14transform_implILb0ES3_S5_N6thrust23THRUST_200600_302600_NS6detail15normal_iteratorINS8_7pointerIfNS8_11hip_rocprim16par_det_nosync_tENS8_11use_defaultESE_EEEENSA_INSB_IlSD_SE_SE_EEEEZNS1_13binary_searchIS3_S5_NSA_INS8_10device_ptrIfEEEESG_SI_NS1_21upper_bound_search_opENS9_16wrapped_functionINS8_6system6detail7generic6detail18binary_search_lessEbEEEE10hipError_tPvRmT1_T2_T3_mmT4_T5_P12ihipStream_tbEUlRKfE_EESV_SZ_S10_mS11_S14_bEUlT_E_NS1_11comp_targetILNS1_3genE0ELNS1_11target_archE4294967295ELNS1_3gpuE0ELNS1_3repE0EEENS1_30default_config_static_selectorELNS0_4arch9wavefront6targetE0EEEvSY_,"axG",@progbits,_ZN7rocprim17ROCPRIM_400000_NS6detail17trampoline_kernelINS0_14default_configENS1_27upper_bound_config_selectorIflEEZNS1_14transform_implILb0ES3_S5_N6thrust23THRUST_200600_302600_NS6detail15normal_iteratorINS8_7pointerIfNS8_11hip_rocprim16par_det_nosync_tENS8_11use_defaultESE_EEEENSA_INSB_IlSD_SE_SE_EEEEZNS1_13binary_searchIS3_S5_NSA_INS8_10device_ptrIfEEEESG_SI_NS1_21upper_bound_search_opENS9_16wrapped_functionINS8_6system6detail7generic6detail18binary_search_lessEbEEEE10hipError_tPvRmT1_T2_T3_mmT4_T5_P12ihipStream_tbEUlRKfE_EESV_SZ_S10_mS11_S14_bEUlT_E_NS1_11comp_targetILNS1_3genE0ELNS1_11target_archE4294967295ELNS1_3gpuE0ELNS1_3repE0EEENS1_30default_config_static_selectorELNS0_4arch9wavefront6targetE0EEEvSY_,comdat
	.protected	_ZN7rocprim17ROCPRIM_400000_NS6detail17trampoline_kernelINS0_14default_configENS1_27upper_bound_config_selectorIflEEZNS1_14transform_implILb0ES3_S5_N6thrust23THRUST_200600_302600_NS6detail15normal_iteratorINS8_7pointerIfNS8_11hip_rocprim16par_det_nosync_tENS8_11use_defaultESE_EEEENSA_INSB_IlSD_SE_SE_EEEEZNS1_13binary_searchIS3_S5_NSA_INS8_10device_ptrIfEEEESG_SI_NS1_21upper_bound_search_opENS9_16wrapped_functionINS8_6system6detail7generic6detail18binary_search_lessEbEEEE10hipError_tPvRmT1_T2_T3_mmT4_T5_P12ihipStream_tbEUlRKfE_EESV_SZ_S10_mS11_S14_bEUlT_E_NS1_11comp_targetILNS1_3genE0ELNS1_11target_archE4294967295ELNS1_3gpuE0ELNS1_3repE0EEENS1_30default_config_static_selectorELNS0_4arch9wavefront6targetE0EEEvSY_ ; -- Begin function _ZN7rocprim17ROCPRIM_400000_NS6detail17trampoline_kernelINS0_14default_configENS1_27upper_bound_config_selectorIflEEZNS1_14transform_implILb0ES3_S5_N6thrust23THRUST_200600_302600_NS6detail15normal_iteratorINS8_7pointerIfNS8_11hip_rocprim16par_det_nosync_tENS8_11use_defaultESE_EEEENSA_INSB_IlSD_SE_SE_EEEEZNS1_13binary_searchIS3_S5_NSA_INS8_10device_ptrIfEEEESG_SI_NS1_21upper_bound_search_opENS9_16wrapped_functionINS8_6system6detail7generic6detail18binary_search_lessEbEEEE10hipError_tPvRmT1_T2_T3_mmT4_T5_P12ihipStream_tbEUlRKfE_EESV_SZ_S10_mS11_S14_bEUlT_E_NS1_11comp_targetILNS1_3genE0ELNS1_11target_archE4294967295ELNS1_3gpuE0ELNS1_3repE0EEENS1_30default_config_static_selectorELNS0_4arch9wavefront6targetE0EEEvSY_
	.globl	_ZN7rocprim17ROCPRIM_400000_NS6detail17trampoline_kernelINS0_14default_configENS1_27upper_bound_config_selectorIflEEZNS1_14transform_implILb0ES3_S5_N6thrust23THRUST_200600_302600_NS6detail15normal_iteratorINS8_7pointerIfNS8_11hip_rocprim16par_det_nosync_tENS8_11use_defaultESE_EEEENSA_INSB_IlSD_SE_SE_EEEEZNS1_13binary_searchIS3_S5_NSA_INS8_10device_ptrIfEEEESG_SI_NS1_21upper_bound_search_opENS9_16wrapped_functionINS8_6system6detail7generic6detail18binary_search_lessEbEEEE10hipError_tPvRmT1_T2_T3_mmT4_T5_P12ihipStream_tbEUlRKfE_EESV_SZ_S10_mS11_S14_bEUlT_E_NS1_11comp_targetILNS1_3genE0ELNS1_11target_archE4294967295ELNS1_3gpuE0ELNS1_3repE0EEENS1_30default_config_static_selectorELNS0_4arch9wavefront6targetE0EEEvSY_
	.p2align	8
	.type	_ZN7rocprim17ROCPRIM_400000_NS6detail17trampoline_kernelINS0_14default_configENS1_27upper_bound_config_selectorIflEEZNS1_14transform_implILb0ES3_S5_N6thrust23THRUST_200600_302600_NS6detail15normal_iteratorINS8_7pointerIfNS8_11hip_rocprim16par_det_nosync_tENS8_11use_defaultESE_EEEENSA_INSB_IlSD_SE_SE_EEEEZNS1_13binary_searchIS3_S5_NSA_INS8_10device_ptrIfEEEESG_SI_NS1_21upper_bound_search_opENS9_16wrapped_functionINS8_6system6detail7generic6detail18binary_search_lessEbEEEE10hipError_tPvRmT1_T2_T3_mmT4_T5_P12ihipStream_tbEUlRKfE_EESV_SZ_S10_mS11_S14_bEUlT_E_NS1_11comp_targetILNS1_3genE0ELNS1_11target_archE4294967295ELNS1_3gpuE0ELNS1_3repE0EEENS1_30default_config_static_selectorELNS0_4arch9wavefront6targetE0EEEvSY_,@function
_ZN7rocprim17ROCPRIM_400000_NS6detail17trampoline_kernelINS0_14default_configENS1_27upper_bound_config_selectorIflEEZNS1_14transform_implILb0ES3_S5_N6thrust23THRUST_200600_302600_NS6detail15normal_iteratorINS8_7pointerIfNS8_11hip_rocprim16par_det_nosync_tENS8_11use_defaultESE_EEEENSA_INSB_IlSD_SE_SE_EEEEZNS1_13binary_searchIS3_S5_NSA_INS8_10device_ptrIfEEEESG_SI_NS1_21upper_bound_search_opENS9_16wrapped_functionINS8_6system6detail7generic6detail18binary_search_lessEbEEEE10hipError_tPvRmT1_T2_T3_mmT4_T5_P12ihipStream_tbEUlRKfE_EESV_SZ_S10_mS11_S14_bEUlT_E_NS1_11comp_targetILNS1_3genE0ELNS1_11target_archE4294967295ELNS1_3gpuE0ELNS1_3repE0EEENS1_30default_config_static_selectorELNS0_4arch9wavefront6targetE0EEEvSY_: ; @_ZN7rocprim17ROCPRIM_400000_NS6detail17trampoline_kernelINS0_14default_configENS1_27upper_bound_config_selectorIflEEZNS1_14transform_implILb0ES3_S5_N6thrust23THRUST_200600_302600_NS6detail15normal_iteratorINS8_7pointerIfNS8_11hip_rocprim16par_det_nosync_tENS8_11use_defaultESE_EEEENSA_INSB_IlSD_SE_SE_EEEEZNS1_13binary_searchIS3_S5_NSA_INS8_10device_ptrIfEEEESG_SI_NS1_21upper_bound_search_opENS9_16wrapped_functionINS8_6system6detail7generic6detail18binary_search_lessEbEEEE10hipError_tPvRmT1_T2_T3_mmT4_T5_P12ihipStream_tbEUlRKfE_EESV_SZ_S10_mS11_S14_bEUlT_E_NS1_11comp_targetILNS1_3genE0ELNS1_11target_archE4294967295ELNS1_3gpuE0ELNS1_3repE0EEENS1_30default_config_static_selectorELNS0_4arch9wavefront6targetE0EEEvSY_
; %bb.0:
	.section	.rodata,"a",@progbits
	.p2align	6, 0x0
	.amdhsa_kernel _ZN7rocprim17ROCPRIM_400000_NS6detail17trampoline_kernelINS0_14default_configENS1_27upper_bound_config_selectorIflEEZNS1_14transform_implILb0ES3_S5_N6thrust23THRUST_200600_302600_NS6detail15normal_iteratorINS8_7pointerIfNS8_11hip_rocprim16par_det_nosync_tENS8_11use_defaultESE_EEEENSA_INSB_IlSD_SE_SE_EEEEZNS1_13binary_searchIS3_S5_NSA_INS8_10device_ptrIfEEEESG_SI_NS1_21upper_bound_search_opENS9_16wrapped_functionINS8_6system6detail7generic6detail18binary_search_lessEbEEEE10hipError_tPvRmT1_T2_T3_mmT4_T5_P12ihipStream_tbEUlRKfE_EESV_SZ_S10_mS11_S14_bEUlT_E_NS1_11comp_targetILNS1_3genE0ELNS1_11target_archE4294967295ELNS1_3gpuE0ELNS1_3repE0EEENS1_30default_config_static_selectorELNS0_4arch9wavefront6targetE0EEEvSY_
		.amdhsa_group_segment_fixed_size 0
		.amdhsa_private_segment_fixed_size 0
		.amdhsa_kernarg_size 56
		.amdhsa_user_sgpr_count 6
		.amdhsa_user_sgpr_private_segment_buffer 1
		.amdhsa_user_sgpr_dispatch_ptr 0
		.amdhsa_user_sgpr_queue_ptr 0
		.amdhsa_user_sgpr_kernarg_segment_ptr 1
		.amdhsa_user_sgpr_dispatch_id 0
		.amdhsa_user_sgpr_flat_scratch_init 0
		.amdhsa_user_sgpr_private_segment_size 0
		.amdhsa_wavefront_size32 1
		.amdhsa_uses_dynamic_stack 0
		.amdhsa_system_sgpr_private_segment_wavefront_offset 0
		.amdhsa_system_sgpr_workgroup_id_x 1
		.amdhsa_system_sgpr_workgroup_id_y 0
		.amdhsa_system_sgpr_workgroup_id_z 0
		.amdhsa_system_sgpr_workgroup_info 0
		.amdhsa_system_vgpr_workitem_id 0
		.amdhsa_next_free_vgpr 1
		.amdhsa_next_free_sgpr 1
		.amdhsa_reserve_vcc 0
		.amdhsa_reserve_flat_scratch 0
		.amdhsa_float_round_mode_32 0
		.amdhsa_float_round_mode_16_64 0
		.amdhsa_float_denorm_mode_32 3
		.amdhsa_float_denorm_mode_16_64 3
		.amdhsa_dx10_clamp 1
		.amdhsa_ieee_mode 1
		.amdhsa_fp16_overflow 0
		.amdhsa_workgroup_processor_mode 1
		.amdhsa_memory_ordered 1
		.amdhsa_forward_progress 1
		.amdhsa_shared_vgpr_count 0
		.amdhsa_exception_fp_ieee_invalid_op 0
		.amdhsa_exception_fp_denorm_src 0
		.amdhsa_exception_fp_ieee_div_zero 0
		.amdhsa_exception_fp_ieee_overflow 0
		.amdhsa_exception_fp_ieee_underflow 0
		.amdhsa_exception_fp_ieee_inexact 0
		.amdhsa_exception_int_div_zero 0
	.end_amdhsa_kernel
	.section	.text._ZN7rocprim17ROCPRIM_400000_NS6detail17trampoline_kernelINS0_14default_configENS1_27upper_bound_config_selectorIflEEZNS1_14transform_implILb0ES3_S5_N6thrust23THRUST_200600_302600_NS6detail15normal_iteratorINS8_7pointerIfNS8_11hip_rocprim16par_det_nosync_tENS8_11use_defaultESE_EEEENSA_INSB_IlSD_SE_SE_EEEEZNS1_13binary_searchIS3_S5_NSA_INS8_10device_ptrIfEEEESG_SI_NS1_21upper_bound_search_opENS9_16wrapped_functionINS8_6system6detail7generic6detail18binary_search_lessEbEEEE10hipError_tPvRmT1_T2_T3_mmT4_T5_P12ihipStream_tbEUlRKfE_EESV_SZ_S10_mS11_S14_bEUlT_E_NS1_11comp_targetILNS1_3genE0ELNS1_11target_archE4294967295ELNS1_3gpuE0ELNS1_3repE0EEENS1_30default_config_static_selectorELNS0_4arch9wavefront6targetE0EEEvSY_,"axG",@progbits,_ZN7rocprim17ROCPRIM_400000_NS6detail17trampoline_kernelINS0_14default_configENS1_27upper_bound_config_selectorIflEEZNS1_14transform_implILb0ES3_S5_N6thrust23THRUST_200600_302600_NS6detail15normal_iteratorINS8_7pointerIfNS8_11hip_rocprim16par_det_nosync_tENS8_11use_defaultESE_EEEENSA_INSB_IlSD_SE_SE_EEEEZNS1_13binary_searchIS3_S5_NSA_INS8_10device_ptrIfEEEESG_SI_NS1_21upper_bound_search_opENS9_16wrapped_functionINS8_6system6detail7generic6detail18binary_search_lessEbEEEE10hipError_tPvRmT1_T2_T3_mmT4_T5_P12ihipStream_tbEUlRKfE_EESV_SZ_S10_mS11_S14_bEUlT_E_NS1_11comp_targetILNS1_3genE0ELNS1_11target_archE4294967295ELNS1_3gpuE0ELNS1_3repE0EEENS1_30default_config_static_selectorELNS0_4arch9wavefront6targetE0EEEvSY_,comdat
.Lfunc_end509:
	.size	_ZN7rocprim17ROCPRIM_400000_NS6detail17trampoline_kernelINS0_14default_configENS1_27upper_bound_config_selectorIflEEZNS1_14transform_implILb0ES3_S5_N6thrust23THRUST_200600_302600_NS6detail15normal_iteratorINS8_7pointerIfNS8_11hip_rocprim16par_det_nosync_tENS8_11use_defaultESE_EEEENSA_INSB_IlSD_SE_SE_EEEEZNS1_13binary_searchIS3_S5_NSA_INS8_10device_ptrIfEEEESG_SI_NS1_21upper_bound_search_opENS9_16wrapped_functionINS8_6system6detail7generic6detail18binary_search_lessEbEEEE10hipError_tPvRmT1_T2_T3_mmT4_T5_P12ihipStream_tbEUlRKfE_EESV_SZ_S10_mS11_S14_bEUlT_E_NS1_11comp_targetILNS1_3genE0ELNS1_11target_archE4294967295ELNS1_3gpuE0ELNS1_3repE0EEENS1_30default_config_static_selectorELNS0_4arch9wavefront6targetE0EEEvSY_, .Lfunc_end509-_ZN7rocprim17ROCPRIM_400000_NS6detail17trampoline_kernelINS0_14default_configENS1_27upper_bound_config_selectorIflEEZNS1_14transform_implILb0ES3_S5_N6thrust23THRUST_200600_302600_NS6detail15normal_iteratorINS8_7pointerIfNS8_11hip_rocprim16par_det_nosync_tENS8_11use_defaultESE_EEEENSA_INSB_IlSD_SE_SE_EEEEZNS1_13binary_searchIS3_S5_NSA_INS8_10device_ptrIfEEEESG_SI_NS1_21upper_bound_search_opENS9_16wrapped_functionINS8_6system6detail7generic6detail18binary_search_lessEbEEEE10hipError_tPvRmT1_T2_T3_mmT4_T5_P12ihipStream_tbEUlRKfE_EESV_SZ_S10_mS11_S14_bEUlT_E_NS1_11comp_targetILNS1_3genE0ELNS1_11target_archE4294967295ELNS1_3gpuE0ELNS1_3repE0EEENS1_30default_config_static_selectorELNS0_4arch9wavefront6targetE0EEEvSY_
                                        ; -- End function
	.set _ZN7rocprim17ROCPRIM_400000_NS6detail17trampoline_kernelINS0_14default_configENS1_27upper_bound_config_selectorIflEEZNS1_14transform_implILb0ES3_S5_N6thrust23THRUST_200600_302600_NS6detail15normal_iteratorINS8_7pointerIfNS8_11hip_rocprim16par_det_nosync_tENS8_11use_defaultESE_EEEENSA_INSB_IlSD_SE_SE_EEEEZNS1_13binary_searchIS3_S5_NSA_INS8_10device_ptrIfEEEESG_SI_NS1_21upper_bound_search_opENS9_16wrapped_functionINS8_6system6detail7generic6detail18binary_search_lessEbEEEE10hipError_tPvRmT1_T2_T3_mmT4_T5_P12ihipStream_tbEUlRKfE_EESV_SZ_S10_mS11_S14_bEUlT_E_NS1_11comp_targetILNS1_3genE0ELNS1_11target_archE4294967295ELNS1_3gpuE0ELNS1_3repE0EEENS1_30default_config_static_selectorELNS0_4arch9wavefront6targetE0EEEvSY_.num_vgpr, 0
	.set _ZN7rocprim17ROCPRIM_400000_NS6detail17trampoline_kernelINS0_14default_configENS1_27upper_bound_config_selectorIflEEZNS1_14transform_implILb0ES3_S5_N6thrust23THRUST_200600_302600_NS6detail15normal_iteratorINS8_7pointerIfNS8_11hip_rocprim16par_det_nosync_tENS8_11use_defaultESE_EEEENSA_INSB_IlSD_SE_SE_EEEEZNS1_13binary_searchIS3_S5_NSA_INS8_10device_ptrIfEEEESG_SI_NS1_21upper_bound_search_opENS9_16wrapped_functionINS8_6system6detail7generic6detail18binary_search_lessEbEEEE10hipError_tPvRmT1_T2_T3_mmT4_T5_P12ihipStream_tbEUlRKfE_EESV_SZ_S10_mS11_S14_bEUlT_E_NS1_11comp_targetILNS1_3genE0ELNS1_11target_archE4294967295ELNS1_3gpuE0ELNS1_3repE0EEENS1_30default_config_static_selectorELNS0_4arch9wavefront6targetE0EEEvSY_.num_agpr, 0
	.set _ZN7rocprim17ROCPRIM_400000_NS6detail17trampoline_kernelINS0_14default_configENS1_27upper_bound_config_selectorIflEEZNS1_14transform_implILb0ES3_S5_N6thrust23THRUST_200600_302600_NS6detail15normal_iteratorINS8_7pointerIfNS8_11hip_rocprim16par_det_nosync_tENS8_11use_defaultESE_EEEENSA_INSB_IlSD_SE_SE_EEEEZNS1_13binary_searchIS3_S5_NSA_INS8_10device_ptrIfEEEESG_SI_NS1_21upper_bound_search_opENS9_16wrapped_functionINS8_6system6detail7generic6detail18binary_search_lessEbEEEE10hipError_tPvRmT1_T2_T3_mmT4_T5_P12ihipStream_tbEUlRKfE_EESV_SZ_S10_mS11_S14_bEUlT_E_NS1_11comp_targetILNS1_3genE0ELNS1_11target_archE4294967295ELNS1_3gpuE0ELNS1_3repE0EEENS1_30default_config_static_selectorELNS0_4arch9wavefront6targetE0EEEvSY_.numbered_sgpr, 0
	.set _ZN7rocprim17ROCPRIM_400000_NS6detail17trampoline_kernelINS0_14default_configENS1_27upper_bound_config_selectorIflEEZNS1_14transform_implILb0ES3_S5_N6thrust23THRUST_200600_302600_NS6detail15normal_iteratorINS8_7pointerIfNS8_11hip_rocprim16par_det_nosync_tENS8_11use_defaultESE_EEEENSA_INSB_IlSD_SE_SE_EEEEZNS1_13binary_searchIS3_S5_NSA_INS8_10device_ptrIfEEEESG_SI_NS1_21upper_bound_search_opENS9_16wrapped_functionINS8_6system6detail7generic6detail18binary_search_lessEbEEEE10hipError_tPvRmT1_T2_T3_mmT4_T5_P12ihipStream_tbEUlRKfE_EESV_SZ_S10_mS11_S14_bEUlT_E_NS1_11comp_targetILNS1_3genE0ELNS1_11target_archE4294967295ELNS1_3gpuE0ELNS1_3repE0EEENS1_30default_config_static_selectorELNS0_4arch9wavefront6targetE0EEEvSY_.num_named_barrier, 0
	.set _ZN7rocprim17ROCPRIM_400000_NS6detail17trampoline_kernelINS0_14default_configENS1_27upper_bound_config_selectorIflEEZNS1_14transform_implILb0ES3_S5_N6thrust23THRUST_200600_302600_NS6detail15normal_iteratorINS8_7pointerIfNS8_11hip_rocprim16par_det_nosync_tENS8_11use_defaultESE_EEEENSA_INSB_IlSD_SE_SE_EEEEZNS1_13binary_searchIS3_S5_NSA_INS8_10device_ptrIfEEEESG_SI_NS1_21upper_bound_search_opENS9_16wrapped_functionINS8_6system6detail7generic6detail18binary_search_lessEbEEEE10hipError_tPvRmT1_T2_T3_mmT4_T5_P12ihipStream_tbEUlRKfE_EESV_SZ_S10_mS11_S14_bEUlT_E_NS1_11comp_targetILNS1_3genE0ELNS1_11target_archE4294967295ELNS1_3gpuE0ELNS1_3repE0EEENS1_30default_config_static_selectorELNS0_4arch9wavefront6targetE0EEEvSY_.private_seg_size, 0
	.set _ZN7rocprim17ROCPRIM_400000_NS6detail17trampoline_kernelINS0_14default_configENS1_27upper_bound_config_selectorIflEEZNS1_14transform_implILb0ES3_S5_N6thrust23THRUST_200600_302600_NS6detail15normal_iteratorINS8_7pointerIfNS8_11hip_rocprim16par_det_nosync_tENS8_11use_defaultESE_EEEENSA_INSB_IlSD_SE_SE_EEEEZNS1_13binary_searchIS3_S5_NSA_INS8_10device_ptrIfEEEESG_SI_NS1_21upper_bound_search_opENS9_16wrapped_functionINS8_6system6detail7generic6detail18binary_search_lessEbEEEE10hipError_tPvRmT1_T2_T3_mmT4_T5_P12ihipStream_tbEUlRKfE_EESV_SZ_S10_mS11_S14_bEUlT_E_NS1_11comp_targetILNS1_3genE0ELNS1_11target_archE4294967295ELNS1_3gpuE0ELNS1_3repE0EEENS1_30default_config_static_selectorELNS0_4arch9wavefront6targetE0EEEvSY_.uses_vcc, 0
	.set _ZN7rocprim17ROCPRIM_400000_NS6detail17trampoline_kernelINS0_14default_configENS1_27upper_bound_config_selectorIflEEZNS1_14transform_implILb0ES3_S5_N6thrust23THRUST_200600_302600_NS6detail15normal_iteratorINS8_7pointerIfNS8_11hip_rocprim16par_det_nosync_tENS8_11use_defaultESE_EEEENSA_INSB_IlSD_SE_SE_EEEEZNS1_13binary_searchIS3_S5_NSA_INS8_10device_ptrIfEEEESG_SI_NS1_21upper_bound_search_opENS9_16wrapped_functionINS8_6system6detail7generic6detail18binary_search_lessEbEEEE10hipError_tPvRmT1_T2_T3_mmT4_T5_P12ihipStream_tbEUlRKfE_EESV_SZ_S10_mS11_S14_bEUlT_E_NS1_11comp_targetILNS1_3genE0ELNS1_11target_archE4294967295ELNS1_3gpuE0ELNS1_3repE0EEENS1_30default_config_static_selectorELNS0_4arch9wavefront6targetE0EEEvSY_.uses_flat_scratch, 0
	.set _ZN7rocprim17ROCPRIM_400000_NS6detail17trampoline_kernelINS0_14default_configENS1_27upper_bound_config_selectorIflEEZNS1_14transform_implILb0ES3_S5_N6thrust23THRUST_200600_302600_NS6detail15normal_iteratorINS8_7pointerIfNS8_11hip_rocprim16par_det_nosync_tENS8_11use_defaultESE_EEEENSA_INSB_IlSD_SE_SE_EEEEZNS1_13binary_searchIS3_S5_NSA_INS8_10device_ptrIfEEEESG_SI_NS1_21upper_bound_search_opENS9_16wrapped_functionINS8_6system6detail7generic6detail18binary_search_lessEbEEEE10hipError_tPvRmT1_T2_T3_mmT4_T5_P12ihipStream_tbEUlRKfE_EESV_SZ_S10_mS11_S14_bEUlT_E_NS1_11comp_targetILNS1_3genE0ELNS1_11target_archE4294967295ELNS1_3gpuE0ELNS1_3repE0EEENS1_30default_config_static_selectorELNS0_4arch9wavefront6targetE0EEEvSY_.has_dyn_sized_stack, 0
	.set _ZN7rocprim17ROCPRIM_400000_NS6detail17trampoline_kernelINS0_14default_configENS1_27upper_bound_config_selectorIflEEZNS1_14transform_implILb0ES3_S5_N6thrust23THRUST_200600_302600_NS6detail15normal_iteratorINS8_7pointerIfNS8_11hip_rocprim16par_det_nosync_tENS8_11use_defaultESE_EEEENSA_INSB_IlSD_SE_SE_EEEEZNS1_13binary_searchIS3_S5_NSA_INS8_10device_ptrIfEEEESG_SI_NS1_21upper_bound_search_opENS9_16wrapped_functionINS8_6system6detail7generic6detail18binary_search_lessEbEEEE10hipError_tPvRmT1_T2_T3_mmT4_T5_P12ihipStream_tbEUlRKfE_EESV_SZ_S10_mS11_S14_bEUlT_E_NS1_11comp_targetILNS1_3genE0ELNS1_11target_archE4294967295ELNS1_3gpuE0ELNS1_3repE0EEENS1_30default_config_static_selectorELNS0_4arch9wavefront6targetE0EEEvSY_.has_recursion, 0
	.set _ZN7rocprim17ROCPRIM_400000_NS6detail17trampoline_kernelINS0_14default_configENS1_27upper_bound_config_selectorIflEEZNS1_14transform_implILb0ES3_S5_N6thrust23THRUST_200600_302600_NS6detail15normal_iteratorINS8_7pointerIfNS8_11hip_rocprim16par_det_nosync_tENS8_11use_defaultESE_EEEENSA_INSB_IlSD_SE_SE_EEEEZNS1_13binary_searchIS3_S5_NSA_INS8_10device_ptrIfEEEESG_SI_NS1_21upper_bound_search_opENS9_16wrapped_functionINS8_6system6detail7generic6detail18binary_search_lessEbEEEE10hipError_tPvRmT1_T2_T3_mmT4_T5_P12ihipStream_tbEUlRKfE_EESV_SZ_S10_mS11_S14_bEUlT_E_NS1_11comp_targetILNS1_3genE0ELNS1_11target_archE4294967295ELNS1_3gpuE0ELNS1_3repE0EEENS1_30default_config_static_selectorELNS0_4arch9wavefront6targetE0EEEvSY_.has_indirect_call, 0
	.section	.AMDGPU.csdata,"",@progbits
; Kernel info:
; codeLenInByte = 0
; TotalNumSgprs: 0
; NumVgprs: 0
; ScratchSize: 0
; MemoryBound: 0
; FloatMode: 240
; IeeeMode: 1
; LDSByteSize: 0 bytes/workgroup (compile time only)
; SGPRBlocks: 0
; VGPRBlocks: 0
; NumSGPRsForWavesPerEU: 1
; NumVGPRsForWavesPerEU: 1
; Occupancy: 16
; WaveLimiterHint : 0
; COMPUTE_PGM_RSRC2:SCRATCH_EN: 0
; COMPUTE_PGM_RSRC2:USER_SGPR: 6
; COMPUTE_PGM_RSRC2:TRAP_HANDLER: 0
; COMPUTE_PGM_RSRC2:TGID_X_EN: 1
; COMPUTE_PGM_RSRC2:TGID_Y_EN: 0
; COMPUTE_PGM_RSRC2:TGID_Z_EN: 0
; COMPUTE_PGM_RSRC2:TIDIG_COMP_CNT: 0
	.section	.text._ZN7rocprim17ROCPRIM_400000_NS6detail17trampoline_kernelINS0_14default_configENS1_27upper_bound_config_selectorIflEEZNS1_14transform_implILb0ES3_S5_N6thrust23THRUST_200600_302600_NS6detail15normal_iteratorINS8_7pointerIfNS8_11hip_rocprim16par_det_nosync_tENS8_11use_defaultESE_EEEENSA_INSB_IlSD_SE_SE_EEEEZNS1_13binary_searchIS3_S5_NSA_INS8_10device_ptrIfEEEESG_SI_NS1_21upper_bound_search_opENS9_16wrapped_functionINS8_6system6detail7generic6detail18binary_search_lessEbEEEE10hipError_tPvRmT1_T2_T3_mmT4_T5_P12ihipStream_tbEUlRKfE_EESV_SZ_S10_mS11_S14_bEUlT_E_NS1_11comp_targetILNS1_3genE5ELNS1_11target_archE942ELNS1_3gpuE9ELNS1_3repE0EEENS1_30default_config_static_selectorELNS0_4arch9wavefront6targetE0EEEvSY_,"axG",@progbits,_ZN7rocprim17ROCPRIM_400000_NS6detail17trampoline_kernelINS0_14default_configENS1_27upper_bound_config_selectorIflEEZNS1_14transform_implILb0ES3_S5_N6thrust23THRUST_200600_302600_NS6detail15normal_iteratorINS8_7pointerIfNS8_11hip_rocprim16par_det_nosync_tENS8_11use_defaultESE_EEEENSA_INSB_IlSD_SE_SE_EEEEZNS1_13binary_searchIS3_S5_NSA_INS8_10device_ptrIfEEEESG_SI_NS1_21upper_bound_search_opENS9_16wrapped_functionINS8_6system6detail7generic6detail18binary_search_lessEbEEEE10hipError_tPvRmT1_T2_T3_mmT4_T5_P12ihipStream_tbEUlRKfE_EESV_SZ_S10_mS11_S14_bEUlT_E_NS1_11comp_targetILNS1_3genE5ELNS1_11target_archE942ELNS1_3gpuE9ELNS1_3repE0EEENS1_30default_config_static_selectorELNS0_4arch9wavefront6targetE0EEEvSY_,comdat
	.protected	_ZN7rocprim17ROCPRIM_400000_NS6detail17trampoline_kernelINS0_14default_configENS1_27upper_bound_config_selectorIflEEZNS1_14transform_implILb0ES3_S5_N6thrust23THRUST_200600_302600_NS6detail15normal_iteratorINS8_7pointerIfNS8_11hip_rocprim16par_det_nosync_tENS8_11use_defaultESE_EEEENSA_INSB_IlSD_SE_SE_EEEEZNS1_13binary_searchIS3_S5_NSA_INS8_10device_ptrIfEEEESG_SI_NS1_21upper_bound_search_opENS9_16wrapped_functionINS8_6system6detail7generic6detail18binary_search_lessEbEEEE10hipError_tPvRmT1_T2_T3_mmT4_T5_P12ihipStream_tbEUlRKfE_EESV_SZ_S10_mS11_S14_bEUlT_E_NS1_11comp_targetILNS1_3genE5ELNS1_11target_archE942ELNS1_3gpuE9ELNS1_3repE0EEENS1_30default_config_static_selectorELNS0_4arch9wavefront6targetE0EEEvSY_ ; -- Begin function _ZN7rocprim17ROCPRIM_400000_NS6detail17trampoline_kernelINS0_14default_configENS1_27upper_bound_config_selectorIflEEZNS1_14transform_implILb0ES3_S5_N6thrust23THRUST_200600_302600_NS6detail15normal_iteratorINS8_7pointerIfNS8_11hip_rocprim16par_det_nosync_tENS8_11use_defaultESE_EEEENSA_INSB_IlSD_SE_SE_EEEEZNS1_13binary_searchIS3_S5_NSA_INS8_10device_ptrIfEEEESG_SI_NS1_21upper_bound_search_opENS9_16wrapped_functionINS8_6system6detail7generic6detail18binary_search_lessEbEEEE10hipError_tPvRmT1_T2_T3_mmT4_T5_P12ihipStream_tbEUlRKfE_EESV_SZ_S10_mS11_S14_bEUlT_E_NS1_11comp_targetILNS1_3genE5ELNS1_11target_archE942ELNS1_3gpuE9ELNS1_3repE0EEENS1_30default_config_static_selectorELNS0_4arch9wavefront6targetE0EEEvSY_
	.globl	_ZN7rocprim17ROCPRIM_400000_NS6detail17trampoline_kernelINS0_14default_configENS1_27upper_bound_config_selectorIflEEZNS1_14transform_implILb0ES3_S5_N6thrust23THRUST_200600_302600_NS6detail15normal_iteratorINS8_7pointerIfNS8_11hip_rocprim16par_det_nosync_tENS8_11use_defaultESE_EEEENSA_INSB_IlSD_SE_SE_EEEEZNS1_13binary_searchIS3_S5_NSA_INS8_10device_ptrIfEEEESG_SI_NS1_21upper_bound_search_opENS9_16wrapped_functionINS8_6system6detail7generic6detail18binary_search_lessEbEEEE10hipError_tPvRmT1_T2_T3_mmT4_T5_P12ihipStream_tbEUlRKfE_EESV_SZ_S10_mS11_S14_bEUlT_E_NS1_11comp_targetILNS1_3genE5ELNS1_11target_archE942ELNS1_3gpuE9ELNS1_3repE0EEENS1_30default_config_static_selectorELNS0_4arch9wavefront6targetE0EEEvSY_
	.p2align	8
	.type	_ZN7rocprim17ROCPRIM_400000_NS6detail17trampoline_kernelINS0_14default_configENS1_27upper_bound_config_selectorIflEEZNS1_14transform_implILb0ES3_S5_N6thrust23THRUST_200600_302600_NS6detail15normal_iteratorINS8_7pointerIfNS8_11hip_rocprim16par_det_nosync_tENS8_11use_defaultESE_EEEENSA_INSB_IlSD_SE_SE_EEEEZNS1_13binary_searchIS3_S5_NSA_INS8_10device_ptrIfEEEESG_SI_NS1_21upper_bound_search_opENS9_16wrapped_functionINS8_6system6detail7generic6detail18binary_search_lessEbEEEE10hipError_tPvRmT1_T2_T3_mmT4_T5_P12ihipStream_tbEUlRKfE_EESV_SZ_S10_mS11_S14_bEUlT_E_NS1_11comp_targetILNS1_3genE5ELNS1_11target_archE942ELNS1_3gpuE9ELNS1_3repE0EEENS1_30default_config_static_selectorELNS0_4arch9wavefront6targetE0EEEvSY_,@function
_ZN7rocprim17ROCPRIM_400000_NS6detail17trampoline_kernelINS0_14default_configENS1_27upper_bound_config_selectorIflEEZNS1_14transform_implILb0ES3_S5_N6thrust23THRUST_200600_302600_NS6detail15normal_iteratorINS8_7pointerIfNS8_11hip_rocprim16par_det_nosync_tENS8_11use_defaultESE_EEEENSA_INSB_IlSD_SE_SE_EEEEZNS1_13binary_searchIS3_S5_NSA_INS8_10device_ptrIfEEEESG_SI_NS1_21upper_bound_search_opENS9_16wrapped_functionINS8_6system6detail7generic6detail18binary_search_lessEbEEEE10hipError_tPvRmT1_T2_T3_mmT4_T5_P12ihipStream_tbEUlRKfE_EESV_SZ_S10_mS11_S14_bEUlT_E_NS1_11comp_targetILNS1_3genE5ELNS1_11target_archE942ELNS1_3gpuE9ELNS1_3repE0EEENS1_30default_config_static_selectorELNS0_4arch9wavefront6targetE0EEEvSY_: ; @_ZN7rocprim17ROCPRIM_400000_NS6detail17trampoline_kernelINS0_14default_configENS1_27upper_bound_config_selectorIflEEZNS1_14transform_implILb0ES3_S5_N6thrust23THRUST_200600_302600_NS6detail15normal_iteratorINS8_7pointerIfNS8_11hip_rocprim16par_det_nosync_tENS8_11use_defaultESE_EEEENSA_INSB_IlSD_SE_SE_EEEEZNS1_13binary_searchIS3_S5_NSA_INS8_10device_ptrIfEEEESG_SI_NS1_21upper_bound_search_opENS9_16wrapped_functionINS8_6system6detail7generic6detail18binary_search_lessEbEEEE10hipError_tPvRmT1_T2_T3_mmT4_T5_P12ihipStream_tbEUlRKfE_EESV_SZ_S10_mS11_S14_bEUlT_E_NS1_11comp_targetILNS1_3genE5ELNS1_11target_archE942ELNS1_3gpuE9ELNS1_3repE0EEENS1_30default_config_static_selectorELNS0_4arch9wavefront6targetE0EEEvSY_
; %bb.0:
	.section	.rodata,"a",@progbits
	.p2align	6, 0x0
	.amdhsa_kernel _ZN7rocprim17ROCPRIM_400000_NS6detail17trampoline_kernelINS0_14default_configENS1_27upper_bound_config_selectorIflEEZNS1_14transform_implILb0ES3_S5_N6thrust23THRUST_200600_302600_NS6detail15normal_iteratorINS8_7pointerIfNS8_11hip_rocprim16par_det_nosync_tENS8_11use_defaultESE_EEEENSA_INSB_IlSD_SE_SE_EEEEZNS1_13binary_searchIS3_S5_NSA_INS8_10device_ptrIfEEEESG_SI_NS1_21upper_bound_search_opENS9_16wrapped_functionINS8_6system6detail7generic6detail18binary_search_lessEbEEEE10hipError_tPvRmT1_T2_T3_mmT4_T5_P12ihipStream_tbEUlRKfE_EESV_SZ_S10_mS11_S14_bEUlT_E_NS1_11comp_targetILNS1_3genE5ELNS1_11target_archE942ELNS1_3gpuE9ELNS1_3repE0EEENS1_30default_config_static_selectorELNS0_4arch9wavefront6targetE0EEEvSY_
		.amdhsa_group_segment_fixed_size 0
		.amdhsa_private_segment_fixed_size 0
		.amdhsa_kernarg_size 56
		.amdhsa_user_sgpr_count 6
		.amdhsa_user_sgpr_private_segment_buffer 1
		.amdhsa_user_sgpr_dispatch_ptr 0
		.amdhsa_user_sgpr_queue_ptr 0
		.amdhsa_user_sgpr_kernarg_segment_ptr 1
		.amdhsa_user_sgpr_dispatch_id 0
		.amdhsa_user_sgpr_flat_scratch_init 0
		.amdhsa_user_sgpr_private_segment_size 0
		.amdhsa_wavefront_size32 1
		.amdhsa_uses_dynamic_stack 0
		.amdhsa_system_sgpr_private_segment_wavefront_offset 0
		.amdhsa_system_sgpr_workgroup_id_x 1
		.amdhsa_system_sgpr_workgroup_id_y 0
		.amdhsa_system_sgpr_workgroup_id_z 0
		.amdhsa_system_sgpr_workgroup_info 0
		.amdhsa_system_vgpr_workitem_id 0
		.amdhsa_next_free_vgpr 1
		.amdhsa_next_free_sgpr 1
		.amdhsa_reserve_vcc 0
		.amdhsa_reserve_flat_scratch 0
		.amdhsa_float_round_mode_32 0
		.amdhsa_float_round_mode_16_64 0
		.amdhsa_float_denorm_mode_32 3
		.amdhsa_float_denorm_mode_16_64 3
		.amdhsa_dx10_clamp 1
		.amdhsa_ieee_mode 1
		.amdhsa_fp16_overflow 0
		.amdhsa_workgroup_processor_mode 1
		.amdhsa_memory_ordered 1
		.amdhsa_forward_progress 1
		.amdhsa_shared_vgpr_count 0
		.amdhsa_exception_fp_ieee_invalid_op 0
		.amdhsa_exception_fp_denorm_src 0
		.amdhsa_exception_fp_ieee_div_zero 0
		.amdhsa_exception_fp_ieee_overflow 0
		.amdhsa_exception_fp_ieee_underflow 0
		.amdhsa_exception_fp_ieee_inexact 0
		.amdhsa_exception_int_div_zero 0
	.end_amdhsa_kernel
	.section	.text._ZN7rocprim17ROCPRIM_400000_NS6detail17trampoline_kernelINS0_14default_configENS1_27upper_bound_config_selectorIflEEZNS1_14transform_implILb0ES3_S5_N6thrust23THRUST_200600_302600_NS6detail15normal_iteratorINS8_7pointerIfNS8_11hip_rocprim16par_det_nosync_tENS8_11use_defaultESE_EEEENSA_INSB_IlSD_SE_SE_EEEEZNS1_13binary_searchIS3_S5_NSA_INS8_10device_ptrIfEEEESG_SI_NS1_21upper_bound_search_opENS9_16wrapped_functionINS8_6system6detail7generic6detail18binary_search_lessEbEEEE10hipError_tPvRmT1_T2_T3_mmT4_T5_P12ihipStream_tbEUlRKfE_EESV_SZ_S10_mS11_S14_bEUlT_E_NS1_11comp_targetILNS1_3genE5ELNS1_11target_archE942ELNS1_3gpuE9ELNS1_3repE0EEENS1_30default_config_static_selectorELNS0_4arch9wavefront6targetE0EEEvSY_,"axG",@progbits,_ZN7rocprim17ROCPRIM_400000_NS6detail17trampoline_kernelINS0_14default_configENS1_27upper_bound_config_selectorIflEEZNS1_14transform_implILb0ES3_S5_N6thrust23THRUST_200600_302600_NS6detail15normal_iteratorINS8_7pointerIfNS8_11hip_rocprim16par_det_nosync_tENS8_11use_defaultESE_EEEENSA_INSB_IlSD_SE_SE_EEEEZNS1_13binary_searchIS3_S5_NSA_INS8_10device_ptrIfEEEESG_SI_NS1_21upper_bound_search_opENS9_16wrapped_functionINS8_6system6detail7generic6detail18binary_search_lessEbEEEE10hipError_tPvRmT1_T2_T3_mmT4_T5_P12ihipStream_tbEUlRKfE_EESV_SZ_S10_mS11_S14_bEUlT_E_NS1_11comp_targetILNS1_3genE5ELNS1_11target_archE942ELNS1_3gpuE9ELNS1_3repE0EEENS1_30default_config_static_selectorELNS0_4arch9wavefront6targetE0EEEvSY_,comdat
.Lfunc_end510:
	.size	_ZN7rocprim17ROCPRIM_400000_NS6detail17trampoline_kernelINS0_14default_configENS1_27upper_bound_config_selectorIflEEZNS1_14transform_implILb0ES3_S5_N6thrust23THRUST_200600_302600_NS6detail15normal_iteratorINS8_7pointerIfNS8_11hip_rocprim16par_det_nosync_tENS8_11use_defaultESE_EEEENSA_INSB_IlSD_SE_SE_EEEEZNS1_13binary_searchIS3_S5_NSA_INS8_10device_ptrIfEEEESG_SI_NS1_21upper_bound_search_opENS9_16wrapped_functionINS8_6system6detail7generic6detail18binary_search_lessEbEEEE10hipError_tPvRmT1_T2_T3_mmT4_T5_P12ihipStream_tbEUlRKfE_EESV_SZ_S10_mS11_S14_bEUlT_E_NS1_11comp_targetILNS1_3genE5ELNS1_11target_archE942ELNS1_3gpuE9ELNS1_3repE0EEENS1_30default_config_static_selectorELNS0_4arch9wavefront6targetE0EEEvSY_, .Lfunc_end510-_ZN7rocprim17ROCPRIM_400000_NS6detail17trampoline_kernelINS0_14default_configENS1_27upper_bound_config_selectorIflEEZNS1_14transform_implILb0ES3_S5_N6thrust23THRUST_200600_302600_NS6detail15normal_iteratorINS8_7pointerIfNS8_11hip_rocprim16par_det_nosync_tENS8_11use_defaultESE_EEEENSA_INSB_IlSD_SE_SE_EEEEZNS1_13binary_searchIS3_S5_NSA_INS8_10device_ptrIfEEEESG_SI_NS1_21upper_bound_search_opENS9_16wrapped_functionINS8_6system6detail7generic6detail18binary_search_lessEbEEEE10hipError_tPvRmT1_T2_T3_mmT4_T5_P12ihipStream_tbEUlRKfE_EESV_SZ_S10_mS11_S14_bEUlT_E_NS1_11comp_targetILNS1_3genE5ELNS1_11target_archE942ELNS1_3gpuE9ELNS1_3repE0EEENS1_30default_config_static_selectorELNS0_4arch9wavefront6targetE0EEEvSY_
                                        ; -- End function
	.set _ZN7rocprim17ROCPRIM_400000_NS6detail17trampoline_kernelINS0_14default_configENS1_27upper_bound_config_selectorIflEEZNS1_14transform_implILb0ES3_S5_N6thrust23THRUST_200600_302600_NS6detail15normal_iteratorINS8_7pointerIfNS8_11hip_rocprim16par_det_nosync_tENS8_11use_defaultESE_EEEENSA_INSB_IlSD_SE_SE_EEEEZNS1_13binary_searchIS3_S5_NSA_INS8_10device_ptrIfEEEESG_SI_NS1_21upper_bound_search_opENS9_16wrapped_functionINS8_6system6detail7generic6detail18binary_search_lessEbEEEE10hipError_tPvRmT1_T2_T3_mmT4_T5_P12ihipStream_tbEUlRKfE_EESV_SZ_S10_mS11_S14_bEUlT_E_NS1_11comp_targetILNS1_3genE5ELNS1_11target_archE942ELNS1_3gpuE9ELNS1_3repE0EEENS1_30default_config_static_selectorELNS0_4arch9wavefront6targetE0EEEvSY_.num_vgpr, 0
	.set _ZN7rocprim17ROCPRIM_400000_NS6detail17trampoline_kernelINS0_14default_configENS1_27upper_bound_config_selectorIflEEZNS1_14transform_implILb0ES3_S5_N6thrust23THRUST_200600_302600_NS6detail15normal_iteratorINS8_7pointerIfNS8_11hip_rocprim16par_det_nosync_tENS8_11use_defaultESE_EEEENSA_INSB_IlSD_SE_SE_EEEEZNS1_13binary_searchIS3_S5_NSA_INS8_10device_ptrIfEEEESG_SI_NS1_21upper_bound_search_opENS9_16wrapped_functionINS8_6system6detail7generic6detail18binary_search_lessEbEEEE10hipError_tPvRmT1_T2_T3_mmT4_T5_P12ihipStream_tbEUlRKfE_EESV_SZ_S10_mS11_S14_bEUlT_E_NS1_11comp_targetILNS1_3genE5ELNS1_11target_archE942ELNS1_3gpuE9ELNS1_3repE0EEENS1_30default_config_static_selectorELNS0_4arch9wavefront6targetE0EEEvSY_.num_agpr, 0
	.set _ZN7rocprim17ROCPRIM_400000_NS6detail17trampoline_kernelINS0_14default_configENS1_27upper_bound_config_selectorIflEEZNS1_14transform_implILb0ES3_S5_N6thrust23THRUST_200600_302600_NS6detail15normal_iteratorINS8_7pointerIfNS8_11hip_rocprim16par_det_nosync_tENS8_11use_defaultESE_EEEENSA_INSB_IlSD_SE_SE_EEEEZNS1_13binary_searchIS3_S5_NSA_INS8_10device_ptrIfEEEESG_SI_NS1_21upper_bound_search_opENS9_16wrapped_functionINS8_6system6detail7generic6detail18binary_search_lessEbEEEE10hipError_tPvRmT1_T2_T3_mmT4_T5_P12ihipStream_tbEUlRKfE_EESV_SZ_S10_mS11_S14_bEUlT_E_NS1_11comp_targetILNS1_3genE5ELNS1_11target_archE942ELNS1_3gpuE9ELNS1_3repE0EEENS1_30default_config_static_selectorELNS0_4arch9wavefront6targetE0EEEvSY_.numbered_sgpr, 0
	.set _ZN7rocprim17ROCPRIM_400000_NS6detail17trampoline_kernelINS0_14default_configENS1_27upper_bound_config_selectorIflEEZNS1_14transform_implILb0ES3_S5_N6thrust23THRUST_200600_302600_NS6detail15normal_iteratorINS8_7pointerIfNS8_11hip_rocprim16par_det_nosync_tENS8_11use_defaultESE_EEEENSA_INSB_IlSD_SE_SE_EEEEZNS1_13binary_searchIS3_S5_NSA_INS8_10device_ptrIfEEEESG_SI_NS1_21upper_bound_search_opENS9_16wrapped_functionINS8_6system6detail7generic6detail18binary_search_lessEbEEEE10hipError_tPvRmT1_T2_T3_mmT4_T5_P12ihipStream_tbEUlRKfE_EESV_SZ_S10_mS11_S14_bEUlT_E_NS1_11comp_targetILNS1_3genE5ELNS1_11target_archE942ELNS1_3gpuE9ELNS1_3repE0EEENS1_30default_config_static_selectorELNS0_4arch9wavefront6targetE0EEEvSY_.num_named_barrier, 0
	.set _ZN7rocprim17ROCPRIM_400000_NS6detail17trampoline_kernelINS0_14default_configENS1_27upper_bound_config_selectorIflEEZNS1_14transform_implILb0ES3_S5_N6thrust23THRUST_200600_302600_NS6detail15normal_iteratorINS8_7pointerIfNS8_11hip_rocprim16par_det_nosync_tENS8_11use_defaultESE_EEEENSA_INSB_IlSD_SE_SE_EEEEZNS1_13binary_searchIS3_S5_NSA_INS8_10device_ptrIfEEEESG_SI_NS1_21upper_bound_search_opENS9_16wrapped_functionINS8_6system6detail7generic6detail18binary_search_lessEbEEEE10hipError_tPvRmT1_T2_T3_mmT4_T5_P12ihipStream_tbEUlRKfE_EESV_SZ_S10_mS11_S14_bEUlT_E_NS1_11comp_targetILNS1_3genE5ELNS1_11target_archE942ELNS1_3gpuE9ELNS1_3repE0EEENS1_30default_config_static_selectorELNS0_4arch9wavefront6targetE0EEEvSY_.private_seg_size, 0
	.set _ZN7rocprim17ROCPRIM_400000_NS6detail17trampoline_kernelINS0_14default_configENS1_27upper_bound_config_selectorIflEEZNS1_14transform_implILb0ES3_S5_N6thrust23THRUST_200600_302600_NS6detail15normal_iteratorINS8_7pointerIfNS8_11hip_rocprim16par_det_nosync_tENS8_11use_defaultESE_EEEENSA_INSB_IlSD_SE_SE_EEEEZNS1_13binary_searchIS3_S5_NSA_INS8_10device_ptrIfEEEESG_SI_NS1_21upper_bound_search_opENS9_16wrapped_functionINS8_6system6detail7generic6detail18binary_search_lessEbEEEE10hipError_tPvRmT1_T2_T3_mmT4_T5_P12ihipStream_tbEUlRKfE_EESV_SZ_S10_mS11_S14_bEUlT_E_NS1_11comp_targetILNS1_3genE5ELNS1_11target_archE942ELNS1_3gpuE9ELNS1_3repE0EEENS1_30default_config_static_selectorELNS0_4arch9wavefront6targetE0EEEvSY_.uses_vcc, 0
	.set _ZN7rocprim17ROCPRIM_400000_NS6detail17trampoline_kernelINS0_14default_configENS1_27upper_bound_config_selectorIflEEZNS1_14transform_implILb0ES3_S5_N6thrust23THRUST_200600_302600_NS6detail15normal_iteratorINS8_7pointerIfNS8_11hip_rocprim16par_det_nosync_tENS8_11use_defaultESE_EEEENSA_INSB_IlSD_SE_SE_EEEEZNS1_13binary_searchIS3_S5_NSA_INS8_10device_ptrIfEEEESG_SI_NS1_21upper_bound_search_opENS9_16wrapped_functionINS8_6system6detail7generic6detail18binary_search_lessEbEEEE10hipError_tPvRmT1_T2_T3_mmT4_T5_P12ihipStream_tbEUlRKfE_EESV_SZ_S10_mS11_S14_bEUlT_E_NS1_11comp_targetILNS1_3genE5ELNS1_11target_archE942ELNS1_3gpuE9ELNS1_3repE0EEENS1_30default_config_static_selectorELNS0_4arch9wavefront6targetE0EEEvSY_.uses_flat_scratch, 0
	.set _ZN7rocprim17ROCPRIM_400000_NS6detail17trampoline_kernelINS0_14default_configENS1_27upper_bound_config_selectorIflEEZNS1_14transform_implILb0ES3_S5_N6thrust23THRUST_200600_302600_NS6detail15normal_iteratorINS8_7pointerIfNS8_11hip_rocprim16par_det_nosync_tENS8_11use_defaultESE_EEEENSA_INSB_IlSD_SE_SE_EEEEZNS1_13binary_searchIS3_S5_NSA_INS8_10device_ptrIfEEEESG_SI_NS1_21upper_bound_search_opENS9_16wrapped_functionINS8_6system6detail7generic6detail18binary_search_lessEbEEEE10hipError_tPvRmT1_T2_T3_mmT4_T5_P12ihipStream_tbEUlRKfE_EESV_SZ_S10_mS11_S14_bEUlT_E_NS1_11comp_targetILNS1_3genE5ELNS1_11target_archE942ELNS1_3gpuE9ELNS1_3repE0EEENS1_30default_config_static_selectorELNS0_4arch9wavefront6targetE0EEEvSY_.has_dyn_sized_stack, 0
	.set _ZN7rocprim17ROCPRIM_400000_NS6detail17trampoline_kernelINS0_14default_configENS1_27upper_bound_config_selectorIflEEZNS1_14transform_implILb0ES3_S5_N6thrust23THRUST_200600_302600_NS6detail15normal_iteratorINS8_7pointerIfNS8_11hip_rocprim16par_det_nosync_tENS8_11use_defaultESE_EEEENSA_INSB_IlSD_SE_SE_EEEEZNS1_13binary_searchIS3_S5_NSA_INS8_10device_ptrIfEEEESG_SI_NS1_21upper_bound_search_opENS9_16wrapped_functionINS8_6system6detail7generic6detail18binary_search_lessEbEEEE10hipError_tPvRmT1_T2_T3_mmT4_T5_P12ihipStream_tbEUlRKfE_EESV_SZ_S10_mS11_S14_bEUlT_E_NS1_11comp_targetILNS1_3genE5ELNS1_11target_archE942ELNS1_3gpuE9ELNS1_3repE0EEENS1_30default_config_static_selectorELNS0_4arch9wavefront6targetE0EEEvSY_.has_recursion, 0
	.set _ZN7rocprim17ROCPRIM_400000_NS6detail17trampoline_kernelINS0_14default_configENS1_27upper_bound_config_selectorIflEEZNS1_14transform_implILb0ES3_S5_N6thrust23THRUST_200600_302600_NS6detail15normal_iteratorINS8_7pointerIfNS8_11hip_rocprim16par_det_nosync_tENS8_11use_defaultESE_EEEENSA_INSB_IlSD_SE_SE_EEEEZNS1_13binary_searchIS3_S5_NSA_INS8_10device_ptrIfEEEESG_SI_NS1_21upper_bound_search_opENS9_16wrapped_functionINS8_6system6detail7generic6detail18binary_search_lessEbEEEE10hipError_tPvRmT1_T2_T3_mmT4_T5_P12ihipStream_tbEUlRKfE_EESV_SZ_S10_mS11_S14_bEUlT_E_NS1_11comp_targetILNS1_3genE5ELNS1_11target_archE942ELNS1_3gpuE9ELNS1_3repE0EEENS1_30default_config_static_selectorELNS0_4arch9wavefront6targetE0EEEvSY_.has_indirect_call, 0
	.section	.AMDGPU.csdata,"",@progbits
; Kernel info:
; codeLenInByte = 0
; TotalNumSgprs: 0
; NumVgprs: 0
; ScratchSize: 0
; MemoryBound: 0
; FloatMode: 240
; IeeeMode: 1
; LDSByteSize: 0 bytes/workgroup (compile time only)
; SGPRBlocks: 0
; VGPRBlocks: 0
; NumSGPRsForWavesPerEU: 1
; NumVGPRsForWavesPerEU: 1
; Occupancy: 16
; WaveLimiterHint : 0
; COMPUTE_PGM_RSRC2:SCRATCH_EN: 0
; COMPUTE_PGM_RSRC2:USER_SGPR: 6
; COMPUTE_PGM_RSRC2:TRAP_HANDLER: 0
; COMPUTE_PGM_RSRC2:TGID_X_EN: 1
; COMPUTE_PGM_RSRC2:TGID_Y_EN: 0
; COMPUTE_PGM_RSRC2:TGID_Z_EN: 0
; COMPUTE_PGM_RSRC2:TIDIG_COMP_CNT: 0
	.section	.text._ZN7rocprim17ROCPRIM_400000_NS6detail17trampoline_kernelINS0_14default_configENS1_27upper_bound_config_selectorIflEEZNS1_14transform_implILb0ES3_S5_N6thrust23THRUST_200600_302600_NS6detail15normal_iteratorINS8_7pointerIfNS8_11hip_rocprim16par_det_nosync_tENS8_11use_defaultESE_EEEENSA_INSB_IlSD_SE_SE_EEEEZNS1_13binary_searchIS3_S5_NSA_INS8_10device_ptrIfEEEESG_SI_NS1_21upper_bound_search_opENS9_16wrapped_functionINS8_6system6detail7generic6detail18binary_search_lessEbEEEE10hipError_tPvRmT1_T2_T3_mmT4_T5_P12ihipStream_tbEUlRKfE_EESV_SZ_S10_mS11_S14_bEUlT_E_NS1_11comp_targetILNS1_3genE4ELNS1_11target_archE910ELNS1_3gpuE8ELNS1_3repE0EEENS1_30default_config_static_selectorELNS0_4arch9wavefront6targetE0EEEvSY_,"axG",@progbits,_ZN7rocprim17ROCPRIM_400000_NS6detail17trampoline_kernelINS0_14default_configENS1_27upper_bound_config_selectorIflEEZNS1_14transform_implILb0ES3_S5_N6thrust23THRUST_200600_302600_NS6detail15normal_iteratorINS8_7pointerIfNS8_11hip_rocprim16par_det_nosync_tENS8_11use_defaultESE_EEEENSA_INSB_IlSD_SE_SE_EEEEZNS1_13binary_searchIS3_S5_NSA_INS8_10device_ptrIfEEEESG_SI_NS1_21upper_bound_search_opENS9_16wrapped_functionINS8_6system6detail7generic6detail18binary_search_lessEbEEEE10hipError_tPvRmT1_T2_T3_mmT4_T5_P12ihipStream_tbEUlRKfE_EESV_SZ_S10_mS11_S14_bEUlT_E_NS1_11comp_targetILNS1_3genE4ELNS1_11target_archE910ELNS1_3gpuE8ELNS1_3repE0EEENS1_30default_config_static_selectorELNS0_4arch9wavefront6targetE0EEEvSY_,comdat
	.protected	_ZN7rocprim17ROCPRIM_400000_NS6detail17trampoline_kernelINS0_14default_configENS1_27upper_bound_config_selectorIflEEZNS1_14transform_implILb0ES3_S5_N6thrust23THRUST_200600_302600_NS6detail15normal_iteratorINS8_7pointerIfNS8_11hip_rocprim16par_det_nosync_tENS8_11use_defaultESE_EEEENSA_INSB_IlSD_SE_SE_EEEEZNS1_13binary_searchIS3_S5_NSA_INS8_10device_ptrIfEEEESG_SI_NS1_21upper_bound_search_opENS9_16wrapped_functionINS8_6system6detail7generic6detail18binary_search_lessEbEEEE10hipError_tPvRmT1_T2_T3_mmT4_T5_P12ihipStream_tbEUlRKfE_EESV_SZ_S10_mS11_S14_bEUlT_E_NS1_11comp_targetILNS1_3genE4ELNS1_11target_archE910ELNS1_3gpuE8ELNS1_3repE0EEENS1_30default_config_static_selectorELNS0_4arch9wavefront6targetE0EEEvSY_ ; -- Begin function _ZN7rocprim17ROCPRIM_400000_NS6detail17trampoline_kernelINS0_14default_configENS1_27upper_bound_config_selectorIflEEZNS1_14transform_implILb0ES3_S5_N6thrust23THRUST_200600_302600_NS6detail15normal_iteratorINS8_7pointerIfNS8_11hip_rocprim16par_det_nosync_tENS8_11use_defaultESE_EEEENSA_INSB_IlSD_SE_SE_EEEEZNS1_13binary_searchIS3_S5_NSA_INS8_10device_ptrIfEEEESG_SI_NS1_21upper_bound_search_opENS9_16wrapped_functionINS8_6system6detail7generic6detail18binary_search_lessEbEEEE10hipError_tPvRmT1_T2_T3_mmT4_T5_P12ihipStream_tbEUlRKfE_EESV_SZ_S10_mS11_S14_bEUlT_E_NS1_11comp_targetILNS1_3genE4ELNS1_11target_archE910ELNS1_3gpuE8ELNS1_3repE0EEENS1_30default_config_static_selectorELNS0_4arch9wavefront6targetE0EEEvSY_
	.globl	_ZN7rocprim17ROCPRIM_400000_NS6detail17trampoline_kernelINS0_14default_configENS1_27upper_bound_config_selectorIflEEZNS1_14transform_implILb0ES3_S5_N6thrust23THRUST_200600_302600_NS6detail15normal_iteratorINS8_7pointerIfNS8_11hip_rocprim16par_det_nosync_tENS8_11use_defaultESE_EEEENSA_INSB_IlSD_SE_SE_EEEEZNS1_13binary_searchIS3_S5_NSA_INS8_10device_ptrIfEEEESG_SI_NS1_21upper_bound_search_opENS9_16wrapped_functionINS8_6system6detail7generic6detail18binary_search_lessEbEEEE10hipError_tPvRmT1_T2_T3_mmT4_T5_P12ihipStream_tbEUlRKfE_EESV_SZ_S10_mS11_S14_bEUlT_E_NS1_11comp_targetILNS1_3genE4ELNS1_11target_archE910ELNS1_3gpuE8ELNS1_3repE0EEENS1_30default_config_static_selectorELNS0_4arch9wavefront6targetE0EEEvSY_
	.p2align	8
	.type	_ZN7rocprim17ROCPRIM_400000_NS6detail17trampoline_kernelINS0_14default_configENS1_27upper_bound_config_selectorIflEEZNS1_14transform_implILb0ES3_S5_N6thrust23THRUST_200600_302600_NS6detail15normal_iteratorINS8_7pointerIfNS8_11hip_rocprim16par_det_nosync_tENS8_11use_defaultESE_EEEENSA_INSB_IlSD_SE_SE_EEEEZNS1_13binary_searchIS3_S5_NSA_INS8_10device_ptrIfEEEESG_SI_NS1_21upper_bound_search_opENS9_16wrapped_functionINS8_6system6detail7generic6detail18binary_search_lessEbEEEE10hipError_tPvRmT1_T2_T3_mmT4_T5_P12ihipStream_tbEUlRKfE_EESV_SZ_S10_mS11_S14_bEUlT_E_NS1_11comp_targetILNS1_3genE4ELNS1_11target_archE910ELNS1_3gpuE8ELNS1_3repE0EEENS1_30default_config_static_selectorELNS0_4arch9wavefront6targetE0EEEvSY_,@function
_ZN7rocprim17ROCPRIM_400000_NS6detail17trampoline_kernelINS0_14default_configENS1_27upper_bound_config_selectorIflEEZNS1_14transform_implILb0ES3_S5_N6thrust23THRUST_200600_302600_NS6detail15normal_iteratorINS8_7pointerIfNS8_11hip_rocprim16par_det_nosync_tENS8_11use_defaultESE_EEEENSA_INSB_IlSD_SE_SE_EEEEZNS1_13binary_searchIS3_S5_NSA_INS8_10device_ptrIfEEEESG_SI_NS1_21upper_bound_search_opENS9_16wrapped_functionINS8_6system6detail7generic6detail18binary_search_lessEbEEEE10hipError_tPvRmT1_T2_T3_mmT4_T5_P12ihipStream_tbEUlRKfE_EESV_SZ_S10_mS11_S14_bEUlT_E_NS1_11comp_targetILNS1_3genE4ELNS1_11target_archE910ELNS1_3gpuE8ELNS1_3repE0EEENS1_30default_config_static_selectorELNS0_4arch9wavefront6targetE0EEEvSY_: ; @_ZN7rocprim17ROCPRIM_400000_NS6detail17trampoline_kernelINS0_14default_configENS1_27upper_bound_config_selectorIflEEZNS1_14transform_implILb0ES3_S5_N6thrust23THRUST_200600_302600_NS6detail15normal_iteratorINS8_7pointerIfNS8_11hip_rocprim16par_det_nosync_tENS8_11use_defaultESE_EEEENSA_INSB_IlSD_SE_SE_EEEEZNS1_13binary_searchIS3_S5_NSA_INS8_10device_ptrIfEEEESG_SI_NS1_21upper_bound_search_opENS9_16wrapped_functionINS8_6system6detail7generic6detail18binary_search_lessEbEEEE10hipError_tPvRmT1_T2_T3_mmT4_T5_P12ihipStream_tbEUlRKfE_EESV_SZ_S10_mS11_S14_bEUlT_E_NS1_11comp_targetILNS1_3genE4ELNS1_11target_archE910ELNS1_3gpuE8ELNS1_3repE0EEENS1_30default_config_static_selectorELNS0_4arch9wavefront6targetE0EEEvSY_
; %bb.0:
	.section	.rodata,"a",@progbits
	.p2align	6, 0x0
	.amdhsa_kernel _ZN7rocprim17ROCPRIM_400000_NS6detail17trampoline_kernelINS0_14default_configENS1_27upper_bound_config_selectorIflEEZNS1_14transform_implILb0ES3_S5_N6thrust23THRUST_200600_302600_NS6detail15normal_iteratorINS8_7pointerIfNS8_11hip_rocprim16par_det_nosync_tENS8_11use_defaultESE_EEEENSA_INSB_IlSD_SE_SE_EEEEZNS1_13binary_searchIS3_S5_NSA_INS8_10device_ptrIfEEEESG_SI_NS1_21upper_bound_search_opENS9_16wrapped_functionINS8_6system6detail7generic6detail18binary_search_lessEbEEEE10hipError_tPvRmT1_T2_T3_mmT4_T5_P12ihipStream_tbEUlRKfE_EESV_SZ_S10_mS11_S14_bEUlT_E_NS1_11comp_targetILNS1_3genE4ELNS1_11target_archE910ELNS1_3gpuE8ELNS1_3repE0EEENS1_30default_config_static_selectorELNS0_4arch9wavefront6targetE0EEEvSY_
		.amdhsa_group_segment_fixed_size 0
		.amdhsa_private_segment_fixed_size 0
		.amdhsa_kernarg_size 56
		.amdhsa_user_sgpr_count 6
		.amdhsa_user_sgpr_private_segment_buffer 1
		.amdhsa_user_sgpr_dispatch_ptr 0
		.amdhsa_user_sgpr_queue_ptr 0
		.amdhsa_user_sgpr_kernarg_segment_ptr 1
		.amdhsa_user_sgpr_dispatch_id 0
		.amdhsa_user_sgpr_flat_scratch_init 0
		.amdhsa_user_sgpr_private_segment_size 0
		.amdhsa_wavefront_size32 1
		.amdhsa_uses_dynamic_stack 0
		.amdhsa_system_sgpr_private_segment_wavefront_offset 0
		.amdhsa_system_sgpr_workgroup_id_x 1
		.amdhsa_system_sgpr_workgroup_id_y 0
		.amdhsa_system_sgpr_workgroup_id_z 0
		.amdhsa_system_sgpr_workgroup_info 0
		.amdhsa_system_vgpr_workitem_id 0
		.amdhsa_next_free_vgpr 1
		.amdhsa_next_free_sgpr 1
		.amdhsa_reserve_vcc 0
		.amdhsa_reserve_flat_scratch 0
		.amdhsa_float_round_mode_32 0
		.amdhsa_float_round_mode_16_64 0
		.amdhsa_float_denorm_mode_32 3
		.amdhsa_float_denorm_mode_16_64 3
		.amdhsa_dx10_clamp 1
		.amdhsa_ieee_mode 1
		.amdhsa_fp16_overflow 0
		.amdhsa_workgroup_processor_mode 1
		.amdhsa_memory_ordered 1
		.amdhsa_forward_progress 1
		.amdhsa_shared_vgpr_count 0
		.amdhsa_exception_fp_ieee_invalid_op 0
		.amdhsa_exception_fp_denorm_src 0
		.amdhsa_exception_fp_ieee_div_zero 0
		.amdhsa_exception_fp_ieee_overflow 0
		.amdhsa_exception_fp_ieee_underflow 0
		.amdhsa_exception_fp_ieee_inexact 0
		.amdhsa_exception_int_div_zero 0
	.end_amdhsa_kernel
	.section	.text._ZN7rocprim17ROCPRIM_400000_NS6detail17trampoline_kernelINS0_14default_configENS1_27upper_bound_config_selectorIflEEZNS1_14transform_implILb0ES3_S5_N6thrust23THRUST_200600_302600_NS6detail15normal_iteratorINS8_7pointerIfNS8_11hip_rocprim16par_det_nosync_tENS8_11use_defaultESE_EEEENSA_INSB_IlSD_SE_SE_EEEEZNS1_13binary_searchIS3_S5_NSA_INS8_10device_ptrIfEEEESG_SI_NS1_21upper_bound_search_opENS9_16wrapped_functionINS8_6system6detail7generic6detail18binary_search_lessEbEEEE10hipError_tPvRmT1_T2_T3_mmT4_T5_P12ihipStream_tbEUlRKfE_EESV_SZ_S10_mS11_S14_bEUlT_E_NS1_11comp_targetILNS1_3genE4ELNS1_11target_archE910ELNS1_3gpuE8ELNS1_3repE0EEENS1_30default_config_static_selectorELNS0_4arch9wavefront6targetE0EEEvSY_,"axG",@progbits,_ZN7rocprim17ROCPRIM_400000_NS6detail17trampoline_kernelINS0_14default_configENS1_27upper_bound_config_selectorIflEEZNS1_14transform_implILb0ES3_S5_N6thrust23THRUST_200600_302600_NS6detail15normal_iteratorINS8_7pointerIfNS8_11hip_rocprim16par_det_nosync_tENS8_11use_defaultESE_EEEENSA_INSB_IlSD_SE_SE_EEEEZNS1_13binary_searchIS3_S5_NSA_INS8_10device_ptrIfEEEESG_SI_NS1_21upper_bound_search_opENS9_16wrapped_functionINS8_6system6detail7generic6detail18binary_search_lessEbEEEE10hipError_tPvRmT1_T2_T3_mmT4_T5_P12ihipStream_tbEUlRKfE_EESV_SZ_S10_mS11_S14_bEUlT_E_NS1_11comp_targetILNS1_3genE4ELNS1_11target_archE910ELNS1_3gpuE8ELNS1_3repE0EEENS1_30default_config_static_selectorELNS0_4arch9wavefront6targetE0EEEvSY_,comdat
.Lfunc_end511:
	.size	_ZN7rocprim17ROCPRIM_400000_NS6detail17trampoline_kernelINS0_14default_configENS1_27upper_bound_config_selectorIflEEZNS1_14transform_implILb0ES3_S5_N6thrust23THRUST_200600_302600_NS6detail15normal_iteratorINS8_7pointerIfNS8_11hip_rocprim16par_det_nosync_tENS8_11use_defaultESE_EEEENSA_INSB_IlSD_SE_SE_EEEEZNS1_13binary_searchIS3_S5_NSA_INS8_10device_ptrIfEEEESG_SI_NS1_21upper_bound_search_opENS9_16wrapped_functionINS8_6system6detail7generic6detail18binary_search_lessEbEEEE10hipError_tPvRmT1_T2_T3_mmT4_T5_P12ihipStream_tbEUlRKfE_EESV_SZ_S10_mS11_S14_bEUlT_E_NS1_11comp_targetILNS1_3genE4ELNS1_11target_archE910ELNS1_3gpuE8ELNS1_3repE0EEENS1_30default_config_static_selectorELNS0_4arch9wavefront6targetE0EEEvSY_, .Lfunc_end511-_ZN7rocprim17ROCPRIM_400000_NS6detail17trampoline_kernelINS0_14default_configENS1_27upper_bound_config_selectorIflEEZNS1_14transform_implILb0ES3_S5_N6thrust23THRUST_200600_302600_NS6detail15normal_iteratorINS8_7pointerIfNS8_11hip_rocprim16par_det_nosync_tENS8_11use_defaultESE_EEEENSA_INSB_IlSD_SE_SE_EEEEZNS1_13binary_searchIS3_S5_NSA_INS8_10device_ptrIfEEEESG_SI_NS1_21upper_bound_search_opENS9_16wrapped_functionINS8_6system6detail7generic6detail18binary_search_lessEbEEEE10hipError_tPvRmT1_T2_T3_mmT4_T5_P12ihipStream_tbEUlRKfE_EESV_SZ_S10_mS11_S14_bEUlT_E_NS1_11comp_targetILNS1_3genE4ELNS1_11target_archE910ELNS1_3gpuE8ELNS1_3repE0EEENS1_30default_config_static_selectorELNS0_4arch9wavefront6targetE0EEEvSY_
                                        ; -- End function
	.set _ZN7rocprim17ROCPRIM_400000_NS6detail17trampoline_kernelINS0_14default_configENS1_27upper_bound_config_selectorIflEEZNS1_14transform_implILb0ES3_S5_N6thrust23THRUST_200600_302600_NS6detail15normal_iteratorINS8_7pointerIfNS8_11hip_rocprim16par_det_nosync_tENS8_11use_defaultESE_EEEENSA_INSB_IlSD_SE_SE_EEEEZNS1_13binary_searchIS3_S5_NSA_INS8_10device_ptrIfEEEESG_SI_NS1_21upper_bound_search_opENS9_16wrapped_functionINS8_6system6detail7generic6detail18binary_search_lessEbEEEE10hipError_tPvRmT1_T2_T3_mmT4_T5_P12ihipStream_tbEUlRKfE_EESV_SZ_S10_mS11_S14_bEUlT_E_NS1_11comp_targetILNS1_3genE4ELNS1_11target_archE910ELNS1_3gpuE8ELNS1_3repE0EEENS1_30default_config_static_selectorELNS0_4arch9wavefront6targetE0EEEvSY_.num_vgpr, 0
	.set _ZN7rocprim17ROCPRIM_400000_NS6detail17trampoline_kernelINS0_14default_configENS1_27upper_bound_config_selectorIflEEZNS1_14transform_implILb0ES3_S5_N6thrust23THRUST_200600_302600_NS6detail15normal_iteratorINS8_7pointerIfNS8_11hip_rocprim16par_det_nosync_tENS8_11use_defaultESE_EEEENSA_INSB_IlSD_SE_SE_EEEEZNS1_13binary_searchIS3_S5_NSA_INS8_10device_ptrIfEEEESG_SI_NS1_21upper_bound_search_opENS9_16wrapped_functionINS8_6system6detail7generic6detail18binary_search_lessEbEEEE10hipError_tPvRmT1_T2_T3_mmT4_T5_P12ihipStream_tbEUlRKfE_EESV_SZ_S10_mS11_S14_bEUlT_E_NS1_11comp_targetILNS1_3genE4ELNS1_11target_archE910ELNS1_3gpuE8ELNS1_3repE0EEENS1_30default_config_static_selectorELNS0_4arch9wavefront6targetE0EEEvSY_.num_agpr, 0
	.set _ZN7rocprim17ROCPRIM_400000_NS6detail17trampoline_kernelINS0_14default_configENS1_27upper_bound_config_selectorIflEEZNS1_14transform_implILb0ES3_S5_N6thrust23THRUST_200600_302600_NS6detail15normal_iteratorINS8_7pointerIfNS8_11hip_rocprim16par_det_nosync_tENS8_11use_defaultESE_EEEENSA_INSB_IlSD_SE_SE_EEEEZNS1_13binary_searchIS3_S5_NSA_INS8_10device_ptrIfEEEESG_SI_NS1_21upper_bound_search_opENS9_16wrapped_functionINS8_6system6detail7generic6detail18binary_search_lessEbEEEE10hipError_tPvRmT1_T2_T3_mmT4_T5_P12ihipStream_tbEUlRKfE_EESV_SZ_S10_mS11_S14_bEUlT_E_NS1_11comp_targetILNS1_3genE4ELNS1_11target_archE910ELNS1_3gpuE8ELNS1_3repE0EEENS1_30default_config_static_selectorELNS0_4arch9wavefront6targetE0EEEvSY_.numbered_sgpr, 0
	.set _ZN7rocprim17ROCPRIM_400000_NS6detail17trampoline_kernelINS0_14default_configENS1_27upper_bound_config_selectorIflEEZNS1_14transform_implILb0ES3_S5_N6thrust23THRUST_200600_302600_NS6detail15normal_iteratorINS8_7pointerIfNS8_11hip_rocprim16par_det_nosync_tENS8_11use_defaultESE_EEEENSA_INSB_IlSD_SE_SE_EEEEZNS1_13binary_searchIS3_S5_NSA_INS8_10device_ptrIfEEEESG_SI_NS1_21upper_bound_search_opENS9_16wrapped_functionINS8_6system6detail7generic6detail18binary_search_lessEbEEEE10hipError_tPvRmT1_T2_T3_mmT4_T5_P12ihipStream_tbEUlRKfE_EESV_SZ_S10_mS11_S14_bEUlT_E_NS1_11comp_targetILNS1_3genE4ELNS1_11target_archE910ELNS1_3gpuE8ELNS1_3repE0EEENS1_30default_config_static_selectorELNS0_4arch9wavefront6targetE0EEEvSY_.num_named_barrier, 0
	.set _ZN7rocprim17ROCPRIM_400000_NS6detail17trampoline_kernelINS0_14default_configENS1_27upper_bound_config_selectorIflEEZNS1_14transform_implILb0ES3_S5_N6thrust23THRUST_200600_302600_NS6detail15normal_iteratorINS8_7pointerIfNS8_11hip_rocprim16par_det_nosync_tENS8_11use_defaultESE_EEEENSA_INSB_IlSD_SE_SE_EEEEZNS1_13binary_searchIS3_S5_NSA_INS8_10device_ptrIfEEEESG_SI_NS1_21upper_bound_search_opENS9_16wrapped_functionINS8_6system6detail7generic6detail18binary_search_lessEbEEEE10hipError_tPvRmT1_T2_T3_mmT4_T5_P12ihipStream_tbEUlRKfE_EESV_SZ_S10_mS11_S14_bEUlT_E_NS1_11comp_targetILNS1_3genE4ELNS1_11target_archE910ELNS1_3gpuE8ELNS1_3repE0EEENS1_30default_config_static_selectorELNS0_4arch9wavefront6targetE0EEEvSY_.private_seg_size, 0
	.set _ZN7rocprim17ROCPRIM_400000_NS6detail17trampoline_kernelINS0_14default_configENS1_27upper_bound_config_selectorIflEEZNS1_14transform_implILb0ES3_S5_N6thrust23THRUST_200600_302600_NS6detail15normal_iteratorINS8_7pointerIfNS8_11hip_rocprim16par_det_nosync_tENS8_11use_defaultESE_EEEENSA_INSB_IlSD_SE_SE_EEEEZNS1_13binary_searchIS3_S5_NSA_INS8_10device_ptrIfEEEESG_SI_NS1_21upper_bound_search_opENS9_16wrapped_functionINS8_6system6detail7generic6detail18binary_search_lessEbEEEE10hipError_tPvRmT1_T2_T3_mmT4_T5_P12ihipStream_tbEUlRKfE_EESV_SZ_S10_mS11_S14_bEUlT_E_NS1_11comp_targetILNS1_3genE4ELNS1_11target_archE910ELNS1_3gpuE8ELNS1_3repE0EEENS1_30default_config_static_selectorELNS0_4arch9wavefront6targetE0EEEvSY_.uses_vcc, 0
	.set _ZN7rocprim17ROCPRIM_400000_NS6detail17trampoline_kernelINS0_14default_configENS1_27upper_bound_config_selectorIflEEZNS1_14transform_implILb0ES3_S5_N6thrust23THRUST_200600_302600_NS6detail15normal_iteratorINS8_7pointerIfNS8_11hip_rocprim16par_det_nosync_tENS8_11use_defaultESE_EEEENSA_INSB_IlSD_SE_SE_EEEEZNS1_13binary_searchIS3_S5_NSA_INS8_10device_ptrIfEEEESG_SI_NS1_21upper_bound_search_opENS9_16wrapped_functionINS8_6system6detail7generic6detail18binary_search_lessEbEEEE10hipError_tPvRmT1_T2_T3_mmT4_T5_P12ihipStream_tbEUlRKfE_EESV_SZ_S10_mS11_S14_bEUlT_E_NS1_11comp_targetILNS1_3genE4ELNS1_11target_archE910ELNS1_3gpuE8ELNS1_3repE0EEENS1_30default_config_static_selectorELNS0_4arch9wavefront6targetE0EEEvSY_.uses_flat_scratch, 0
	.set _ZN7rocprim17ROCPRIM_400000_NS6detail17trampoline_kernelINS0_14default_configENS1_27upper_bound_config_selectorIflEEZNS1_14transform_implILb0ES3_S5_N6thrust23THRUST_200600_302600_NS6detail15normal_iteratorINS8_7pointerIfNS8_11hip_rocprim16par_det_nosync_tENS8_11use_defaultESE_EEEENSA_INSB_IlSD_SE_SE_EEEEZNS1_13binary_searchIS3_S5_NSA_INS8_10device_ptrIfEEEESG_SI_NS1_21upper_bound_search_opENS9_16wrapped_functionINS8_6system6detail7generic6detail18binary_search_lessEbEEEE10hipError_tPvRmT1_T2_T3_mmT4_T5_P12ihipStream_tbEUlRKfE_EESV_SZ_S10_mS11_S14_bEUlT_E_NS1_11comp_targetILNS1_3genE4ELNS1_11target_archE910ELNS1_3gpuE8ELNS1_3repE0EEENS1_30default_config_static_selectorELNS0_4arch9wavefront6targetE0EEEvSY_.has_dyn_sized_stack, 0
	.set _ZN7rocprim17ROCPRIM_400000_NS6detail17trampoline_kernelINS0_14default_configENS1_27upper_bound_config_selectorIflEEZNS1_14transform_implILb0ES3_S5_N6thrust23THRUST_200600_302600_NS6detail15normal_iteratorINS8_7pointerIfNS8_11hip_rocprim16par_det_nosync_tENS8_11use_defaultESE_EEEENSA_INSB_IlSD_SE_SE_EEEEZNS1_13binary_searchIS3_S5_NSA_INS8_10device_ptrIfEEEESG_SI_NS1_21upper_bound_search_opENS9_16wrapped_functionINS8_6system6detail7generic6detail18binary_search_lessEbEEEE10hipError_tPvRmT1_T2_T3_mmT4_T5_P12ihipStream_tbEUlRKfE_EESV_SZ_S10_mS11_S14_bEUlT_E_NS1_11comp_targetILNS1_3genE4ELNS1_11target_archE910ELNS1_3gpuE8ELNS1_3repE0EEENS1_30default_config_static_selectorELNS0_4arch9wavefront6targetE0EEEvSY_.has_recursion, 0
	.set _ZN7rocprim17ROCPRIM_400000_NS6detail17trampoline_kernelINS0_14default_configENS1_27upper_bound_config_selectorIflEEZNS1_14transform_implILb0ES3_S5_N6thrust23THRUST_200600_302600_NS6detail15normal_iteratorINS8_7pointerIfNS8_11hip_rocprim16par_det_nosync_tENS8_11use_defaultESE_EEEENSA_INSB_IlSD_SE_SE_EEEEZNS1_13binary_searchIS3_S5_NSA_INS8_10device_ptrIfEEEESG_SI_NS1_21upper_bound_search_opENS9_16wrapped_functionINS8_6system6detail7generic6detail18binary_search_lessEbEEEE10hipError_tPvRmT1_T2_T3_mmT4_T5_P12ihipStream_tbEUlRKfE_EESV_SZ_S10_mS11_S14_bEUlT_E_NS1_11comp_targetILNS1_3genE4ELNS1_11target_archE910ELNS1_3gpuE8ELNS1_3repE0EEENS1_30default_config_static_selectorELNS0_4arch9wavefront6targetE0EEEvSY_.has_indirect_call, 0
	.section	.AMDGPU.csdata,"",@progbits
; Kernel info:
; codeLenInByte = 0
; TotalNumSgprs: 0
; NumVgprs: 0
; ScratchSize: 0
; MemoryBound: 0
; FloatMode: 240
; IeeeMode: 1
; LDSByteSize: 0 bytes/workgroup (compile time only)
; SGPRBlocks: 0
; VGPRBlocks: 0
; NumSGPRsForWavesPerEU: 1
; NumVGPRsForWavesPerEU: 1
; Occupancy: 16
; WaveLimiterHint : 0
; COMPUTE_PGM_RSRC2:SCRATCH_EN: 0
; COMPUTE_PGM_RSRC2:USER_SGPR: 6
; COMPUTE_PGM_RSRC2:TRAP_HANDLER: 0
; COMPUTE_PGM_RSRC2:TGID_X_EN: 1
; COMPUTE_PGM_RSRC2:TGID_Y_EN: 0
; COMPUTE_PGM_RSRC2:TGID_Z_EN: 0
; COMPUTE_PGM_RSRC2:TIDIG_COMP_CNT: 0
	.section	.text._ZN7rocprim17ROCPRIM_400000_NS6detail17trampoline_kernelINS0_14default_configENS1_27upper_bound_config_selectorIflEEZNS1_14transform_implILb0ES3_S5_N6thrust23THRUST_200600_302600_NS6detail15normal_iteratorINS8_7pointerIfNS8_11hip_rocprim16par_det_nosync_tENS8_11use_defaultESE_EEEENSA_INSB_IlSD_SE_SE_EEEEZNS1_13binary_searchIS3_S5_NSA_INS8_10device_ptrIfEEEESG_SI_NS1_21upper_bound_search_opENS9_16wrapped_functionINS8_6system6detail7generic6detail18binary_search_lessEbEEEE10hipError_tPvRmT1_T2_T3_mmT4_T5_P12ihipStream_tbEUlRKfE_EESV_SZ_S10_mS11_S14_bEUlT_E_NS1_11comp_targetILNS1_3genE3ELNS1_11target_archE908ELNS1_3gpuE7ELNS1_3repE0EEENS1_30default_config_static_selectorELNS0_4arch9wavefront6targetE0EEEvSY_,"axG",@progbits,_ZN7rocprim17ROCPRIM_400000_NS6detail17trampoline_kernelINS0_14default_configENS1_27upper_bound_config_selectorIflEEZNS1_14transform_implILb0ES3_S5_N6thrust23THRUST_200600_302600_NS6detail15normal_iteratorINS8_7pointerIfNS8_11hip_rocprim16par_det_nosync_tENS8_11use_defaultESE_EEEENSA_INSB_IlSD_SE_SE_EEEEZNS1_13binary_searchIS3_S5_NSA_INS8_10device_ptrIfEEEESG_SI_NS1_21upper_bound_search_opENS9_16wrapped_functionINS8_6system6detail7generic6detail18binary_search_lessEbEEEE10hipError_tPvRmT1_T2_T3_mmT4_T5_P12ihipStream_tbEUlRKfE_EESV_SZ_S10_mS11_S14_bEUlT_E_NS1_11comp_targetILNS1_3genE3ELNS1_11target_archE908ELNS1_3gpuE7ELNS1_3repE0EEENS1_30default_config_static_selectorELNS0_4arch9wavefront6targetE0EEEvSY_,comdat
	.protected	_ZN7rocprim17ROCPRIM_400000_NS6detail17trampoline_kernelINS0_14default_configENS1_27upper_bound_config_selectorIflEEZNS1_14transform_implILb0ES3_S5_N6thrust23THRUST_200600_302600_NS6detail15normal_iteratorINS8_7pointerIfNS8_11hip_rocprim16par_det_nosync_tENS8_11use_defaultESE_EEEENSA_INSB_IlSD_SE_SE_EEEEZNS1_13binary_searchIS3_S5_NSA_INS8_10device_ptrIfEEEESG_SI_NS1_21upper_bound_search_opENS9_16wrapped_functionINS8_6system6detail7generic6detail18binary_search_lessEbEEEE10hipError_tPvRmT1_T2_T3_mmT4_T5_P12ihipStream_tbEUlRKfE_EESV_SZ_S10_mS11_S14_bEUlT_E_NS1_11comp_targetILNS1_3genE3ELNS1_11target_archE908ELNS1_3gpuE7ELNS1_3repE0EEENS1_30default_config_static_selectorELNS0_4arch9wavefront6targetE0EEEvSY_ ; -- Begin function _ZN7rocprim17ROCPRIM_400000_NS6detail17trampoline_kernelINS0_14default_configENS1_27upper_bound_config_selectorIflEEZNS1_14transform_implILb0ES3_S5_N6thrust23THRUST_200600_302600_NS6detail15normal_iteratorINS8_7pointerIfNS8_11hip_rocprim16par_det_nosync_tENS8_11use_defaultESE_EEEENSA_INSB_IlSD_SE_SE_EEEEZNS1_13binary_searchIS3_S5_NSA_INS8_10device_ptrIfEEEESG_SI_NS1_21upper_bound_search_opENS9_16wrapped_functionINS8_6system6detail7generic6detail18binary_search_lessEbEEEE10hipError_tPvRmT1_T2_T3_mmT4_T5_P12ihipStream_tbEUlRKfE_EESV_SZ_S10_mS11_S14_bEUlT_E_NS1_11comp_targetILNS1_3genE3ELNS1_11target_archE908ELNS1_3gpuE7ELNS1_3repE0EEENS1_30default_config_static_selectorELNS0_4arch9wavefront6targetE0EEEvSY_
	.globl	_ZN7rocprim17ROCPRIM_400000_NS6detail17trampoline_kernelINS0_14default_configENS1_27upper_bound_config_selectorIflEEZNS1_14transform_implILb0ES3_S5_N6thrust23THRUST_200600_302600_NS6detail15normal_iteratorINS8_7pointerIfNS8_11hip_rocprim16par_det_nosync_tENS8_11use_defaultESE_EEEENSA_INSB_IlSD_SE_SE_EEEEZNS1_13binary_searchIS3_S5_NSA_INS8_10device_ptrIfEEEESG_SI_NS1_21upper_bound_search_opENS9_16wrapped_functionINS8_6system6detail7generic6detail18binary_search_lessEbEEEE10hipError_tPvRmT1_T2_T3_mmT4_T5_P12ihipStream_tbEUlRKfE_EESV_SZ_S10_mS11_S14_bEUlT_E_NS1_11comp_targetILNS1_3genE3ELNS1_11target_archE908ELNS1_3gpuE7ELNS1_3repE0EEENS1_30default_config_static_selectorELNS0_4arch9wavefront6targetE0EEEvSY_
	.p2align	8
	.type	_ZN7rocprim17ROCPRIM_400000_NS6detail17trampoline_kernelINS0_14default_configENS1_27upper_bound_config_selectorIflEEZNS1_14transform_implILb0ES3_S5_N6thrust23THRUST_200600_302600_NS6detail15normal_iteratorINS8_7pointerIfNS8_11hip_rocprim16par_det_nosync_tENS8_11use_defaultESE_EEEENSA_INSB_IlSD_SE_SE_EEEEZNS1_13binary_searchIS3_S5_NSA_INS8_10device_ptrIfEEEESG_SI_NS1_21upper_bound_search_opENS9_16wrapped_functionINS8_6system6detail7generic6detail18binary_search_lessEbEEEE10hipError_tPvRmT1_T2_T3_mmT4_T5_P12ihipStream_tbEUlRKfE_EESV_SZ_S10_mS11_S14_bEUlT_E_NS1_11comp_targetILNS1_3genE3ELNS1_11target_archE908ELNS1_3gpuE7ELNS1_3repE0EEENS1_30default_config_static_selectorELNS0_4arch9wavefront6targetE0EEEvSY_,@function
_ZN7rocprim17ROCPRIM_400000_NS6detail17trampoline_kernelINS0_14default_configENS1_27upper_bound_config_selectorIflEEZNS1_14transform_implILb0ES3_S5_N6thrust23THRUST_200600_302600_NS6detail15normal_iteratorINS8_7pointerIfNS8_11hip_rocprim16par_det_nosync_tENS8_11use_defaultESE_EEEENSA_INSB_IlSD_SE_SE_EEEEZNS1_13binary_searchIS3_S5_NSA_INS8_10device_ptrIfEEEESG_SI_NS1_21upper_bound_search_opENS9_16wrapped_functionINS8_6system6detail7generic6detail18binary_search_lessEbEEEE10hipError_tPvRmT1_T2_T3_mmT4_T5_P12ihipStream_tbEUlRKfE_EESV_SZ_S10_mS11_S14_bEUlT_E_NS1_11comp_targetILNS1_3genE3ELNS1_11target_archE908ELNS1_3gpuE7ELNS1_3repE0EEENS1_30default_config_static_selectorELNS0_4arch9wavefront6targetE0EEEvSY_: ; @_ZN7rocprim17ROCPRIM_400000_NS6detail17trampoline_kernelINS0_14default_configENS1_27upper_bound_config_selectorIflEEZNS1_14transform_implILb0ES3_S5_N6thrust23THRUST_200600_302600_NS6detail15normal_iteratorINS8_7pointerIfNS8_11hip_rocprim16par_det_nosync_tENS8_11use_defaultESE_EEEENSA_INSB_IlSD_SE_SE_EEEEZNS1_13binary_searchIS3_S5_NSA_INS8_10device_ptrIfEEEESG_SI_NS1_21upper_bound_search_opENS9_16wrapped_functionINS8_6system6detail7generic6detail18binary_search_lessEbEEEE10hipError_tPvRmT1_T2_T3_mmT4_T5_P12ihipStream_tbEUlRKfE_EESV_SZ_S10_mS11_S14_bEUlT_E_NS1_11comp_targetILNS1_3genE3ELNS1_11target_archE908ELNS1_3gpuE7ELNS1_3repE0EEENS1_30default_config_static_selectorELNS0_4arch9wavefront6targetE0EEEvSY_
; %bb.0:
	.section	.rodata,"a",@progbits
	.p2align	6, 0x0
	.amdhsa_kernel _ZN7rocprim17ROCPRIM_400000_NS6detail17trampoline_kernelINS0_14default_configENS1_27upper_bound_config_selectorIflEEZNS1_14transform_implILb0ES3_S5_N6thrust23THRUST_200600_302600_NS6detail15normal_iteratorINS8_7pointerIfNS8_11hip_rocprim16par_det_nosync_tENS8_11use_defaultESE_EEEENSA_INSB_IlSD_SE_SE_EEEEZNS1_13binary_searchIS3_S5_NSA_INS8_10device_ptrIfEEEESG_SI_NS1_21upper_bound_search_opENS9_16wrapped_functionINS8_6system6detail7generic6detail18binary_search_lessEbEEEE10hipError_tPvRmT1_T2_T3_mmT4_T5_P12ihipStream_tbEUlRKfE_EESV_SZ_S10_mS11_S14_bEUlT_E_NS1_11comp_targetILNS1_3genE3ELNS1_11target_archE908ELNS1_3gpuE7ELNS1_3repE0EEENS1_30default_config_static_selectorELNS0_4arch9wavefront6targetE0EEEvSY_
		.amdhsa_group_segment_fixed_size 0
		.amdhsa_private_segment_fixed_size 0
		.amdhsa_kernarg_size 56
		.amdhsa_user_sgpr_count 6
		.amdhsa_user_sgpr_private_segment_buffer 1
		.amdhsa_user_sgpr_dispatch_ptr 0
		.amdhsa_user_sgpr_queue_ptr 0
		.amdhsa_user_sgpr_kernarg_segment_ptr 1
		.amdhsa_user_sgpr_dispatch_id 0
		.amdhsa_user_sgpr_flat_scratch_init 0
		.amdhsa_user_sgpr_private_segment_size 0
		.amdhsa_wavefront_size32 1
		.amdhsa_uses_dynamic_stack 0
		.amdhsa_system_sgpr_private_segment_wavefront_offset 0
		.amdhsa_system_sgpr_workgroup_id_x 1
		.amdhsa_system_sgpr_workgroup_id_y 0
		.amdhsa_system_sgpr_workgroup_id_z 0
		.amdhsa_system_sgpr_workgroup_info 0
		.amdhsa_system_vgpr_workitem_id 0
		.amdhsa_next_free_vgpr 1
		.amdhsa_next_free_sgpr 1
		.amdhsa_reserve_vcc 0
		.amdhsa_reserve_flat_scratch 0
		.amdhsa_float_round_mode_32 0
		.amdhsa_float_round_mode_16_64 0
		.amdhsa_float_denorm_mode_32 3
		.amdhsa_float_denorm_mode_16_64 3
		.amdhsa_dx10_clamp 1
		.amdhsa_ieee_mode 1
		.amdhsa_fp16_overflow 0
		.amdhsa_workgroup_processor_mode 1
		.amdhsa_memory_ordered 1
		.amdhsa_forward_progress 1
		.amdhsa_shared_vgpr_count 0
		.amdhsa_exception_fp_ieee_invalid_op 0
		.amdhsa_exception_fp_denorm_src 0
		.amdhsa_exception_fp_ieee_div_zero 0
		.amdhsa_exception_fp_ieee_overflow 0
		.amdhsa_exception_fp_ieee_underflow 0
		.amdhsa_exception_fp_ieee_inexact 0
		.amdhsa_exception_int_div_zero 0
	.end_amdhsa_kernel
	.section	.text._ZN7rocprim17ROCPRIM_400000_NS6detail17trampoline_kernelINS0_14default_configENS1_27upper_bound_config_selectorIflEEZNS1_14transform_implILb0ES3_S5_N6thrust23THRUST_200600_302600_NS6detail15normal_iteratorINS8_7pointerIfNS8_11hip_rocprim16par_det_nosync_tENS8_11use_defaultESE_EEEENSA_INSB_IlSD_SE_SE_EEEEZNS1_13binary_searchIS3_S5_NSA_INS8_10device_ptrIfEEEESG_SI_NS1_21upper_bound_search_opENS9_16wrapped_functionINS8_6system6detail7generic6detail18binary_search_lessEbEEEE10hipError_tPvRmT1_T2_T3_mmT4_T5_P12ihipStream_tbEUlRKfE_EESV_SZ_S10_mS11_S14_bEUlT_E_NS1_11comp_targetILNS1_3genE3ELNS1_11target_archE908ELNS1_3gpuE7ELNS1_3repE0EEENS1_30default_config_static_selectorELNS0_4arch9wavefront6targetE0EEEvSY_,"axG",@progbits,_ZN7rocprim17ROCPRIM_400000_NS6detail17trampoline_kernelINS0_14default_configENS1_27upper_bound_config_selectorIflEEZNS1_14transform_implILb0ES3_S5_N6thrust23THRUST_200600_302600_NS6detail15normal_iteratorINS8_7pointerIfNS8_11hip_rocprim16par_det_nosync_tENS8_11use_defaultESE_EEEENSA_INSB_IlSD_SE_SE_EEEEZNS1_13binary_searchIS3_S5_NSA_INS8_10device_ptrIfEEEESG_SI_NS1_21upper_bound_search_opENS9_16wrapped_functionINS8_6system6detail7generic6detail18binary_search_lessEbEEEE10hipError_tPvRmT1_T2_T3_mmT4_T5_P12ihipStream_tbEUlRKfE_EESV_SZ_S10_mS11_S14_bEUlT_E_NS1_11comp_targetILNS1_3genE3ELNS1_11target_archE908ELNS1_3gpuE7ELNS1_3repE0EEENS1_30default_config_static_selectorELNS0_4arch9wavefront6targetE0EEEvSY_,comdat
.Lfunc_end512:
	.size	_ZN7rocprim17ROCPRIM_400000_NS6detail17trampoline_kernelINS0_14default_configENS1_27upper_bound_config_selectorIflEEZNS1_14transform_implILb0ES3_S5_N6thrust23THRUST_200600_302600_NS6detail15normal_iteratorINS8_7pointerIfNS8_11hip_rocprim16par_det_nosync_tENS8_11use_defaultESE_EEEENSA_INSB_IlSD_SE_SE_EEEEZNS1_13binary_searchIS3_S5_NSA_INS8_10device_ptrIfEEEESG_SI_NS1_21upper_bound_search_opENS9_16wrapped_functionINS8_6system6detail7generic6detail18binary_search_lessEbEEEE10hipError_tPvRmT1_T2_T3_mmT4_T5_P12ihipStream_tbEUlRKfE_EESV_SZ_S10_mS11_S14_bEUlT_E_NS1_11comp_targetILNS1_3genE3ELNS1_11target_archE908ELNS1_3gpuE7ELNS1_3repE0EEENS1_30default_config_static_selectorELNS0_4arch9wavefront6targetE0EEEvSY_, .Lfunc_end512-_ZN7rocprim17ROCPRIM_400000_NS6detail17trampoline_kernelINS0_14default_configENS1_27upper_bound_config_selectorIflEEZNS1_14transform_implILb0ES3_S5_N6thrust23THRUST_200600_302600_NS6detail15normal_iteratorINS8_7pointerIfNS8_11hip_rocprim16par_det_nosync_tENS8_11use_defaultESE_EEEENSA_INSB_IlSD_SE_SE_EEEEZNS1_13binary_searchIS3_S5_NSA_INS8_10device_ptrIfEEEESG_SI_NS1_21upper_bound_search_opENS9_16wrapped_functionINS8_6system6detail7generic6detail18binary_search_lessEbEEEE10hipError_tPvRmT1_T2_T3_mmT4_T5_P12ihipStream_tbEUlRKfE_EESV_SZ_S10_mS11_S14_bEUlT_E_NS1_11comp_targetILNS1_3genE3ELNS1_11target_archE908ELNS1_3gpuE7ELNS1_3repE0EEENS1_30default_config_static_selectorELNS0_4arch9wavefront6targetE0EEEvSY_
                                        ; -- End function
	.set _ZN7rocprim17ROCPRIM_400000_NS6detail17trampoline_kernelINS0_14default_configENS1_27upper_bound_config_selectorIflEEZNS1_14transform_implILb0ES3_S5_N6thrust23THRUST_200600_302600_NS6detail15normal_iteratorINS8_7pointerIfNS8_11hip_rocprim16par_det_nosync_tENS8_11use_defaultESE_EEEENSA_INSB_IlSD_SE_SE_EEEEZNS1_13binary_searchIS3_S5_NSA_INS8_10device_ptrIfEEEESG_SI_NS1_21upper_bound_search_opENS9_16wrapped_functionINS8_6system6detail7generic6detail18binary_search_lessEbEEEE10hipError_tPvRmT1_T2_T3_mmT4_T5_P12ihipStream_tbEUlRKfE_EESV_SZ_S10_mS11_S14_bEUlT_E_NS1_11comp_targetILNS1_3genE3ELNS1_11target_archE908ELNS1_3gpuE7ELNS1_3repE0EEENS1_30default_config_static_selectorELNS0_4arch9wavefront6targetE0EEEvSY_.num_vgpr, 0
	.set _ZN7rocprim17ROCPRIM_400000_NS6detail17trampoline_kernelINS0_14default_configENS1_27upper_bound_config_selectorIflEEZNS1_14transform_implILb0ES3_S5_N6thrust23THRUST_200600_302600_NS6detail15normal_iteratorINS8_7pointerIfNS8_11hip_rocprim16par_det_nosync_tENS8_11use_defaultESE_EEEENSA_INSB_IlSD_SE_SE_EEEEZNS1_13binary_searchIS3_S5_NSA_INS8_10device_ptrIfEEEESG_SI_NS1_21upper_bound_search_opENS9_16wrapped_functionINS8_6system6detail7generic6detail18binary_search_lessEbEEEE10hipError_tPvRmT1_T2_T3_mmT4_T5_P12ihipStream_tbEUlRKfE_EESV_SZ_S10_mS11_S14_bEUlT_E_NS1_11comp_targetILNS1_3genE3ELNS1_11target_archE908ELNS1_3gpuE7ELNS1_3repE0EEENS1_30default_config_static_selectorELNS0_4arch9wavefront6targetE0EEEvSY_.num_agpr, 0
	.set _ZN7rocprim17ROCPRIM_400000_NS6detail17trampoline_kernelINS0_14default_configENS1_27upper_bound_config_selectorIflEEZNS1_14transform_implILb0ES3_S5_N6thrust23THRUST_200600_302600_NS6detail15normal_iteratorINS8_7pointerIfNS8_11hip_rocprim16par_det_nosync_tENS8_11use_defaultESE_EEEENSA_INSB_IlSD_SE_SE_EEEEZNS1_13binary_searchIS3_S5_NSA_INS8_10device_ptrIfEEEESG_SI_NS1_21upper_bound_search_opENS9_16wrapped_functionINS8_6system6detail7generic6detail18binary_search_lessEbEEEE10hipError_tPvRmT1_T2_T3_mmT4_T5_P12ihipStream_tbEUlRKfE_EESV_SZ_S10_mS11_S14_bEUlT_E_NS1_11comp_targetILNS1_3genE3ELNS1_11target_archE908ELNS1_3gpuE7ELNS1_3repE0EEENS1_30default_config_static_selectorELNS0_4arch9wavefront6targetE0EEEvSY_.numbered_sgpr, 0
	.set _ZN7rocprim17ROCPRIM_400000_NS6detail17trampoline_kernelINS0_14default_configENS1_27upper_bound_config_selectorIflEEZNS1_14transform_implILb0ES3_S5_N6thrust23THRUST_200600_302600_NS6detail15normal_iteratorINS8_7pointerIfNS8_11hip_rocprim16par_det_nosync_tENS8_11use_defaultESE_EEEENSA_INSB_IlSD_SE_SE_EEEEZNS1_13binary_searchIS3_S5_NSA_INS8_10device_ptrIfEEEESG_SI_NS1_21upper_bound_search_opENS9_16wrapped_functionINS8_6system6detail7generic6detail18binary_search_lessEbEEEE10hipError_tPvRmT1_T2_T3_mmT4_T5_P12ihipStream_tbEUlRKfE_EESV_SZ_S10_mS11_S14_bEUlT_E_NS1_11comp_targetILNS1_3genE3ELNS1_11target_archE908ELNS1_3gpuE7ELNS1_3repE0EEENS1_30default_config_static_selectorELNS0_4arch9wavefront6targetE0EEEvSY_.num_named_barrier, 0
	.set _ZN7rocprim17ROCPRIM_400000_NS6detail17trampoline_kernelINS0_14default_configENS1_27upper_bound_config_selectorIflEEZNS1_14transform_implILb0ES3_S5_N6thrust23THRUST_200600_302600_NS6detail15normal_iteratorINS8_7pointerIfNS8_11hip_rocprim16par_det_nosync_tENS8_11use_defaultESE_EEEENSA_INSB_IlSD_SE_SE_EEEEZNS1_13binary_searchIS3_S5_NSA_INS8_10device_ptrIfEEEESG_SI_NS1_21upper_bound_search_opENS9_16wrapped_functionINS8_6system6detail7generic6detail18binary_search_lessEbEEEE10hipError_tPvRmT1_T2_T3_mmT4_T5_P12ihipStream_tbEUlRKfE_EESV_SZ_S10_mS11_S14_bEUlT_E_NS1_11comp_targetILNS1_3genE3ELNS1_11target_archE908ELNS1_3gpuE7ELNS1_3repE0EEENS1_30default_config_static_selectorELNS0_4arch9wavefront6targetE0EEEvSY_.private_seg_size, 0
	.set _ZN7rocprim17ROCPRIM_400000_NS6detail17trampoline_kernelINS0_14default_configENS1_27upper_bound_config_selectorIflEEZNS1_14transform_implILb0ES3_S5_N6thrust23THRUST_200600_302600_NS6detail15normal_iteratorINS8_7pointerIfNS8_11hip_rocprim16par_det_nosync_tENS8_11use_defaultESE_EEEENSA_INSB_IlSD_SE_SE_EEEEZNS1_13binary_searchIS3_S5_NSA_INS8_10device_ptrIfEEEESG_SI_NS1_21upper_bound_search_opENS9_16wrapped_functionINS8_6system6detail7generic6detail18binary_search_lessEbEEEE10hipError_tPvRmT1_T2_T3_mmT4_T5_P12ihipStream_tbEUlRKfE_EESV_SZ_S10_mS11_S14_bEUlT_E_NS1_11comp_targetILNS1_3genE3ELNS1_11target_archE908ELNS1_3gpuE7ELNS1_3repE0EEENS1_30default_config_static_selectorELNS0_4arch9wavefront6targetE0EEEvSY_.uses_vcc, 0
	.set _ZN7rocprim17ROCPRIM_400000_NS6detail17trampoline_kernelINS0_14default_configENS1_27upper_bound_config_selectorIflEEZNS1_14transform_implILb0ES3_S5_N6thrust23THRUST_200600_302600_NS6detail15normal_iteratorINS8_7pointerIfNS8_11hip_rocprim16par_det_nosync_tENS8_11use_defaultESE_EEEENSA_INSB_IlSD_SE_SE_EEEEZNS1_13binary_searchIS3_S5_NSA_INS8_10device_ptrIfEEEESG_SI_NS1_21upper_bound_search_opENS9_16wrapped_functionINS8_6system6detail7generic6detail18binary_search_lessEbEEEE10hipError_tPvRmT1_T2_T3_mmT4_T5_P12ihipStream_tbEUlRKfE_EESV_SZ_S10_mS11_S14_bEUlT_E_NS1_11comp_targetILNS1_3genE3ELNS1_11target_archE908ELNS1_3gpuE7ELNS1_3repE0EEENS1_30default_config_static_selectorELNS0_4arch9wavefront6targetE0EEEvSY_.uses_flat_scratch, 0
	.set _ZN7rocprim17ROCPRIM_400000_NS6detail17trampoline_kernelINS0_14default_configENS1_27upper_bound_config_selectorIflEEZNS1_14transform_implILb0ES3_S5_N6thrust23THRUST_200600_302600_NS6detail15normal_iteratorINS8_7pointerIfNS8_11hip_rocprim16par_det_nosync_tENS8_11use_defaultESE_EEEENSA_INSB_IlSD_SE_SE_EEEEZNS1_13binary_searchIS3_S5_NSA_INS8_10device_ptrIfEEEESG_SI_NS1_21upper_bound_search_opENS9_16wrapped_functionINS8_6system6detail7generic6detail18binary_search_lessEbEEEE10hipError_tPvRmT1_T2_T3_mmT4_T5_P12ihipStream_tbEUlRKfE_EESV_SZ_S10_mS11_S14_bEUlT_E_NS1_11comp_targetILNS1_3genE3ELNS1_11target_archE908ELNS1_3gpuE7ELNS1_3repE0EEENS1_30default_config_static_selectorELNS0_4arch9wavefront6targetE0EEEvSY_.has_dyn_sized_stack, 0
	.set _ZN7rocprim17ROCPRIM_400000_NS6detail17trampoline_kernelINS0_14default_configENS1_27upper_bound_config_selectorIflEEZNS1_14transform_implILb0ES3_S5_N6thrust23THRUST_200600_302600_NS6detail15normal_iteratorINS8_7pointerIfNS8_11hip_rocprim16par_det_nosync_tENS8_11use_defaultESE_EEEENSA_INSB_IlSD_SE_SE_EEEEZNS1_13binary_searchIS3_S5_NSA_INS8_10device_ptrIfEEEESG_SI_NS1_21upper_bound_search_opENS9_16wrapped_functionINS8_6system6detail7generic6detail18binary_search_lessEbEEEE10hipError_tPvRmT1_T2_T3_mmT4_T5_P12ihipStream_tbEUlRKfE_EESV_SZ_S10_mS11_S14_bEUlT_E_NS1_11comp_targetILNS1_3genE3ELNS1_11target_archE908ELNS1_3gpuE7ELNS1_3repE0EEENS1_30default_config_static_selectorELNS0_4arch9wavefront6targetE0EEEvSY_.has_recursion, 0
	.set _ZN7rocprim17ROCPRIM_400000_NS6detail17trampoline_kernelINS0_14default_configENS1_27upper_bound_config_selectorIflEEZNS1_14transform_implILb0ES3_S5_N6thrust23THRUST_200600_302600_NS6detail15normal_iteratorINS8_7pointerIfNS8_11hip_rocprim16par_det_nosync_tENS8_11use_defaultESE_EEEENSA_INSB_IlSD_SE_SE_EEEEZNS1_13binary_searchIS3_S5_NSA_INS8_10device_ptrIfEEEESG_SI_NS1_21upper_bound_search_opENS9_16wrapped_functionINS8_6system6detail7generic6detail18binary_search_lessEbEEEE10hipError_tPvRmT1_T2_T3_mmT4_T5_P12ihipStream_tbEUlRKfE_EESV_SZ_S10_mS11_S14_bEUlT_E_NS1_11comp_targetILNS1_3genE3ELNS1_11target_archE908ELNS1_3gpuE7ELNS1_3repE0EEENS1_30default_config_static_selectorELNS0_4arch9wavefront6targetE0EEEvSY_.has_indirect_call, 0
	.section	.AMDGPU.csdata,"",@progbits
; Kernel info:
; codeLenInByte = 0
; TotalNumSgprs: 0
; NumVgprs: 0
; ScratchSize: 0
; MemoryBound: 0
; FloatMode: 240
; IeeeMode: 1
; LDSByteSize: 0 bytes/workgroup (compile time only)
; SGPRBlocks: 0
; VGPRBlocks: 0
; NumSGPRsForWavesPerEU: 1
; NumVGPRsForWavesPerEU: 1
; Occupancy: 16
; WaveLimiterHint : 0
; COMPUTE_PGM_RSRC2:SCRATCH_EN: 0
; COMPUTE_PGM_RSRC2:USER_SGPR: 6
; COMPUTE_PGM_RSRC2:TRAP_HANDLER: 0
; COMPUTE_PGM_RSRC2:TGID_X_EN: 1
; COMPUTE_PGM_RSRC2:TGID_Y_EN: 0
; COMPUTE_PGM_RSRC2:TGID_Z_EN: 0
; COMPUTE_PGM_RSRC2:TIDIG_COMP_CNT: 0
	.section	.text._ZN7rocprim17ROCPRIM_400000_NS6detail17trampoline_kernelINS0_14default_configENS1_27upper_bound_config_selectorIflEEZNS1_14transform_implILb0ES3_S5_N6thrust23THRUST_200600_302600_NS6detail15normal_iteratorINS8_7pointerIfNS8_11hip_rocprim16par_det_nosync_tENS8_11use_defaultESE_EEEENSA_INSB_IlSD_SE_SE_EEEEZNS1_13binary_searchIS3_S5_NSA_INS8_10device_ptrIfEEEESG_SI_NS1_21upper_bound_search_opENS9_16wrapped_functionINS8_6system6detail7generic6detail18binary_search_lessEbEEEE10hipError_tPvRmT1_T2_T3_mmT4_T5_P12ihipStream_tbEUlRKfE_EESV_SZ_S10_mS11_S14_bEUlT_E_NS1_11comp_targetILNS1_3genE2ELNS1_11target_archE906ELNS1_3gpuE6ELNS1_3repE0EEENS1_30default_config_static_selectorELNS0_4arch9wavefront6targetE0EEEvSY_,"axG",@progbits,_ZN7rocprim17ROCPRIM_400000_NS6detail17trampoline_kernelINS0_14default_configENS1_27upper_bound_config_selectorIflEEZNS1_14transform_implILb0ES3_S5_N6thrust23THRUST_200600_302600_NS6detail15normal_iteratorINS8_7pointerIfNS8_11hip_rocprim16par_det_nosync_tENS8_11use_defaultESE_EEEENSA_INSB_IlSD_SE_SE_EEEEZNS1_13binary_searchIS3_S5_NSA_INS8_10device_ptrIfEEEESG_SI_NS1_21upper_bound_search_opENS9_16wrapped_functionINS8_6system6detail7generic6detail18binary_search_lessEbEEEE10hipError_tPvRmT1_T2_T3_mmT4_T5_P12ihipStream_tbEUlRKfE_EESV_SZ_S10_mS11_S14_bEUlT_E_NS1_11comp_targetILNS1_3genE2ELNS1_11target_archE906ELNS1_3gpuE6ELNS1_3repE0EEENS1_30default_config_static_selectorELNS0_4arch9wavefront6targetE0EEEvSY_,comdat
	.protected	_ZN7rocprim17ROCPRIM_400000_NS6detail17trampoline_kernelINS0_14default_configENS1_27upper_bound_config_selectorIflEEZNS1_14transform_implILb0ES3_S5_N6thrust23THRUST_200600_302600_NS6detail15normal_iteratorINS8_7pointerIfNS8_11hip_rocprim16par_det_nosync_tENS8_11use_defaultESE_EEEENSA_INSB_IlSD_SE_SE_EEEEZNS1_13binary_searchIS3_S5_NSA_INS8_10device_ptrIfEEEESG_SI_NS1_21upper_bound_search_opENS9_16wrapped_functionINS8_6system6detail7generic6detail18binary_search_lessEbEEEE10hipError_tPvRmT1_T2_T3_mmT4_T5_P12ihipStream_tbEUlRKfE_EESV_SZ_S10_mS11_S14_bEUlT_E_NS1_11comp_targetILNS1_3genE2ELNS1_11target_archE906ELNS1_3gpuE6ELNS1_3repE0EEENS1_30default_config_static_selectorELNS0_4arch9wavefront6targetE0EEEvSY_ ; -- Begin function _ZN7rocprim17ROCPRIM_400000_NS6detail17trampoline_kernelINS0_14default_configENS1_27upper_bound_config_selectorIflEEZNS1_14transform_implILb0ES3_S5_N6thrust23THRUST_200600_302600_NS6detail15normal_iteratorINS8_7pointerIfNS8_11hip_rocprim16par_det_nosync_tENS8_11use_defaultESE_EEEENSA_INSB_IlSD_SE_SE_EEEEZNS1_13binary_searchIS3_S5_NSA_INS8_10device_ptrIfEEEESG_SI_NS1_21upper_bound_search_opENS9_16wrapped_functionINS8_6system6detail7generic6detail18binary_search_lessEbEEEE10hipError_tPvRmT1_T2_T3_mmT4_T5_P12ihipStream_tbEUlRKfE_EESV_SZ_S10_mS11_S14_bEUlT_E_NS1_11comp_targetILNS1_3genE2ELNS1_11target_archE906ELNS1_3gpuE6ELNS1_3repE0EEENS1_30default_config_static_selectorELNS0_4arch9wavefront6targetE0EEEvSY_
	.globl	_ZN7rocprim17ROCPRIM_400000_NS6detail17trampoline_kernelINS0_14default_configENS1_27upper_bound_config_selectorIflEEZNS1_14transform_implILb0ES3_S5_N6thrust23THRUST_200600_302600_NS6detail15normal_iteratorINS8_7pointerIfNS8_11hip_rocprim16par_det_nosync_tENS8_11use_defaultESE_EEEENSA_INSB_IlSD_SE_SE_EEEEZNS1_13binary_searchIS3_S5_NSA_INS8_10device_ptrIfEEEESG_SI_NS1_21upper_bound_search_opENS9_16wrapped_functionINS8_6system6detail7generic6detail18binary_search_lessEbEEEE10hipError_tPvRmT1_T2_T3_mmT4_T5_P12ihipStream_tbEUlRKfE_EESV_SZ_S10_mS11_S14_bEUlT_E_NS1_11comp_targetILNS1_3genE2ELNS1_11target_archE906ELNS1_3gpuE6ELNS1_3repE0EEENS1_30default_config_static_selectorELNS0_4arch9wavefront6targetE0EEEvSY_
	.p2align	8
	.type	_ZN7rocprim17ROCPRIM_400000_NS6detail17trampoline_kernelINS0_14default_configENS1_27upper_bound_config_selectorIflEEZNS1_14transform_implILb0ES3_S5_N6thrust23THRUST_200600_302600_NS6detail15normal_iteratorINS8_7pointerIfNS8_11hip_rocprim16par_det_nosync_tENS8_11use_defaultESE_EEEENSA_INSB_IlSD_SE_SE_EEEEZNS1_13binary_searchIS3_S5_NSA_INS8_10device_ptrIfEEEESG_SI_NS1_21upper_bound_search_opENS9_16wrapped_functionINS8_6system6detail7generic6detail18binary_search_lessEbEEEE10hipError_tPvRmT1_T2_T3_mmT4_T5_P12ihipStream_tbEUlRKfE_EESV_SZ_S10_mS11_S14_bEUlT_E_NS1_11comp_targetILNS1_3genE2ELNS1_11target_archE906ELNS1_3gpuE6ELNS1_3repE0EEENS1_30default_config_static_selectorELNS0_4arch9wavefront6targetE0EEEvSY_,@function
_ZN7rocprim17ROCPRIM_400000_NS6detail17trampoline_kernelINS0_14default_configENS1_27upper_bound_config_selectorIflEEZNS1_14transform_implILb0ES3_S5_N6thrust23THRUST_200600_302600_NS6detail15normal_iteratorINS8_7pointerIfNS8_11hip_rocprim16par_det_nosync_tENS8_11use_defaultESE_EEEENSA_INSB_IlSD_SE_SE_EEEEZNS1_13binary_searchIS3_S5_NSA_INS8_10device_ptrIfEEEESG_SI_NS1_21upper_bound_search_opENS9_16wrapped_functionINS8_6system6detail7generic6detail18binary_search_lessEbEEEE10hipError_tPvRmT1_T2_T3_mmT4_T5_P12ihipStream_tbEUlRKfE_EESV_SZ_S10_mS11_S14_bEUlT_E_NS1_11comp_targetILNS1_3genE2ELNS1_11target_archE906ELNS1_3gpuE6ELNS1_3repE0EEENS1_30default_config_static_selectorELNS0_4arch9wavefront6targetE0EEEvSY_: ; @_ZN7rocprim17ROCPRIM_400000_NS6detail17trampoline_kernelINS0_14default_configENS1_27upper_bound_config_selectorIflEEZNS1_14transform_implILb0ES3_S5_N6thrust23THRUST_200600_302600_NS6detail15normal_iteratorINS8_7pointerIfNS8_11hip_rocprim16par_det_nosync_tENS8_11use_defaultESE_EEEENSA_INSB_IlSD_SE_SE_EEEEZNS1_13binary_searchIS3_S5_NSA_INS8_10device_ptrIfEEEESG_SI_NS1_21upper_bound_search_opENS9_16wrapped_functionINS8_6system6detail7generic6detail18binary_search_lessEbEEEE10hipError_tPvRmT1_T2_T3_mmT4_T5_P12ihipStream_tbEUlRKfE_EESV_SZ_S10_mS11_S14_bEUlT_E_NS1_11comp_targetILNS1_3genE2ELNS1_11target_archE906ELNS1_3gpuE6ELNS1_3repE0EEENS1_30default_config_static_selectorELNS0_4arch9wavefront6targetE0EEEvSY_
; %bb.0:
	.section	.rodata,"a",@progbits
	.p2align	6, 0x0
	.amdhsa_kernel _ZN7rocprim17ROCPRIM_400000_NS6detail17trampoline_kernelINS0_14default_configENS1_27upper_bound_config_selectorIflEEZNS1_14transform_implILb0ES3_S5_N6thrust23THRUST_200600_302600_NS6detail15normal_iteratorINS8_7pointerIfNS8_11hip_rocprim16par_det_nosync_tENS8_11use_defaultESE_EEEENSA_INSB_IlSD_SE_SE_EEEEZNS1_13binary_searchIS3_S5_NSA_INS8_10device_ptrIfEEEESG_SI_NS1_21upper_bound_search_opENS9_16wrapped_functionINS8_6system6detail7generic6detail18binary_search_lessEbEEEE10hipError_tPvRmT1_T2_T3_mmT4_T5_P12ihipStream_tbEUlRKfE_EESV_SZ_S10_mS11_S14_bEUlT_E_NS1_11comp_targetILNS1_3genE2ELNS1_11target_archE906ELNS1_3gpuE6ELNS1_3repE0EEENS1_30default_config_static_selectorELNS0_4arch9wavefront6targetE0EEEvSY_
		.amdhsa_group_segment_fixed_size 0
		.amdhsa_private_segment_fixed_size 0
		.amdhsa_kernarg_size 56
		.amdhsa_user_sgpr_count 6
		.amdhsa_user_sgpr_private_segment_buffer 1
		.amdhsa_user_sgpr_dispatch_ptr 0
		.amdhsa_user_sgpr_queue_ptr 0
		.amdhsa_user_sgpr_kernarg_segment_ptr 1
		.amdhsa_user_sgpr_dispatch_id 0
		.amdhsa_user_sgpr_flat_scratch_init 0
		.amdhsa_user_sgpr_private_segment_size 0
		.amdhsa_wavefront_size32 1
		.amdhsa_uses_dynamic_stack 0
		.amdhsa_system_sgpr_private_segment_wavefront_offset 0
		.amdhsa_system_sgpr_workgroup_id_x 1
		.amdhsa_system_sgpr_workgroup_id_y 0
		.amdhsa_system_sgpr_workgroup_id_z 0
		.amdhsa_system_sgpr_workgroup_info 0
		.amdhsa_system_vgpr_workitem_id 0
		.amdhsa_next_free_vgpr 1
		.amdhsa_next_free_sgpr 1
		.amdhsa_reserve_vcc 0
		.amdhsa_reserve_flat_scratch 0
		.amdhsa_float_round_mode_32 0
		.amdhsa_float_round_mode_16_64 0
		.amdhsa_float_denorm_mode_32 3
		.amdhsa_float_denorm_mode_16_64 3
		.amdhsa_dx10_clamp 1
		.amdhsa_ieee_mode 1
		.amdhsa_fp16_overflow 0
		.amdhsa_workgroup_processor_mode 1
		.amdhsa_memory_ordered 1
		.amdhsa_forward_progress 1
		.amdhsa_shared_vgpr_count 0
		.amdhsa_exception_fp_ieee_invalid_op 0
		.amdhsa_exception_fp_denorm_src 0
		.amdhsa_exception_fp_ieee_div_zero 0
		.amdhsa_exception_fp_ieee_overflow 0
		.amdhsa_exception_fp_ieee_underflow 0
		.amdhsa_exception_fp_ieee_inexact 0
		.amdhsa_exception_int_div_zero 0
	.end_amdhsa_kernel
	.section	.text._ZN7rocprim17ROCPRIM_400000_NS6detail17trampoline_kernelINS0_14default_configENS1_27upper_bound_config_selectorIflEEZNS1_14transform_implILb0ES3_S5_N6thrust23THRUST_200600_302600_NS6detail15normal_iteratorINS8_7pointerIfNS8_11hip_rocprim16par_det_nosync_tENS8_11use_defaultESE_EEEENSA_INSB_IlSD_SE_SE_EEEEZNS1_13binary_searchIS3_S5_NSA_INS8_10device_ptrIfEEEESG_SI_NS1_21upper_bound_search_opENS9_16wrapped_functionINS8_6system6detail7generic6detail18binary_search_lessEbEEEE10hipError_tPvRmT1_T2_T3_mmT4_T5_P12ihipStream_tbEUlRKfE_EESV_SZ_S10_mS11_S14_bEUlT_E_NS1_11comp_targetILNS1_3genE2ELNS1_11target_archE906ELNS1_3gpuE6ELNS1_3repE0EEENS1_30default_config_static_selectorELNS0_4arch9wavefront6targetE0EEEvSY_,"axG",@progbits,_ZN7rocprim17ROCPRIM_400000_NS6detail17trampoline_kernelINS0_14default_configENS1_27upper_bound_config_selectorIflEEZNS1_14transform_implILb0ES3_S5_N6thrust23THRUST_200600_302600_NS6detail15normal_iteratorINS8_7pointerIfNS8_11hip_rocprim16par_det_nosync_tENS8_11use_defaultESE_EEEENSA_INSB_IlSD_SE_SE_EEEEZNS1_13binary_searchIS3_S5_NSA_INS8_10device_ptrIfEEEESG_SI_NS1_21upper_bound_search_opENS9_16wrapped_functionINS8_6system6detail7generic6detail18binary_search_lessEbEEEE10hipError_tPvRmT1_T2_T3_mmT4_T5_P12ihipStream_tbEUlRKfE_EESV_SZ_S10_mS11_S14_bEUlT_E_NS1_11comp_targetILNS1_3genE2ELNS1_11target_archE906ELNS1_3gpuE6ELNS1_3repE0EEENS1_30default_config_static_selectorELNS0_4arch9wavefront6targetE0EEEvSY_,comdat
.Lfunc_end513:
	.size	_ZN7rocprim17ROCPRIM_400000_NS6detail17trampoline_kernelINS0_14default_configENS1_27upper_bound_config_selectorIflEEZNS1_14transform_implILb0ES3_S5_N6thrust23THRUST_200600_302600_NS6detail15normal_iteratorINS8_7pointerIfNS8_11hip_rocprim16par_det_nosync_tENS8_11use_defaultESE_EEEENSA_INSB_IlSD_SE_SE_EEEEZNS1_13binary_searchIS3_S5_NSA_INS8_10device_ptrIfEEEESG_SI_NS1_21upper_bound_search_opENS9_16wrapped_functionINS8_6system6detail7generic6detail18binary_search_lessEbEEEE10hipError_tPvRmT1_T2_T3_mmT4_T5_P12ihipStream_tbEUlRKfE_EESV_SZ_S10_mS11_S14_bEUlT_E_NS1_11comp_targetILNS1_3genE2ELNS1_11target_archE906ELNS1_3gpuE6ELNS1_3repE0EEENS1_30default_config_static_selectorELNS0_4arch9wavefront6targetE0EEEvSY_, .Lfunc_end513-_ZN7rocprim17ROCPRIM_400000_NS6detail17trampoline_kernelINS0_14default_configENS1_27upper_bound_config_selectorIflEEZNS1_14transform_implILb0ES3_S5_N6thrust23THRUST_200600_302600_NS6detail15normal_iteratorINS8_7pointerIfNS8_11hip_rocprim16par_det_nosync_tENS8_11use_defaultESE_EEEENSA_INSB_IlSD_SE_SE_EEEEZNS1_13binary_searchIS3_S5_NSA_INS8_10device_ptrIfEEEESG_SI_NS1_21upper_bound_search_opENS9_16wrapped_functionINS8_6system6detail7generic6detail18binary_search_lessEbEEEE10hipError_tPvRmT1_T2_T3_mmT4_T5_P12ihipStream_tbEUlRKfE_EESV_SZ_S10_mS11_S14_bEUlT_E_NS1_11comp_targetILNS1_3genE2ELNS1_11target_archE906ELNS1_3gpuE6ELNS1_3repE0EEENS1_30default_config_static_selectorELNS0_4arch9wavefront6targetE0EEEvSY_
                                        ; -- End function
	.set _ZN7rocprim17ROCPRIM_400000_NS6detail17trampoline_kernelINS0_14default_configENS1_27upper_bound_config_selectorIflEEZNS1_14transform_implILb0ES3_S5_N6thrust23THRUST_200600_302600_NS6detail15normal_iteratorINS8_7pointerIfNS8_11hip_rocprim16par_det_nosync_tENS8_11use_defaultESE_EEEENSA_INSB_IlSD_SE_SE_EEEEZNS1_13binary_searchIS3_S5_NSA_INS8_10device_ptrIfEEEESG_SI_NS1_21upper_bound_search_opENS9_16wrapped_functionINS8_6system6detail7generic6detail18binary_search_lessEbEEEE10hipError_tPvRmT1_T2_T3_mmT4_T5_P12ihipStream_tbEUlRKfE_EESV_SZ_S10_mS11_S14_bEUlT_E_NS1_11comp_targetILNS1_3genE2ELNS1_11target_archE906ELNS1_3gpuE6ELNS1_3repE0EEENS1_30default_config_static_selectorELNS0_4arch9wavefront6targetE0EEEvSY_.num_vgpr, 0
	.set _ZN7rocprim17ROCPRIM_400000_NS6detail17trampoline_kernelINS0_14default_configENS1_27upper_bound_config_selectorIflEEZNS1_14transform_implILb0ES3_S5_N6thrust23THRUST_200600_302600_NS6detail15normal_iteratorINS8_7pointerIfNS8_11hip_rocprim16par_det_nosync_tENS8_11use_defaultESE_EEEENSA_INSB_IlSD_SE_SE_EEEEZNS1_13binary_searchIS3_S5_NSA_INS8_10device_ptrIfEEEESG_SI_NS1_21upper_bound_search_opENS9_16wrapped_functionINS8_6system6detail7generic6detail18binary_search_lessEbEEEE10hipError_tPvRmT1_T2_T3_mmT4_T5_P12ihipStream_tbEUlRKfE_EESV_SZ_S10_mS11_S14_bEUlT_E_NS1_11comp_targetILNS1_3genE2ELNS1_11target_archE906ELNS1_3gpuE6ELNS1_3repE0EEENS1_30default_config_static_selectorELNS0_4arch9wavefront6targetE0EEEvSY_.num_agpr, 0
	.set _ZN7rocprim17ROCPRIM_400000_NS6detail17trampoline_kernelINS0_14default_configENS1_27upper_bound_config_selectorIflEEZNS1_14transform_implILb0ES3_S5_N6thrust23THRUST_200600_302600_NS6detail15normal_iteratorINS8_7pointerIfNS8_11hip_rocprim16par_det_nosync_tENS8_11use_defaultESE_EEEENSA_INSB_IlSD_SE_SE_EEEEZNS1_13binary_searchIS3_S5_NSA_INS8_10device_ptrIfEEEESG_SI_NS1_21upper_bound_search_opENS9_16wrapped_functionINS8_6system6detail7generic6detail18binary_search_lessEbEEEE10hipError_tPvRmT1_T2_T3_mmT4_T5_P12ihipStream_tbEUlRKfE_EESV_SZ_S10_mS11_S14_bEUlT_E_NS1_11comp_targetILNS1_3genE2ELNS1_11target_archE906ELNS1_3gpuE6ELNS1_3repE0EEENS1_30default_config_static_selectorELNS0_4arch9wavefront6targetE0EEEvSY_.numbered_sgpr, 0
	.set _ZN7rocprim17ROCPRIM_400000_NS6detail17trampoline_kernelINS0_14default_configENS1_27upper_bound_config_selectorIflEEZNS1_14transform_implILb0ES3_S5_N6thrust23THRUST_200600_302600_NS6detail15normal_iteratorINS8_7pointerIfNS8_11hip_rocprim16par_det_nosync_tENS8_11use_defaultESE_EEEENSA_INSB_IlSD_SE_SE_EEEEZNS1_13binary_searchIS3_S5_NSA_INS8_10device_ptrIfEEEESG_SI_NS1_21upper_bound_search_opENS9_16wrapped_functionINS8_6system6detail7generic6detail18binary_search_lessEbEEEE10hipError_tPvRmT1_T2_T3_mmT4_T5_P12ihipStream_tbEUlRKfE_EESV_SZ_S10_mS11_S14_bEUlT_E_NS1_11comp_targetILNS1_3genE2ELNS1_11target_archE906ELNS1_3gpuE6ELNS1_3repE0EEENS1_30default_config_static_selectorELNS0_4arch9wavefront6targetE0EEEvSY_.num_named_barrier, 0
	.set _ZN7rocprim17ROCPRIM_400000_NS6detail17trampoline_kernelINS0_14default_configENS1_27upper_bound_config_selectorIflEEZNS1_14transform_implILb0ES3_S5_N6thrust23THRUST_200600_302600_NS6detail15normal_iteratorINS8_7pointerIfNS8_11hip_rocprim16par_det_nosync_tENS8_11use_defaultESE_EEEENSA_INSB_IlSD_SE_SE_EEEEZNS1_13binary_searchIS3_S5_NSA_INS8_10device_ptrIfEEEESG_SI_NS1_21upper_bound_search_opENS9_16wrapped_functionINS8_6system6detail7generic6detail18binary_search_lessEbEEEE10hipError_tPvRmT1_T2_T3_mmT4_T5_P12ihipStream_tbEUlRKfE_EESV_SZ_S10_mS11_S14_bEUlT_E_NS1_11comp_targetILNS1_3genE2ELNS1_11target_archE906ELNS1_3gpuE6ELNS1_3repE0EEENS1_30default_config_static_selectorELNS0_4arch9wavefront6targetE0EEEvSY_.private_seg_size, 0
	.set _ZN7rocprim17ROCPRIM_400000_NS6detail17trampoline_kernelINS0_14default_configENS1_27upper_bound_config_selectorIflEEZNS1_14transform_implILb0ES3_S5_N6thrust23THRUST_200600_302600_NS6detail15normal_iteratorINS8_7pointerIfNS8_11hip_rocprim16par_det_nosync_tENS8_11use_defaultESE_EEEENSA_INSB_IlSD_SE_SE_EEEEZNS1_13binary_searchIS3_S5_NSA_INS8_10device_ptrIfEEEESG_SI_NS1_21upper_bound_search_opENS9_16wrapped_functionINS8_6system6detail7generic6detail18binary_search_lessEbEEEE10hipError_tPvRmT1_T2_T3_mmT4_T5_P12ihipStream_tbEUlRKfE_EESV_SZ_S10_mS11_S14_bEUlT_E_NS1_11comp_targetILNS1_3genE2ELNS1_11target_archE906ELNS1_3gpuE6ELNS1_3repE0EEENS1_30default_config_static_selectorELNS0_4arch9wavefront6targetE0EEEvSY_.uses_vcc, 0
	.set _ZN7rocprim17ROCPRIM_400000_NS6detail17trampoline_kernelINS0_14default_configENS1_27upper_bound_config_selectorIflEEZNS1_14transform_implILb0ES3_S5_N6thrust23THRUST_200600_302600_NS6detail15normal_iteratorINS8_7pointerIfNS8_11hip_rocprim16par_det_nosync_tENS8_11use_defaultESE_EEEENSA_INSB_IlSD_SE_SE_EEEEZNS1_13binary_searchIS3_S5_NSA_INS8_10device_ptrIfEEEESG_SI_NS1_21upper_bound_search_opENS9_16wrapped_functionINS8_6system6detail7generic6detail18binary_search_lessEbEEEE10hipError_tPvRmT1_T2_T3_mmT4_T5_P12ihipStream_tbEUlRKfE_EESV_SZ_S10_mS11_S14_bEUlT_E_NS1_11comp_targetILNS1_3genE2ELNS1_11target_archE906ELNS1_3gpuE6ELNS1_3repE0EEENS1_30default_config_static_selectorELNS0_4arch9wavefront6targetE0EEEvSY_.uses_flat_scratch, 0
	.set _ZN7rocprim17ROCPRIM_400000_NS6detail17trampoline_kernelINS0_14default_configENS1_27upper_bound_config_selectorIflEEZNS1_14transform_implILb0ES3_S5_N6thrust23THRUST_200600_302600_NS6detail15normal_iteratorINS8_7pointerIfNS8_11hip_rocprim16par_det_nosync_tENS8_11use_defaultESE_EEEENSA_INSB_IlSD_SE_SE_EEEEZNS1_13binary_searchIS3_S5_NSA_INS8_10device_ptrIfEEEESG_SI_NS1_21upper_bound_search_opENS9_16wrapped_functionINS8_6system6detail7generic6detail18binary_search_lessEbEEEE10hipError_tPvRmT1_T2_T3_mmT4_T5_P12ihipStream_tbEUlRKfE_EESV_SZ_S10_mS11_S14_bEUlT_E_NS1_11comp_targetILNS1_3genE2ELNS1_11target_archE906ELNS1_3gpuE6ELNS1_3repE0EEENS1_30default_config_static_selectorELNS0_4arch9wavefront6targetE0EEEvSY_.has_dyn_sized_stack, 0
	.set _ZN7rocprim17ROCPRIM_400000_NS6detail17trampoline_kernelINS0_14default_configENS1_27upper_bound_config_selectorIflEEZNS1_14transform_implILb0ES3_S5_N6thrust23THRUST_200600_302600_NS6detail15normal_iteratorINS8_7pointerIfNS8_11hip_rocprim16par_det_nosync_tENS8_11use_defaultESE_EEEENSA_INSB_IlSD_SE_SE_EEEEZNS1_13binary_searchIS3_S5_NSA_INS8_10device_ptrIfEEEESG_SI_NS1_21upper_bound_search_opENS9_16wrapped_functionINS8_6system6detail7generic6detail18binary_search_lessEbEEEE10hipError_tPvRmT1_T2_T3_mmT4_T5_P12ihipStream_tbEUlRKfE_EESV_SZ_S10_mS11_S14_bEUlT_E_NS1_11comp_targetILNS1_3genE2ELNS1_11target_archE906ELNS1_3gpuE6ELNS1_3repE0EEENS1_30default_config_static_selectorELNS0_4arch9wavefront6targetE0EEEvSY_.has_recursion, 0
	.set _ZN7rocprim17ROCPRIM_400000_NS6detail17trampoline_kernelINS0_14default_configENS1_27upper_bound_config_selectorIflEEZNS1_14transform_implILb0ES3_S5_N6thrust23THRUST_200600_302600_NS6detail15normal_iteratorINS8_7pointerIfNS8_11hip_rocprim16par_det_nosync_tENS8_11use_defaultESE_EEEENSA_INSB_IlSD_SE_SE_EEEEZNS1_13binary_searchIS3_S5_NSA_INS8_10device_ptrIfEEEESG_SI_NS1_21upper_bound_search_opENS9_16wrapped_functionINS8_6system6detail7generic6detail18binary_search_lessEbEEEE10hipError_tPvRmT1_T2_T3_mmT4_T5_P12ihipStream_tbEUlRKfE_EESV_SZ_S10_mS11_S14_bEUlT_E_NS1_11comp_targetILNS1_3genE2ELNS1_11target_archE906ELNS1_3gpuE6ELNS1_3repE0EEENS1_30default_config_static_selectorELNS0_4arch9wavefront6targetE0EEEvSY_.has_indirect_call, 0
	.section	.AMDGPU.csdata,"",@progbits
; Kernel info:
; codeLenInByte = 0
; TotalNumSgprs: 0
; NumVgprs: 0
; ScratchSize: 0
; MemoryBound: 0
; FloatMode: 240
; IeeeMode: 1
; LDSByteSize: 0 bytes/workgroup (compile time only)
; SGPRBlocks: 0
; VGPRBlocks: 0
; NumSGPRsForWavesPerEU: 1
; NumVGPRsForWavesPerEU: 1
; Occupancy: 16
; WaveLimiterHint : 0
; COMPUTE_PGM_RSRC2:SCRATCH_EN: 0
; COMPUTE_PGM_RSRC2:USER_SGPR: 6
; COMPUTE_PGM_RSRC2:TRAP_HANDLER: 0
; COMPUTE_PGM_RSRC2:TGID_X_EN: 1
; COMPUTE_PGM_RSRC2:TGID_Y_EN: 0
; COMPUTE_PGM_RSRC2:TGID_Z_EN: 0
; COMPUTE_PGM_RSRC2:TIDIG_COMP_CNT: 0
	.section	.text._ZN7rocprim17ROCPRIM_400000_NS6detail17trampoline_kernelINS0_14default_configENS1_27upper_bound_config_selectorIflEEZNS1_14transform_implILb0ES3_S5_N6thrust23THRUST_200600_302600_NS6detail15normal_iteratorINS8_7pointerIfNS8_11hip_rocprim16par_det_nosync_tENS8_11use_defaultESE_EEEENSA_INSB_IlSD_SE_SE_EEEEZNS1_13binary_searchIS3_S5_NSA_INS8_10device_ptrIfEEEESG_SI_NS1_21upper_bound_search_opENS9_16wrapped_functionINS8_6system6detail7generic6detail18binary_search_lessEbEEEE10hipError_tPvRmT1_T2_T3_mmT4_T5_P12ihipStream_tbEUlRKfE_EESV_SZ_S10_mS11_S14_bEUlT_E_NS1_11comp_targetILNS1_3genE10ELNS1_11target_archE1201ELNS1_3gpuE5ELNS1_3repE0EEENS1_30default_config_static_selectorELNS0_4arch9wavefront6targetE0EEEvSY_,"axG",@progbits,_ZN7rocprim17ROCPRIM_400000_NS6detail17trampoline_kernelINS0_14default_configENS1_27upper_bound_config_selectorIflEEZNS1_14transform_implILb0ES3_S5_N6thrust23THRUST_200600_302600_NS6detail15normal_iteratorINS8_7pointerIfNS8_11hip_rocprim16par_det_nosync_tENS8_11use_defaultESE_EEEENSA_INSB_IlSD_SE_SE_EEEEZNS1_13binary_searchIS3_S5_NSA_INS8_10device_ptrIfEEEESG_SI_NS1_21upper_bound_search_opENS9_16wrapped_functionINS8_6system6detail7generic6detail18binary_search_lessEbEEEE10hipError_tPvRmT1_T2_T3_mmT4_T5_P12ihipStream_tbEUlRKfE_EESV_SZ_S10_mS11_S14_bEUlT_E_NS1_11comp_targetILNS1_3genE10ELNS1_11target_archE1201ELNS1_3gpuE5ELNS1_3repE0EEENS1_30default_config_static_selectorELNS0_4arch9wavefront6targetE0EEEvSY_,comdat
	.protected	_ZN7rocprim17ROCPRIM_400000_NS6detail17trampoline_kernelINS0_14default_configENS1_27upper_bound_config_selectorIflEEZNS1_14transform_implILb0ES3_S5_N6thrust23THRUST_200600_302600_NS6detail15normal_iteratorINS8_7pointerIfNS8_11hip_rocprim16par_det_nosync_tENS8_11use_defaultESE_EEEENSA_INSB_IlSD_SE_SE_EEEEZNS1_13binary_searchIS3_S5_NSA_INS8_10device_ptrIfEEEESG_SI_NS1_21upper_bound_search_opENS9_16wrapped_functionINS8_6system6detail7generic6detail18binary_search_lessEbEEEE10hipError_tPvRmT1_T2_T3_mmT4_T5_P12ihipStream_tbEUlRKfE_EESV_SZ_S10_mS11_S14_bEUlT_E_NS1_11comp_targetILNS1_3genE10ELNS1_11target_archE1201ELNS1_3gpuE5ELNS1_3repE0EEENS1_30default_config_static_selectorELNS0_4arch9wavefront6targetE0EEEvSY_ ; -- Begin function _ZN7rocprim17ROCPRIM_400000_NS6detail17trampoline_kernelINS0_14default_configENS1_27upper_bound_config_selectorIflEEZNS1_14transform_implILb0ES3_S5_N6thrust23THRUST_200600_302600_NS6detail15normal_iteratorINS8_7pointerIfNS8_11hip_rocprim16par_det_nosync_tENS8_11use_defaultESE_EEEENSA_INSB_IlSD_SE_SE_EEEEZNS1_13binary_searchIS3_S5_NSA_INS8_10device_ptrIfEEEESG_SI_NS1_21upper_bound_search_opENS9_16wrapped_functionINS8_6system6detail7generic6detail18binary_search_lessEbEEEE10hipError_tPvRmT1_T2_T3_mmT4_T5_P12ihipStream_tbEUlRKfE_EESV_SZ_S10_mS11_S14_bEUlT_E_NS1_11comp_targetILNS1_3genE10ELNS1_11target_archE1201ELNS1_3gpuE5ELNS1_3repE0EEENS1_30default_config_static_selectorELNS0_4arch9wavefront6targetE0EEEvSY_
	.globl	_ZN7rocprim17ROCPRIM_400000_NS6detail17trampoline_kernelINS0_14default_configENS1_27upper_bound_config_selectorIflEEZNS1_14transform_implILb0ES3_S5_N6thrust23THRUST_200600_302600_NS6detail15normal_iteratorINS8_7pointerIfNS8_11hip_rocprim16par_det_nosync_tENS8_11use_defaultESE_EEEENSA_INSB_IlSD_SE_SE_EEEEZNS1_13binary_searchIS3_S5_NSA_INS8_10device_ptrIfEEEESG_SI_NS1_21upper_bound_search_opENS9_16wrapped_functionINS8_6system6detail7generic6detail18binary_search_lessEbEEEE10hipError_tPvRmT1_T2_T3_mmT4_T5_P12ihipStream_tbEUlRKfE_EESV_SZ_S10_mS11_S14_bEUlT_E_NS1_11comp_targetILNS1_3genE10ELNS1_11target_archE1201ELNS1_3gpuE5ELNS1_3repE0EEENS1_30default_config_static_selectorELNS0_4arch9wavefront6targetE0EEEvSY_
	.p2align	8
	.type	_ZN7rocprim17ROCPRIM_400000_NS6detail17trampoline_kernelINS0_14default_configENS1_27upper_bound_config_selectorIflEEZNS1_14transform_implILb0ES3_S5_N6thrust23THRUST_200600_302600_NS6detail15normal_iteratorINS8_7pointerIfNS8_11hip_rocprim16par_det_nosync_tENS8_11use_defaultESE_EEEENSA_INSB_IlSD_SE_SE_EEEEZNS1_13binary_searchIS3_S5_NSA_INS8_10device_ptrIfEEEESG_SI_NS1_21upper_bound_search_opENS9_16wrapped_functionINS8_6system6detail7generic6detail18binary_search_lessEbEEEE10hipError_tPvRmT1_T2_T3_mmT4_T5_P12ihipStream_tbEUlRKfE_EESV_SZ_S10_mS11_S14_bEUlT_E_NS1_11comp_targetILNS1_3genE10ELNS1_11target_archE1201ELNS1_3gpuE5ELNS1_3repE0EEENS1_30default_config_static_selectorELNS0_4arch9wavefront6targetE0EEEvSY_,@function
_ZN7rocprim17ROCPRIM_400000_NS6detail17trampoline_kernelINS0_14default_configENS1_27upper_bound_config_selectorIflEEZNS1_14transform_implILb0ES3_S5_N6thrust23THRUST_200600_302600_NS6detail15normal_iteratorINS8_7pointerIfNS8_11hip_rocprim16par_det_nosync_tENS8_11use_defaultESE_EEEENSA_INSB_IlSD_SE_SE_EEEEZNS1_13binary_searchIS3_S5_NSA_INS8_10device_ptrIfEEEESG_SI_NS1_21upper_bound_search_opENS9_16wrapped_functionINS8_6system6detail7generic6detail18binary_search_lessEbEEEE10hipError_tPvRmT1_T2_T3_mmT4_T5_P12ihipStream_tbEUlRKfE_EESV_SZ_S10_mS11_S14_bEUlT_E_NS1_11comp_targetILNS1_3genE10ELNS1_11target_archE1201ELNS1_3gpuE5ELNS1_3repE0EEENS1_30default_config_static_selectorELNS0_4arch9wavefront6targetE0EEEvSY_: ; @_ZN7rocprim17ROCPRIM_400000_NS6detail17trampoline_kernelINS0_14default_configENS1_27upper_bound_config_selectorIflEEZNS1_14transform_implILb0ES3_S5_N6thrust23THRUST_200600_302600_NS6detail15normal_iteratorINS8_7pointerIfNS8_11hip_rocprim16par_det_nosync_tENS8_11use_defaultESE_EEEENSA_INSB_IlSD_SE_SE_EEEEZNS1_13binary_searchIS3_S5_NSA_INS8_10device_ptrIfEEEESG_SI_NS1_21upper_bound_search_opENS9_16wrapped_functionINS8_6system6detail7generic6detail18binary_search_lessEbEEEE10hipError_tPvRmT1_T2_T3_mmT4_T5_P12ihipStream_tbEUlRKfE_EESV_SZ_S10_mS11_S14_bEUlT_E_NS1_11comp_targetILNS1_3genE10ELNS1_11target_archE1201ELNS1_3gpuE5ELNS1_3repE0EEENS1_30default_config_static_selectorELNS0_4arch9wavefront6targetE0EEEvSY_
; %bb.0:
	.section	.rodata,"a",@progbits
	.p2align	6, 0x0
	.amdhsa_kernel _ZN7rocprim17ROCPRIM_400000_NS6detail17trampoline_kernelINS0_14default_configENS1_27upper_bound_config_selectorIflEEZNS1_14transform_implILb0ES3_S5_N6thrust23THRUST_200600_302600_NS6detail15normal_iteratorINS8_7pointerIfNS8_11hip_rocprim16par_det_nosync_tENS8_11use_defaultESE_EEEENSA_INSB_IlSD_SE_SE_EEEEZNS1_13binary_searchIS3_S5_NSA_INS8_10device_ptrIfEEEESG_SI_NS1_21upper_bound_search_opENS9_16wrapped_functionINS8_6system6detail7generic6detail18binary_search_lessEbEEEE10hipError_tPvRmT1_T2_T3_mmT4_T5_P12ihipStream_tbEUlRKfE_EESV_SZ_S10_mS11_S14_bEUlT_E_NS1_11comp_targetILNS1_3genE10ELNS1_11target_archE1201ELNS1_3gpuE5ELNS1_3repE0EEENS1_30default_config_static_selectorELNS0_4arch9wavefront6targetE0EEEvSY_
		.amdhsa_group_segment_fixed_size 0
		.amdhsa_private_segment_fixed_size 0
		.amdhsa_kernarg_size 56
		.amdhsa_user_sgpr_count 6
		.amdhsa_user_sgpr_private_segment_buffer 1
		.amdhsa_user_sgpr_dispatch_ptr 0
		.amdhsa_user_sgpr_queue_ptr 0
		.amdhsa_user_sgpr_kernarg_segment_ptr 1
		.amdhsa_user_sgpr_dispatch_id 0
		.amdhsa_user_sgpr_flat_scratch_init 0
		.amdhsa_user_sgpr_private_segment_size 0
		.amdhsa_wavefront_size32 1
		.amdhsa_uses_dynamic_stack 0
		.amdhsa_system_sgpr_private_segment_wavefront_offset 0
		.amdhsa_system_sgpr_workgroup_id_x 1
		.amdhsa_system_sgpr_workgroup_id_y 0
		.amdhsa_system_sgpr_workgroup_id_z 0
		.amdhsa_system_sgpr_workgroup_info 0
		.amdhsa_system_vgpr_workitem_id 0
		.amdhsa_next_free_vgpr 1
		.amdhsa_next_free_sgpr 1
		.amdhsa_reserve_vcc 0
		.amdhsa_reserve_flat_scratch 0
		.amdhsa_float_round_mode_32 0
		.amdhsa_float_round_mode_16_64 0
		.amdhsa_float_denorm_mode_32 3
		.amdhsa_float_denorm_mode_16_64 3
		.amdhsa_dx10_clamp 1
		.amdhsa_ieee_mode 1
		.amdhsa_fp16_overflow 0
		.amdhsa_workgroup_processor_mode 1
		.amdhsa_memory_ordered 1
		.amdhsa_forward_progress 1
		.amdhsa_shared_vgpr_count 0
		.amdhsa_exception_fp_ieee_invalid_op 0
		.amdhsa_exception_fp_denorm_src 0
		.amdhsa_exception_fp_ieee_div_zero 0
		.amdhsa_exception_fp_ieee_overflow 0
		.amdhsa_exception_fp_ieee_underflow 0
		.amdhsa_exception_fp_ieee_inexact 0
		.amdhsa_exception_int_div_zero 0
	.end_amdhsa_kernel
	.section	.text._ZN7rocprim17ROCPRIM_400000_NS6detail17trampoline_kernelINS0_14default_configENS1_27upper_bound_config_selectorIflEEZNS1_14transform_implILb0ES3_S5_N6thrust23THRUST_200600_302600_NS6detail15normal_iteratorINS8_7pointerIfNS8_11hip_rocprim16par_det_nosync_tENS8_11use_defaultESE_EEEENSA_INSB_IlSD_SE_SE_EEEEZNS1_13binary_searchIS3_S5_NSA_INS8_10device_ptrIfEEEESG_SI_NS1_21upper_bound_search_opENS9_16wrapped_functionINS8_6system6detail7generic6detail18binary_search_lessEbEEEE10hipError_tPvRmT1_T2_T3_mmT4_T5_P12ihipStream_tbEUlRKfE_EESV_SZ_S10_mS11_S14_bEUlT_E_NS1_11comp_targetILNS1_3genE10ELNS1_11target_archE1201ELNS1_3gpuE5ELNS1_3repE0EEENS1_30default_config_static_selectorELNS0_4arch9wavefront6targetE0EEEvSY_,"axG",@progbits,_ZN7rocprim17ROCPRIM_400000_NS6detail17trampoline_kernelINS0_14default_configENS1_27upper_bound_config_selectorIflEEZNS1_14transform_implILb0ES3_S5_N6thrust23THRUST_200600_302600_NS6detail15normal_iteratorINS8_7pointerIfNS8_11hip_rocprim16par_det_nosync_tENS8_11use_defaultESE_EEEENSA_INSB_IlSD_SE_SE_EEEEZNS1_13binary_searchIS3_S5_NSA_INS8_10device_ptrIfEEEESG_SI_NS1_21upper_bound_search_opENS9_16wrapped_functionINS8_6system6detail7generic6detail18binary_search_lessEbEEEE10hipError_tPvRmT1_T2_T3_mmT4_T5_P12ihipStream_tbEUlRKfE_EESV_SZ_S10_mS11_S14_bEUlT_E_NS1_11comp_targetILNS1_3genE10ELNS1_11target_archE1201ELNS1_3gpuE5ELNS1_3repE0EEENS1_30default_config_static_selectorELNS0_4arch9wavefront6targetE0EEEvSY_,comdat
.Lfunc_end514:
	.size	_ZN7rocprim17ROCPRIM_400000_NS6detail17trampoline_kernelINS0_14default_configENS1_27upper_bound_config_selectorIflEEZNS1_14transform_implILb0ES3_S5_N6thrust23THRUST_200600_302600_NS6detail15normal_iteratorINS8_7pointerIfNS8_11hip_rocprim16par_det_nosync_tENS8_11use_defaultESE_EEEENSA_INSB_IlSD_SE_SE_EEEEZNS1_13binary_searchIS3_S5_NSA_INS8_10device_ptrIfEEEESG_SI_NS1_21upper_bound_search_opENS9_16wrapped_functionINS8_6system6detail7generic6detail18binary_search_lessEbEEEE10hipError_tPvRmT1_T2_T3_mmT4_T5_P12ihipStream_tbEUlRKfE_EESV_SZ_S10_mS11_S14_bEUlT_E_NS1_11comp_targetILNS1_3genE10ELNS1_11target_archE1201ELNS1_3gpuE5ELNS1_3repE0EEENS1_30default_config_static_selectorELNS0_4arch9wavefront6targetE0EEEvSY_, .Lfunc_end514-_ZN7rocprim17ROCPRIM_400000_NS6detail17trampoline_kernelINS0_14default_configENS1_27upper_bound_config_selectorIflEEZNS1_14transform_implILb0ES3_S5_N6thrust23THRUST_200600_302600_NS6detail15normal_iteratorINS8_7pointerIfNS8_11hip_rocprim16par_det_nosync_tENS8_11use_defaultESE_EEEENSA_INSB_IlSD_SE_SE_EEEEZNS1_13binary_searchIS3_S5_NSA_INS8_10device_ptrIfEEEESG_SI_NS1_21upper_bound_search_opENS9_16wrapped_functionINS8_6system6detail7generic6detail18binary_search_lessEbEEEE10hipError_tPvRmT1_T2_T3_mmT4_T5_P12ihipStream_tbEUlRKfE_EESV_SZ_S10_mS11_S14_bEUlT_E_NS1_11comp_targetILNS1_3genE10ELNS1_11target_archE1201ELNS1_3gpuE5ELNS1_3repE0EEENS1_30default_config_static_selectorELNS0_4arch9wavefront6targetE0EEEvSY_
                                        ; -- End function
	.set _ZN7rocprim17ROCPRIM_400000_NS6detail17trampoline_kernelINS0_14default_configENS1_27upper_bound_config_selectorIflEEZNS1_14transform_implILb0ES3_S5_N6thrust23THRUST_200600_302600_NS6detail15normal_iteratorINS8_7pointerIfNS8_11hip_rocprim16par_det_nosync_tENS8_11use_defaultESE_EEEENSA_INSB_IlSD_SE_SE_EEEEZNS1_13binary_searchIS3_S5_NSA_INS8_10device_ptrIfEEEESG_SI_NS1_21upper_bound_search_opENS9_16wrapped_functionINS8_6system6detail7generic6detail18binary_search_lessEbEEEE10hipError_tPvRmT1_T2_T3_mmT4_T5_P12ihipStream_tbEUlRKfE_EESV_SZ_S10_mS11_S14_bEUlT_E_NS1_11comp_targetILNS1_3genE10ELNS1_11target_archE1201ELNS1_3gpuE5ELNS1_3repE0EEENS1_30default_config_static_selectorELNS0_4arch9wavefront6targetE0EEEvSY_.num_vgpr, 0
	.set _ZN7rocprim17ROCPRIM_400000_NS6detail17trampoline_kernelINS0_14default_configENS1_27upper_bound_config_selectorIflEEZNS1_14transform_implILb0ES3_S5_N6thrust23THRUST_200600_302600_NS6detail15normal_iteratorINS8_7pointerIfNS8_11hip_rocprim16par_det_nosync_tENS8_11use_defaultESE_EEEENSA_INSB_IlSD_SE_SE_EEEEZNS1_13binary_searchIS3_S5_NSA_INS8_10device_ptrIfEEEESG_SI_NS1_21upper_bound_search_opENS9_16wrapped_functionINS8_6system6detail7generic6detail18binary_search_lessEbEEEE10hipError_tPvRmT1_T2_T3_mmT4_T5_P12ihipStream_tbEUlRKfE_EESV_SZ_S10_mS11_S14_bEUlT_E_NS1_11comp_targetILNS1_3genE10ELNS1_11target_archE1201ELNS1_3gpuE5ELNS1_3repE0EEENS1_30default_config_static_selectorELNS0_4arch9wavefront6targetE0EEEvSY_.num_agpr, 0
	.set _ZN7rocprim17ROCPRIM_400000_NS6detail17trampoline_kernelINS0_14default_configENS1_27upper_bound_config_selectorIflEEZNS1_14transform_implILb0ES3_S5_N6thrust23THRUST_200600_302600_NS6detail15normal_iteratorINS8_7pointerIfNS8_11hip_rocprim16par_det_nosync_tENS8_11use_defaultESE_EEEENSA_INSB_IlSD_SE_SE_EEEEZNS1_13binary_searchIS3_S5_NSA_INS8_10device_ptrIfEEEESG_SI_NS1_21upper_bound_search_opENS9_16wrapped_functionINS8_6system6detail7generic6detail18binary_search_lessEbEEEE10hipError_tPvRmT1_T2_T3_mmT4_T5_P12ihipStream_tbEUlRKfE_EESV_SZ_S10_mS11_S14_bEUlT_E_NS1_11comp_targetILNS1_3genE10ELNS1_11target_archE1201ELNS1_3gpuE5ELNS1_3repE0EEENS1_30default_config_static_selectorELNS0_4arch9wavefront6targetE0EEEvSY_.numbered_sgpr, 0
	.set _ZN7rocprim17ROCPRIM_400000_NS6detail17trampoline_kernelINS0_14default_configENS1_27upper_bound_config_selectorIflEEZNS1_14transform_implILb0ES3_S5_N6thrust23THRUST_200600_302600_NS6detail15normal_iteratorINS8_7pointerIfNS8_11hip_rocprim16par_det_nosync_tENS8_11use_defaultESE_EEEENSA_INSB_IlSD_SE_SE_EEEEZNS1_13binary_searchIS3_S5_NSA_INS8_10device_ptrIfEEEESG_SI_NS1_21upper_bound_search_opENS9_16wrapped_functionINS8_6system6detail7generic6detail18binary_search_lessEbEEEE10hipError_tPvRmT1_T2_T3_mmT4_T5_P12ihipStream_tbEUlRKfE_EESV_SZ_S10_mS11_S14_bEUlT_E_NS1_11comp_targetILNS1_3genE10ELNS1_11target_archE1201ELNS1_3gpuE5ELNS1_3repE0EEENS1_30default_config_static_selectorELNS0_4arch9wavefront6targetE0EEEvSY_.num_named_barrier, 0
	.set _ZN7rocprim17ROCPRIM_400000_NS6detail17trampoline_kernelINS0_14default_configENS1_27upper_bound_config_selectorIflEEZNS1_14transform_implILb0ES3_S5_N6thrust23THRUST_200600_302600_NS6detail15normal_iteratorINS8_7pointerIfNS8_11hip_rocprim16par_det_nosync_tENS8_11use_defaultESE_EEEENSA_INSB_IlSD_SE_SE_EEEEZNS1_13binary_searchIS3_S5_NSA_INS8_10device_ptrIfEEEESG_SI_NS1_21upper_bound_search_opENS9_16wrapped_functionINS8_6system6detail7generic6detail18binary_search_lessEbEEEE10hipError_tPvRmT1_T2_T3_mmT4_T5_P12ihipStream_tbEUlRKfE_EESV_SZ_S10_mS11_S14_bEUlT_E_NS1_11comp_targetILNS1_3genE10ELNS1_11target_archE1201ELNS1_3gpuE5ELNS1_3repE0EEENS1_30default_config_static_selectorELNS0_4arch9wavefront6targetE0EEEvSY_.private_seg_size, 0
	.set _ZN7rocprim17ROCPRIM_400000_NS6detail17trampoline_kernelINS0_14default_configENS1_27upper_bound_config_selectorIflEEZNS1_14transform_implILb0ES3_S5_N6thrust23THRUST_200600_302600_NS6detail15normal_iteratorINS8_7pointerIfNS8_11hip_rocprim16par_det_nosync_tENS8_11use_defaultESE_EEEENSA_INSB_IlSD_SE_SE_EEEEZNS1_13binary_searchIS3_S5_NSA_INS8_10device_ptrIfEEEESG_SI_NS1_21upper_bound_search_opENS9_16wrapped_functionINS8_6system6detail7generic6detail18binary_search_lessEbEEEE10hipError_tPvRmT1_T2_T3_mmT4_T5_P12ihipStream_tbEUlRKfE_EESV_SZ_S10_mS11_S14_bEUlT_E_NS1_11comp_targetILNS1_3genE10ELNS1_11target_archE1201ELNS1_3gpuE5ELNS1_3repE0EEENS1_30default_config_static_selectorELNS0_4arch9wavefront6targetE0EEEvSY_.uses_vcc, 0
	.set _ZN7rocprim17ROCPRIM_400000_NS6detail17trampoline_kernelINS0_14default_configENS1_27upper_bound_config_selectorIflEEZNS1_14transform_implILb0ES3_S5_N6thrust23THRUST_200600_302600_NS6detail15normal_iteratorINS8_7pointerIfNS8_11hip_rocprim16par_det_nosync_tENS8_11use_defaultESE_EEEENSA_INSB_IlSD_SE_SE_EEEEZNS1_13binary_searchIS3_S5_NSA_INS8_10device_ptrIfEEEESG_SI_NS1_21upper_bound_search_opENS9_16wrapped_functionINS8_6system6detail7generic6detail18binary_search_lessEbEEEE10hipError_tPvRmT1_T2_T3_mmT4_T5_P12ihipStream_tbEUlRKfE_EESV_SZ_S10_mS11_S14_bEUlT_E_NS1_11comp_targetILNS1_3genE10ELNS1_11target_archE1201ELNS1_3gpuE5ELNS1_3repE0EEENS1_30default_config_static_selectorELNS0_4arch9wavefront6targetE0EEEvSY_.uses_flat_scratch, 0
	.set _ZN7rocprim17ROCPRIM_400000_NS6detail17trampoline_kernelINS0_14default_configENS1_27upper_bound_config_selectorIflEEZNS1_14transform_implILb0ES3_S5_N6thrust23THRUST_200600_302600_NS6detail15normal_iteratorINS8_7pointerIfNS8_11hip_rocprim16par_det_nosync_tENS8_11use_defaultESE_EEEENSA_INSB_IlSD_SE_SE_EEEEZNS1_13binary_searchIS3_S5_NSA_INS8_10device_ptrIfEEEESG_SI_NS1_21upper_bound_search_opENS9_16wrapped_functionINS8_6system6detail7generic6detail18binary_search_lessEbEEEE10hipError_tPvRmT1_T2_T3_mmT4_T5_P12ihipStream_tbEUlRKfE_EESV_SZ_S10_mS11_S14_bEUlT_E_NS1_11comp_targetILNS1_3genE10ELNS1_11target_archE1201ELNS1_3gpuE5ELNS1_3repE0EEENS1_30default_config_static_selectorELNS0_4arch9wavefront6targetE0EEEvSY_.has_dyn_sized_stack, 0
	.set _ZN7rocprim17ROCPRIM_400000_NS6detail17trampoline_kernelINS0_14default_configENS1_27upper_bound_config_selectorIflEEZNS1_14transform_implILb0ES3_S5_N6thrust23THRUST_200600_302600_NS6detail15normal_iteratorINS8_7pointerIfNS8_11hip_rocprim16par_det_nosync_tENS8_11use_defaultESE_EEEENSA_INSB_IlSD_SE_SE_EEEEZNS1_13binary_searchIS3_S5_NSA_INS8_10device_ptrIfEEEESG_SI_NS1_21upper_bound_search_opENS9_16wrapped_functionINS8_6system6detail7generic6detail18binary_search_lessEbEEEE10hipError_tPvRmT1_T2_T3_mmT4_T5_P12ihipStream_tbEUlRKfE_EESV_SZ_S10_mS11_S14_bEUlT_E_NS1_11comp_targetILNS1_3genE10ELNS1_11target_archE1201ELNS1_3gpuE5ELNS1_3repE0EEENS1_30default_config_static_selectorELNS0_4arch9wavefront6targetE0EEEvSY_.has_recursion, 0
	.set _ZN7rocprim17ROCPRIM_400000_NS6detail17trampoline_kernelINS0_14default_configENS1_27upper_bound_config_selectorIflEEZNS1_14transform_implILb0ES3_S5_N6thrust23THRUST_200600_302600_NS6detail15normal_iteratorINS8_7pointerIfNS8_11hip_rocprim16par_det_nosync_tENS8_11use_defaultESE_EEEENSA_INSB_IlSD_SE_SE_EEEEZNS1_13binary_searchIS3_S5_NSA_INS8_10device_ptrIfEEEESG_SI_NS1_21upper_bound_search_opENS9_16wrapped_functionINS8_6system6detail7generic6detail18binary_search_lessEbEEEE10hipError_tPvRmT1_T2_T3_mmT4_T5_P12ihipStream_tbEUlRKfE_EESV_SZ_S10_mS11_S14_bEUlT_E_NS1_11comp_targetILNS1_3genE10ELNS1_11target_archE1201ELNS1_3gpuE5ELNS1_3repE0EEENS1_30default_config_static_selectorELNS0_4arch9wavefront6targetE0EEEvSY_.has_indirect_call, 0
	.section	.AMDGPU.csdata,"",@progbits
; Kernel info:
; codeLenInByte = 0
; TotalNumSgprs: 0
; NumVgprs: 0
; ScratchSize: 0
; MemoryBound: 0
; FloatMode: 240
; IeeeMode: 1
; LDSByteSize: 0 bytes/workgroup (compile time only)
; SGPRBlocks: 0
; VGPRBlocks: 0
; NumSGPRsForWavesPerEU: 1
; NumVGPRsForWavesPerEU: 1
; Occupancy: 16
; WaveLimiterHint : 0
; COMPUTE_PGM_RSRC2:SCRATCH_EN: 0
; COMPUTE_PGM_RSRC2:USER_SGPR: 6
; COMPUTE_PGM_RSRC2:TRAP_HANDLER: 0
; COMPUTE_PGM_RSRC2:TGID_X_EN: 1
; COMPUTE_PGM_RSRC2:TGID_Y_EN: 0
; COMPUTE_PGM_RSRC2:TGID_Z_EN: 0
; COMPUTE_PGM_RSRC2:TIDIG_COMP_CNT: 0
	.section	.text._ZN7rocprim17ROCPRIM_400000_NS6detail17trampoline_kernelINS0_14default_configENS1_27upper_bound_config_selectorIflEEZNS1_14transform_implILb0ES3_S5_N6thrust23THRUST_200600_302600_NS6detail15normal_iteratorINS8_7pointerIfNS8_11hip_rocprim16par_det_nosync_tENS8_11use_defaultESE_EEEENSA_INSB_IlSD_SE_SE_EEEEZNS1_13binary_searchIS3_S5_NSA_INS8_10device_ptrIfEEEESG_SI_NS1_21upper_bound_search_opENS9_16wrapped_functionINS8_6system6detail7generic6detail18binary_search_lessEbEEEE10hipError_tPvRmT1_T2_T3_mmT4_T5_P12ihipStream_tbEUlRKfE_EESV_SZ_S10_mS11_S14_bEUlT_E_NS1_11comp_targetILNS1_3genE10ELNS1_11target_archE1200ELNS1_3gpuE4ELNS1_3repE0EEENS1_30default_config_static_selectorELNS0_4arch9wavefront6targetE0EEEvSY_,"axG",@progbits,_ZN7rocprim17ROCPRIM_400000_NS6detail17trampoline_kernelINS0_14default_configENS1_27upper_bound_config_selectorIflEEZNS1_14transform_implILb0ES3_S5_N6thrust23THRUST_200600_302600_NS6detail15normal_iteratorINS8_7pointerIfNS8_11hip_rocprim16par_det_nosync_tENS8_11use_defaultESE_EEEENSA_INSB_IlSD_SE_SE_EEEEZNS1_13binary_searchIS3_S5_NSA_INS8_10device_ptrIfEEEESG_SI_NS1_21upper_bound_search_opENS9_16wrapped_functionINS8_6system6detail7generic6detail18binary_search_lessEbEEEE10hipError_tPvRmT1_T2_T3_mmT4_T5_P12ihipStream_tbEUlRKfE_EESV_SZ_S10_mS11_S14_bEUlT_E_NS1_11comp_targetILNS1_3genE10ELNS1_11target_archE1200ELNS1_3gpuE4ELNS1_3repE0EEENS1_30default_config_static_selectorELNS0_4arch9wavefront6targetE0EEEvSY_,comdat
	.protected	_ZN7rocprim17ROCPRIM_400000_NS6detail17trampoline_kernelINS0_14default_configENS1_27upper_bound_config_selectorIflEEZNS1_14transform_implILb0ES3_S5_N6thrust23THRUST_200600_302600_NS6detail15normal_iteratorINS8_7pointerIfNS8_11hip_rocprim16par_det_nosync_tENS8_11use_defaultESE_EEEENSA_INSB_IlSD_SE_SE_EEEEZNS1_13binary_searchIS3_S5_NSA_INS8_10device_ptrIfEEEESG_SI_NS1_21upper_bound_search_opENS9_16wrapped_functionINS8_6system6detail7generic6detail18binary_search_lessEbEEEE10hipError_tPvRmT1_T2_T3_mmT4_T5_P12ihipStream_tbEUlRKfE_EESV_SZ_S10_mS11_S14_bEUlT_E_NS1_11comp_targetILNS1_3genE10ELNS1_11target_archE1200ELNS1_3gpuE4ELNS1_3repE0EEENS1_30default_config_static_selectorELNS0_4arch9wavefront6targetE0EEEvSY_ ; -- Begin function _ZN7rocprim17ROCPRIM_400000_NS6detail17trampoline_kernelINS0_14default_configENS1_27upper_bound_config_selectorIflEEZNS1_14transform_implILb0ES3_S5_N6thrust23THRUST_200600_302600_NS6detail15normal_iteratorINS8_7pointerIfNS8_11hip_rocprim16par_det_nosync_tENS8_11use_defaultESE_EEEENSA_INSB_IlSD_SE_SE_EEEEZNS1_13binary_searchIS3_S5_NSA_INS8_10device_ptrIfEEEESG_SI_NS1_21upper_bound_search_opENS9_16wrapped_functionINS8_6system6detail7generic6detail18binary_search_lessEbEEEE10hipError_tPvRmT1_T2_T3_mmT4_T5_P12ihipStream_tbEUlRKfE_EESV_SZ_S10_mS11_S14_bEUlT_E_NS1_11comp_targetILNS1_3genE10ELNS1_11target_archE1200ELNS1_3gpuE4ELNS1_3repE0EEENS1_30default_config_static_selectorELNS0_4arch9wavefront6targetE0EEEvSY_
	.globl	_ZN7rocprim17ROCPRIM_400000_NS6detail17trampoline_kernelINS0_14default_configENS1_27upper_bound_config_selectorIflEEZNS1_14transform_implILb0ES3_S5_N6thrust23THRUST_200600_302600_NS6detail15normal_iteratorINS8_7pointerIfNS8_11hip_rocprim16par_det_nosync_tENS8_11use_defaultESE_EEEENSA_INSB_IlSD_SE_SE_EEEEZNS1_13binary_searchIS3_S5_NSA_INS8_10device_ptrIfEEEESG_SI_NS1_21upper_bound_search_opENS9_16wrapped_functionINS8_6system6detail7generic6detail18binary_search_lessEbEEEE10hipError_tPvRmT1_T2_T3_mmT4_T5_P12ihipStream_tbEUlRKfE_EESV_SZ_S10_mS11_S14_bEUlT_E_NS1_11comp_targetILNS1_3genE10ELNS1_11target_archE1200ELNS1_3gpuE4ELNS1_3repE0EEENS1_30default_config_static_selectorELNS0_4arch9wavefront6targetE0EEEvSY_
	.p2align	8
	.type	_ZN7rocprim17ROCPRIM_400000_NS6detail17trampoline_kernelINS0_14default_configENS1_27upper_bound_config_selectorIflEEZNS1_14transform_implILb0ES3_S5_N6thrust23THRUST_200600_302600_NS6detail15normal_iteratorINS8_7pointerIfNS8_11hip_rocprim16par_det_nosync_tENS8_11use_defaultESE_EEEENSA_INSB_IlSD_SE_SE_EEEEZNS1_13binary_searchIS3_S5_NSA_INS8_10device_ptrIfEEEESG_SI_NS1_21upper_bound_search_opENS9_16wrapped_functionINS8_6system6detail7generic6detail18binary_search_lessEbEEEE10hipError_tPvRmT1_T2_T3_mmT4_T5_P12ihipStream_tbEUlRKfE_EESV_SZ_S10_mS11_S14_bEUlT_E_NS1_11comp_targetILNS1_3genE10ELNS1_11target_archE1200ELNS1_3gpuE4ELNS1_3repE0EEENS1_30default_config_static_selectorELNS0_4arch9wavefront6targetE0EEEvSY_,@function
_ZN7rocprim17ROCPRIM_400000_NS6detail17trampoline_kernelINS0_14default_configENS1_27upper_bound_config_selectorIflEEZNS1_14transform_implILb0ES3_S5_N6thrust23THRUST_200600_302600_NS6detail15normal_iteratorINS8_7pointerIfNS8_11hip_rocprim16par_det_nosync_tENS8_11use_defaultESE_EEEENSA_INSB_IlSD_SE_SE_EEEEZNS1_13binary_searchIS3_S5_NSA_INS8_10device_ptrIfEEEESG_SI_NS1_21upper_bound_search_opENS9_16wrapped_functionINS8_6system6detail7generic6detail18binary_search_lessEbEEEE10hipError_tPvRmT1_T2_T3_mmT4_T5_P12ihipStream_tbEUlRKfE_EESV_SZ_S10_mS11_S14_bEUlT_E_NS1_11comp_targetILNS1_3genE10ELNS1_11target_archE1200ELNS1_3gpuE4ELNS1_3repE0EEENS1_30default_config_static_selectorELNS0_4arch9wavefront6targetE0EEEvSY_: ; @_ZN7rocprim17ROCPRIM_400000_NS6detail17trampoline_kernelINS0_14default_configENS1_27upper_bound_config_selectorIflEEZNS1_14transform_implILb0ES3_S5_N6thrust23THRUST_200600_302600_NS6detail15normal_iteratorINS8_7pointerIfNS8_11hip_rocprim16par_det_nosync_tENS8_11use_defaultESE_EEEENSA_INSB_IlSD_SE_SE_EEEEZNS1_13binary_searchIS3_S5_NSA_INS8_10device_ptrIfEEEESG_SI_NS1_21upper_bound_search_opENS9_16wrapped_functionINS8_6system6detail7generic6detail18binary_search_lessEbEEEE10hipError_tPvRmT1_T2_T3_mmT4_T5_P12ihipStream_tbEUlRKfE_EESV_SZ_S10_mS11_S14_bEUlT_E_NS1_11comp_targetILNS1_3genE10ELNS1_11target_archE1200ELNS1_3gpuE4ELNS1_3repE0EEENS1_30default_config_static_selectorELNS0_4arch9wavefront6targetE0EEEvSY_
; %bb.0:
	.section	.rodata,"a",@progbits
	.p2align	6, 0x0
	.amdhsa_kernel _ZN7rocprim17ROCPRIM_400000_NS6detail17trampoline_kernelINS0_14default_configENS1_27upper_bound_config_selectorIflEEZNS1_14transform_implILb0ES3_S5_N6thrust23THRUST_200600_302600_NS6detail15normal_iteratorINS8_7pointerIfNS8_11hip_rocprim16par_det_nosync_tENS8_11use_defaultESE_EEEENSA_INSB_IlSD_SE_SE_EEEEZNS1_13binary_searchIS3_S5_NSA_INS8_10device_ptrIfEEEESG_SI_NS1_21upper_bound_search_opENS9_16wrapped_functionINS8_6system6detail7generic6detail18binary_search_lessEbEEEE10hipError_tPvRmT1_T2_T3_mmT4_T5_P12ihipStream_tbEUlRKfE_EESV_SZ_S10_mS11_S14_bEUlT_E_NS1_11comp_targetILNS1_3genE10ELNS1_11target_archE1200ELNS1_3gpuE4ELNS1_3repE0EEENS1_30default_config_static_selectorELNS0_4arch9wavefront6targetE0EEEvSY_
		.amdhsa_group_segment_fixed_size 0
		.amdhsa_private_segment_fixed_size 0
		.amdhsa_kernarg_size 56
		.amdhsa_user_sgpr_count 6
		.amdhsa_user_sgpr_private_segment_buffer 1
		.amdhsa_user_sgpr_dispatch_ptr 0
		.amdhsa_user_sgpr_queue_ptr 0
		.amdhsa_user_sgpr_kernarg_segment_ptr 1
		.amdhsa_user_sgpr_dispatch_id 0
		.amdhsa_user_sgpr_flat_scratch_init 0
		.amdhsa_user_sgpr_private_segment_size 0
		.amdhsa_wavefront_size32 1
		.amdhsa_uses_dynamic_stack 0
		.amdhsa_system_sgpr_private_segment_wavefront_offset 0
		.amdhsa_system_sgpr_workgroup_id_x 1
		.amdhsa_system_sgpr_workgroup_id_y 0
		.amdhsa_system_sgpr_workgroup_id_z 0
		.amdhsa_system_sgpr_workgroup_info 0
		.amdhsa_system_vgpr_workitem_id 0
		.amdhsa_next_free_vgpr 1
		.amdhsa_next_free_sgpr 1
		.amdhsa_reserve_vcc 0
		.amdhsa_reserve_flat_scratch 0
		.amdhsa_float_round_mode_32 0
		.amdhsa_float_round_mode_16_64 0
		.amdhsa_float_denorm_mode_32 3
		.amdhsa_float_denorm_mode_16_64 3
		.amdhsa_dx10_clamp 1
		.amdhsa_ieee_mode 1
		.amdhsa_fp16_overflow 0
		.amdhsa_workgroup_processor_mode 1
		.amdhsa_memory_ordered 1
		.amdhsa_forward_progress 1
		.amdhsa_shared_vgpr_count 0
		.amdhsa_exception_fp_ieee_invalid_op 0
		.amdhsa_exception_fp_denorm_src 0
		.amdhsa_exception_fp_ieee_div_zero 0
		.amdhsa_exception_fp_ieee_overflow 0
		.amdhsa_exception_fp_ieee_underflow 0
		.amdhsa_exception_fp_ieee_inexact 0
		.amdhsa_exception_int_div_zero 0
	.end_amdhsa_kernel
	.section	.text._ZN7rocprim17ROCPRIM_400000_NS6detail17trampoline_kernelINS0_14default_configENS1_27upper_bound_config_selectorIflEEZNS1_14transform_implILb0ES3_S5_N6thrust23THRUST_200600_302600_NS6detail15normal_iteratorINS8_7pointerIfNS8_11hip_rocprim16par_det_nosync_tENS8_11use_defaultESE_EEEENSA_INSB_IlSD_SE_SE_EEEEZNS1_13binary_searchIS3_S5_NSA_INS8_10device_ptrIfEEEESG_SI_NS1_21upper_bound_search_opENS9_16wrapped_functionINS8_6system6detail7generic6detail18binary_search_lessEbEEEE10hipError_tPvRmT1_T2_T3_mmT4_T5_P12ihipStream_tbEUlRKfE_EESV_SZ_S10_mS11_S14_bEUlT_E_NS1_11comp_targetILNS1_3genE10ELNS1_11target_archE1200ELNS1_3gpuE4ELNS1_3repE0EEENS1_30default_config_static_selectorELNS0_4arch9wavefront6targetE0EEEvSY_,"axG",@progbits,_ZN7rocprim17ROCPRIM_400000_NS6detail17trampoline_kernelINS0_14default_configENS1_27upper_bound_config_selectorIflEEZNS1_14transform_implILb0ES3_S5_N6thrust23THRUST_200600_302600_NS6detail15normal_iteratorINS8_7pointerIfNS8_11hip_rocprim16par_det_nosync_tENS8_11use_defaultESE_EEEENSA_INSB_IlSD_SE_SE_EEEEZNS1_13binary_searchIS3_S5_NSA_INS8_10device_ptrIfEEEESG_SI_NS1_21upper_bound_search_opENS9_16wrapped_functionINS8_6system6detail7generic6detail18binary_search_lessEbEEEE10hipError_tPvRmT1_T2_T3_mmT4_T5_P12ihipStream_tbEUlRKfE_EESV_SZ_S10_mS11_S14_bEUlT_E_NS1_11comp_targetILNS1_3genE10ELNS1_11target_archE1200ELNS1_3gpuE4ELNS1_3repE0EEENS1_30default_config_static_selectorELNS0_4arch9wavefront6targetE0EEEvSY_,comdat
.Lfunc_end515:
	.size	_ZN7rocprim17ROCPRIM_400000_NS6detail17trampoline_kernelINS0_14default_configENS1_27upper_bound_config_selectorIflEEZNS1_14transform_implILb0ES3_S5_N6thrust23THRUST_200600_302600_NS6detail15normal_iteratorINS8_7pointerIfNS8_11hip_rocprim16par_det_nosync_tENS8_11use_defaultESE_EEEENSA_INSB_IlSD_SE_SE_EEEEZNS1_13binary_searchIS3_S5_NSA_INS8_10device_ptrIfEEEESG_SI_NS1_21upper_bound_search_opENS9_16wrapped_functionINS8_6system6detail7generic6detail18binary_search_lessEbEEEE10hipError_tPvRmT1_T2_T3_mmT4_T5_P12ihipStream_tbEUlRKfE_EESV_SZ_S10_mS11_S14_bEUlT_E_NS1_11comp_targetILNS1_3genE10ELNS1_11target_archE1200ELNS1_3gpuE4ELNS1_3repE0EEENS1_30default_config_static_selectorELNS0_4arch9wavefront6targetE0EEEvSY_, .Lfunc_end515-_ZN7rocprim17ROCPRIM_400000_NS6detail17trampoline_kernelINS0_14default_configENS1_27upper_bound_config_selectorIflEEZNS1_14transform_implILb0ES3_S5_N6thrust23THRUST_200600_302600_NS6detail15normal_iteratorINS8_7pointerIfNS8_11hip_rocprim16par_det_nosync_tENS8_11use_defaultESE_EEEENSA_INSB_IlSD_SE_SE_EEEEZNS1_13binary_searchIS3_S5_NSA_INS8_10device_ptrIfEEEESG_SI_NS1_21upper_bound_search_opENS9_16wrapped_functionINS8_6system6detail7generic6detail18binary_search_lessEbEEEE10hipError_tPvRmT1_T2_T3_mmT4_T5_P12ihipStream_tbEUlRKfE_EESV_SZ_S10_mS11_S14_bEUlT_E_NS1_11comp_targetILNS1_3genE10ELNS1_11target_archE1200ELNS1_3gpuE4ELNS1_3repE0EEENS1_30default_config_static_selectorELNS0_4arch9wavefront6targetE0EEEvSY_
                                        ; -- End function
	.set _ZN7rocprim17ROCPRIM_400000_NS6detail17trampoline_kernelINS0_14default_configENS1_27upper_bound_config_selectorIflEEZNS1_14transform_implILb0ES3_S5_N6thrust23THRUST_200600_302600_NS6detail15normal_iteratorINS8_7pointerIfNS8_11hip_rocprim16par_det_nosync_tENS8_11use_defaultESE_EEEENSA_INSB_IlSD_SE_SE_EEEEZNS1_13binary_searchIS3_S5_NSA_INS8_10device_ptrIfEEEESG_SI_NS1_21upper_bound_search_opENS9_16wrapped_functionINS8_6system6detail7generic6detail18binary_search_lessEbEEEE10hipError_tPvRmT1_T2_T3_mmT4_T5_P12ihipStream_tbEUlRKfE_EESV_SZ_S10_mS11_S14_bEUlT_E_NS1_11comp_targetILNS1_3genE10ELNS1_11target_archE1200ELNS1_3gpuE4ELNS1_3repE0EEENS1_30default_config_static_selectorELNS0_4arch9wavefront6targetE0EEEvSY_.num_vgpr, 0
	.set _ZN7rocprim17ROCPRIM_400000_NS6detail17trampoline_kernelINS0_14default_configENS1_27upper_bound_config_selectorIflEEZNS1_14transform_implILb0ES3_S5_N6thrust23THRUST_200600_302600_NS6detail15normal_iteratorINS8_7pointerIfNS8_11hip_rocprim16par_det_nosync_tENS8_11use_defaultESE_EEEENSA_INSB_IlSD_SE_SE_EEEEZNS1_13binary_searchIS3_S5_NSA_INS8_10device_ptrIfEEEESG_SI_NS1_21upper_bound_search_opENS9_16wrapped_functionINS8_6system6detail7generic6detail18binary_search_lessEbEEEE10hipError_tPvRmT1_T2_T3_mmT4_T5_P12ihipStream_tbEUlRKfE_EESV_SZ_S10_mS11_S14_bEUlT_E_NS1_11comp_targetILNS1_3genE10ELNS1_11target_archE1200ELNS1_3gpuE4ELNS1_3repE0EEENS1_30default_config_static_selectorELNS0_4arch9wavefront6targetE0EEEvSY_.num_agpr, 0
	.set _ZN7rocprim17ROCPRIM_400000_NS6detail17trampoline_kernelINS0_14default_configENS1_27upper_bound_config_selectorIflEEZNS1_14transform_implILb0ES3_S5_N6thrust23THRUST_200600_302600_NS6detail15normal_iteratorINS8_7pointerIfNS8_11hip_rocprim16par_det_nosync_tENS8_11use_defaultESE_EEEENSA_INSB_IlSD_SE_SE_EEEEZNS1_13binary_searchIS3_S5_NSA_INS8_10device_ptrIfEEEESG_SI_NS1_21upper_bound_search_opENS9_16wrapped_functionINS8_6system6detail7generic6detail18binary_search_lessEbEEEE10hipError_tPvRmT1_T2_T3_mmT4_T5_P12ihipStream_tbEUlRKfE_EESV_SZ_S10_mS11_S14_bEUlT_E_NS1_11comp_targetILNS1_3genE10ELNS1_11target_archE1200ELNS1_3gpuE4ELNS1_3repE0EEENS1_30default_config_static_selectorELNS0_4arch9wavefront6targetE0EEEvSY_.numbered_sgpr, 0
	.set _ZN7rocprim17ROCPRIM_400000_NS6detail17trampoline_kernelINS0_14default_configENS1_27upper_bound_config_selectorIflEEZNS1_14transform_implILb0ES3_S5_N6thrust23THRUST_200600_302600_NS6detail15normal_iteratorINS8_7pointerIfNS8_11hip_rocprim16par_det_nosync_tENS8_11use_defaultESE_EEEENSA_INSB_IlSD_SE_SE_EEEEZNS1_13binary_searchIS3_S5_NSA_INS8_10device_ptrIfEEEESG_SI_NS1_21upper_bound_search_opENS9_16wrapped_functionINS8_6system6detail7generic6detail18binary_search_lessEbEEEE10hipError_tPvRmT1_T2_T3_mmT4_T5_P12ihipStream_tbEUlRKfE_EESV_SZ_S10_mS11_S14_bEUlT_E_NS1_11comp_targetILNS1_3genE10ELNS1_11target_archE1200ELNS1_3gpuE4ELNS1_3repE0EEENS1_30default_config_static_selectorELNS0_4arch9wavefront6targetE0EEEvSY_.num_named_barrier, 0
	.set _ZN7rocprim17ROCPRIM_400000_NS6detail17trampoline_kernelINS0_14default_configENS1_27upper_bound_config_selectorIflEEZNS1_14transform_implILb0ES3_S5_N6thrust23THRUST_200600_302600_NS6detail15normal_iteratorINS8_7pointerIfNS8_11hip_rocprim16par_det_nosync_tENS8_11use_defaultESE_EEEENSA_INSB_IlSD_SE_SE_EEEEZNS1_13binary_searchIS3_S5_NSA_INS8_10device_ptrIfEEEESG_SI_NS1_21upper_bound_search_opENS9_16wrapped_functionINS8_6system6detail7generic6detail18binary_search_lessEbEEEE10hipError_tPvRmT1_T2_T3_mmT4_T5_P12ihipStream_tbEUlRKfE_EESV_SZ_S10_mS11_S14_bEUlT_E_NS1_11comp_targetILNS1_3genE10ELNS1_11target_archE1200ELNS1_3gpuE4ELNS1_3repE0EEENS1_30default_config_static_selectorELNS0_4arch9wavefront6targetE0EEEvSY_.private_seg_size, 0
	.set _ZN7rocprim17ROCPRIM_400000_NS6detail17trampoline_kernelINS0_14default_configENS1_27upper_bound_config_selectorIflEEZNS1_14transform_implILb0ES3_S5_N6thrust23THRUST_200600_302600_NS6detail15normal_iteratorINS8_7pointerIfNS8_11hip_rocprim16par_det_nosync_tENS8_11use_defaultESE_EEEENSA_INSB_IlSD_SE_SE_EEEEZNS1_13binary_searchIS3_S5_NSA_INS8_10device_ptrIfEEEESG_SI_NS1_21upper_bound_search_opENS9_16wrapped_functionINS8_6system6detail7generic6detail18binary_search_lessEbEEEE10hipError_tPvRmT1_T2_T3_mmT4_T5_P12ihipStream_tbEUlRKfE_EESV_SZ_S10_mS11_S14_bEUlT_E_NS1_11comp_targetILNS1_3genE10ELNS1_11target_archE1200ELNS1_3gpuE4ELNS1_3repE0EEENS1_30default_config_static_selectorELNS0_4arch9wavefront6targetE0EEEvSY_.uses_vcc, 0
	.set _ZN7rocprim17ROCPRIM_400000_NS6detail17trampoline_kernelINS0_14default_configENS1_27upper_bound_config_selectorIflEEZNS1_14transform_implILb0ES3_S5_N6thrust23THRUST_200600_302600_NS6detail15normal_iteratorINS8_7pointerIfNS8_11hip_rocprim16par_det_nosync_tENS8_11use_defaultESE_EEEENSA_INSB_IlSD_SE_SE_EEEEZNS1_13binary_searchIS3_S5_NSA_INS8_10device_ptrIfEEEESG_SI_NS1_21upper_bound_search_opENS9_16wrapped_functionINS8_6system6detail7generic6detail18binary_search_lessEbEEEE10hipError_tPvRmT1_T2_T3_mmT4_T5_P12ihipStream_tbEUlRKfE_EESV_SZ_S10_mS11_S14_bEUlT_E_NS1_11comp_targetILNS1_3genE10ELNS1_11target_archE1200ELNS1_3gpuE4ELNS1_3repE0EEENS1_30default_config_static_selectorELNS0_4arch9wavefront6targetE0EEEvSY_.uses_flat_scratch, 0
	.set _ZN7rocprim17ROCPRIM_400000_NS6detail17trampoline_kernelINS0_14default_configENS1_27upper_bound_config_selectorIflEEZNS1_14transform_implILb0ES3_S5_N6thrust23THRUST_200600_302600_NS6detail15normal_iteratorINS8_7pointerIfNS8_11hip_rocprim16par_det_nosync_tENS8_11use_defaultESE_EEEENSA_INSB_IlSD_SE_SE_EEEEZNS1_13binary_searchIS3_S5_NSA_INS8_10device_ptrIfEEEESG_SI_NS1_21upper_bound_search_opENS9_16wrapped_functionINS8_6system6detail7generic6detail18binary_search_lessEbEEEE10hipError_tPvRmT1_T2_T3_mmT4_T5_P12ihipStream_tbEUlRKfE_EESV_SZ_S10_mS11_S14_bEUlT_E_NS1_11comp_targetILNS1_3genE10ELNS1_11target_archE1200ELNS1_3gpuE4ELNS1_3repE0EEENS1_30default_config_static_selectorELNS0_4arch9wavefront6targetE0EEEvSY_.has_dyn_sized_stack, 0
	.set _ZN7rocprim17ROCPRIM_400000_NS6detail17trampoline_kernelINS0_14default_configENS1_27upper_bound_config_selectorIflEEZNS1_14transform_implILb0ES3_S5_N6thrust23THRUST_200600_302600_NS6detail15normal_iteratorINS8_7pointerIfNS8_11hip_rocprim16par_det_nosync_tENS8_11use_defaultESE_EEEENSA_INSB_IlSD_SE_SE_EEEEZNS1_13binary_searchIS3_S5_NSA_INS8_10device_ptrIfEEEESG_SI_NS1_21upper_bound_search_opENS9_16wrapped_functionINS8_6system6detail7generic6detail18binary_search_lessEbEEEE10hipError_tPvRmT1_T2_T3_mmT4_T5_P12ihipStream_tbEUlRKfE_EESV_SZ_S10_mS11_S14_bEUlT_E_NS1_11comp_targetILNS1_3genE10ELNS1_11target_archE1200ELNS1_3gpuE4ELNS1_3repE0EEENS1_30default_config_static_selectorELNS0_4arch9wavefront6targetE0EEEvSY_.has_recursion, 0
	.set _ZN7rocprim17ROCPRIM_400000_NS6detail17trampoline_kernelINS0_14default_configENS1_27upper_bound_config_selectorIflEEZNS1_14transform_implILb0ES3_S5_N6thrust23THRUST_200600_302600_NS6detail15normal_iteratorINS8_7pointerIfNS8_11hip_rocprim16par_det_nosync_tENS8_11use_defaultESE_EEEENSA_INSB_IlSD_SE_SE_EEEEZNS1_13binary_searchIS3_S5_NSA_INS8_10device_ptrIfEEEESG_SI_NS1_21upper_bound_search_opENS9_16wrapped_functionINS8_6system6detail7generic6detail18binary_search_lessEbEEEE10hipError_tPvRmT1_T2_T3_mmT4_T5_P12ihipStream_tbEUlRKfE_EESV_SZ_S10_mS11_S14_bEUlT_E_NS1_11comp_targetILNS1_3genE10ELNS1_11target_archE1200ELNS1_3gpuE4ELNS1_3repE0EEENS1_30default_config_static_selectorELNS0_4arch9wavefront6targetE0EEEvSY_.has_indirect_call, 0
	.section	.AMDGPU.csdata,"",@progbits
; Kernel info:
; codeLenInByte = 0
; TotalNumSgprs: 0
; NumVgprs: 0
; ScratchSize: 0
; MemoryBound: 0
; FloatMode: 240
; IeeeMode: 1
; LDSByteSize: 0 bytes/workgroup (compile time only)
; SGPRBlocks: 0
; VGPRBlocks: 0
; NumSGPRsForWavesPerEU: 1
; NumVGPRsForWavesPerEU: 1
; Occupancy: 16
; WaveLimiterHint : 0
; COMPUTE_PGM_RSRC2:SCRATCH_EN: 0
; COMPUTE_PGM_RSRC2:USER_SGPR: 6
; COMPUTE_PGM_RSRC2:TRAP_HANDLER: 0
; COMPUTE_PGM_RSRC2:TGID_X_EN: 1
; COMPUTE_PGM_RSRC2:TGID_Y_EN: 0
; COMPUTE_PGM_RSRC2:TGID_Z_EN: 0
; COMPUTE_PGM_RSRC2:TIDIG_COMP_CNT: 0
	.section	.text._ZN7rocprim17ROCPRIM_400000_NS6detail17trampoline_kernelINS0_14default_configENS1_27upper_bound_config_selectorIflEEZNS1_14transform_implILb0ES3_S5_N6thrust23THRUST_200600_302600_NS6detail15normal_iteratorINS8_7pointerIfNS8_11hip_rocprim16par_det_nosync_tENS8_11use_defaultESE_EEEENSA_INSB_IlSD_SE_SE_EEEEZNS1_13binary_searchIS3_S5_NSA_INS8_10device_ptrIfEEEESG_SI_NS1_21upper_bound_search_opENS9_16wrapped_functionINS8_6system6detail7generic6detail18binary_search_lessEbEEEE10hipError_tPvRmT1_T2_T3_mmT4_T5_P12ihipStream_tbEUlRKfE_EESV_SZ_S10_mS11_S14_bEUlT_E_NS1_11comp_targetILNS1_3genE9ELNS1_11target_archE1100ELNS1_3gpuE3ELNS1_3repE0EEENS1_30default_config_static_selectorELNS0_4arch9wavefront6targetE0EEEvSY_,"axG",@progbits,_ZN7rocprim17ROCPRIM_400000_NS6detail17trampoline_kernelINS0_14default_configENS1_27upper_bound_config_selectorIflEEZNS1_14transform_implILb0ES3_S5_N6thrust23THRUST_200600_302600_NS6detail15normal_iteratorINS8_7pointerIfNS8_11hip_rocprim16par_det_nosync_tENS8_11use_defaultESE_EEEENSA_INSB_IlSD_SE_SE_EEEEZNS1_13binary_searchIS3_S5_NSA_INS8_10device_ptrIfEEEESG_SI_NS1_21upper_bound_search_opENS9_16wrapped_functionINS8_6system6detail7generic6detail18binary_search_lessEbEEEE10hipError_tPvRmT1_T2_T3_mmT4_T5_P12ihipStream_tbEUlRKfE_EESV_SZ_S10_mS11_S14_bEUlT_E_NS1_11comp_targetILNS1_3genE9ELNS1_11target_archE1100ELNS1_3gpuE3ELNS1_3repE0EEENS1_30default_config_static_selectorELNS0_4arch9wavefront6targetE0EEEvSY_,comdat
	.protected	_ZN7rocprim17ROCPRIM_400000_NS6detail17trampoline_kernelINS0_14default_configENS1_27upper_bound_config_selectorIflEEZNS1_14transform_implILb0ES3_S5_N6thrust23THRUST_200600_302600_NS6detail15normal_iteratorINS8_7pointerIfNS8_11hip_rocprim16par_det_nosync_tENS8_11use_defaultESE_EEEENSA_INSB_IlSD_SE_SE_EEEEZNS1_13binary_searchIS3_S5_NSA_INS8_10device_ptrIfEEEESG_SI_NS1_21upper_bound_search_opENS9_16wrapped_functionINS8_6system6detail7generic6detail18binary_search_lessEbEEEE10hipError_tPvRmT1_T2_T3_mmT4_T5_P12ihipStream_tbEUlRKfE_EESV_SZ_S10_mS11_S14_bEUlT_E_NS1_11comp_targetILNS1_3genE9ELNS1_11target_archE1100ELNS1_3gpuE3ELNS1_3repE0EEENS1_30default_config_static_selectorELNS0_4arch9wavefront6targetE0EEEvSY_ ; -- Begin function _ZN7rocprim17ROCPRIM_400000_NS6detail17trampoline_kernelINS0_14default_configENS1_27upper_bound_config_selectorIflEEZNS1_14transform_implILb0ES3_S5_N6thrust23THRUST_200600_302600_NS6detail15normal_iteratorINS8_7pointerIfNS8_11hip_rocprim16par_det_nosync_tENS8_11use_defaultESE_EEEENSA_INSB_IlSD_SE_SE_EEEEZNS1_13binary_searchIS3_S5_NSA_INS8_10device_ptrIfEEEESG_SI_NS1_21upper_bound_search_opENS9_16wrapped_functionINS8_6system6detail7generic6detail18binary_search_lessEbEEEE10hipError_tPvRmT1_T2_T3_mmT4_T5_P12ihipStream_tbEUlRKfE_EESV_SZ_S10_mS11_S14_bEUlT_E_NS1_11comp_targetILNS1_3genE9ELNS1_11target_archE1100ELNS1_3gpuE3ELNS1_3repE0EEENS1_30default_config_static_selectorELNS0_4arch9wavefront6targetE0EEEvSY_
	.globl	_ZN7rocprim17ROCPRIM_400000_NS6detail17trampoline_kernelINS0_14default_configENS1_27upper_bound_config_selectorIflEEZNS1_14transform_implILb0ES3_S5_N6thrust23THRUST_200600_302600_NS6detail15normal_iteratorINS8_7pointerIfNS8_11hip_rocprim16par_det_nosync_tENS8_11use_defaultESE_EEEENSA_INSB_IlSD_SE_SE_EEEEZNS1_13binary_searchIS3_S5_NSA_INS8_10device_ptrIfEEEESG_SI_NS1_21upper_bound_search_opENS9_16wrapped_functionINS8_6system6detail7generic6detail18binary_search_lessEbEEEE10hipError_tPvRmT1_T2_T3_mmT4_T5_P12ihipStream_tbEUlRKfE_EESV_SZ_S10_mS11_S14_bEUlT_E_NS1_11comp_targetILNS1_3genE9ELNS1_11target_archE1100ELNS1_3gpuE3ELNS1_3repE0EEENS1_30default_config_static_selectorELNS0_4arch9wavefront6targetE0EEEvSY_
	.p2align	8
	.type	_ZN7rocprim17ROCPRIM_400000_NS6detail17trampoline_kernelINS0_14default_configENS1_27upper_bound_config_selectorIflEEZNS1_14transform_implILb0ES3_S5_N6thrust23THRUST_200600_302600_NS6detail15normal_iteratorINS8_7pointerIfNS8_11hip_rocprim16par_det_nosync_tENS8_11use_defaultESE_EEEENSA_INSB_IlSD_SE_SE_EEEEZNS1_13binary_searchIS3_S5_NSA_INS8_10device_ptrIfEEEESG_SI_NS1_21upper_bound_search_opENS9_16wrapped_functionINS8_6system6detail7generic6detail18binary_search_lessEbEEEE10hipError_tPvRmT1_T2_T3_mmT4_T5_P12ihipStream_tbEUlRKfE_EESV_SZ_S10_mS11_S14_bEUlT_E_NS1_11comp_targetILNS1_3genE9ELNS1_11target_archE1100ELNS1_3gpuE3ELNS1_3repE0EEENS1_30default_config_static_selectorELNS0_4arch9wavefront6targetE0EEEvSY_,@function
_ZN7rocprim17ROCPRIM_400000_NS6detail17trampoline_kernelINS0_14default_configENS1_27upper_bound_config_selectorIflEEZNS1_14transform_implILb0ES3_S5_N6thrust23THRUST_200600_302600_NS6detail15normal_iteratorINS8_7pointerIfNS8_11hip_rocprim16par_det_nosync_tENS8_11use_defaultESE_EEEENSA_INSB_IlSD_SE_SE_EEEEZNS1_13binary_searchIS3_S5_NSA_INS8_10device_ptrIfEEEESG_SI_NS1_21upper_bound_search_opENS9_16wrapped_functionINS8_6system6detail7generic6detail18binary_search_lessEbEEEE10hipError_tPvRmT1_T2_T3_mmT4_T5_P12ihipStream_tbEUlRKfE_EESV_SZ_S10_mS11_S14_bEUlT_E_NS1_11comp_targetILNS1_3genE9ELNS1_11target_archE1100ELNS1_3gpuE3ELNS1_3repE0EEENS1_30default_config_static_selectorELNS0_4arch9wavefront6targetE0EEEvSY_: ; @_ZN7rocprim17ROCPRIM_400000_NS6detail17trampoline_kernelINS0_14default_configENS1_27upper_bound_config_selectorIflEEZNS1_14transform_implILb0ES3_S5_N6thrust23THRUST_200600_302600_NS6detail15normal_iteratorINS8_7pointerIfNS8_11hip_rocprim16par_det_nosync_tENS8_11use_defaultESE_EEEENSA_INSB_IlSD_SE_SE_EEEEZNS1_13binary_searchIS3_S5_NSA_INS8_10device_ptrIfEEEESG_SI_NS1_21upper_bound_search_opENS9_16wrapped_functionINS8_6system6detail7generic6detail18binary_search_lessEbEEEE10hipError_tPvRmT1_T2_T3_mmT4_T5_P12ihipStream_tbEUlRKfE_EESV_SZ_S10_mS11_S14_bEUlT_E_NS1_11comp_targetILNS1_3genE9ELNS1_11target_archE1100ELNS1_3gpuE3ELNS1_3repE0EEENS1_30default_config_static_selectorELNS0_4arch9wavefront6targetE0EEEvSY_
; %bb.0:
	.section	.rodata,"a",@progbits
	.p2align	6, 0x0
	.amdhsa_kernel _ZN7rocprim17ROCPRIM_400000_NS6detail17trampoline_kernelINS0_14default_configENS1_27upper_bound_config_selectorIflEEZNS1_14transform_implILb0ES3_S5_N6thrust23THRUST_200600_302600_NS6detail15normal_iteratorINS8_7pointerIfNS8_11hip_rocprim16par_det_nosync_tENS8_11use_defaultESE_EEEENSA_INSB_IlSD_SE_SE_EEEEZNS1_13binary_searchIS3_S5_NSA_INS8_10device_ptrIfEEEESG_SI_NS1_21upper_bound_search_opENS9_16wrapped_functionINS8_6system6detail7generic6detail18binary_search_lessEbEEEE10hipError_tPvRmT1_T2_T3_mmT4_T5_P12ihipStream_tbEUlRKfE_EESV_SZ_S10_mS11_S14_bEUlT_E_NS1_11comp_targetILNS1_3genE9ELNS1_11target_archE1100ELNS1_3gpuE3ELNS1_3repE0EEENS1_30default_config_static_selectorELNS0_4arch9wavefront6targetE0EEEvSY_
		.amdhsa_group_segment_fixed_size 0
		.amdhsa_private_segment_fixed_size 0
		.amdhsa_kernarg_size 56
		.amdhsa_user_sgpr_count 6
		.amdhsa_user_sgpr_private_segment_buffer 1
		.amdhsa_user_sgpr_dispatch_ptr 0
		.amdhsa_user_sgpr_queue_ptr 0
		.amdhsa_user_sgpr_kernarg_segment_ptr 1
		.amdhsa_user_sgpr_dispatch_id 0
		.amdhsa_user_sgpr_flat_scratch_init 0
		.amdhsa_user_sgpr_private_segment_size 0
		.amdhsa_wavefront_size32 1
		.amdhsa_uses_dynamic_stack 0
		.amdhsa_system_sgpr_private_segment_wavefront_offset 0
		.amdhsa_system_sgpr_workgroup_id_x 1
		.amdhsa_system_sgpr_workgroup_id_y 0
		.amdhsa_system_sgpr_workgroup_id_z 0
		.amdhsa_system_sgpr_workgroup_info 0
		.amdhsa_system_vgpr_workitem_id 0
		.amdhsa_next_free_vgpr 1
		.amdhsa_next_free_sgpr 1
		.amdhsa_reserve_vcc 0
		.amdhsa_reserve_flat_scratch 0
		.amdhsa_float_round_mode_32 0
		.amdhsa_float_round_mode_16_64 0
		.amdhsa_float_denorm_mode_32 3
		.amdhsa_float_denorm_mode_16_64 3
		.amdhsa_dx10_clamp 1
		.amdhsa_ieee_mode 1
		.amdhsa_fp16_overflow 0
		.amdhsa_workgroup_processor_mode 1
		.amdhsa_memory_ordered 1
		.amdhsa_forward_progress 1
		.amdhsa_shared_vgpr_count 0
		.amdhsa_exception_fp_ieee_invalid_op 0
		.amdhsa_exception_fp_denorm_src 0
		.amdhsa_exception_fp_ieee_div_zero 0
		.amdhsa_exception_fp_ieee_overflow 0
		.amdhsa_exception_fp_ieee_underflow 0
		.amdhsa_exception_fp_ieee_inexact 0
		.amdhsa_exception_int_div_zero 0
	.end_amdhsa_kernel
	.section	.text._ZN7rocprim17ROCPRIM_400000_NS6detail17trampoline_kernelINS0_14default_configENS1_27upper_bound_config_selectorIflEEZNS1_14transform_implILb0ES3_S5_N6thrust23THRUST_200600_302600_NS6detail15normal_iteratorINS8_7pointerIfNS8_11hip_rocprim16par_det_nosync_tENS8_11use_defaultESE_EEEENSA_INSB_IlSD_SE_SE_EEEEZNS1_13binary_searchIS3_S5_NSA_INS8_10device_ptrIfEEEESG_SI_NS1_21upper_bound_search_opENS9_16wrapped_functionINS8_6system6detail7generic6detail18binary_search_lessEbEEEE10hipError_tPvRmT1_T2_T3_mmT4_T5_P12ihipStream_tbEUlRKfE_EESV_SZ_S10_mS11_S14_bEUlT_E_NS1_11comp_targetILNS1_3genE9ELNS1_11target_archE1100ELNS1_3gpuE3ELNS1_3repE0EEENS1_30default_config_static_selectorELNS0_4arch9wavefront6targetE0EEEvSY_,"axG",@progbits,_ZN7rocprim17ROCPRIM_400000_NS6detail17trampoline_kernelINS0_14default_configENS1_27upper_bound_config_selectorIflEEZNS1_14transform_implILb0ES3_S5_N6thrust23THRUST_200600_302600_NS6detail15normal_iteratorINS8_7pointerIfNS8_11hip_rocprim16par_det_nosync_tENS8_11use_defaultESE_EEEENSA_INSB_IlSD_SE_SE_EEEEZNS1_13binary_searchIS3_S5_NSA_INS8_10device_ptrIfEEEESG_SI_NS1_21upper_bound_search_opENS9_16wrapped_functionINS8_6system6detail7generic6detail18binary_search_lessEbEEEE10hipError_tPvRmT1_T2_T3_mmT4_T5_P12ihipStream_tbEUlRKfE_EESV_SZ_S10_mS11_S14_bEUlT_E_NS1_11comp_targetILNS1_3genE9ELNS1_11target_archE1100ELNS1_3gpuE3ELNS1_3repE0EEENS1_30default_config_static_selectorELNS0_4arch9wavefront6targetE0EEEvSY_,comdat
.Lfunc_end516:
	.size	_ZN7rocprim17ROCPRIM_400000_NS6detail17trampoline_kernelINS0_14default_configENS1_27upper_bound_config_selectorIflEEZNS1_14transform_implILb0ES3_S5_N6thrust23THRUST_200600_302600_NS6detail15normal_iteratorINS8_7pointerIfNS8_11hip_rocprim16par_det_nosync_tENS8_11use_defaultESE_EEEENSA_INSB_IlSD_SE_SE_EEEEZNS1_13binary_searchIS3_S5_NSA_INS8_10device_ptrIfEEEESG_SI_NS1_21upper_bound_search_opENS9_16wrapped_functionINS8_6system6detail7generic6detail18binary_search_lessEbEEEE10hipError_tPvRmT1_T2_T3_mmT4_T5_P12ihipStream_tbEUlRKfE_EESV_SZ_S10_mS11_S14_bEUlT_E_NS1_11comp_targetILNS1_3genE9ELNS1_11target_archE1100ELNS1_3gpuE3ELNS1_3repE0EEENS1_30default_config_static_selectorELNS0_4arch9wavefront6targetE0EEEvSY_, .Lfunc_end516-_ZN7rocprim17ROCPRIM_400000_NS6detail17trampoline_kernelINS0_14default_configENS1_27upper_bound_config_selectorIflEEZNS1_14transform_implILb0ES3_S5_N6thrust23THRUST_200600_302600_NS6detail15normal_iteratorINS8_7pointerIfNS8_11hip_rocprim16par_det_nosync_tENS8_11use_defaultESE_EEEENSA_INSB_IlSD_SE_SE_EEEEZNS1_13binary_searchIS3_S5_NSA_INS8_10device_ptrIfEEEESG_SI_NS1_21upper_bound_search_opENS9_16wrapped_functionINS8_6system6detail7generic6detail18binary_search_lessEbEEEE10hipError_tPvRmT1_T2_T3_mmT4_T5_P12ihipStream_tbEUlRKfE_EESV_SZ_S10_mS11_S14_bEUlT_E_NS1_11comp_targetILNS1_3genE9ELNS1_11target_archE1100ELNS1_3gpuE3ELNS1_3repE0EEENS1_30default_config_static_selectorELNS0_4arch9wavefront6targetE0EEEvSY_
                                        ; -- End function
	.set _ZN7rocprim17ROCPRIM_400000_NS6detail17trampoline_kernelINS0_14default_configENS1_27upper_bound_config_selectorIflEEZNS1_14transform_implILb0ES3_S5_N6thrust23THRUST_200600_302600_NS6detail15normal_iteratorINS8_7pointerIfNS8_11hip_rocprim16par_det_nosync_tENS8_11use_defaultESE_EEEENSA_INSB_IlSD_SE_SE_EEEEZNS1_13binary_searchIS3_S5_NSA_INS8_10device_ptrIfEEEESG_SI_NS1_21upper_bound_search_opENS9_16wrapped_functionINS8_6system6detail7generic6detail18binary_search_lessEbEEEE10hipError_tPvRmT1_T2_T3_mmT4_T5_P12ihipStream_tbEUlRKfE_EESV_SZ_S10_mS11_S14_bEUlT_E_NS1_11comp_targetILNS1_3genE9ELNS1_11target_archE1100ELNS1_3gpuE3ELNS1_3repE0EEENS1_30default_config_static_selectorELNS0_4arch9wavefront6targetE0EEEvSY_.num_vgpr, 0
	.set _ZN7rocprim17ROCPRIM_400000_NS6detail17trampoline_kernelINS0_14default_configENS1_27upper_bound_config_selectorIflEEZNS1_14transform_implILb0ES3_S5_N6thrust23THRUST_200600_302600_NS6detail15normal_iteratorINS8_7pointerIfNS8_11hip_rocprim16par_det_nosync_tENS8_11use_defaultESE_EEEENSA_INSB_IlSD_SE_SE_EEEEZNS1_13binary_searchIS3_S5_NSA_INS8_10device_ptrIfEEEESG_SI_NS1_21upper_bound_search_opENS9_16wrapped_functionINS8_6system6detail7generic6detail18binary_search_lessEbEEEE10hipError_tPvRmT1_T2_T3_mmT4_T5_P12ihipStream_tbEUlRKfE_EESV_SZ_S10_mS11_S14_bEUlT_E_NS1_11comp_targetILNS1_3genE9ELNS1_11target_archE1100ELNS1_3gpuE3ELNS1_3repE0EEENS1_30default_config_static_selectorELNS0_4arch9wavefront6targetE0EEEvSY_.num_agpr, 0
	.set _ZN7rocprim17ROCPRIM_400000_NS6detail17trampoline_kernelINS0_14default_configENS1_27upper_bound_config_selectorIflEEZNS1_14transform_implILb0ES3_S5_N6thrust23THRUST_200600_302600_NS6detail15normal_iteratorINS8_7pointerIfNS8_11hip_rocprim16par_det_nosync_tENS8_11use_defaultESE_EEEENSA_INSB_IlSD_SE_SE_EEEEZNS1_13binary_searchIS3_S5_NSA_INS8_10device_ptrIfEEEESG_SI_NS1_21upper_bound_search_opENS9_16wrapped_functionINS8_6system6detail7generic6detail18binary_search_lessEbEEEE10hipError_tPvRmT1_T2_T3_mmT4_T5_P12ihipStream_tbEUlRKfE_EESV_SZ_S10_mS11_S14_bEUlT_E_NS1_11comp_targetILNS1_3genE9ELNS1_11target_archE1100ELNS1_3gpuE3ELNS1_3repE0EEENS1_30default_config_static_selectorELNS0_4arch9wavefront6targetE0EEEvSY_.numbered_sgpr, 0
	.set _ZN7rocprim17ROCPRIM_400000_NS6detail17trampoline_kernelINS0_14default_configENS1_27upper_bound_config_selectorIflEEZNS1_14transform_implILb0ES3_S5_N6thrust23THRUST_200600_302600_NS6detail15normal_iteratorINS8_7pointerIfNS8_11hip_rocprim16par_det_nosync_tENS8_11use_defaultESE_EEEENSA_INSB_IlSD_SE_SE_EEEEZNS1_13binary_searchIS3_S5_NSA_INS8_10device_ptrIfEEEESG_SI_NS1_21upper_bound_search_opENS9_16wrapped_functionINS8_6system6detail7generic6detail18binary_search_lessEbEEEE10hipError_tPvRmT1_T2_T3_mmT4_T5_P12ihipStream_tbEUlRKfE_EESV_SZ_S10_mS11_S14_bEUlT_E_NS1_11comp_targetILNS1_3genE9ELNS1_11target_archE1100ELNS1_3gpuE3ELNS1_3repE0EEENS1_30default_config_static_selectorELNS0_4arch9wavefront6targetE0EEEvSY_.num_named_barrier, 0
	.set _ZN7rocprim17ROCPRIM_400000_NS6detail17trampoline_kernelINS0_14default_configENS1_27upper_bound_config_selectorIflEEZNS1_14transform_implILb0ES3_S5_N6thrust23THRUST_200600_302600_NS6detail15normal_iteratorINS8_7pointerIfNS8_11hip_rocprim16par_det_nosync_tENS8_11use_defaultESE_EEEENSA_INSB_IlSD_SE_SE_EEEEZNS1_13binary_searchIS3_S5_NSA_INS8_10device_ptrIfEEEESG_SI_NS1_21upper_bound_search_opENS9_16wrapped_functionINS8_6system6detail7generic6detail18binary_search_lessEbEEEE10hipError_tPvRmT1_T2_T3_mmT4_T5_P12ihipStream_tbEUlRKfE_EESV_SZ_S10_mS11_S14_bEUlT_E_NS1_11comp_targetILNS1_3genE9ELNS1_11target_archE1100ELNS1_3gpuE3ELNS1_3repE0EEENS1_30default_config_static_selectorELNS0_4arch9wavefront6targetE0EEEvSY_.private_seg_size, 0
	.set _ZN7rocprim17ROCPRIM_400000_NS6detail17trampoline_kernelINS0_14default_configENS1_27upper_bound_config_selectorIflEEZNS1_14transform_implILb0ES3_S5_N6thrust23THRUST_200600_302600_NS6detail15normal_iteratorINS8_7pointerIfNS8_11hip_rocprim16par_det_nosync_tENS8_11use_defaultESE_EEEENSA_INSB_IlSD_SE_SE_EEEEZNS1_13binary_searchIS3_S5_NSA_INS8_10device_ptrIfEEEESG_SI_NS1_21upper_bound_search_opENS9_16wrapped_functionINS8_6system6detail7generic6detail18binary_search_lessEbEEEE10hipError_tPvRmT1_T2_T3_mmT4_T5_P12ihipStream_tbEUlRKfE_EESV_SZ_S10_mS11_S14_bEUlT_E_NS1_11comp_targetILNS1_3genE9ELNS1_11target_archE1100ELNS1_3gpuE3ELNS1_3repE0EEENS1_30default_config_static_selectorELNS0_4arch9wavefront6targetE0EEEvSY_.uses_vcc, 0
	.set _ZN7rocprim17ROCPRIM_400000_NS6detail17trampoline_kernelINS0_14default_configENS1_27upper_bound_config_selectorIflEEZNS1_14transform_implILb0ES3_S5_N6thrust23THRUST_200600_302600_NS6detail15normal_iteratorINS8_7pointerIfNS8_11hip_rocprim16par_det_nosync_tENS8_11use_defaultESE_EEEENSA_INSB_IlSD_SE_SE_EEEEZNS1_13binary_searchIS3_S5_NSA_INS8_10device_ptrIfEEEESG_SI_NS1_21upper_bound_search_opENS9_16wrapped_functionINS8_6system6detail7generic6detail18binary_search_lessEbEEEE10hipError_tPvRmT1_T2_T3_mmT4_T5_P12ihipStream_tbEUlRKfE_EESV_SZ_S10_mS11_S14_bEUlT_E_NS1_11comp_targetILNS1_3genE9ELNS1_11target_archE1100ELNS1_3gpuE3ELNS1_3repE0EEENS1_30default_config_static_selectorELNS0_4arch9wavefront6targetE0EEEvSY_.uses_flat_scratch, 0
	.set _ZN7rocprim17ROCPRIM_400000_NS6detail17trampoline_kernelINS0_14default_configENS1_27upper_bound_config_selectorIflEEZNS1_14transform_implILb0ES3_S5_N6thrust23THRUST_200600_302600_NS6detail15normal_iteratorINS8_7pointerIfNS8_11hip_rocprim16par_det_nosync_tENS8_11use_defaultESE_EEEENSA_INSB_IlSD_SE_SE_EEEEZNS1_13binary_searchIS3_S5_NSA_INS8_10device_ptrIfEEEESG_SI_NS1_21upper_bound_search_opENS9_16wrapped_functionINS8_6system6detail7generic6detail18binary_search_lessEbEEEE10hipError_tPvRmT1_T2_T3_mmT4_T5_P12ihipStream_tbEUlRKfE_EESV_SZ_S10_mS11_S14_bEUlT_E_NS1_11comp_targetILNS1_3genE9ELNS1_11target_archE1100ELNS1_3gpuE3ELNS1_3repE0EEENS1_30default_config_static_selectorELNS0_4arch9wavefront6targetE0EEEvSY_.has_dyn_sized_stack, 0
	.set _ZN7rocprim17ROCPRIM_400000_NS6detail17trampoline_kernelINS0_14default_configENS1_27upper_bound_config_selectorIflEEZNS1_14transform_implILb0ES3_S5_N6thrust23THRUST_200600_302600_NS6detail15normal_iteratorINS8_7pointerIfNS8_11hip_rocprim16par_det_nosync_tENS8_11use_defaultESE_EEEENSA_INSB_IlSD_SE_SE_EEEEZNS1_13binary_searchIS3_S5_NSA_INS8_10device_ptrIfEEEESG_SI_NS1_21upper_bound_search_opENS9_16wrapped_functionINS8_6system6detail7generic6detail18binary_search_lessEbEEEE10hipError_tPvRmT1_T2_T3_mmT4_T5_P12ihipStream_tbEUlRKfE_EESV_SZ_S10_mS11_S14_bEUlT_E_NS1_11comp_targetILNS1_3genE9ELNS1_11target_archE1100ELNS1_3gpuE3ELNS1_3repE0EEENS1_30default_config_static_selectorELNS0_4arch9wavefront6targetE0EEEvSY_.has_recursion, 0
	.set _ZN7rocprim17ROCPRIM_400000_NS6detail17trampoline_kernelINS0_14default_configENS1_27upper_bound_config_selectorIflEEZNS1_14transform_implILb0ES3_S5_N6thrust23THRUST_200600_302600_NS6detail15normal_iteratorINS8_7pointerIfNS8_11hip_rocprim16par_det_nosync_tENS8_11use_defaultESE_EEEENSA_INSB_IlSD_SE_SE_EEEEZNS1_13binary_searchIS3_S5_NSA_INS8_10device_ptrIfEEEESG_SI_NS1_21upper_bound_search_opENS9_16wrapped_functionINS8_6system6detail7generic6detail18binary_search_lessEbEEEE10hipError_tPvRmT1_T2_T3_mmT4_T5_P12ihipStream_tbEUlRKfE_EESV_SZ_S10_mS11_S14_bEUlT_E_NS1_11comp_targetILNS1_3genE9ELNS1_11target_archE1100ELNS1_3gpuE3ELNS1_3repE0EEENS1_30default_config_static_selectorELNS0_4arch9wavefront6targetE0EEEvSY_.has_indirect_call, 0
	.section	.AMDGPU.csdata,"",@progbits
; Kernel info:
; codeLenInByte = 0
; TotalNumSgprs: 0
; NumVgprs: 0
; ScratchSize: 0
; MemoryBound: 0
; FloatMode: 240
; IeeeMode: 1
; LDSByteSize: 0 bytes/workgroup (compile time only)
; SGPRBlocks: 0
; VGPRBlocks: 0
; NumSGPRsForWavesPerEU: 1
; NumVGPRsForWavesPerEU: 1
; Occupancy: 16
; WaveLimiterHint : 0
; COMPUTE_PGM_RSRC2:SCRATCH_EN: 0
; COMPUTE_PGM_RSRC2:USER_SGPR: 6
; COMPUTE_PGM_RSRC2:TRAP_HANDLER: 0
; COMPUTE_PGM_RSRC2:TGID_X_EN: 1
; COMPUTE_PGM_RSRC2:TGID_Y_EN: 0
; COMPUTE_PGM_RSRC2:TGID_Z_EN: 0
; COMPUTE_PGM_RSRC2:TIDIG_COMP_CNT: 0
	.section	.text._ZN7rocprim17ROCPRIM_400000_NS6detail17trampoline_kernelINS0_14default_configENS1_27upper_bound_config_selectorIflEEZNS1_14transform_implILb0ES3_S5_N6thrust23THRUST_200600_302600_NS6detail15normal_iteratorINS8_7pointerIfNS8_11hip_rocprim16par_det_nosync_tENS8_11use_defaultESE_EEEENSA_INSB_IlSD_SE_SE_EEEEZNS1_13binary_searchIS3_S5_NSA_INS8_10device_ptrIfEEEESG_SI_NS1_21upper_bound_search_opENS9_16wrapped_functionINS8_6system6detail7generic6detail18binary_search_lessEbEEEE10hipError_tPvRmT1_T2_T3_mmT4_T5_P12ihipStream_tbEUlRKfE_EESV_SZ_S10_mS11_S14_bEUlT_E_NS1_11comp_targetILNS1_3genE8ELNS1_11target_archE1030ELNS1_3gpuE2ELNS1_3repE0EEENS1_30default_config_static_selectorELNS0_4arch9wavefront6targetE0EEEvSY_,"axG",@progbits,_ZN7rocprim17ROCPRIM_400000_NS6detail17trampoline_kernelINS0_14default_configENS1_27upper_bound_config_selectorIflEEZNS1_14transform_implILb0ES3_S5_N6thrust23THRUST_200600_302600_NS6detail15normal_iteratorINS8_7pointerIfNS8_11hip_rocprim16par_det_nosync_tENS8_11use_defaultESE_EEEENSA_INSB_IlSD_SE_SE_EEEEZNS1_13binary_searchIS3_S5_NSA_INS8_10device_ptrIfEEEESG_SI_NS1_21upper_bound_search_opENS9_16wrapped_functionINS8_6system6detail7generic6detail18binary_search_lessEbEEEE10hipError_tPvRmT1_T2_T3_mmT4_T5_P12ihipStream_tbEUlRKfE_EESV_SZ_S10_mS11_S14_bEUlT_E_NS1_11comp_targetILNS1_3genE8ELNS1_11target_archE1030ELNS1_3gpuE2ELNS1_3repE0EEENS1_30default_config_static_selectorELNS0_4arch9wavefront6targetE0EEEvSY_,comdat
	.protected	_ZN7rocprim17ROCPRIM_400000_NS6detail17trampoline_kernelINS0_14default_configENS1_27upper_bound_config_selectorIflEEZNS1_14transform_implILb0ES3_S5_N6thrust23THRUST_200600_302600_NS6detail15normal_iteratorINS8_7pointerIfNS8_11hip_rocprim16par_det_nosync_tENS8_11use_defaultESE_EEEENSA_INSB_IlSD_SE_SE_EEEEZNS1_13binary_searchIS3_S5_NSA_INS8_10device_ptrIfEEEESG_SI_NS1_21upper_bound_search_opENS9_16wrapped_functionINS8_6system6detail7generic6detail18binary_search_lessEbEEEE10hipError_tPvRmT1_T2_T3_mmT4_T5_P12ihipStream_tbEUlRKfE_EESV_SZ_S10_mS11_S14_bEUlT_E_NS1_11comp_targetILNS1_3genE8ELNS1_11target_archE1030ELNS1_3gpuE2ELNS1_3repE0EEENS1_30default_config_static_selectorELNS0_4arch9wavefront6targetE0EEEvSY_ ; -- Begin function _ZN7rocprim17ROCPRIM_400000_NS6detail17trampoline_kernelINS0_14default_configENS1_27upper_bound_config_selectorIflEEZNS1_14transform_implILb0ES3_S5_N6thrust23THRUST_200600_302600_NS6detail15normal_iteratorINS8_7pointerIfNS8_11hip_rocprim16par_det_nosync_tENS8_11use_defaultESE_EEEENSA_INSB_IlSD_SE_SE_EEEEZNS1_13binary_searchIS3_S5_NSA_INS8_10device_ptrIfEEEESG_SI_NS1_21upper_bound_search_opENS9_16wrapped_functionINS8_6system6detail7generic6detail18binary_search_lessEbEEEE10hipError_tPvRmT1_T2_T3_mmT4_T5_P12ihipStream_tbEUlRKfE_EESV_SZ_S10_mS11_S14_bEUlT_E_NS1_11comp_targetILNS1_3genE8ELNS1_11target_archE1030ELNS1_3gpuE2ELNS1_3repE0EEENS1_30default_config_static_selectorELNS0_4arch9wavefront6targetE0EEEvSY_
	.globl	_ZN7rocprim17ROCPRIM_400000_NS6detail17trampoline_kernelINS0_14default_configENS1_27upper_bound_config_selectorIflEEZNS1_14transform_implILb0ES3_S5_N6thrust23THRUST_200600_302600_NS6detail15normal_iteratorINS8_7pointerIfNS8_11hip_rocprim16par_det_nosync_tENS8_11use_defaultESE_EEEENSA_INSB_IlSD_SE_SE_EEEEZNS1_13binary_searchIS3_S5_NSA_INS8_10device_ptrIfEEEESG_SI_NS1_21upper_bound_search_opENS9_16wrapped_functionINS8_6system6detail7generic6detail18binary_search_lessEbEEEE10hipError_tPvRmT1_T2_T3_mmT4_T5_P12ihipStream_tbEUlRKfE_EESV_SZ_S10_mS11_S14_bEUlT_E_NS1_11comp_targetILNS1_3genE8ELNS1_11target_archE1030ELNS1_3gpuE2ELNS1_3repE0EEENS1_30default_config_static_selectorELNS0_4arch9wavefront6targetE0EEEvSY_
	.p2align	8
	.type	_ZN7rocprim17ROCPRIM_400000_NS6detail17trampoline_kernelINS0_14default_configENS1_27upper_bound_config_selectorIflEEZNS1_14transform_implILb0ES3_S5_N6thrust23THRUST_200600_302600_NS6detail15normal_iteratorINS8_7pointerIfNS8_11hip_rocprim16par_det_nosync_tENS8_11use_defaultESE_EEEENSA_INSB_IlSD_SE_SE_EEEEZNS1_13binary_searchIS3_S5_NSA_INS8_10device_ptrIfEEEESG_SI_NS1_21upper_bound_search_opENS9_16wrapped_functionINS8_6system6detail7generic6detail18binary_search_lessEbEEEE10hipError_tPvRmT1_T2_T3_mmT4_T5_P12ihipStream_tbEUlRKfE_EESV_SZ_S10_mS11_S14_bEUlT_E_NS1_11comp_targetILNS1_3genE8ELNS1_11target_archE1030ELNS1_3gpuE2ELNS1_3repE0EEENS1_30default_config_static_selectorELNS0_4arch9wavefront6targetE0EEEvSY_,@function
_ZN7rocprim17ROCPRIM_400000_NS6detail17trampoline_kernelINS0_14default_configENS1_27upper_bound_config_selectorIflEEZNS1_14transform_implILb0ES3_S5_N6thrust23THRUST_200600_302600_NS6detail15normal_iteratorINS8_7pointerIfNS8_11hip_rocprim16par_det_nosync_tENS8_11use_defaultESE_EEEENSA_INSB_IlSD_SE_SE_EEEEZNS1_13binary_searchIS3_S5_NSA_INS8_10device_ptrIfEEEESG_SI_NS1_21upper_bound_search_opENS9_16wrapped_functionINS8_6system6detail7generic6detail18binary_search_lessEbEEEE10hipError_tPvRmT1_T2_T3_mmT4_T5_P12ihipStream_tbEUlRKfE_EESV_SZ_S10_mS11_S14_bEUlT_E_NS1_11comp_targetILNS1_3genE8ELNS1_11target_archE1030ELNS1_3gpuE2ELNS1_3repE0EEENS1_30default_config_static_selectorELNS0_4arch9wavefront6targetE0EEEvSY_: ; @_ZN7rocprim17ROCPRIM_400000_NS6detail17trampoline_kernelINS0_14default_configENS1_27upper_bound_config_selectorIflEEZNS1_14transform_implILb0ES3_S5_N6thrust23THRUST_200600_302600_NS6detail15normal_iteratorINS8_7pointerIfNS8_11hip_rocprim16par_det_nosync_tENS8_11use_defaultESE_EEEENSA_INSB_IlSD_SE_SE_EEEEZNS1_13binary_searchIS3_S5_NSA_INS8_10device_ptrIfEEEESG_SI_NS1_21upper_bound_search_opENS9_16wrapped_functionINS8_6system6detail7generic6detail18binary_search_lessEbEEEE10hipError_tPvRmT1_T2_T3_mmT4_T5_P12ihipStream_tbEUlRKfE_EESV_SZ_S10_mS11_S14_bEUlT_E_NS1_11comp_targetILNS1_3genE8ELNS1_11target_archE1030ELNS1_3gpuE2ELNS1_3repE0EEENS1_30default_config_static_selectorELNS0_4arch9wavefront6targetE0EEEvSY_
; %bb.0:
	s_clause 0x3
	s_load_dwordx4 s[12:15], s[4:5], 0x0
	s_load_dwordx4 s[0:3], s[4:5], 0x18
	s_load_dword s16, s[4:5], 0x38
	s_load_dwordx2 s[10:11], s[4:5], 0x28
	s_waitcnt lgkmcnt(0)
	s_lshl_b64 s[8:9], s[14:15], 2
	s_add_u32 s12, s12, s8
	s_addc_u32 s13, s13, s9
	s_lshl_b64 s[8:9], s[14:15], 3
	s_add_u32 s7, s0, s8
	s_addc_u32 s1, s1, s9
	s_add_i32 s16, s16, -1
	s_lshl_b32 s8, s6, 8
	s_mov_b32 s9, 0
	s_cmp_lg_u32 s6, s16
	s_mov_b32 s0, -1
	s_cbranch_scc0 .LBB517_7
; %bb.1:
	s_cmp_eq_u64 s[10:11], 0
	s_cbranch_scc1 .LBB517_5
; %bb.2:
	v_lshlrev_b32_e32 v1, 2, v0
	s_lshl_b64 s[14:15], s[8:9], 2
	v_mov_b32_e32 v3, s10
	s_add_u32 s0, s12, s14
	s_addc_u32 s6, s13, s15
	v_add_co_u32 v1, s0, s0, v1
	v_add_co_ci_u32_e64 v2, null, s6, 0, s0
	v_mov_b32_e32 v4, s11
	s_mov_b32 s0, 0
	flat_load_dword v5, v[1:2]
	v_mov_b32_e32 v1, 0
	v_mov_b32_e32 v2, 0
	s_inst_prefetch 0x1
	.p2align	6
.LBB517_3:                              ; =>This Inner Loop Header: Depth=1
	v_sub_co_u32 v6, vcc_lo, v3, v1
	v_sub_co_ci_u32_e64 v7, null, v4, v2, vcc_lo
	v_lshrrev_b64 v[8:9], 1, v[6:7]
	v_lshrrev_b64 v[6:7], 6, v[6:7]
	v_add_co_u32 v8, vcc_lo, v8, v1
	v_add_co_ci_u32_e64 v9, null, v9, v2, vcc_lo
	v_add_co_u32 v6, vcc_lo, v8, v6
	v_add_co_ci_u32_e64 v7, null, v9, v7, vcc_lo
	v_lshlrev_b64 v[8:9], 2, v[6:7]
	v_add_co_u32 v8, vcc_lo, s2, v8
	v_add_co_ci_u32_e64 v9, null, s3, v9, vcc_lo
	global_load_dword v8, v[8:9], off
	v_add_co_u32 v9, vcc_lo, v6, 1
	v_add_co_ci_u32_e64 v10, null, 0, v7, vcc_lo
	s_waitcnt vmcnt(0) lgkmcnt(0)
	v_cmp_lt_f32_e32 vcc_lo, v5, v8
	v_cndmask_b32_e32 v4, v4, v7, vcc_lo
	v_cndmask_b32_e32 v3, v3, v6, vcc_lo
	;; [unrolled: 1-line block ×4, first 2 shown]
	v_cmp_ge_u64_e32 vcc_lo, v[1:2], v[3:4]
	s_or_b32 s0, vcc_lo, s0
	s_andn2_b32 exec_lo, exec_lo, s0
	s_cbranch_execnz .LBB517_3
; %bb.4:
	s_inst_prefetch 0x2
	s_or_b32 exec_lo, exec_lo, s0
	s_branch .LBB517_6
.LBB517_5:
	v_mov_b32_e32 v1, 0
	v_mov_b32_e32 v2, 0
.LBB517_6:
	v_lshlrev_b32_e32 v3, 3, v0
	s_lshl_b64 s[14:15], s[8:9], 3
	s_add_u32 s0, s7, s14
	s_addc_u32 s6, s1, s15
	v_add_co_u32 v3, s0, s0, v3
	v_add_co_ci_u32_e64 v4, null, s6, 0, s0
	s_mov_b32 s0, 0
	flat_store_dwordx2 v[3:4], v[1:2]
.LBB517_7:
	s_and_b32 vcc_lo, exec_lo, s0
	s_cbranch_vccz .LBB517_16
; %bb.8:
	s_load_dword s0, s[4:5], 0x10
                                        ; implicit-def: $vgpr5
	s_waitcnt lgkmcnt(0)
	s_sub_i32 s4, s0, s8
	v_cmp_le_u32_e64 s0, s4, v0
	v_cmp_gt_u32_e32 vcc_lo, s4, v0
	s_and_saveexec_b32 s4, vcc_lo
	s_cbranch_execz .LBB517_10
; %bb.9:
	v_lshlrev_b32_e32 v1, 2, v0
	s_lshl_b64 s[14:15], s[8:9], 2
	s_add_u32 s5, s12, s14
	s_addc_u32 s6, s13, s15
	v_add_co_u32 v1, s5, s5, v1
	v_add_co_ci_u32_e64 v2, null, s6, 0, s5
	flat_load_dword v5, v[1:2]
.LBB517_10:
	s_or_b32 exec_lo, exec_lo, s4
	s_cmp_lg_u64 s[10:11], 0
	v_mov_b32_e32 v1, 0
	v_mov_b32_e32 v2, 0
	s_cselect_b32 s4, -1, 0
	s_xor_b32 s0, s0, -1
	s_and_b32 s0, s0, s4
	s_and_saveexec_b32 s4, s0
	s_cbranch_execz .LBB517_14
; %bb.11:
	v_mov_b32_e32 v1, 0
	v_mov_b32_e32 v3, s10
	;; [unrolled: 1-line block ×4, first 2 shown]
	s_mov_b32 s5, 0
	s_inst_prefetch 0x1
	.p2align	6
.LBB517_12:                             ; =>This Inner Loop Header: Depth=1
	v_sub_co_u32 v6, s0, v3, v1
	v_sub_co_ci_u32_e64 v7, null, v4, v2, s0
	v_lshrrev_b64 v[8:9], 1, v[6:7]
	v_lshrrev_b64 v[6:7], 6, v[6:7]
	v_add_co_u32 v8, s0, v8, v1
	v_add_co_ci_u32_e64 v9, null, v9, v2, s0
	v_add_co_u32 v6, s0, v8, v6
	v_add_co_ci_u32_e64 v7, null, v9, v7, s0
	v_lshlrev_b64 v[8:9], 2, v[6:7]
	v_add_co_u32 v8, s0, s2, v8
	v_add_co_ci_u32_e64 v9, null, s3, v9, s0
	global_load_dword v8, v[8:9], off
	v_add_co_u32 v9, s0, v6, 1
	v_add_co_ci_u32_e64 v10, null, 0, v7, s0
	s_waitcnt vmcnt(0) lgkmcnt(0)
	v_cmp_lt_f32_e64 s0, v5, v8
	v_cndmask_b32_e64 v4, v4, v7, s0
	v_cndmask_b32_e64 v3, v3, v6, s0
	;; [unrolled: 1-line block ×4, first 2 shown]
	v_cmp_ge_u64_e64 s0, v[1:2], v[3:4]
	s_or_b32 s5, s0, s5
	s_andn2_b32 exec_lo, exec_lo, s5
	s_cbranch_execnz .LBB517_12
; %bb.13:
	s_inst_prefetch 0x2
	s_or_b32 exec_lo, exec_lo, s5
.LBB517_14:
	s_or_b32 exec_lo, exec_lo, s4
	s_and_saveexec_b32 s0, vcc_lo
	s_cbranch_execz .LBB517_16
; %bb.15:
	v_lshlrev_b32_e32 v0, 3, v0
	s_lshl_b64 s[2:3], s[8:9], 3
	s_add_u32 s0, s7, s2
	s_addc_u32 s1, s1, s3
	v_add_co_u32 v3, s0, s0, v0
	v_add_co_ci_u32_e64 v4, null, s1, 0, s0
	flat_store_dwordx2 v[3:4], v[1:2]
.LBB517_16:
	s_endpgm
	.section	.rodata,"a",@progbits
	.p2align	6, 0x0
	.amdhsa_kernel _ZN7rocprim17ROCPRIM_400000_NS6detail17trampoline_kernelINS0_14default_configENS1_27upper_bound_config_selectorIflEEZNS1_14transform_implILb0ES3_S5_N6thrust23THRUST_200600_302600_NS6detail15normal_iteratorINS8_7pointerIfNS8_11hip_rocprim16par_det_nosync_tENS8_11use_defaultESE_EEEENSA_INSB_IlSD_SE_SE_EEEEZNS1_13binary_searchIS3_S5_NSA_INS8_10device_ptrIfEEEESG_SI_NS1_21upper_bound_search_opENS9_16wrapped_functionINS8_6system6detail7generic6detail18binary_search_lessEbEEEE10hipError_tPvRmT1_T2_T3_mmT4_T5_P12ihipStream_tbEUlRKfE_EESV_SZ_S10_mS11_S14_bEUlT_E_NS1_11comp_targetILNS1_3genE8ELNS1_11target_archE1030ELNS1_3gpuE2ELNS1_3repE0EEENS1_30default_config_static_selectorELNS0_4arch9wavefront6targetE0EEEvSY_
		.amdhsa_group_segment_fixed_size 0
		.amdhsa_private_segment_fixed_size 0
		.amdhsa_kernarg_size 312
		.amdhsa_user_sgpr_count 6
		.amdhsa_user_sgpr_private_segment_buffer 1
		.amdhsa_user_sgpr_dispatch_ptr 0
		.amdhsa_user_sgpr_queue_ptr 0
		.amdhsa_user_sgpr_kernarg_segment_ptr 1
		.amdhsa_user_sgpr_dispatch_id 0
		.amdhsa_user_sgpr_flat_scratch_init 0
		.amdhsa_user_sgpr_private_segment_size 0
		.amdhsa_wavefront_size32 1
		.amdhsa_uses_dynamic_stack 0
		.amdhsa_system_sgpr_private_segment_wavefront_offset 0
		.amdhsa_system_sgpr_workgroup_id_x 1
		.amdhsa_system_sgpr_workgroup_id_y 0
		.amdhsa_system_sgpr_workgroup_id_z 0
		.amdhsa_system_sgpr_workgroup_info 0
		.amdhsa_system_vgpr_workitem_id 0
		.amdhsa_next_free_vgpr 11
		.amdhsa_next_free_sgpr 17
		.amdhsa_reserve_vcc 1
		.amdhsa_reserve_flat_scratch 0
		.amdhsa_float_round_mode_32 0
		.amdhsa_float_round_mode_16_64 0
		.amdhsa_float_denorm_mode_32 3
		.amdhsa_float_denorm_mode_16_64 3
		.amdhsa_dx10_clamp 1
		.amdhsa_ieee_mode 1
		.amdhsa_fp16_overflow 0
		.amdhsa_workgroup_processor_mode 1
		.amdhsa_memory_ordered 1
		.amdhsa_forward_progress 1
		.amdhsa_shared_vgpr_count 0
		.amdhsa_exception_fp_ieee_invalid_op 0
		.amdhsa_exception_fp_denorm_src 0
		.amdhsa_exception_fp_ieee_div_zero 0
		.amdhsa_exception_fp_ieee_overflow 0
		.amdhsa_exception_fp_ieee_underflow 0
		.amdhsa_exception_fp_ieee_inexact 0
		.amdhsa_exception_int_div_zero 0
	.end_amdhsa_kernel
	.section	.text._ZN7rocprim17ROCPRIM_400000_NS6detail17trampoline_kernelINS0_14default_configENS1_27upper_bound_config_selectorIflEEZNS1_14transform_implILb0ES3_S5_N6thrust23THRUST_200600_302600_NS6detail15normal_iteratorINS8_7pointerIfNS8_11hip_rocprim16par_det_nosync_tENS8_11use_defaultESE_EEEENSA_INSB_IlSD_SE_SE_EEEEZNS1_13binary_searchIS3_S5_NSA_INS8_10device_ptrIfEEEESG_SI_NS1_21upper_bound_search_opENS9_16wrapped_functionINS8_6system6detail7generic6detail18binary_search_lessEbEEEE10hipError_tPvRmT1_T2_T3_mmT4_T5_P12ihipStream_tbEUlRKfE_EESV_SZ_S10_mS11_S14_bEUlT_E_NS1_11comp_targetILNS1_3genE8ELNS1_11target_archE1030ELNS1_3gpuE2ELNS1_3repE0EEENS1_30default_config_static_selectorELNS0_4arch9wavefront6targetE0EEEvSY_,"axG",@progbits,_ZN7rocprim17ROCPRIM_400000_NS6detail17trampoline_kernelINS0_14default_configENS1_27upper_bound_config_selectorIflEEZNS1_14transform_implILb0ES3_S5_N6thrust23THRUST_200600_302600_NS6detail15normal_iteratorINS8_7pointerIfNS8_11hip_rocprim16par_det_nosync_tENS8_11use_defaultESE_EEEENSA_INSB_IlSD_SE_SE_EEEEZNS1_13binary_searchIS3_S5_NSA_INS8_10device_ptrIfEEEESG_SI_NS1_21upper_bound_search_opENS9_16wrapped_functionINS8_6system6detail7generic6detail18binary_search_lessEbEEEE10hipError_tPvRmT1_T2_T3_mmT4_T5_P12ihipStream_tbEUlRKfE_EESV_SZ_S10_mS11_S14_bEUlT_E_NS1_11comp_targetILNS1_3genE8ELNS1_11target_archE1030ELNS1_3gpuE2ELNS1_3repE0EEENS1_30default_config_static_selectorELNS0_4arch9wavefront6targetE0EEEvSY_,comdat
.Lfunc_end517:
	.size	_ZN7rocprim17ROCPRIM_400000_NS6detail17trampoline_kernelINS0_14default_configENS1_27upper_bound_config_selectorIflEEZNS1_14transform_implILb0ES3_S5_N6thrust23THRUST_200600_302600_NS6detail15normal_iteratorINS8_7pointerIfNS8_11hip_rocprim16par_det_nosync_tENS8_11use_defaultESE_EEEENSA_INSB_IlSD_SE_SE_EEEEZNS1_13binary_searchIS3_S5_NSA_INS8_10device_ptrIfEEEESG_SI_NS1_21upper_bound_search_opENS9_16wrapped_functionINS8_6system6detail7generic6detail18binary_search_lessEbEEEE10hipError_tPvRmT1_T2_T3_mmT4_T5_P12ihipStream_tbEUlRKfE_EESV_SZ_S10_mS11_S14_bEUlT_E_NS1_11comp_targetILNS1_3genE8ELNS1_11target_archE1030ELNS1_3gpuE2ELNS1_3repE0EEENS1_30default_config_static_selectorELNS0_4arch9wavefront6targetE0EEEvSY_, .Lfunc_end517-_ZN7rocprim17ROCPRIM_400000_NS6detail17trampoline_kernelINS0_14default_configENS1_27upper_bound_config_selectorIflEEZNS1_14transform_implILb0ES3_S5_N6thrust23THRUST_200600_302600_NS6detail15normal_iteratorINS8_7pointerIfNS8_11hip_rocprim16par_det_nosync_tENS8_11use_defaultESE_EEEENSA_INSB_IlSD_SE_SE_EEEEZNS1_13binary_searchIS3_S5_NSA_INS8_10device_ptrIfEEEESG_SI_NS1_21upper_bound_search_opENS9_16wrapped_functionINS8_6system6detail7generic6detail18binary_search_lessEbEEEE10hipError_tPvRmT1_T2_T3_mmT4_T5_P12ihipStream_tbEUlRKfE_EESV_SZ_S10_mS11_S14_bEUlT_E_NS1_11comp_targetILNS1_3genE8ELNS1_11target_archE1030ELNS1_3gpuE2ELNS1_3repE0EEENS1_30default_config_static_selectorELNS0_4arch9wavefront6targetE0EEEvSY_
                                        ; -- End function
	.set _ZN7rocprim17ROCPRIM_400000_NS6detail17trampoline_kernelINS0_14default_configENS1_27upper_bound_config_selectorIflEEZNS1_14transform_implILb0ES3_S5_N6thrust23THRUST_200600_302600_NS6detail15normal_iteratorINS8_7pointerIfNS8_11hip_rocprim16par_det_nosync_tENS8_11use_defaultESE_EEEENSA_INSB_IlSD_SE_SE_EEEEZNS1_13binary_searchIS3_S5_NSA_INS8_10device_ptrIfEEEESG_SI_NS1_21upper_bound_search_opENS9_16wrapped_functionINS8_6system6detail7generic6detail18binary_search_lessEbEEEE10hipError_tPvRmT1_T2_T3_mmT4_T5_P12ihipStream_tbEUlRKfE_EESV_SZ_S10_mS11_S14_bEUlT_E_NS1_11comp_targetILNS1_3genE8ELNS1_11target_archE1030ELNS1_3gpuE2ELNS1_3repE0EEENS1_30default_config_static_selectorELNS0_4arch9wavefront6targetE0EEEvSY_.num_vgpr, 11
	.set _ZN7rocprim17ROCPRIM_400000_NS6detail17trampoline_kernelINS0_14default_configENS1_27upper_bound_config_selectorIflEEZNS1_14transform_implILb0ES3_S5_N6thrust23THRUST_200600_302600_NS6detail15normal_iteratorINS8_7pointerIfNS8_11hip_rocprim16par_det_nosync_tENS8_11use_defaultESE_EEEENSA_INSB_IlSD_SE_SE_EEEEZNS1_13binary_searchIS3_S5_NSA_INS8_10device_ptrIfEEEESG_SI_NS1_21upper_bound_search_opENS9_16wrapped_functionINS8_6system6detail7generic6detail18binary_search_lessEbEEEE10hipError_tPvRmT1_T2_T3_mmT4_T5_P12ihipStream_tbEUlRKfE_EESV_SZ_S10_mS11_S14_bEUlT_E_NS1_11comp_targetILNS1_3genE8ELNS1_11target_archE1030ELNS1_3gpuE2ELNS1_3repE0EEENS1_30default_config_static_selectorELNS0_4arch9wavefront6targetE0EEEvSY_.num_agpr, 0
	.set _ZN7rocprim17ROCPRIM_400000_NS6detail17trampoline_kernelINS0_14default_configENS1_27upper_bound_config_selectorIflEEZNS1_14transform_implILb0ES3_S5_N6thrust23THRUST_200600_302600_NS6detail15normal_iteratorINS8_7pointerIfNS8_11hip_rocprim16par_det_nosync_tENS8_11use_defaultESE_EEEENSA_INSB_IlSD_SE_SE_EEEEZNS1_13binary_searchIS3_S5_NSA_INS8_10device_ptrIfEEEESG_SI_NS1_21upper_bound_search_opENS9_16wrapped_functionINS8_6system6detail7generic6detail18binary_search_lessEbEEEE10hipError_tPvRmT1_T2_T3_mmT4_T5_P12ihipStream_tbEUlRKfE_EESV_SZ_S10_mS11_S14_bEUlT_E_NS1_11comp_targetILNS1_3genE8ELNS1_11target_archE1030ELNS1_3gpuE2ELNS1_3repE0EEENS1_30default_config_static_selectorELNS0_4arch9wavefront6targetE0EEEvSY_.numbered_sgpr, 17
	.set _ZN7rocprim17ROCPRIM_400000_NS6detail17trampoline_kernelINS0_14default_configENS1_27upper_bound_config_selectorIflEEZNS1_14transform_implILb0ES3_S5_N6thrust23THRUST_200600_302600_NS6detail15normal_iteratorINS8_7pointerIfNS8_11hip_rocprim16par_det_nosync_tENS8_11use_defaultESE_EEEENSA_INSB_IlSD_SE_SE_EEEEZNS1_13binary_searchIS3_S5_NSA_INS8_10device_ptrIfEEEESG_SI_NS1_21upper_bound_search_opENS9_16wrapped_functionINS8_6system6detail7generic6detail18binary_search_lessEbEEEE10hipError_tPvRmT1_T2_T3_mmT4_T5_P12ihipStream_tbEUlRKfE_EESV_SZ_S10_mS11_S14_bEUlT_E_NS1_11comp_targetILNS1_3genE8ELNS1_11target_archE1030ELNS1_3gpuE2ELNS1_3repE0EEENS1_30default_config_static_selectorELNS0_4arch9wavefront6targetE0EEEvSY_.num_named_barrier, 0
	.set _ZN7rocprim17ROCPRIM_400000_NS6detail17trampoline_kernelINS0_14default_configENS1_27upper_bound_config_selectorIflEEZNS1_14transform_implILb0ES3_S5_N6thrust23THRUST_200600_302600_NS6detail15normal_iteratorINS8_7pointerIfNS8_11hip_rocprim16par_det_nosync_tENS8_11use_defaultESE_EEEENSA_INSB_IlSD_SE_SE_EEEEZNS1_13binary_searchIS3_S5_NSA_INS8_10device_ptrIfEEEESG_SI_NS1_21upper_bound_search_opENS9_16wrapped_functionINS8_6system6detail7generic6detail18binary_search_lessEbEEEE10hipError_tPvRmT1_T2_T3_mmT4_T5_P12ihipStream_tbEUlRKfE_EESV_SZ_S10_mS11_S14_bEUlT_E_NS1_11comp_targetILNS1_3genE8ELNS1_11target_archE1030ELNS1_3gpuE2ELNS1_3repE0EEENS1_30default_config_static_selectorELNS0_4arch9wavefront6targetE0EEEvSY_.private_seg_size, 0
	.set _ZN7rocprim17ROCPRIM_400000_NS6detail17trampoline_kernelINS0_14default_configENS1_27upper_bound_config_selectorIflEEZNS1_14transform_implILb0ES3_S5_N6thrust23THRUST_200600_302600_NS6detail15normal_iteratorINS8_7pointerIfNS8_11hip_rocprim16par_det_nosync_tENS8_11use_defaultESE_EEEENSA_INSB_IlSD_SE_SE_EEEEZNS1_13binary_searchIS3_S5_NSA_INS8_10device_ptrIfEEEESG_SI_NS1_21upper_bound_search_opENS9_16wrapped_functionINS8_6system6detail7generic6detail18binary_search_lessEbEEEE10hipError_tPvRmT1_T2_T3_mmT4_T5_P12ihipStream_tbEUlRKfE_EESV_SZ_S10_mS11_S14_bEUlT_E_NS1_11comp_targetILNS1_3genE8ELNS1_11target_archE1030ELNS1_3gpuE2ELNS1_3repE0EEENS1_30default_config_static_selectorELNS0_4arch9wavefront6targetE0EEEvSY_.uses_vcc, 1
	.set _ZN7rocprim17ROCPRIM_400000_NS6detail17trampoline_kernelINS0_14default_configENS1_27upper_bound_config_selectorIflEEZNS1_14transform_implILb0ES3_S5_N6thrust23THRUST_200600_302600_NS6detail15normal_iteratorINS8_7pointerIfNS8_11hip_rocprim16par_det_nosync_tENS8_11use_defaultESE_EEEENSA_INSB_IlSD_SE_SE_EEEEZNS1_13binary_searchIS3_S5_NSA_INS8_10device_ptrIfEEEESG_SI_NS1_21upper_bound_search_opENS9_16wrapped_functionINS8_6system6detail7generic6detail18binary_search_lessEbEEEE10hipError_tPvRmT1_T2_T3_mmT4_T5_P12ihipStream_tbEUlRKfE_EESV_SZ_S10_mS11_S14_bEUlT_E_NS1_11comp_targetILNS1_3genE8ELNS1_11target_archE1030ELNS1_3gpuE2ELNS1_3repE0EEENS1_30default_config_static_selectorELNS0_4arch9wavefront6targetE0EEEvSY_.uses_flat_scratch, 0
	.set _ZN7rocprim17ROCPRIM_400000_NS6detail17trampoline_kernelINS0_14default_configENS1_27upper_bound_config_selectorIflEEZNS1_14transform_implILb0ES3_S5_N6thrust23THRUST_200600_302600_NS6detail15normal_iteratorINS8_7pointerIfNS8_11hip_rocprim16par_det_nosync_tENS8_11use_defaultESE_EEEENSA_INSB_IlSD_SE_SE_EEEEZNS1_13binary_searchIS3_S5_NSA_INS8_10device_ptrIfEEEESG_SI_NS1_21upper_bound_search_opENS9_16wrapped_functionINS8_6system6detail7generic6detail18binary_search_lessEbEEEE10hipError_tPvRmT1_T2_T3_mmT4_T5_P12ihipStream_tbEUlRKfE_EESV_SZ_S10_mS11_S14_bEUlT_E_NS1_11comp_targetILNS1_3genE8ELNS1_11target_archE1030ELNS1_3gpuE2ELNS1_3repE0EEENS1_30default_config_static_selectorELNS0_4arch9wavefront6targetE0EEEvSY_.has_dyn_sized_stack, 0
	.set _ZN7rocprim17ROCPRIM_400000_NS6detail17trampoline_kernelINS0_14default_configENS1_27upper_bound_config_selectorIflEEZNS1_14transform_implILb0ES3_S5_N6thrust23THRUST_200600_302600_NS6detail15normal_iteratorINS8_7pointerIfNS8_11hip_rocprim16par_det_nosync_tENS8_11use_defaultESE_EEEENSA_INSB_IlSD_SE_SE_EEEEZNS1_13binary_searchIS3_S5_NSA_INS8_10device_ptrIfEEEESG_SI_NS1_21upper_bound_search_opENS9_16wrapped_functionINS8_6system6detail7generic6detail18binary_search_lessEbEEEE10hipError_tPvRmT1_T2_T3_mmT4_T5_P12ihipStream_tbEUlRKfE_EESV_SZ_S10_mS11_S14_bEUlT_E_NS1_11comp_targetILNS1_3genE8ELNS1_11target_archE1030ELNS1_3gpuE2ELNS1_3repE0EEENS1_30default_config_static_selectorELNS0_4arch9wavefront6targetE0EEEvSY_.has_recursion, 0
	.set _ZN7rocprim17ROCPRIM_400000_NS6detail17trampoline_kernelINS0_14default_configENS1_27upper_bound_config_selectorIflEEZNS1_14transform_implILb0ES3_S5_N6thrust23THRUST_200600_302600_NS6detail15normal_iteratorINS8_7pointerIfNS8_11hip_rocprim16par_det_nosync_tENS8_11use_defaultESE_EEEENSA_INSB_IlSD_SE_SE_EEEEZNS1_13binary_searchIS3_S5_NSA_INS8_10device_ptrIfEEEESG_SI_NS1_21upper_bound_search_opENS9_16wrapped_functionINS8_6system6detail7generic6detail18binary_search_lessEbEEEE10hipError_tPvRmT1_T2_T3_mmT4_T5_P12ihipStream_tbEUlRKfE_EESV_SZ_S10_mS11_S14_bEUlT_E_NS1_11comp_targetILNS1_3genE8ELNS1_11target_archE1030ELNS1_3gpuE2ELNS1_3repE0EEENS1_30default_config_static_selectorELNS0_4arch9wavefront6targetE0EEEvSY_.has_indirect_call, 0
	.section	.AMDGPU.csdata,"",@progbits
; Kernel info:
; codeLenInByte = 816
; TotalNumSgprs: 19
; NumVgprs: 11
; ScratchSize: 0
; MemoryBound: 0
; FloatMode: 240
; IeeeMode: 1
; LDSByteSize: 0 bytes/workgroup (compile time only)
; SGPRBlocks: 0
; VGPRBlocks: 1
; NumSGPRsForWavesPerEU: 19
; NumVGPRsForWavesPerEU: 11
; Occupancy: 16
; WaveLimiterHint : 0
; COMPUTE_PGM_RSRC2:SCRATCH_EN: 0
; COMPUTE_PGM_RSRC2:USER_SGPR: 6
; COMPUTE_PGM_RSRC2:TRAP_HANDLER: 0
; COMPUTE_PGM_RSRC2:TGID_X_EN: 1
; COMPUTE_PGM_RSRC2:TGID_Y_EN: 0
; COMPUTE_PGM_RSRC2:TGID_Z_EN: 0
; COMPUTE_PGM_RSRC2:TIDIG_COMP_CNT: 0
	.section	.text._ZN7rocprim17ROCPRIM_400000_NS6detail17trampoline_kernelINS0_14default_configENS1_27upper_bound_config_selectorIflEEZNS1_14transform_implILb0ES3_S5_N6thrust23THRUST_200600_302600_NS6detail15normal_iteratorINS8_7pointerIfNS8_11hip_rocprim9par_det_tENS8_11use_defaultESE_EEEENSA_INSB_IlSD_SE_SE_EEEEZNS1_13binary_searchIS3_S5_NSA_INS8_10device_ptrIfEEEESG_SI_NS1_21upper_bound_search_opENS9_16wrapped_functionINS8_6system6detail7generic6detail18binary_search_lessEbEEEE10hipError_tPvRmT1_T2_T3_mmT4_T5_P12ihipStream_tbEUlRKfE_EESV_SZ_S10_mS11_S14_bEUlT_E_NS1_11comp_targetILNS1_3genE0ELNS1_11target_archE4294967295ELNS1_3gpuE0ELNS1_3repE0EEENS1_30default_config_static_selectorELNS0_4arch9wavefront6targetE0EEEvSY_,"axG",@progbits,_ZN7rocprim17ROCPRIM_400000_NS6detail17trampoline_kernelINS0_14default_configENS1_27upper_bound_config_selectorIflEEZNS1_14transform_implILb0ES3_S5_N6thrust23THRUST_200600_302600_NS6detail15normal_iteratorINS8_7pointerIfNS8_11hip_rocprim9par_det_tENS8_11use_defaultESE_EEEENSA_INSB_IlSD_SE_SE_EEEEZNS1_13binary_searchIS3_S5_NSA_INS8_10device_ptrIfEEEESG_SI_NS1_21upper_bound_search_opENS9_16wrapped_functionINS8_6system6detail7generic6detail18binary_search_lessEbEEEE10hipError_tPvRmT1_T2_T3_mmT4_T5_P12ihipStream_tbEUlRKfE_EESV_SZ_S10_mS11_S14_bEUlT_E_NS1_11comp_targetILNS1_3genE0ELNS1_11target_archE4294967295ELNS1_3gpuE0ELNS1_3repE0EEENS1_30default_config_static_selectorELNS0_4arch9wavefront6targetE0EEEvSY_,comdat
	.protected	_ZN7rocprim17ROCPRIM_400000_NS6detail17trampoline_kernelINS0_14default_configENS1_27upper_bound_config_selectorIflEEZNS1_14transform_implILb0ES3_S5_N6thrust23THRUST_200600_302600_NS6detail15normal_iteratorINS8_7pointerIfNS8_11hip_rocprim9par_det_tENS8_11use_defaultESE_EEEENSA_INSB_IlSD_SE_SE_EEEEZNS1_13binary_searchIS3_S5_NSA_INS8_10device_ptrIfEEEESG_SI_NS1_21upper_bound_search_opENS9_16wrapped_functionINS8_6system6detail7generic6detail18binary_search_lessEbEEEE10hipError_tPvRmT1_T2_T3_mmT4_T5_P12ihipStream_tbEUlRKfE_EESV_SZ_S10_mS11_S14_bEUlT_E_NS1_11comp_targetILNS1_3genE0ELNS1_11target_archE4294967295ELNS1_3gpuE0ELNS1_3repE0EEENS1_30default_config_static_selectorELNS0_4arch9wavefront6targetE0EEEvSY_ ; -- Begin function _ZN7rocprim17ROCPRIM_400000_NS6detail17trampoline_kernelINS0_14default_configENS1_27upper_bound_config_selectorIflEEZNS1_14transform_implILb0ES3_S5_N6thrust23THRUST_200600_302600_NS6detail15normal_iteratorINS8_7pointerIfNS8_11hip_rocprim9par_det_tENS8_11use_defaultESE_EEEENSA_INSB_IlSD_SE_SE_EEEEZNS1_13binary_searchIS3_S5_NSA_INS8_10device_ptrIfEEEESG_SI_NS1_21upper_bound_search_opENS9_16wrapped_functionINS8_6system6detail7generic6detail18binary_search_lessEbEEEE10hipError_tPvRmT1_T2_T3_mmT4_T5_P12ihipStream_tbEUlRKfE_EESV_SZ_S10_mS11_S14_bEUlT_E_NS1_11comp_targetILNS1_3genE0ELNS1_11target_archE4294967295ELNS1_3gpuE0ELNS1_3repE0EEENS1_30default_config_static_selectorELNS0_4arch9wavefront6targetE0EEEvSY_
	.globl	_ZN7rocprim17ROCPRIM_400000_NS6detail17trampoline_kernelINS0_14default_configENS1_27upper_bound_config_selectorIflEEZNS1_14transform_implILb0ES3_S5_N6thrust23THRUST_200600_302600_NS6detail15normal_iteratorINS8_7pointerIfNS8_11hip_rocprim9par_det_tENS8_11use_defaultESE_EEEENSA_INSB_IlSD_SE_SE_EEEEZNS1_13binary_searchIS3_S5_NSA_INS8_10device_ptrIfEEEESG_SI_NS1_21upper_bound_search_opENS9_16wrapped_functionINS8_6system6detail7generic6detail18binary_search_lessEbEEEE10hipError_tPvRmT1_T2_T3_mmT4_T5_P12ihipStream_tbEUlRKfE_EESV_SZ_S10_mS11_S14_bEUlT_E_NS1_11comp_targetILNS1_3genE0ELNS1_11target_archE4294967295ELNS1_3gpuE0ELNS1_3repE0EEENS1_30default_config_static_selectorELNS0_4arch9wavefront6targetE0EEEvSY_
	.p2align	8
	.type	_ZN7rocprim17ROCPRIM_400000_NS6detail17trampoline_kernelINS0_14default_configENS1_27upper_bound_config_selectorIflEEZNS1_14transform_implILb0ES3_S5_N6thrust23THRUST_200600_302600_NS6detail15normal_iteratorINS8_7pointerIfNS8_11hip_rocprim9par_det_tENS8_11use_defaultESE_EEEENSA_INSB_IlSD_SE_SE_EEEEZNS1_13binary_searchIS3_S5_NSA_INS8_10device_ptrIfEEEESG_SI_NS1_21upper_bound_search_opENS9_16wrapped_functionINS8_6system6detail7generic6detail18binary_search_lessEbEEEE10hipError_tPvRmT1_T2_T3_mmT4_T5_P12ihipStream_tbEUlRKfE_EESV_SZ_S10_mS11_S14_bEUlT_E_NS1_11comp_targetILNS1_3genE0ELNS1_11target_archE4294967295ELNS1_3gpuE0ELNS1_3repE0EEENS1_30default_config_static_selectorELNS0_4arch9wavefront6targetE0EEEvSY_,@function
_ZN7rocprim17ROCPRIM_400000_NS6detail17trampoline_kernelINS0_14default_configENS1_27upper_bound_config_selectorIflEEZNS1_14transform_implILb0ES3_S5_N6thrust23THRUST_200600_302600_NS6detail15normal_iteratorINS8_7pointerIfNS8_11hip_rocprim9par_det_tENS8_11use_defaultESE_EEEENSA_INSB_IlSD_SE_SE_EEEEZNS1_13binary_searchIS3_S5_NSA_INS8_10device_ptrIfEEEESG_SI_NS1_21upper_bound_search_opENS9_16wrapped_functionINS8_6system6detail7generic6detail18binary_search_lessEbEEEE10hipError_tPvRmT1_T2_T3_mmT4_T5_P12ihipStream_tbEUlRKfE_EESV_SZ_S10_mS11_S14_bEUlT_E_NS1_11comp_targetILNS1_3genE0ELNS1_11target_archE4294967295ELNS1_3gpuE0ELNS1_3repE0EEENS1_30default_config_static_selectorELNS0_4arch9wavefront6targetE0EEEvSY_: ; @_ZN7rocprim17ROCPRIM_400000_NS6detail17trampoline_kernelINS0_14default_configENS1_27upper_bound_config_selectorIflEEZNS1_14transform_implILb0ES3_S5_N6thrust23THRUST_200600_302600_NS6detail15normal_iteratorINS8_7pointerIfNS8_11hip_rocprim9par_det_tENS8_11use_defaultESE_EEEENSA_INSB_IlSD_SE_SE_EEEEZNS1_13binary_searchIS3_S5_NSA_INS8_10device_ptrIfEEEESG_SI_NS1_21upper_bound_search_opENS9_16wrapped_functionINS8_6system6detail7generic6detail18binary_search_lessEbEEEE10hipError_tPvRmT1_T2_T3_mmT4_T5_P12ihipStream_tbEUlRKfE_EESV_SZ_S10_mS11_S14_bEUlT_E_NS1_11comp_targetILNS1_3genE0ELNS1_11target_archE4294967295ELNS1_3gpuE0ELNS1_3repE0EEENS1_30default_config_static_selectorELNS0_4arch9wavefront6targetE0EEEvSY_
; %bb.0:
	.section	.rodata,"a",@progbits
	.p2align	6, 0x0
	.amdhsa_kernel _ZN7rocprim17ROCPRIM_400000_NS6detail17trampoline_kernelINS0_14default_configENS1_27upper_bound_config_selectorIflEEZNS1_14transform_implILb0ES3_S5_N6thrust23THRUST_200600_302600_NS6detail15normal_iteratorINS8_7pointerIfNS8_11hip_rocprim9par_det_tENS8_11use_defaultESE_EEEENSA_INSB_IlSD_SE_SE_EEEEZNS1_13binary_searchIS3_S5_NSA_INS8_10device_ptrIfEEEESG_SI_NS1_21upper_bound_search_opENS9_16wrapped_functionINS8_6system6detail7generic6detail18binary_search_lessEbEEEE10hipError_tPvRmT1_T2_T3_mmT4_T5_P12ihipStream_tbEUlRKfE_EESV_SZ_S10_mS11_S14_bEUlT_E_NS1_11comp_targetILNS1_3genE0ELNS1_11target_archE4294967295ELNS1_3gpuE0ELNS1_3repE0EEENS1_30default_config_static_selectorELNS0_4arch9wavefront6targetE0EEEvSY_
		.amdhsa_group_segment_fixed_size 0
		.amdhsa_private_segment_fixed_size 0
		.amdhsa_kernarg_size 56
		.amdhsa_user_sgpr_count 6
		.amdhsa_user_sgpr_private_segment_buffer 1
		.amdhsa_user_sgpr_dispatch_ptr 0
		.amdhsa_user_sgpr_queue_ptr 0
		.amdhsa_user_sgpr_kernarg_segment_ptr 1
		.amdhsa_user_sgpr_dispatch_id 0
		.amdhsa_user_sgpr_flat_scratch_init 0
		.amdhsa_user_sgpr_private_segment_size 0
		.amdhsa_wavefront_size32 1
		.amdhsa_uses_dynamic_stack 0
		.amdhsa_system_sgpr_private_segment_wavefront_offset 0
		.amdhsa_system_sgpr_workgroup_id_x 1
		.amdhsa_system_sgpr_workgroup_id_y 0
		.amdhsa_system_sgpr_workgroup_id_z 0
		.amdhsa_system_sgpr_workgroup_info 0
		.amdhsa_system_vgpr_workitem_id 0
		.amdhsa_next_free_vgpr 1
		.amdhsa_next_free_sgpr 1
		.amdhsa_reserve_vcc 0
		.amdhsa_reserve_flat_scratch 0
		.amdhsa_float_round_mode_32 0
		.amdhsa_float_round_mode_16_64 0
		.amdhsa_float_denorm_mode_32 3
		.amdhsa_float_denorm_mode_16_64 3
		.amdhsa_dx10_clamp 1
		.amdhsa_ieee_mode 1
		.amdhsa_fp16_overflow 0
		.amdhsa_workgroup_processor_mode 1
		.amdhsa_memory_ordered 1
		.amdhsa_forward_progress 1
		.amdhsa_shared_vgpr_count 0
		.amdhsa_exception_fp_ieee_invalid_op 0
		.amdhsa_exception_fp_denorm_src 0
		.amdhsa_exception_fp_ieee_div_zero 0
		.amdhsa_exception_fp_ieee_overflow 0
		.amdhsa_exception_fp_ieee_underflow 0
		.amdhsa_exception_fp_ieee_inexact 0
		.amdhsa_exception_int_div_zero 0
	.end_amdhsa_kernel
	.section	.text._ZN7rocprim17ROCPRIM_400000_NS6detail17trampoline_kernelINS0_14default_configENS1_27upper_bound_config_selectorIflEEZNS1_14transform_implILb0ES3_S5_N6thrust23THRUST_200600_302600_NS6detail15normal_iteratorINS8_7pointerIfNS8_11hip_rocprim9par_det_tENS8_11use_defaultESE_EEEENSA_INSB_IlSD_SE_SE_EEEEZNS1_13binary_searchIS3_S5_NSA_INS8_10device_ptrIfEEEESG_SI_NS1_21upper_bound_search_opENS9_16wrapped_functionINS8_6system6detail7generic6detail18binary_search_lessEbEEEE10hipError_tPvRmT1_T2_T3_mmT4_T5_P12ihipStream_tbEUlRKfE_EESV_SZ_S10_mS11_S14_bEUlT_E_NS1_11comp_targetILNS1_3genE0ELNS1_11target_archE4294967295ELNS1_3gpuE0ELNS1_3repE0EEENS1_30default_config_static_selectorELNS0_4arch9wavefront6targetE0EEEvSY_,"axG",@progbits,_ZN7rocprim17ROCPRIM_400000_NS6detail17trampoline_kernelINS0_14default_configENS1_27upper_bound_config_selectorIflEEZNS1_14transform_implILb0ES3_S5_N6thrust23THRUST_200600_302600_NS6detail15normal_iteratorINS8_7pointerIfNS8_11hip_rocprim9par_det_tENS8_11use_defaultESE_EEEENSA_INSB_IlSD_SE_SE_EEEEZNS1_13binary_searchIS3_S5_NSA_INS8_10device_ptrIfEEEESG_SI_NS1_21upper_bound_search_opENS9_16wrapped_functionINS8_6system6detail7generic6detail18binary_search_lessEbEEEE10hipError_tPvRmT1_T2_T3_mmT4_T5_P12ihipStream_tbEUlRKfE_EESV_SZ_S10_mS11_S14_bEUlT_E_NS1_11comp_targetILNS1_3genE0ELNS1_11target_archE4294967295ELNS1_3gpuE0ELNS1_3repE0EEENS1_30default_config_static_selectorELNS0_4arch9wavefront6targetE0EEEvSY_,comdat
.Lfunc_end518:
	.size	_ZN7rocprim17ROCPRIM_400000_NS6detail17trampoline_kernelINS0_14default_configENS1_27upper_bound_config_selectorIflEEZNS1_14transform_implILb0ES3_S5_N6thrust23THRUST_200600_302600_NS6detail15normal_iteratorINS8_7pointerIfNS8_11hip_rocprim9par_det_tENS8_11use_defaultESE_EEEENSA_INSB_IlSD_SE_SE_EEEEZNS1_13binary_searchIS3_S5_NSA_INS8_10device_ptrIfEEEESG_SI_NS1_21upper_bound_search_opENS9_16wrapped_functionINS8_6system6detail7generic6detail18binary_search_lessEbEEEE10hipError_tPvRmT1_T2_T3_mmT4_T5_P12ihipStream_tbEUlRKfE_EESV_SZ_S10_mS11_S14_bEUlT_E_NS1_11comp_targetILNS1_3genE0ELNS1_11target_archE4294967295ELNS1_3gpuE0ELNS1_3repE0EEENS1_30default_config_static_selectorELNS0_4arch9wavefront6targetE0EEEvSY_, .Lfunc_end518-_ZN7rocprim17ROCPRIM_400000_NS6detail17trampoline_kernelINS0_14default_configENS1_27upper_bound_config_selectorIflEEZNS1_14transform_implILb0ES3_S5_N6thrust23THRUST_200600_302600_NS6detail15normal_iteratorINS8_7pointerIfNS8_11hip_rocprim9par_det_tENS8_11use_defaultESE_EEEENSA_INSB_IlSD_SE_SE_EEEEZNS1_13binary_searchIS3_S5_NSA_INS8_10device_ptrIfEEEESG_SI_NS1_21upper_bound_search_opENS9_16wrapped_functionINS8_6system6detail7generic6detail18binary_search_lessEbEEEE10hipError_tPvRmT1_T2_T3_mmT4_T5_P12ihipStream_tbEUlRKfE_EESV_SZ_S10_mS11_S14_bEUlT_E_NS1_11comp_targetILNS1_3genE0ELNS1_11target_archE4294967295ELNS1_3gpuE0ELNS1_3repE0EEENS1_30default_config_static_selectorELNS0_4arch9wavefront6targetE0EEEvSY_
                                        ; -- End function
	.set _ZN7rocprim17ROCPRIM_400000_NS6detail17trampoline_kernelINS0_14default_configENS1_27upper_bound_config_selectorIflEEZNS1_14transform_implILb0ES3_S5_N6thrust23THRUST_200600_302600_NS6detail15normal_iteratorINS8_7pointerIfNS8_11hip_rocprim9par_det_tENS8_11use_defaultESE_EEEENSA_INSB_IlSD_SE_SE_EEEEZNS1_13binary_searchIS3_S5_NSA_INS8_10device_ptrIfEEEESG_SI_NS1_21upper_bound_search_opENS9_16wrapped_functionINS8_6system6detail7generic6detail18binary_search_lessEbEEEE10hipError_tPvRmT1_T2_T3_mmT4_T5_P12ihipStream_tbEUlRKfE_EESV_SZ_S10_mS11_S14_bEUlT_E_NS1_11comp_targetILNS1_3genE0ELNS1_11target_archE4294967295ELNS1_3gpuE0ELNS1_3repE0EEENS1_30default_config_static_selectorELNS0_4arch9wavefront6targetE0EEEvSY_.num_vgpr, 0
	.set _ZN7rocprim17ROCPRIM_400000_NS6detail17trampoline_kernelINS0_14default_configENS1_27upper_bound_config_selectorIflEEZNS1_14transform_implILb0ES3_S5_N6thrust23THRUST_200600_302600_NS6detail15normal_iteratorINS8_7pointerIfNS8_11hip_rocprim9par_det_tENS8_11use_defaultESE_EEEENSA_INSB_IlSD_SE_SE_EEEEZNS1_13binary_searchIS3_S5_NSA_INS8_10device_ptrIfEEEESG_SI_NS1_21upper_bound_search_opENS9_16wrapped_functionINS8_6system6detail7generic6detail18binary_search_lessEbEEEE10hipError_tPvRmT1_T2_T3_mmT4_T5_P12ihipStream_tbEUlRKfE_EESV_SZ_S10_mS11_S14_bEUlT_E_NS1_11comp_targetILNS1_3genE0ELNS1_11target_archE4294967295ELNS1_3gpuE0ELNS1_3repE0EEENS1_30default_config_static_selectorELNS0_4arch9wavefront6targetE0EEEvSY_.num_agpr, 0
	.set _ZN7rocprim17ROCPRIM_400000_NS6detail17trampoline_kernelINS0_14default_configENS1_27upper_bound_config_selectorIflEEZNS1_14transform_implILb0ES3_S5_N6thrust23THRUST_200600_302600_NS6detail15normal_iteratorINS8_7pointerIfNS8_11hip_rocprim9par_det_tENS8_11use_defaultESE_EEEENSA_INSB_IlSD_SE_SE_EEEEZNS1_13binary_searchIS3_S5_NSA_INS8_10device_ptrIfEEEESG_SI_NS1_21upper_bound_search_opENS9_16wrapped_functionINS8_6system6detail7generic6detail18binary_search_lessEbEEEE10hipError_tPvRmT1_T2_T3_mmT4_T5_P12ihipStream_tbEUlRKfE_EESV_SZ_S10_mS11_S14_bEUlT_E_NS1_11comp_targetILNS1_3genE0ELNS1_11target_archE4294967295ELNS1_3gpuE0ELNS1_3repE0EEENS1_30default_config_static_selectorELNS0_4arch9wavefront6targetE0EEEvSY_.numbered_sgpr, 0
	.set _ZN7rocprim17ROCPRIM_400000_NS6detail17trampoline_kernelINS0_14default_configENS1_27upper_bound_config_selectorIflEEZNS1_14transform_implILb0ES3_S5_N6thrust23THRUST_200600_302600_NS6detail15normal_iteratorINS8_7pointerIfNS8_11hip_rocprim9par_det_tENS8_11use_defaultESE_EEEENSA_INSB_IlSD_SE_SE_EEEEZNS1_13binary_searchIS3_S5_NSA_INS8_10device_ptrIfEEEESG_SI_NS1_21upper_bound_search_opENS9_16wrapped_functionINS8_6system6detail7generic6detail18binary_search_lessEbEEEE10hipError_tPvRmT1_T2_T3_mmT4_T5_P12ihipStream_tbEUlRKfE_EESV_SZ_S10_mS11_S14_bEUlT_E_NS1_11comp_targetILNS1_3genE0ELNS1_11target_archE4294967295ELNS1_3gpuE0ELNS1_3repE0EEENS1_30default_config_static_selectorELNS0_4arch9wavefront6targetE0EEEvSY_.num_named_barrier, 0
	.set _ZN7rocprim17ROCPRIM_400000_NS6detail17trampoline_kernelINS0_14default_configENS1_27upper_bound_config_selectorIflEEZNS1_14transform_implILb0ES3_S5_N6thrust23THRUST_200600_302600_NS6detail15normal_iteratorINS8_7pointerIfNS8_11hip_rocprim9par_det_tENS8_11use_defaultESE_EEEENSA_INSB_IlSD_SE_SE_EEEEZNS1_13binary_searchIS3_S5_NSA_INS8_10device_ptrIfEEEESG_SI_NS1_21upper_bound_search_opENS9_16wrapped_functionINS8_6system6detail7generic6detail18binary_search_lessEbEEEE10hipError_tPvRmT1_T2_T3_mmT4_T5_P12ihipStream_tbEUlRKfE_EESV_SZ_S10_mS11_S14_bEUlT_E_NS1_11comp_targetILNS1_3genE0ELNS1_11target_archE4294967295ELNS1_3gpuE0ELNS1_3repE0EEENS1_30default_config_static_selectorELNS0_4arch9wavefront6targetE0EEEvSY_.private_seg_size, 0
	.set _ZN7rocprim17ROCPRIM_400000_NS6detail17trampoline_kernelINS0_14default_configENS1_27upper_bound_config_selectorIflEEZNS1_14transform_implILb0ES3_S5_N6thrust23THRUST_200600_302600_NS6detail15normal_iteratorINS8_7pointerIfNS8_11hip_rocprim9par_det_tENS8_11use_defaultESE_EEEENSA_INSB_IlSD_SE_SE_EEEEZNS1_13binary_searchIS3_S5_NSA_INS8_10device_ptrIfEEEESG_SI_NS1_21upper_bound_search_opENS9_16wrapped_functionINS8_6system6detail7generic6detail18binary_search_lessEbEEEE10hipError_tPvRmT1_T2_T3_mmT4_T5_P12ihipStream_tbEUlRKfE_EESV_SZ_S10_mS11_S14_bEUlT_E_NS1_11comp_targetILNS1_3genE0ELNS1_11target_archE4294967295ELNS1_3gpuE0ELNS1_3repE0EEENS1_30default_config_static_selectorELNS0_4arch9wavefront6targetE0EEEvSY_.uses_vcc, 0
	.set _ZN7rocprim17ROCPRIM_400000_NS6detail17trampoline_kernelINS0_14default_configENS1_27upper_bound_config_selectorIflEEZNS1_14transform_implILb0ES3_S5_N6thrust23THRUST_200600_302600_NS6detail15normal_iteratorINS8_7pointerIfNS8_11hip_rocprim9par_det_tENS8_11use_defaultESE_EEEENSA_INSB_IlSD_SE_SE_EEEEZNS1_13binary_searchIS3_S5_NSA_INS8_10device_ptrIfEEEESG_SI_NS1_21upper_bound_search_opENS9_16wrapped_functionINS8_6system6detail7generic6detail18binary_search_lessEbEEEE10hipError_tPvRmT1_T2_T3_mmT4_T5_P12ihipStream_tbEUlRKfE_EESV_SZ_S10_mS11_S14_bEUlT_E_NS1_11comp_targetILNS1_3genE0ELNS1_11target_archE4294967295ELNS1_3gpuE0ELNS1_3repE0EEENS1_30default_config_static_selectorELNS0_4arch9wavefront6targetE0EEEvSY_.uses_flat_scratch, 0
	.set _ZN7rocprim17ROCPRIM_400000_NS6detail17trampoline_kernelINS0_14default_configENS1_27upper_bound_config_selectorIflEEZNS1_14transform_implILb0ES3_S5_N6thrust23THRUST_200600_302600_NS6detail15normal_iteratorINS8_7pointerIfNS8_11hip_rocprim9par_det_tENS8_11use_defaultESE_EEEENSA_INSB_IlSD_SE_SE_EEEEZNS1_13binary_searchIS3_S5_NSA_INS8_10device_ptrIfEEEESG_SI_NS1_21upper_bound_search_opENS9_16wrapped_functionINS8_6system6detail7generic6detail18binary_search_lessEbEEEE10hipError_tPvRmT1_T2_T3_mmT4_T5_P12ihipStream_tbEUlRKfE_EESV_SZ_S10_mS11_S14_bEUlT_E_NS1_11comp_targetILNS1_3genE0ELNS1_11target_archE4294967295ELNS1_3gpuE0ELNS1_3repE0EEENS1_30default_config_static_selectorELNS0_4arch9wavefront6targetE0EEEvSY_.has_dyn_sized_stack, 0
	.set _ZN7rocprim17ROCPRIM_400000_NS6detail17trampoline_kernelINS0_14default_configENS1_27upper_bound_config_selectorIflEEZNS1_14transform_implILb0ES3_S5_N6thrust23THRUST_200600_302600_NS6detail15normal_iteratorINS8_7pointerIfNS8_11hip_rocprim9par_det_tENS8_11use_defaultESE_EEEENSA_INSB_IlSD_SE_SE_EEEEZNS1_13binary_searchIS3_S5_NSA_INS8_10device_ptrIfEEEESG_SI_NS1_21upper_bound_search_opENS9_16wrapped_functionINS8_6system6detail7generic6detail18binary_search_lessEbEEEE10hipError_tPvRmT1_T2_T3_mmT4_T5_P12ihipStream_tbEUlRKfE_EESV_SZ_S10_mS11_S14_bEUlT_E_NS1_11comp_targetILNS1_3genE0ELNS1_11target_archE4294967295ELNS1_3gpuE0ELNS1_3repE0EEENS1_30default_config_static_selectorELNS0_4arch9wavefront6targetE0EEEvSY_.has_recursion, 0
	.set _ZN7rocprim17ROCPRIM_400000_NS6detail17trampoline_kernelINS0_14default_configENS1_27upper_bound_config_selectorIflEEZNS1_14transform_implILb0ES3_S5_N6thrust23THRUST_200600_302600_NS6detail15normal_iteratorINS8_7pointerIfNS8_11hip_rocprim9par_det_tENS8_11use_defaultESE_EEEENSA_INSB_IlSD_SE_SE_EEEEZNS1_13binary_searchIS3_S5_NSA_INS8_10device_ptrIfEEEESG_SI_NS1_21upper_bound_search_opENS9_16wrapped_functionINS8_6system6detail7generic6detail18binary_search_lessEbEEEE10hipError_tPvRmT1_T2_T3_mmT4_T5_P12ihipStream_tbEUlRKfE_EESV_SZ_S10_mS11_S14_bEUlT_E_NS1_11comp_targetILNS1_3genE0ELNS1_11target_archE4294967295ELNS1_3gpuE0ELNS1_3repE0EEENS1_30default_config_static_selectorELNS0_4arch9wavefront6targetE0EEEvSY_.has_indirect_call, 0
	.section	.AMDGPU.csdata,"",@progbits
; Kernel info:
; codeLenInByte = 0
; TotalNumSgprs: 0
; NumVgprs: 0
; ScratchSize: 0
; MemoryBound: 0
; FloatMode: 240
; IeeeMode: 1
; LDSByteSize: 0 bytes/workgroup (compile time only)
; SGPRBlocks: 0
; VGPRBlocks: 0
; NumSGPRsForWavesPerEU: 1
; NumVGPRsForWavesPerEU: 1
; Occupancy: 16
; WaveLimiterHint : 0
; COMPUTE_PGM_RSRC2:SCRATCH_EN: 0
; COMPUTE_PGM_RSRC2:USER_SGPR: 6
; COMPUTE_PGM_RSRC2:TRAP_HANDLER: 0
; COMPUTE_PGM_RSRC2:TGID_X_EN: 1
; COMPUTE_PGM_RSRC2:TGID_Y_EN: 0
; COMPUTE_PGM_RSRC2:TGID_Z_EN: 0
; COMPUTE_PGM_RSRC2:TIDIG_COMP_CNT: 0
	.section	.text._ZN7rocprim17ROCPRIM_400000_NS6detail17trampoline_kernelINS0_14default_configENS1_27upper_bound_config_selectorIflEEZNS1_14transform_implILb0ES3_S5_N6thrust23THRUST_200600_302600_NS6detail15normal_iteratorINS8_7pointerIfNS8_11hip_rocprim9par_det_tENS8_11use_defaultESE_EEEENSA_INSB_IlSD_SE_SE_EEEEZNS1_13binary_searchIS3_S5_NSA_INS8_10device_ptrIfEEEESG_SI_NS1_21upper_bound_search_opENS9_16wrapped_functionINS8_6system6detail7generic6detail18binary_search_lessEbEEEE10hipError_tPvRmT1_T2_T3_mmT4_T5_P12ihipStream_tbEUlRKfE_EESV_SZ_S10_mS11_S14_bEUlT_E_NS1_11comp_targetILNS1_3genE5ELNS1_11target_archE942ELNS1_3gpuE9ELNS1_3repE0EEENS1_30default_config_static_selectorELNS0_4arch9wavefront6targetE0EEEvSY_,"axG",@progbits,_ZN7rocprim17ROCPRIM_400000_NS6detail17trampoline_kernelINS0_14default_configENS1_27upper_bound_config_selectorIflEEZNS1_14transform_implILb0ES3_S5_N6thrust23THRUST_200600_302600_NS6detail15normal_iteratorINS8_7pointerIfNS8_11hip_rocprim9par_det_tENS8_11use_defaultESE_EEEENSA_INSB_IlSD_SE_SE_EEEEZNS1_13binary_searchIS3_S5_NSA_INS8_10device_ptrIfEEEESG_SI_NS1_21upper_bound_search_opENS9_16wrapped_functionINS8_6system6detail7generic6detail18binary_search_lessEbEEEE10hipError_tPvRmT1_T2_T3_mmT4_T5_P12ihipStream_tbEUlRKfE_EESV_SZ_S10_mS11_S14_bEUlT_E_NS1_11comp_targetILNS1_3genE5ELNS1_11target_archE942ELNS1_3gpuE9ELNS1_3repE0EEENS1_30default_config_static_selectorELNS0_4arch9wavefront6targetE0EEEvSY_,comdat
	.protected	_ZN7rocprim17ROCPRIM_400000_NS6detail17trampoline_kernelINS0_14default_configENS1_27upper_bound_config_selectorIflEEZNS1_14transform_implILb0ES3_S5_N6thrust23THRUST_200600_302600_NS6detail15normal_iteratorINS8_7pointerIfNS8_11hip_rocprim9par_det_tENS8_11use_defaultESE_EEEENSA_INSB_IlSD_SE_SE_EEEEZNS1_13binary_searchIS3_S5_NSA_INS8_10device_ptrIfEEEESG_SI_NS1_21upper_bound_search_opENS9_16wrapped_functionINS8_6system6detail7generic6detail18binary_search_lessEbEEEE10hipError_tPvRmT1_T2_T3_mmT4_T5_P12ihipStream_tbEUlRKfE_EESV_SZ_S10_mS11_S14_bEUlT_E_NS1_11comp_targetILNS1_3genE5ELNS1_11target_archE942ELNS1_3gpuE9ELNS1_3repE0EEENS1_30default_config_static_selectorELNS0_4arch9wavefront6targetE0EEEvSY_ ; -- Begin function _ZN7rocprim17ROCPRIM_400000_NS6detail17trampoline_kernelINS0_14default_configENS1_27upper_bound_config_selectorIflEEZNS1_14transform_implILb0ES3_S5_N6thrust23THRUST_200600_302600_NS6detail15normal_iteratorINS8_7pointerIfNS8_11hip_rocprim9par_det_tENS8_11use_defaultESE_EEEENSA_INSB_IlSD_SE_SE_EEEEZNS1_13binary_searchIS3_S5_NSA_INS8_10device_ptrIfEEEESG_SI_NS1_21upper_bound_search_opENS9_16wrapped_functionINS8_6system6detail7generic6detail18binary_search_lessEbEEEE10hipError_tPvRmT1_T2_T3_mmT4_T5_P12ihipStream_tbEUlRKfE_EESV_SZ_S10_mS11_S14_bEUlT_E_NS1_11comp_targetILNS1_3genE5ELNS1_11target_archE942ELNS1_3gpuE9ELNS1_3repE0EEENS1_30default_config_static_selectorELNS0_4arch9wavefront6targetE0EEEvSY_
	.globl	_ZN7rocprim17ROCPRIM_400000_NS6detail17trampoline_kernelINS0_14default_configENS1_27upper_bound_config_selectorIflEEZNS1_14transform_implILb0ES3_S5_N6thrust23THRUST_200600_302600_NS6detail15normal_iteratorINS8_7pointerIfNS8_11hip_rocprim9par_det_tENS8_11use_defaultESE_EEEENSA_INSB_IlSD_SE_SE_EEEEZNS1_13binary_searchIS3_S5_NSA_INS8_10device_ptrIfEEEESG_SI_NS1_21upper_bound_search_opENS9_16wrapped_functionINS8_6system6detail7generic6detail18binary_search_lessEbEEEE10hipError_tPvRmT1_T2_T3_mmT4_T5_P12ihipStream_tbEUlRKfE_EESV_SZ_S10_mS11_S14_bEUlT_E_NS1_11comp_targetILNS1_3genE5ELNS1_11target_archE942ELNS1_3gpuE9ELNS1_3repE0EEENS1_30default_config_static_selectorELNS0_4arch9wavefront6targetE0EEEvSY_
	.p2align	8
	.type	_ZN7rocprim17ROCPRIM_400000_NS6detail17trampoline_kernelINS0_14default_configENS1_27upper_bound_config_selectorIflEEZNS1_14transform_implILb0ES3_S5_N6thrust23THRUST_200600_302600_NS6detail15normal_iteratorINS8_7pointerIfNS8_11hip_rocprim9par_det_tENS8_11use_defaultESE_EEEENSA_INSB_IlSD_SE_SE_EEEEZNS1_13binary_searchIS3_S5_NSA_INS8_10device_ptrIfEEEESG_SI_NS1_21upper_bound_search_opENS9_16wrapped_functionINS8_6system6detail7generic6detail18binary_search_lessEbEEEE10hipError_tPvRmT1_T2_T3_mmT4_T5_P12ihipStream_tbEUlRKfE_EESV_SZ_S10_mS11_S14_bEUlT_E_NS1_11comp_targetILNS1_3genE5ELNS1_11target_archE942ELNS1_3gpuE9ELNS1_3repE0EEENS1_30default_config_static_selectorELNS0_4arch9wavefront6targetE0EEEvSY_,@function
_ZN7rocprim17ROCPRIM_400000_NS6detail17trampoline_kernelINS0_14default_configENS1_27upper_bound_config_selectorIflEEZNS1_14transform_implILb0ES3_S5_N6thrust23THRUST_200600_302600_NS6detail15normal_iteratorINS8_7pointerIfNS8_11hip_rocprim9par_det_tENS8_11use_defaultESE_EEEENSA_INSB_IlSD_SE_SE_EEEEZNS1_13binary_searchIS3_S5_NSA_INS8_10device_ptrIfEEEESG_SI_NS1_21upper_bound_search_opENS9_16wrapped_functionINS8_6system6detail7generic6detail18binary_search_lessEbEEEE10hipError_tPvRmT1_T2_T3_mmT4_T5_P12ihipStream_tbEUlRKfE_EESV_SZ_S10_mS11_S14_bEUlT_E_NS1_11comp_targetILNS1_3genE5ELNS1_11target_archE942ELNS1_3gpuE9ELNS1_3repE0EEENS1_30default_config_static_selectorELNS0_4arch9wavefront6targetE0EEEvSY_: ; @_ZN7rocprim17ROCPRIM_400000_NS6detail17trampoline_kernelINS0_14default_configENS1_27upper_bound_config_selectorIflEEZNS1_14transform_implILb0ES3_S5_N6thrust23THRUST_200600_302600_NS6detail15normal_iteratorINS8_7pointerIfNS8_11hip_rocprim9par_det_tENS8_11use_defaultESE_EEEENSA_INSB_IlSD_SE_SE_EEEEZNS1_13binary_searchIS3_S5_NSA_INS8_10device_ptrIfEEEESG_SI_NS1_21upper_bound_search_opENS9_16wrapped_functionINS8_6system6detail7generic6detail18binary_search_lessEbEEEE10hipError_tPvRmT1_T2_T3_mmT4_T5_P12ihipStream_tbEUlRKfE_EESV_SZ_S10_mS11_S14_bEUlT_E_NS1_11comp_targetILNS1_3genE5ELNS1_11target_archE942ELNS1_3gpuE9ELNS1_3repE0EEENS1_30default_config_static_selectorELNS0_4arch9wavefront6targetE0EEEvSY_
; %bb.0:
	.section	.rodata,"a",@progbits
	.p2align	6, 0x0
	.amdhsa_kernel _ZN7rocprim17ROCPRIM_400000_NS6detail17trampoline_kernelINS0_14default_configENS1_27upper_bound_config_selectorIflEEZNS1_14transform_implILb0ES3_S5_N6thrust23THRUST_200600_302600_NS6detail15normal_iteratorINS8_7pointerIfNS8_11hip_rocprim9par_det_tENS8_11use_defaultESE_EEEENSA_INSB_IlSD_SE_SE_EEEEZNS1_13binary_searchIS3_S5_NSA_INS8_10device_ptrIfEEEESG_SI_NS1_21upper_bound_search_opENS9_16wrapped_functionINS8_6system6detail7generic6detail18binary_search_lessEbEEEE10hipError_tPvRmT1_T2_T3_mmT4_T5_P12ihipStream_tbEUlRKfE_EESV_SZ_S10_mS11_S14_bEUlT_E_NS1_11comp_targetILNS1_3genE5ELNS1_11target_archE942ELNS1_3gpuE9ELNS1_3repE0EEENS1_30default_config_static_selectorELNS0_4arch9wavefront6targetE0EEEvSY_
		.amdhsa_group_segment_fixed_size 0
		.amdhsa_private_segment_fixed_size 0
		.amdhsa_kernarg_size 56
		.amdhsa_user_sgpr_count 6
		.amdhsa_user_sgpr_private_segment_buffer 1
		.amdhsa_user_sgpr_dispatch_ptr 0
		.amdhsa_user_sgpr_queue_ptr 0
		.amdhsa_user_sgpr_kernarg_segment_ptr 1
		.amdhsa_user_sgpr_dispatch_id 0
		.amdhsa_user_sgpr_flat_scratch_init 0
		.amdhsa_user_sgpr_private_segment_size 0
		.amdhsa_wavefront_size32 1
		.amdhsa_uses_dynamic_stack 0
		.amdhsa_system_sgpr_private_segment_wavefront_offset 0
		.amdhsa_system_sgpr_workgroup_id_x 1
		.amdhsa_system_sgpr_workgroup_id_y 0
		.amdhsa_system_sgpr_workgroup_id_z 0
		.amdhsa_system_sgpr_workgroup_info 0
		.amdhsa_system_vgpr_workitem_id 0
		.amdhsa_next_free_vgpr 1
		.amdhsa_next_free_sgpr 1
		.amdhsa_reserve_vcc 0
		.amdhsa_reserve_flat_scratch 0
		.amdhsa_float_round_mode_32 0
		.amdhsa_float_round_mode_16_64 0
		.amdhsa_float_denorm_mode_32 3
		.amdhsa_float_denorm_mode_16_64 3
		.amdhsa_dx10_clamp 1
		.amdhsa_ieee_mode 1
		.amdhsa_fp16_overflow 0
		.amdhsa_workgroup_processor_mode 1
		.amdhsa_memory_ordered 1
		.amdhsa_forward_progress 1
		.amdhsa_shared_vgpr_count 0
		.amdhsa_exception_fp_ieee_invalid_op 0
		.amdhsa_exception_fp_denorm_src 0
		.amdhsa_exception_fp_ieee_div_zero 0
		.amdhsa_exception_fp_ieee_overflow 0
		.amdhsa_exception_fp_ieee_underflow 0
		.amdhsa_exception_fp_ieee_inexact 0
		.amdhsa_exception_int_div_zero 0
	.end_amdhsa_kernel
	.section	.text._ZN7rocprim17ROCPRIM_400000_NS6detail17trampoline_kernelINS0_14default_configENS1_27upper_bound_config_selectorIflEEZNS1_14transform_implILb0ES3_S5_N6thrust23THRUST_200600_302600_NS6detail15normal_iteratorINS8_7pointerIfNS8_11hip_rocprim9par_det_tENS8_11use_defaultESE_EEEENSA_INSB_IlSD_SE_SE_EEEEZNS1_13binary_searchIS3_S5_NSA_INS8_10device_ptrIfEEEESG_SI_NS1_21upper_bound_search_opENS9_16wrapped_functionINS8_6system6detail7generic6detail18binary_search_lessEbEEEE10hipError_tPvRmT1_T2_T3_mmT4_T5_P12ihipStream_tbEUlRKfE_EESV_SZ_S10_mS11_S14_bEUlT_E_NS1_11comp_targetILNS1_3genE5ELNS1_11target_archE942ELNS1_3gpuE9ELNS1_3repE0EEENS1_30default_config_static_selectorELNS0_4arch9wavefront6targetE0EEEvSY_,"axG",@progbits,_ZN7rocprim17ROCPRIM_400000_NS6detail17trampoline_kernelINS0_14default_configENS1_27upper_bound_config_selectorIflEEZNS1_14transform_implILb0ES3_S5_N6thrust23THRUST_200600_302600_NS6detail15normal_iteratorINS8_7pointerIfNS8_11hip_rocprim9par_det_tENS8_11use_defaultESE_EEEENSA_INSB_IlSD_SE_SE_EEEEZNS1_13binary_searchIS3_S5_NSA_INS8_10device_ptrIfEEEESG_SI_NS1_21upper_bound_search_opENS9_16wrapped_functionINS8_6system6detail7generic6detail18binary_search_lessEbEEEE10hipError_tPvRmT1_T2_T3_mmT4_T5_P12ihipStream_tbEUlRKfE_EESV_SZ_S10_mS11_S14_bEUlT_E_NS1_11comp_targetILNS1_3genE5ELNS1_11target_archE942ELNS1_3gpuE9ELNS1_3repE0EEENS1_30default_config_static_selectorELNS0_4arch9wavefront6targetE0EEEvSY_,comdat
.Lfunc_end519:
	.size	_ZN7rocprim17ROCPRIM_400000_NS6detail17trampoline_kernelINS0_14default_configENS1_27upper_bound_config_selectorIflEEZNS1_14transform_implILb0ES3_S5_N6thrust23THRUST_200600_302600_NS6detail15normal_iteratorINS8_7pointerIfNS8_11hip_rocprim9par_det_tENS8_11use_defaultESE_EEEENSA_INSB_IlSD_SE_SE_EEEEZNS1_13binary_searchIS3_S5_NSA_INS8_10device_ptrIfEEEESG_SI_NS1_21upper_bound_search_opENS9_16wrapped_functionINS8_6system6detail7generic6detail18binary_search_lessEbEEEE10hipError_tPvRmT1_T2_T3_mmT4_T5_P12ihipStream_tbEUlRKfE_EESV_SZ_S10_mS11_S14_bEUlT_E_NS1_11comp_targetILNS1_3genE5ELNS1_11target_archE942ELNS1_3gpuE9ELNS1_3repE0EEENS1_30default_config_static_selectorELNS0_4arch9wavefront6targetE0EEEvSY_, .Lfunc_end519-_ZN7rocprim17ROCPRIM_400000_NS6detail17trampoline_kernelINS0_14default_configENS1_27upper_bound_config_selectorIflEEZNS1_14transform_implILb0ES3_S5_N6thrust23THRUST_200600_302600_NS6detail15normal_iteratorINS8_7pointerIfNS8_11hip_rocprim9par_det_tENS8_11use_defaultESE_EEEENSA_INSB_IlSD_SE_SE_EEEEZNS1_13binary_searchIS3_S5_NSA_INS8_10device_ptrIfEEEESG_SI_NS1_21upper_bound_search_opENS9_16wrapped_functionINS8_6system6detail7generic6detail18binary_search_lessEbEEEE10hipError_tPvRmT1_T2_T3_mmT4_T5_P12ihipStream_tbEUlRKfE_EESV_SZ_S10_mS11_S14_bEUlT_E_NS1_11comp_targetILNS1_3genE5ELNS1_11target_archE942ELNS1_3gpuE9ELNS1_3repE0EEENS1_30default_config_static_selectorELNS0_4arch9wavefront6targetE0EEEvSY_
                                        ; -- End function
	.set _ZN7rocprim17ROCPRIM_400000_NS6detail17trampoline_kernelINS0_14default_configENS1_27upper_bound_config_selectorIflEEZNS1_14transform_implILb0ES3_S5_N6thrust23THRUST_200600_302600_NS6detail15normal_iteratorINS8_7pointerIfNS8_11hip_rocprim9par_det_tENS8_11use_defaultESE_EEEENSA_INSB_IlSD_SE_SE_EEEEZNS1_13binary_searchIS3_S5_NSA_INS8_10device_ptrIfEEEESG_SI_NS1_21upper_bound_search_opENS9_16wrapped_functionINS8_6system6detail7generic6detail18binary_search_lessEbEEEE10hipError_tPvRmT1_T2_T3_mmT4_T5_P12ihipStream_tbEUlRKfE_EESV_SZ_S10_mS11_S14_bEUlT_E_NS1_11comp_targetILNS1_3genE5ELNS1_11target_archE942ELNS1_3gpuE9ELNS1_3repE0EEENS1_30default_config_static_selectorELNS0_4arch9wavefront6targetE0EEEvSY_.num_vgpr, 0
	.set _ZN7rocprim17ROCPRIM_400000_NS6detail17trampoline_kernelINS0_14default_configENS1_27upper_bound_config_selectorIflEEZNS1_14transform_implILb0ES3_S5_N6thrust23THRUST_200600_302600_NS6detail15normal_iteratorINS8_7pointerIfNS8_11hip_rocprim9par_det_tENS8_11use_defaultESE_EEEENSA_INSB_IlSD_SE_SE_EEEEZNS1_13binary_searchIS3_S5_NSA_INS8_10device_ptrIfEEEESG_SI_NS1_21upper_bound_search_opENS9_16wrapped_functionINS8_6system6detail7generic6detail18binary_search_lessEbEEEE10hipError_tPvRmT1_T2_T3_mmT4_T5_P12ihipStream_tbEUlRKfE_EESV_SZ_S10_mS11_S14_bEUlT_E_NS1_11comp_targetILNS1_3genE5ELNS1_11target_archE942ELNS1_3gpuE9ELNS1_3repE0EEENS1_30default_config_static_selectorELNS0_4arch9wavefront6targetE0EEEvSY_.num_agpr, 0
	.set _ZN7rocprim17ROCPRIM_400000_NS6detail17trampoline_kernelINS0_14default_configENS1_27upper_bound_config_selectorIflEEZNS1_14transform_implILb0ES3_S5_N6thrust23THRUST_200600_302600_NS6detail15normal_iteratorINS8_7pointerIfNS8_11hip_rocprim9par_det_tENS8_11use_defaultESE_EEEENSA_INSB_IlSD_SE_SE_EEEEZNS1_13binary_searchIS3_S5_NSA_INS8_10device_ptrIfEEEESG_SI_NS1_21upper_bound_search_opENS9_16wrapped_functionINS8_6system6detail7generic6detail18binary_search_lessEbEEEE10hipError_tPvRmT1_T2_T3_mmT4_T5_P12ihipStream_tbEUlRKfE_EESV_SZ_S10_mS11_S14_bEUlT_E_NS1_11comp_targetILNS1_3genE5ELNS1_11target_archE942ELNS1_3gpuE9ELNS1_3repE0EEENS1_30default_config_static_selectorELNS0_4arch9wavefront6targetE0EEEvSY_.numbered_sgpr, 0
	.set _ZN7rocprim17ROCPRIM_400000_NS6detail17trampoline_kernelINS0_14default_configENS1_27upper_bound_config_selectorIflEEZNS1_14transform_implILb0ES3_S5_N6thrust23THRUST_200600_302600_NS6detail15normal_iteratorINS8_7pointerIfNS8_11hip_rocprim9par_det_tENS8_11use_defaultESE_EEEENSA_INSB_IlSD_SE_SE_EEEEZNS1_13binary_searchIS3_S5_NSA_INS8_10device_ptrIfEEEESG_SI_NS1_21upper_bound_search_opENS9_16wrapped_functionINS8_6system6detail7generic6detail18binary_search_lessEbEEEE10hipError_tPvRmT1_T2_T3_mmT4_T5_P12ihipStream_tbEUlRKfE_EESV_SZ_S10_mS11_S14_bEUlT_E_NS1_11comp_targetILNS1_3genE5ELNS1_11target_archE942ELNS1_3gpuE9ELNS1_3repE0EEENS1_30default_config_static_selectorELNS0_4arch9wavefront6targetE0EEEvSY_.num_named_barrier, 0
	.set _ZN7rocprim17ROCPRIM_400000_NS6detail17trampoline_kernelINS0_14default_configENS1_27upper_bound_config_selectorIflEEZNS1_14transform_implILb0ES3_S5_N6thrust23THRUST_200600_302600_NS6detail15normal_iteratorINS8_7pointerIfNS8_11hip_rocprim9par_det_tENS8_11use_defaultESE_EEEENSA_INSB_IlSD_SE_SE_EEEEZNS1_13binary_searchIS3_S5_NSA_INS8_10device_ptrIfEEEESG_SI_NS1_21upper_bound_search_opENS9_16wrapped_functionINS8_6system6detail7generic6detail18binary_search_lessEbEEEE10hipError_tPvRmT1_T2_T3_mmT4_T5_P12ihipStream_tbEUlRKfE_EESV_SZ_S10_mS11_S14_bEUlT_E_NS1_11comp_targetILNS1_3genE5ELNS1_11target_archE942ELNS1_3gpuE9ELNS1_3repE0EEENS1_30default_config_static_selectorELNS0_4arch9wavefront6targetE0EEEvSY_.private_seg_size, 0
	.set _ZN7rocprim17ROCPRIM_400000_NS6detail17trampoline_kernelINS0_14default_configENS1_27upper_bound_config_selectorIflEEZNS1_14transform_implILb0ES3_S5_N6thrust23THRUST_200600_302600_NS6detail15normal_iteratorINS8_7pointerIfNS8_11hip_rocprim9par_det_tENS8_11use_defaultESE_EEEENSA_INSB_IlSD_SE_SE_EEEEZNS1_13binary_searchIS3_S5_NSA_INS8_10device_ptrIfEEEESG_SI_NS1_21upper_bound_search_opENS9_16wrapped_functionINS8_6system6detail7generic6detail18binary_search_lessEbEEEE10hipError_tPvRmT1_T2_T3_mmT4_T5_P12ihipStream_tbEUlRKfE_EESV_SZ_S10_mS11_S14_bEUlT_E_NS1_11comp_targetILNS1_3genE5ELNS1_11target_archE942ELNS1_3gpuE9ELNS1_3repE0EEENS1_30default_config_static_selectorELNS0_4arch9wavefront6targetE0EEEvSY_.uses_vcc, 0
	.set _ZN7rocprim17ROCPRIM_400000_NS6detail17trampoline_kernelINS0_14default_configENS1_27upper_bound_config_selectorIflEEZNS1_14transform_implILb0ES3_S5_N6thrust23THRUST_200600_302600_NS6detail15normal_iteratorINS8_7pointerIfNS8_11hip_rocprim9par_det_tENS8_11use_defaultESE_EEEENSA_INSB_IlSD_SE_SE_EEEEZNS1_13binary_searchIS3_S5_NSA_INS8_10device_ptrIfEEEESG_SI_NS1_21upper_bound_search_opENS9_16wrapped_functionINS8_6system6detail7generic6detail18binary_search_lessEbEEEE10hipError_tPvRmT1_T2_T3_mmT4_T5_P12ihipStream_tbEUlRKfE_EESV_SZ_S10_mS11_S14_bEUlT_E_NS1_11comp_targetILNS1_3genE5ELNS1_11target_archE942ELNS1_3gpuE9ELNS1_3repE0EEENS1_30default_config_static_selectorELNS0_4arch9wavefront6targetE0EEEvSY_.uses_flat_scratch, 0
	.set _ZN7rocprim17ROCPRIM_400000_NS6detail17trampoline_kernelINS0_14default_configENS1_27upper_bound_config_selectorIflEEZNS1_14transform_implILb0ES3_S5_N6thrust23THRUST_200600_302600_NS6detail15normal_iteratorINS8_7pointerIfNS8_11hip_rocprim9par_det_tENS8_11use_defaultESE_EEEENSA_INSB_IlSD_SE_SE_EEEEZNS1_13binary_searchIS3_S5_NSA_INS8_10device_ptrIfEEEESG_SI_NS1_21upper_bound_search_opENS9_16wrapped_functionINS8_6system6detail7generic6detail18binary_search_lessEbEEEE10hipError_tPvRmT1_T2_T3_mmT4_T5_P12ihipStream_tbEUlRKfE_EESV_SZ_S10_mS11_S14_bEUlT_E_NS1_11comp_targetILNS1_3genE5ELNS1_11target_archE942ELNS1_3gpuE9ELNS1_3repE0EEENS1_30default_config_static_selectorELNS0_4arch9wavefront6targetE0EEEvSY_.has_dyn_sized_stack, 0
	.set _ZN7rocprim17ROCPRIM_400000_NS6detail17trampoline_kernelINS0_14default_configENS1_27upper_bound_config_selectorIflEEZNS1_14transform_implILb0ES3_S5_N6thrust23THRUST_200600_302600_NS6detail15normal_iteratorINS8_7pointerIfNS8_11hip_rocprim9par_det_tENS8_11use_defaultESE_EEEENSA_INSB_IlSD_SE_SE_EEEEZNS1_13binary_searchIS3_S5_NSA_INS8_10device_ptrIfEEEESG_SI_NS1_21upper_bound_search_opENS9_16wrapped_functionINS8_6system6detail7generic6detail18binary_search_lessEbEEEE10hipError_tPvRmT1_T2_T3_mmT4_T5_P12ihipStream_tbEUlRKfE_EESV_SZ_S10_mS11_S14_bEUlT_E_NS1_11comp_targetILNS1_3genE5ELNS1_11target_archE942ELNS1_3gpuE9ELNS1_3repE0EEENS1_30default_config_static_selectorELNS0_4arch9wavefront6targetE0EEEvSY_.has_recursion, 0
	.set _ZN7rocprim17ROCPRIM_400000_NS6detail17trampoline_kernelINS0_14default_configENS1_27upper_bound_config_selectorIflEEZNS1_14transform_implILb0ES3_S5_N6thrust23THRUST_200600_302600_NS6detail15normal_iteratorINS8_7pointerIfNS8_11hip_rocprim9par_det_tENS8_11use_defaultESE_EEEENSA_INSB_IlSD_SE_SE_EEEEZNS1_13binary_searchIS3_S5_NSA_INS8_10device_ptrIfEEEESG_SI_NS1_21upper_bound_search_opENS9_16wrapped_functionINS8_6system6detail7generic6detail18binary_search_lessEbEEEE10hipError_tPvRmT1_T2_T3_mmT4_T5_P12ihipStream_tbEUlRKfE_EESV_SZ_S10_mS11_S14_bEUlT_E_NS1_11comp_targetILNS1_3genE5ELNS1_11target_archE942ELNS1_3gpuE9ELNS1_3repE0EEENS1_30default_config_static_selectorELNS0_4arch9wavefront6targetE0EEEvSY_.has_indirect_call, 0
	.section	.AMDGPU.csdata,"",@progbits
; Kernel info:
; codeLenInByte = 0
; TotalNumSgprs: 0
; NumVgprs: 0
; ScratchSize: 0
; MemoryBound: 0
; FloatMode: 240
; IeeeMode: 1
; LDSByteSize: 0 bytes/workgroup (compile time only)
; SGPRBlocks: 0
; VGPRBlocks: 0
; NumSGPRsForWavesPerEU: 1
; NumVGPRsForWavesPerEU: 1
; Occupancy: 16
; WaveLimiterHint : 0
; COMPUTE_PGM_RSRC2:SCRATCH_EN: 0
; COMPUTE_PGM_RSRC2:USER_SGPR: 6
; COMPUTE_PGM_RSRC2:TRAP_HANDLER: 0
; COMPUTE_PGM_RSRC2:TGID_X_EN: 1
; COMPUTE_PGM_RSRC2:TGID_Y_EN: 0
; COMPUTE_PGM_RSRC2:TGID_Z_EN: 0
; COMPUTE_PGM_RSRC2:TIDIG_COMP_CNT: 0
	.section	.text._ZN7rocprim17ROCPRIM_400000_NS6detail17trampoline_kernelINS0_14default_configENS1_27upper_bound_config_selectorIflEEZNS1_14transform_implILb0ES3_S5_N6thrust23THRUST_200600_302600_NS6detail15normal_iteratorINS8_7pointerIfNS8_11hip_rocprim9par_det_tENS8_11use_defaultESE_EEEENSA_INSB_IlSD_SE_SE_EEEEZNS1_13binary_searchIS3_S5_NSA_INS8_10device_ptrIfEEEESG_SI_NS1_21upper_bound_search_opENS9_16wrapped_functionINS8_6system6detail7generic6detail18binary_search_lessEbEEEE10hipError_tPvRmT1_T2_T3_mmT4_T5_P12ihipStream_tbEUlRKfE_EESV_SZ_S10_mS11_S14_bEUlT_E_NS1_11comp_targetILNS1_3genE4ELNS1_11target_archE910ELNS1_3gpuE8ELNS1_3repE0EEENS1_30default_config_static_selectorELNS0_4arch9wavefront6targetE0EEEvSY_,"axG",@progbits,_ZN7rocprim17ROCPRIM_400000_NS6detail17trampoline_kernelINS0_14default_configENS1_27upper_bound_config_selectorIflEEZNS1_14transform_implILb0ES3_S5_N6thrust23THRUST_200600_302600_NS6detail15normal_iteratorINS8_7pointerIfNS8_11hip_rocprim9par_det_tENS8_11use_defaultESE_EEEENSA_INSB_IlSD_SE_SE_EEEEZNS1_13binary_searchIS3_S5_NSA_INS8_10device_ptrIfEEEESG_SI_NS1_21upper_bound_search_opENS9_16wrapped_functionINS8_6system6detail7generic6detail18binary_search_lessEbEEEE10hipError_tPvRmT1_T2_T3_mmT4_T5_P12ihipStream_tbEUlRKfE_EESV_SZ_S10_mS11_S14_bEUlT_E_NS1_11comp_targetILNS1_3genE4ELNS1_11target_archE910ELNS1_3gpuE8ELNS1_3repE0EEENS1_30default_config_static_selectorELNS0_4arch9wavefront6targetE0EEEvSY_,comdat
	.protected	_ZN7rocprim17ROCPRIM_400000_NS6detail17trampoline_kernelINS0_14default_configENS1_27upper_bound_config_selectorIflEEZNS1_14transform_implILb0ES3_S5_N6thrust23THRUST_200600_302600_NS6detail15normal_iteratorINS8_7pointerIfNS8_11hip_rocprim9par_det_tENS8_11use_defaultESE_EEEENSA_INSB_IlSD_SE_SE_EEEEZNS1_13binary_searchIS3_S5_NSA_INS8_10device_ptrIfEEEESG_SI_NS1_21upper_bound_search_opENS9_16wrapped_functionINS8_6system6detail7generic6detail18binary_search_lessEbEEEE10hipError_tPvRmT1_T2_T3_mmT4_T5_P12ihipStream_tbEUlRKfE_EESV_SZ_S10_mS11_S14_bEUlT_E_NS1_11comp_targetILNS1_3genE4ELNS1_11target_archE910ELNS1_3gpuE8ELNS1_3repE0EEENS1_30default_config_static_selectorELNS0_4arch9wavefront6targetE0EEEvSY_ ; -- Begin function _ZN7rocprim17ROCPRIM_400000_NS6detail17trampoline_kernelINS0_14default_configENS1_27upper_bound_config_selectorIflEEZNS1_14transform_implILb0ES3_S5_N6thrust23THRUST_200600_302600_NS6detail15normal_iteratorINS8_7pointerIfNS8_11hip_rocprim9par_det_tENS8_11use_defaultESE_EEEENSA_INSB_IlSD_SE_SE_EEEEZNS1_13binary_searchIS3_S5_NSA_INS8_10device_ptrIfEEEESG_SI_NS1_21upper_bound_search_opENS9_16wrapped_functionINS8_6system6detail7generic6detail18binary_search_lessEbEEEE10hipError_tPvRmT1_T2_T3_mmT4_T5_P12ihipStream_tbEUlRKfE_EESV_SZ_S10_mS11_S14_bEUlT_E_NS1_11comp_targetILNS1_3genE4ELNS1_11target_archE910ELNS1_3gpuE8ELNS1_3repE0EEENS1_30default_config_static_selectorELNS0_4arch9wavefront6targetE0EEEvSY_
	.globl	_ZN7rocprim17ROCPRIM_400000_NS6detail17trampoline_kernelINS0_14default_configENS1_27upper_bound_config_selectorIflEEZNS1_14transform_implILb0ES3_S5_N6thrust23THRUST_200600_302600_NS6detail15normal_iteratorINS8_7pointerIfNS8_11hip_rocprim9par_det_tENS8_11use_defaultESE_EEEENSA_INSB_IlSD_SE_SE_EEEEZNS1_13binary_searchIS3_S5_NSA_INS8_10device_ptrIfEEEESG_SI_NS1_21upper_bound_search_opENS9_16wrapped_functionINS8_6system6detail7generic6detail18binary_search_lessEbEEEE10hipError_tPvRmT1_T2_T3_mmT4_T5_P12ihipStream_tbEUlRKfE_EESV_SZ_S10_mS11_S14_bEUlT_E_NS1_11comp_targetILNS1_3genE4ELNS1_11target_archE910ELNS1_3gpuE8ELNS1_3repE0EEENS1_30default_config_static_selectorELNS0_4arch9wavefront6targetE0EEEvSY_
	.p2align	8
	.type	_ZN7rocprim17ROCPRIM_400000_NS6detail17trampoline_kernelINS0_14default_configENS1_27upper_bound_config_selectorIflEEZNS1_14transform_implILb0ES3_S5_N6thrust23THRUST_200600_302600_NS6detail15normal_iteratorINS8_7pointerIfNS8_11hip_rocprim9par_det_tENS8_11use_defaultESE_EEEENSA_INSB_IlSD_SE_SE_EEEEZNS1_13binary_searchIS3_S5_NSA_INS8_10device_ptrIfEEEESG_SI_NS1_21upper_bound_search_opENS9_16wrapped_functionINS8_6system6detail7generic6detail18binary_search_lessEbEEEE10hipError_tPvRmT1_T2_T3_mmT4_T5_P12ihipStream_tbEUlRKfE_EESV_SZ_S10_mS11_S14_bEUlT_E_NS1_11comp_targetILNS1_3genE4ELNS1_11target_archE910ELNS1_3gpuE8ELNS1_3repE0EEENS1_30default_config_static_selectorELNS0_4arch9wavefront6targetE0EEEvSY_,@function
_ZN7rocprim17ROCPRIM_400000_NS6detail17trampoline_kernelINS0_14default_configENS1_27upper_bound_config_selectorIflEEZNS1_14transform_implILb0ES3_S5_N6thrust23THRUST_200600_302600_NS6detail15normal_iteratorINS8_7pointerIfNS8_11hip_rocprim9par_det_tENS8_11use_defaultESE_EEEENSA_INSB_IlSD_SE_SE_EEEEZNS1_13binary_searchIS3_S5_NSA_INS8_10device_ptrIfEEEESG_SI_NS1_21upper_bound_search_opENS9_16wrapped_functionINS8_6system6detail7generic6detail18binary_search_lessEbEEEE10hipError_tPvRmT1_T2_T3_mmT4_T5_P12ihipStream_tbEUlRKfE_EESV_SZ_S10_mS11_S14_bEUlT_E_NS1_11comp_targetILNS1_3genE4ELNS1_11target_archE910ELNS1_3gpuE8ELNS1_3repE0EEENS1_30default_config_static_selectorELNS0_4arch9wavefront6targetE0EEEvSY_: ; @_ZN7rocprim17ROCPRIM_400000_NS6detail17trampoline_kernelINS0_14default_configENS1_27upper_bound_config_selectorIflEEZNS1_14transform_implILb0ES3_S5_N6thrust23THRUST_200600_302600_NS6detail15normal_iteratorINS8_7pointerIfNS8_11hip_rocprim9par_det_tENS8_11use_defaultESE_EEEENSA_INSB_IlSD_SE_SE_EEEEZNS1_13binary_searchIS3_S5_NSA_INS8_10device_ptrIfEEEESG_SI_NS1_21upper_bound_search_opENS9_16wrapped_functionINS8_6system6detail7generic6detail18binary_search_lessEbEEEE10hipError_tPvRmT1_T2_T3_mmT4_T5_P12ihipStream_tbEUlRKfE_EESV_SZ_S10_mS11_S14_bEUlT_E_NS1_11comp_targetILNS1_3genE4ELNS1_11target_archE910ELNS1_3gpuE8ELNS1_3repE0EEENS1_30default_config_static_selectorELNS0_4arch9wavefront6targetE0EEEvSY_
; %bb.0:
	.section	.rodata,"a",@progbits
	.p2align	6, 0x0
	.amdhsa_kernel _ZN7rocprim17ROCPRIM_400000_NS6detail17trampoline_kernelINS0_14default_configENS1_27upper_bound_config_selectorIflEEZNS1_14transform_implILb0ES3_S5_N6thrust23THRUST_200600_302600_NS6detail15normal_iteratorINS8_7pointerIfNS8_11hip_rocprim9par_det_tENS8_11use_defaultESE_EEEENSA_INSB_IlSD_SE_SE_EEEEZNS1_13binary_searchIS3_S5_NSA_INS8_10device_ptrIfEEEESG_SI_NS1_21upper_bound_search_opENS9_16wrapped_functionINS8_6system6detail7generic6detail18binary_search_lessEbEEEE10hipError_tPvRmT1_T2_T3_mmT4_T5_P12ihipStream_tbEUlRKfE_EESV_SZ_S10_mS11_S14_bEUlT_E_NS1_11comp_targetILNS1_3genE4ELNS1_11target_archE910ELNS1_3gpuE8ELNS1_3repE0EEENS1_30default_config_static_selectorELNS0_4arch9wavefront6targetE0EEEvSY_
		.amdhsa_group_segment_fixed_size 0
		.amdhsa_private_segment_fixed_size 0
		.amdhsa_kernarg_size 56
		.amdhsa_user_sgpr_count 6
		.amdhsa_user_sgpr_private_segment_buffer 1
		.amdhsa_user_sgpr_dispatch_ptr 0
		.amdhsa_user_sgpr_queue_ptr 0
		.amdhsa_user_sgpr_kernarg_segment_ptr 1
		.amdhsa_user_sgpr_dispatch_id 0
		.amdhsa_user_sgpr_flat_scratch_init 0
		.amdhsa_user_sgpr_private_segment_size 0
		.amdhsa_wavefront_size32 1
		.amdhsa_uses_dynamic_stack 0
		.amdhsa_system_sgpr_private_segment_wavefront_offset 0
		.amdhsa_system_sgpr_workgroup_id_x 1
		.amdhsa_system_sgpr_workgroup_id_y 0
		.amdhsa_system_sgpr_workgroup_id_z 0
		.amdhsa_system_sgpr_workgroup_info 0
		.amdhsa_system_vgpr_workitem_id 0
		.amdhsa_next_free_vgpr 1
		.amdhsa_next_free_sgpr 1
		.amdhsa_reserve_vcc 0
		.amdhsa_reserve_flat_scratch 0
		.amdhsa_float_round_mode_32 0
		.amdhsa_float_round_mode_16_64 0
		.amdhsa_float_denorm_mode_32 3
		.amdhsa_float_denorm_mode_16_64 3
		.amdhsa_dx10_clamp 1
		.amdhsa_ieee_mode 1
		.amdhsa_fp16_overflow 0
		.amdhsa_workgroup_processor_mode 1
		.amdhsa_memory_ordered 1
		.amdhsa_forward_progress 1
		.amdhsa_shared_vgpr_count 0
		.amdhsa_exception_fp_ieee_invalid_op 0
		.amdhsa_exception_fp_denorm_src 0
		.amdhsa_exception_fp_ieee_div_zero 0
		.amdhsa_exception_fp_ieee_overflow 0
		.amdhsa_exception_fp_ieee_underflow 0
		.amdhsa_exception_fp_ieee_inexact 0
		.amdhsa_exception_int_div_zero 0
	.end_amdhsa_kernel
	.section	.text._ZN7rocprim17ROCPRIM_400000_NS6detail17trampoline_kernelINS0_14default_configENS1_27upper_bound_config_selectorIflEEZNS1_14transform_implILb0ES3_S5_N6thrust23THRUST_200600_302600_NS6detail15normal_iteratorINS8_7pointerIfNS8_11hip_rocprim9par_det_tENS8_11use_defaultESE_EEEENSA_INSB_IlSD_SE_SE_EEEEZNS1_13binary_searchIS3_S5_NSA_INS8_10device_ptrIfEEEESG_SI_NS1_21upper_bound_search_opENS9_16wrapped_functionINS8_6system6detail7generic6detail18binary_search_lessEbEEEE10hipError_tPvRmT1_T2_T3_mmT4_T5_P12ihipStream_tbEUlRKfE_EESV_SZ_S10_mS11_S14_bEUlT_E_NS1_11comp_targetILNS1_3genE4ELNS1_11target_archE910ELNS1_3gpuE8ELNS1_3repE0EEENS1_30default_config_static_selectorELNS0_4arch9wavefront6targetE0EEEvSY_,"axG",@progbits,_ZN7rocprim17ROCPRIM_400000_NS6detail17trampoline_kernelINS0_14default_configENS1_27upper_bound_config_selectorIflEEZNS1_14transform_implILb0ES3_S5_N6thrust23THRUST_200600_302600_NS6detail15normal_iteratorINS8_7pointerIfNS8_11hip_rocprim9par_det_tENS8_11use_defaultESE_EEEENSA_INSB_IlSD_SE_SE_EEEEZNS1_13binary_searchIS3_S5_NSA_INS8_10device_ptrIfEEEESG_SI_NS1_21upper_bound_search_opENS9_16wrapped_functionINS8_6system6detail7generic6detail18binary_search_lessEbEEEE10hipError_tPvRmT1_T2_T3_mmT4_T5_P12ihipStream_tbEUlRKfE_EESV_SZ_S10_mS11_S14_bEUlT_E_NS1_11comp_targetILNS1_3genE4ELNS1_11target_archE910ELNS1_3gpuE8ELNS1_3repE0EEENS1_30default_config_static_selectorELNS0_4arch9wavefront6targetE0EEEvSY_,comdat
.Lfunc_end520:
	.size	_ZN7rocprim17ROCPRIM_400000_NS6detail17trampoline_kernelINS0_14default_configENS1_27upper_bound_config_selectorIflEEZNS1_14transform_implILb0ES3_S5_N6thrust23THRUST_200600_302600_NS6detail15normal_iteratorINS8_7pointerIfNS8_11hip_rocprim9par_det_tENS8_11use_defaultESE_EEEENSA_INSB_IlSD_SE_SE_EEEEZNS1_13binary_searchIS3_S5_NSA_INS8_10device_ptrIfEEEESG_SI_NS1_21upper_bound_search_opENS9_16wrapped_functionINS8_6system6detail7generic6detail18binary_search_lessEbEEEE10hipError_tPvRmT1_T2_T3_mmT4_T5_P12ihipStream_tbEUlRKfE_EESV_SZ_S10_mS11_S14_bEUlT_E_NS1_11comp_targetILNS1_3genE4ELNS1_11target_archE910ELNS1_3gpuE8ELNS1_3repE0EEENS1_30default_config_static_selectorELNS0_4arch9wavefront6targetE0EEEvSY_, .Lfunc_end520-_ZN7rocprim17ROCPRIM_400000_NS6detail17trampoline_kernelINS0_14default_configENS1_27upper_bound_config_selectorIflEEZNS1_14transform_implILb0ES3_S5_N6thrust23THRUST_200600_302600_NS6detail15normal_iteratorINS8_7pointerIfNS8_11hip_rocprim9par_det_tENS8_11use_defaultESE_EEEENSA_INSB_IlSD_SE_SE_EEEEZNS1_13binary_searchIS3_S5_NSA_INS8_10device_ptrIfEEEESG_SI_NS1_21upper_bound_search_opENS9_16wrapped_functionINS8_6system6detail7generic6detail18binary_search_lessEbEEEE10hipError_tPvRmT1_T2_T3_mmT4_T5_P12ihipStream_tbEUlRKfE_EESV_SZ_S10_mS11_S14_bEUlT_E_NS1_11comp_targetILNS1_3genE4ELNS1_11target_archE910ELNS1_3gpuE8ELNS1_3repE0EEENS1_30default_config_static_selectorELNS0_4arch9wavefront6targetE0EEEvSY_
                                        ; -- End function
	.set _ZN7rocprim17ROCPRIM_400000_NS6detail17trampoline_kernelINS0_14default_configENS1_27upper_bound_config_selectorIflEEZNS1_14transform_implILb0ES3_S5_N6thrust23THRUST_200600_302600_NS6detail15normal_iteratorINS8_7pointerIfNS8_11hip_rocprim9par_det_tENS8_11use_defaultESE_EEEENSA_INSB_IlSD_SE_SE_EEEEZNS1_13binary_searchIS3_S5_NSA_INS8_10device_ptrIfEEEESG_SI_NS1_21upper_bound_search_opENS9_16wrapped_functionINS8_6system6detail7generic6detail18binary_search_lessEbEEEE10hipError_tPvRmT1_T2_T3_mmT4_T5_P12ihipStream_tbEUlRKfE_EESV_SZ_S10_mS11_S14_bEUlT_E_NS1_11comp_targetILNS1_3genE4ELNS1_11target_archE910ELNS1_3gpuE8ELNS1_3repE0EEENS1_30default_config_static_selectorELNS0_4arch9wavefront6targetE0EEEvSY_.num_vgpr, 0
	.set _ZN7rocprim17ROCPRIM_400000_NS6detail17trampoline_kernelINS0_14default_configENS1_27upper_bound_config_selectorIflEEZNS1_14transform_implILb0ES3_S5_N6thrust23THRUST_200600_302600_NS6detail15normal_iteratorINS8_7pointerIfNS8_11hip_rocprim9par_det_tENS8_11use_defaultESE_EEEENSA_INSB_IlSD_SE_SE_EEEEZNS1_13binary_searchIS3_S5_NSA_INS8_10device_ptrIfEEEESG_SI_NS1_21upper_bound_search_opENS9_16wrapped_functionINS8_6system6detail7generic6detail18binary_search_lessEbEEEE10hipError_tPvRmT1_T2_T3_mmT4_T5_P12ihipStream_tbEUlRKfE_EESV_SZ_S10_mS11_S14_bEUlT_E_NS1_11comp_targetILNS1_3genE4ELNS1_11target_archE910ELNS1_3gpuE8ELNS1_3repE0EEENS1_30default_config_static_selectorELNS0_4arch9wavefront6targetE0EEEvSY_.num_agpr, 0
	.set _ZN7rocprim17ROCPRIM_400000_NS6detail17trampoline_kernelINS0_14default_configENS1_27upper_bound_config_selectorIflEEZNS1_14transform_implILb0ES3_S5_N6thrust23THRUST_200600_302600_NS6detail15normal_iteratorINS8_7pointerIfNS8_11hip_rocprim9par_det_tENS8_11use_defaultESE_EEEENSA_INSB_IlSD_SE_SE_EEEEZNS1_13binary_searchIS3_S5_NSA_INS8_10device_ptrIfEEEESG_SI_NS1_21upper_bound_search_opENS9_16wrapped_functionINS8_6system6detail7generic6detail18binary_search_lessEbEEEE10hipError_tPvRmT1_T2_T3_mmT4_T5_P12ihipStream_tbEUlRKfE_EESV_SZ_S10_mS11_S14_bEUlT_E_NS1_11comp_targetILNS1_3genE4ELNS1_11target_archE910ELNS1_3gpuE8ELNS1_3repE0EEENS1_30default_config_static_selectorELNS0_4arch9wavefront6targetE0EEEvSY_.numbered_sgpr, 0
	.set _ZN7rocprim17ROCPRIM_400000_NS6detail17trampoline_kernelINS0_14default_configENS1_27upper_bound_config_selectorIflEEZNS1_14transform_implILb0ES3_S5_N6thrust23THRUST_200600_302600_NS6detail15normal_iteratorINS8_7pointerIfNS8_11hip_rocprim9par_det_tENS8_11use_defaultESE_EEEENSA_INSB_IlSD_SE_SE_EEEEZNS1_13binary_searchIS3_S5_NSA_INS8_10device_ptrIfEEEESG_SI_NS1_21upper_bound_search_opENS9_16wrapped_functionINS8_6system6detail7generic6detail18binary_search_lessEbEEEE10hipError_tPvRmT1_T2_T3_mmT4_T5_P12ihipStream_tbEUlRKfE_EESV_SZ_S10_mS11_S14_bEUlT_E_NS1_11comp_targetILNS1_3genE4ELNS1_11target_archE910ELNS1_3gpuE8ELNS1_3repE0EEENS1_30default_config_static_selectorELNS0_4arch9wavefront6targetE0EEEvSY_.num_named_barrier, 0
	.set _ZN7rocprim17ROCPRIM_400000_NS6detail17trampoline_kernelINS0_14default_configENS1_27upper_bound_config_selectorIflEEZNS1_14transform_implILb0ES3_S5_N6thrust23THRUST_200600_302600_NS6detail15normal_iteratorINS8_7pointerIfNS8_11hip_rocprim9par_det_tENS8_11use_defaultESE_EEEENSA_INSB_IlSD_SE_SE_EEEEZNS1_13binary_searchIS3_S5_NSA_INS8_10device_ptrIfEEEESG_SI_NS1_21upper_bound_search_opENS9_16wrapped_functionINS8_6system6detail7generic6detail18binary_search_lessEbEEEE10hipError_tPvRmT1_T2_T3_mmT4_T5_P12ihipStream_tbEUlRKfE_EESV_SZ_S10_mS11_S14_bEUlT_E_NS1_11comp_targetILNS1_3genE4ELNS1_11target_archE910ELNS1_3gpuE8ELNS1_3repE0EEENS1_30default_config_static_selectorELNS0_4arch9wavefront6targetE0EEEvSY_.private_seg_size, 0
	.set _ZN7rocprim17ROCPRIM_400000_NS6detail17trampoline_kernelINS0_14default_configENS1_27upper_bound_config_selectorIflEEZNS1_14transform_implILb0ES3_S5_N6thrust23THRUST_200600_302600_NS6detail15normal_iteratorINS8_7pointerIfNS8_11hip_rocprim9par_det_tENS8_11use_defaultESE_EEEENSA_INSB_IlSD_SE_SE_EEEEZNS1_13binary_searchIS3_S5_NSA_INS8_10device_ptrIfEEEESG_SI_NS1_21upper_bound_search_opENS9_16wrapped_functionINS8_6system6detail7generic6detail18binary_search_lessEbEEEE10hipError_tPvRmT1_T2_T3_mmT4_T5_P12ihipStream_tbEUlRKfE_EESV_SZ_S10_mS11_S14_bEUlT_E_NS1_11comp_targetILNS1_3genE4ELNS1_11target_archE910ELNS1_3gpuE8ELNS1_3repE0EEENS1_30default_config_static_selectorELNS0_4arch9wavefront6targetE0EEEvSY_.uses_vcc, 0
	.set _ZN7rocprim17ROCPRIM_400000_NS6detail17trampoline_kernelINS0_14default_configENS1_27upper_bound_config_selectorIflEEZNS1_14transform_implILb0ES3_S5_N6thrust23THRUST_200600_302600_NS6detail15normal_iteratorINS8_7pointerIfNS8_11hip_rocprim9par_det_tENS8_11use_defaultESE_EEEENSA_INSB_IlSD_SE_SE_EEEEZNS1_13binary_searchIS3_S5_NSA_INS8_10device_ptrIfEEEESG_SI_NS1_21upper_bound_search_opENS9_16wrapped_functionINS8_6system6detail7generic6detail18binary_search_lessEbEEEE10hipError_tPvRmT1_T2_T3_mmT4_T5_P12ihipStream_tbEUlRKfE_EESV_SZ_S10_mS11_S14_bEUlT_E_NS1_11comp_targetILNS1_3genE4ELNS1_11target_archE910ELNS1_3gpuE8ELNS1_3repE0EEENS1_30default_config_static_selectorELNS0_4arch9wavefront6targetE0EEEvSY_.uses_flat_scratch, 0
	.set _ZN7rocprim17ROCPRIM_400000_NS6detail17trampoline_kernelINS0_14default_configENS1_27upper_bound_config_selectorIflEEZNS1_14transform_implILb0ES3_S5_N6thrust23THRUST_200600_302600_NS6detail15normal_iteratorINS8_7pointerIfNS8_11hip_rocprim9par_det_tENS8_11use_defaultESE_EEEENSA_INSB_IlSD_SE_SE_EEEEZNS1_13binary_searchIS3_S5_NSA_INS8_10device_ptrIfEEEESG_SI_NS1_21upper_bound_search_opENS9_16wrapped_functionINS8_6system6detail7generic6detail18binary_search_lessEbEEEE10hipError_tPvRmT1_T2_T3_mmT4_T5_P12ihipStream_tbEUlRKfE_EESV_SZ_S10_mS11_S14_bEUlT_E_NS1_11comp_targetILNS1_3genE4ELNS1_11target_archE910ELNS1_3gpuE8ELNS1_3repE0EEENS1_30default_config_static_selectorELNS0_4arch9wavefront6targetE0EEEvSY_.has_dyn_sized_stack, 0
	.set _ZN7rocprim17ROCPRIM_400000_NS6detail17trampoline_kernelINS0_14default_configENS1_27upper_bound_config_selectorIflEEZNS1_14transform_implILb0ES3_S5_N6thrust23THRUST_200600_302600_NS6detail15normal_iteratorINS8_7pointerIfNS8_11hip_rocprim9par_det_tENS8_11use_defaultESE_EEEENSA_INSB_IlSD_SE_SE_EEEEZNS1_13binary_searchIS3_S5_NSA_INS8_10device_ptrIfEEEESG_SI_NS1_21upper_bound_search_opENS9_16wrapped_functionINS8_6system6detail7generic6detail18binary_search_lessEbEEEE10hipError_tPvRmT1_T2_T3_mmT4_T5_P12ihipStream_tbEUlRKfE_EESV_SZ_S10_mS11_S14_bEUlT_E_NS1_11comp_targetILNS1_3genE4ELNS1_11target_archE910ELNS1_3gpuE8ELNS1_3repE0EEENS1_30default_config_static_selectorELNS0_4arch9wavefront6targetE0EEEvSY_.has_recursion, 0
	.set _ZN7rocprim17ROCPRIM_400000_NS6detail17trampoline_kernelINS0_14default_configENS1_27upper_bound_config_selectorIflEEZNS1_14transform_implILb0ES3_S5_N6thrust23THRUST_200600_302600_NS6detail15normal_iteratorINS8_7pointerIfNS8_11hip_rocprim9par_det_tENS8_11use_defaultESE_EEEENSA_INSB_IlSD_SE_SE_EEEEZNS1_13binary_searchIS3_S5_NSA_INS8_10device_ptrIfEEEESG_SI_NS1_21upper_bound_search_opENS9_16wrapped_functionINS8_6system6detail7generic6detail18binary_search_lessEbEEEE10hipError_tPvRmT1_T2_T3_mmT4_T5_P12ihipStream_tbEUlRKfE_EESV_SZ_S10_mS11_S14_bEUlT_E_NS1_11comp_targetILNS1_3genE4ELNS1_11target_archE910ELNS1_3gpuE8ELNS1_3repE0EEENS1_30default_config_static_selectorELNS0_4arch9wavefront6targetE0EEEvSY_.has_indirect_call, 0
	.section	.AMDGPU.csdata,"",@progbits
; Kernel info:
; codeLenInByte = 0
; TotalNumSgprs: 0
; NumVgprs: 0
; ScratchSize: 0
; MemoryBound: 0
; FloatMode: 240
; IeeeMode: 1
; LDSByteSize: 0 bytes/workgroup (compile time only)
; SGPRBlocks: 0
; VGPRBlocks: 0
; NumSGPRsForWavesPerEU: 1
; NumVGPRsForWavesPerEU: 1
; Occupancy: 16
; WaveLimiterHint : 0
; COMPUTE_PGM_RSRC2:SCRATCH_EN: 0
; COMPUTE_PGM_RSRC2:USER_SGPR: 6
; COMPUTE_PGM_RSRC2:TRAP_HANDLER: 0
; COMPUTE_PGM_RSRC2:TGID_X_EN: 1
; COMPUTE_PGM_RSRC2:TGID_Y_EN: 0
; COMPUTE_PGM_RSRC2:TGID_Z_EN: 0
; COMPUTE_PGM_RSRC2:TIDIG_COMP_CNT: 0
	.section	.text._ZN7rocprim17ROCPRIM_400000_NS6detail17trampoline_kernelINS0_14default_configENS1_27upper_bound_config_selectorIflEEZNS1_14transform_implILb0ES3_S5_N6thrust23THRUST_200600_302600_NS6detail15normal_iteratorINS8_7pointerIfNS8_11hip_rocprim9par_det_tENS8_11use_defaultESE_EEEENSA_INSB_IlSD_SE_SE_EEEEZNS1_13binary_searchIS3_S5_NSA_INS8_10device_ptrIfEEEESG_SI_NS1_21upper_bound_search_opENS9_16wrapped_functionINS8_6system6detail7generic6detail18binary_search_lessEbEEEE10hipError_tPvRmT1_T2_T3_mmT4_T5_P12ihipStream_tbEUlRKfE_EESV_SZ_S10_mS11_S14_bEUlT_E_NS1_11comp_targetILNS1_3genE3ELNS1_11target_archE908ELNS1_3gpuE7ELNS1_3repE0EEENS1_30default_config_static_selectorELNS0_4arch9wavefront6targetE0EEEvSY_,"axG",@progbits,_ZN7rocprim17ROCPRIM_400000_NS6detail17trampoline_kernelINS0_14default_configENS1_27upper_bound_config_selectorIflEEZNS1_14transform_implILb0ES3_S5_N6thrust23THRUST_200600_302600_NS6detail15normal_iteratorINS8_7pointerIfNS8_11hip_rocprim9par_det_tENS8_11use_defaultESE_EEEENSA_INSB_IlSD_SE_SE_EEEEZNS1_13binary_searchIS3_S5_NSA_INS8_10device_ptrIfEEEESG_SI_NS1_21upper_bound_search_opENS9_16wrapped_functionINS8_6system6detail7generic6detail18binary_search_lessEbEEEE10hipError_tPvRmT1_T2_T3_mmT4_T5_P12ihipStream_tbEUlRKfE_EESV_SZ_S10_mS11_S14_bEUlT_E_NS1_11comp_targetILNS1_3genE3ELNS1_11target_archE908ELNS1_3gpuE7ELNS1_3repE0EEENS1_30default_config_static_selectorELNS0_4arch9wavefront6targetE0EEEvSY_,comdat
	.protected	_ZN7rocprim17ROCPRIM_400000_NS6detail17trampoline_kernelINS0_14default_configENS1_27upper_bound_config_selectorIflEEZNS1_14transform_implILb0ES3_S5_N6thrust23THRUST_200600_302600_NS6detail15normal_iteratorINS8_7pointerIfNS8_11hip_rocprim9par_det_tENS8_11use_defaultESE_EEEENSA_INSB_IlSD_SE_SE_EEEEZNS1_13binary_searchIS3_S5_NSA_INS8_10device_ptrIfEEEESG_SI_NS1_21upper_bound_search_opENS9_16wrapped_functionINS8_6system6detail7generic6detail18binary_search_lessEbEEEE10hipError_tPvRmT1_T2_T3_mmT4_T5_P12ihipStream_tbEUlRKfE_EESV_SZ_S10_mS11_S14_bEUlT_E_NS1_11comp_targetILNS1_3genE3ELNS1_11target_archE908ELNS1_3gpuE7ELNS1_3repE0EEENS1_30default_config_static_selectorELNS0_4arch9wavefront6targetE0EEEvSY_ ; -- Begin function _ZN7rocprim17ROCPRIM_400000_NS6detail17trampoline_kernelINS0_14default_configENS1_27upper_bound_config_selectorIflEEZNS1_14transform_implILb0ES3_S5_N6thrust23THRUST_200600_302600_NS6detail15normal_iteratorINS8_7pointerIfNS8_11hip_rocprim9par_det_tENS8_11use_defaultESE_EEEENSA_INSB_IlSD_SE_SE_EEEEZNS1_13binary_searchIS3_S5_NSA_INS8_10device_ptrIfEEEESG_SI_NS1_21upper_bound_search_opENS9_16wrapped_functionINS8_6system6detail7generic6detail18binary_search_lessEbEEEE10hipError_tPvRmT1_T2_T3_mmT4_T5_P12ihipStream_tbEUlRKfE_EESV_SZ_S10_mS11_S14_bEUlT_E_NS1_11comp_targetILNS1_3genE3ELNS1_11target_archE908ELNS1_3gpuE7ELNS1_3repE0EEENS1_30default_config_static_selectorELNS0_4arch9wavefront6targetE0EEEvSY_
	.globl	_ZN7rocprim17ROCPRIM_400000_NS6detail17trampoline_kernelINS0_14default_configENS1_27upper_bound_config_selectorIflEEZNS1_14transform_implILb0ES3_S5_N6thrust23THRUST_200600_302600_NS6detail15normal_iteratorINS8_7pointerIfNS8_11hip_rocprim9par_det_tENS8_11use_defaultESE_EEEENSA_INSB_IlSD_SE_SE_EEEEZNS1_13binary_searchIS3_S5_NSA_INS8_10device_ptrIfEEEESG_SI_NS1_21upper_bound_search_opENS9_16wrapped_functionINS8_6system6detail7generic6detail18binary_search_lessEbEEEE10hipError_tPvRmT1_T2_T3_mmT4_T5_P12ihipStream_tbEUlRKfE_EESV_SZ_S10_mS11_S14_bEUlT_E_NS1_11comp_targetILNS1_3genE3ELNS1_11target_archE908ELNS1_3gpuE7ELNS1_3repE0EEENS1_30default_config_static_selectorELNS0_4arch9wavefront6targetE0EEEvSY_
	.p2align	8
	.type	_ZN7rocprim17ROCPRIM_400000_NS6detail17trampoline_kernelINS0_14default_configENS1_27upper_bound_config_selectorIflEEZNS1_14transform_implILb0ES3_S5_N6thrust23THRUST_200600_302600_NS6detail15normal_iteratorINS8_7pointerIfNS8_11hip_rocprim9par_det_tENS8_11use_defaultESE_EEEENSA_INSB_IlSD_SE_SE_EEEEZNS1_13binary_searchIS3_S5_NSA_INS8_10device_ptrIfEEEESG_SI_NS1_21upper_bound_search_opENS9_16wrapped_functionINS8_6system6detail7generic6detail18binary_search_lessEbEEEE10hipError_tPvRmT1_T2_T3_mmT4_T5_P12ihipStream_tbEUlRKfE_EESV_SZ_S10_mS11_S14_bEUlT_E_NS1_11comp_targetILNS1_3genE3ELNS1_11target_archE908ELNS1_3gpuE7ELNS1_3repE0EEENS1_30default_config_static_selectorELNS0_4arch9wavefront6targetE0EEEvSY_,@function
_ZN7rocprim17ROCPRIM_400000_NS6detail17trampoline_kernelINS0_14default_configENS1_27upper_bound_config_selectorIflEEZNS1_14transform_implILb0ES3_S5_N6thrust23THRUST_200600_302600_NS6detail15normal_iteratorINS8_7pointerIfNS8_11hip_rocprim9par_det_tENS8_11use_defaultESE_EEEENSA_INSB_IlSD_SE_SE_EEEEZNS1_13binary_searchIS3_S5_NSA_INS8_10device_ptrIfEEEESG_SI_NS1_21upper_bound_search_opENS9_16wrapped_functionINS8_6system6detail7generic6detail18binary_search_lessEbEEEE10hipError_tPvRmT1_T2_T3_mmT4_T5_P12ihipStream_tbEUlRKfE_EESV_SZ_S10_mS11_S14_bEUlT_E_NS1_11comp_targetILNS1_3genE3ELNS1_11target_archE908ELNS1_3gpuE7ELNS1_3repE0EEENS1_30default_config_static_selectorELNS0_4arch9wavefront6targetE0EEEvSY_: ; @_ZN7rocprim17ROCPRIM_400000_NS6detail17trampoline_kernelINS0_14default_configENS1_27upper_bound_config_selectorIflEEZNS1_14transform_implILb0ES3_S5_N6thrust23THRUST_200600_302600_NS6detail15normal_iteratorINS8_7pointerIfNS8_11hip_rocprim9par_det_tENS8_11use_defaultESE_EEEENSA_INSB_IlSD_SE_SE_EEEEZNS1_13binary_searchIS3_S5_NSA_INS8_10device_ptrIfEEEESG_SI_NS1_21upper_bound_search_opENS9_16wrapped_functionINS8_6system6detail7generic6detail18binary_search_lessEbEEEE10hipError_tPvRmT1_T2_T3_mmT4_T5_P12ihipStream_tbEUlRKfE_EESV_SZ_S10_mS11_S14_bEUlT_E_NS1_11comp_targetILNS1_3genE3ELNS1_11target_archE908ELNS1_3gpuE7ELNS1_3repE0EEENS1_30default_config_static_selectorELNS0_4arch9wavefront6targetE0EEEvSY_
; %bb.0:
	.section	.rodata,"a",@progbits
	.p2align	6, 0x0
	.amdhsa_kernel _ZN7rocprim17ROCPRIM_400000_NS6detail17trampoline_kernelINS0_14default_configENS1_27upper_bound_config_selectorIflEEZNS1_14transform_implILb0ES3_S5_N6thrust23THRUST_200600_302600_NS6detail15normal_iteratorINS8_7pointerIfNS8_11hip_rocprim9par_det_tENS8_11use_defaultESE_EEEENSA_INSB_IlSD_SE_SE_EEEEZNS1_13binary_searchIS3_S5_NSA_INS8_10device_ptrIfEEEESG_SI_NS1_21upper_bound_search_opENS9_16wrapped_functionINS8_6system6detail7generic6detail18binary_search_lessEbEEEE10hipError_tPvRmT1_T2_T3_mmT4_T5_P12ihipStream_tbEUlRKfE_EESV_SZ_S10_mS11_S14_bEUlT_E_NS1_11comp_targetILNS1_3genE3ELNS1_11target_archE908ELNS1_3gpuE7ELNS1_3repE0EEENS1_30default_config_static_selectorELNS0_4arch9wavefront6targetE0EEEvSY_
		.amdhsa_group_segment_fixed_size 0
		.amdhsa_private_segment_fixed_size 0
		.amdhsa_kernarg_size 56
		.amdhsa_user_sgpr_count 6
		.amdhsa_user_sgpr_private_segment_buffer 1
		.amdhsa_user_sgpr_dispatch_ptr 0
		.amdhsa_user_sgpr_queue_ptr 0
		.amdhsa_user_sgpr_kernarg_segment_ptr 1
		.amdhsa_user_sgpr_dispatch_id 0
		.amdhsa_user_sgpr_flat_scratch_init 0
		.amdhsa_user_sgpr_private_segment_size 0
		.amdhsa_wavefront_size32 1
		.amdhsa_uses_dynamic_stack 0
		.amdhsa_system_sgpr_private_segment_wavefront_offset 0
		.amdhsa_system_sgpr_workgroup_id_x 1
		.amdhsa_system_sgpr_workgroup_id_y 0
		.amdhsa_system_sgpr_workgroup_id_z 0
		.amdhsa_system_sgpr_workgroup_info 0
		.amdhsa_system_vgpr_workitem_id 0
		.amdhsa_next_free_vgpr 1
		.amdhsa_next_free_sgpr 1
		.amdhsa_reserve_vcc 0
		.amdhsa_reserve_flat_scratch 0
		.amdhsa_float_round_mode_32 0
		.amdhsa_float_round_mode_16_64 0
		.amdhsa_float_denorm_mode_32 3
		.amdhsa_float_denorm_mode_16_64 3
		.amdhsa_dx10_clamp 1
		.amdhsa_ieee_mode 1
		.amdhsa_fp16_overflow 0
		.amdhsa_workgroup_processor_mode 1
		.amdhsa_memory_ordered 1
		.amdhsa_forward_progress 1
		.amdhsa_shared_vgpr_count 0
		.amdhsa_exception_fp_ieee_invalid_op 0
		.amdhsa_exception_fp_denorm_src 0
		.amdhsa_exception_fp_ieee_div_zero 0
		.amdhsa_exception_fp_ieee_overflow 0
		.amdhsa_exception_fp_ieee_underflow 0
		.amdhsa_exception_fp_ieee_inexact 0
		.amdhsa_exception_int_div_zero 0
	.end_amdhsa_kernel
	.section	.text._ZN7rocprim17ROCPRIM_400000_NS6detail17trampoline_kernelINS0_14default_configENS1_27upper_bound_config_selectorIflEEZNS1_14transform_implILb0ES3_S5_N6thrust23THRUST_200600_302600_NS6detail15normal_iteratorINS8_7pointerIfNS8_11hip_rocprim9par_det_tENS8_11use_defaultESE_EEEENSA_INSB_IlSD_SE_SE_EEEEZNS1_13binary_searchIS3_S5_NSA_INS8_10device_ptrIfEEEESG_SI_NS1_21upper_bound_search_opENS9_16wrapped_functionINS8_6system6detail7generic6detail18binary_search_lessEbEEEE10hipError_tPvRmT1_T2_T3_mmT4_T5_P12ihipStream_tbEUlRKfE_EESV_SZ_S10_mS11_S14_bEUlT_E_NS1_11comp_targetILNS1_3genE3ELNS1_11target_archE908ELNS1_3gpuE7ELNS1_3repE0EEENS1_30default_config_static_selectorELNS0_4arch9wavefront6targetE0EEEvSY_,"axG",@progbits,_ZN7rocprim17ROCPRIM_400000_NS6detail17trampoline_kernelINS0_14default_configENS1_27upper_bound_config_selectorIflEEZNS1_14transform_implILb0ES3_S5_N6thrust23THRUST_200600_302600_NS6detail15normal_iteratorINS8_7pointerIfNS8_11hip_rocprim9par_det_tENS8_11use_defaultESE_EEEENSA_INSB_IlSD_SE_SE_EEEEZNS1_13binary_searchIS3_S5_NSA_INS8_10device_ptrIfEEEESG_SI_NS1_21upper_bound_search_opENS9_16wrapped_functionINS8_6system6detail7generic6detail18binary_search_lessEbEEEE10hipError_tPvRmT1_T2_T3_mmT4_T5_P12ihipStream_tbEUlRKfE_EESV_SZ_S10_mS11_S14_bEUlT_E_NS1_11comp_targetILNS1_3genE3ELNS1_11target_archE908ELNS1_3gpuE7ELNS1_3repE0EEENS1_30default_config_static_selectorELNS0_4arch9wavefront6targetE0EEEvSY_,comdat
.Lfunc_end521:
	.size	_ZN7rocprim17ROCPRIM_400000_NS6detail17trampoline_kernelINS0_14default_configENS1_27upper_bound_config_selectorIflEEZNS1_14transform_implILb0ES3_S5_N6thrust23THRUST_200600_302600_NS6detail15normal_iteratorINS8_7pointerIfNS8_11hip_rocprim9par_det_tENS8_11use_defaultESE_EEEENSA_INSB_IlSD_SE_SE_EEEEZNS1_13binary_searchIS3_S5_NSA_INS8_10device_ptrIfEEEESG_SI_NS1_21upper_bound_search_opENS9_16wrapped_functionINS8_6system6detail7generic6detail18binary_search_lessEbEEEE10hipError_tPvRmT1_T2_T3_mmT4_T5_P12ihipStream_tbEUlRKfE_EESV_SZ_S10_mS11_S14_bEUlT_E_NS1_11comp_targetILNS1_3genE3ELNS1_11target_archE908ELNS1_3gpuE7ELNS1_3repE0EEENS1_30default_config_static_selectorELNS0_4arch9wavefront6targetE0EEEvSY_, .Lfunc_end521-_ZN7rocprim17ROCPRIM_400000_NS6detail17trampoline_kernelINS0_14default_configENS1_27upper_bound_config_selectorIflEEZNS1_14transform_implILb0ES3_S5_N6thrust23THRUST_200600_302600_NS6detail15normal_iteratorINS8_7pointerIfNS8_11hip_rocprim9par_det_tENS8_11use_defaultESE_EEEENSA_INSB_IlSD_SE_SE_EEEEZNS1_13binary_searchIS3_S5_NSA_INS8_10device_ptrIfEEEESG_SI_NS1_21upper_bound_search_opENS9_16wrapped_functionINS8_6system6detail7generic6detail18binary_search_lessEbEEEE10hipError_tPvRmT1_T2_T3_mmT4_T5_P12ihipStream_tbEUlRKfE_EESV_SZ_S10_mS11_S14_bEUlT_E_NS1_11comp_targetILNS1_3genE3ELNS1_11target_archE908ELNS1_3gpuE7ELNS1_3repE0EEENS1_30default_config_static_selectorELNS0_4arch9wavefront6targetE0EEEvSY_
                                        ; -- End function
	.set _ZN7rocprim17ROCPRIM_400000_NS6detail17trampoline_kernelINS0_14default_configENS1_27upper_bound_config_selectorIflEEZNS1_14transform_implILb0ES3_S5_N6thrust23THRUST_200600_302600_NS6detail15normal_iteratorINS8_7pointerIfNS8_11hip_rocprim9par_det_tENS8_11use_defaultESE_EEEENSA_INSB_IlSD_SE_SE_EEEEZNS1_13binary_searchIS3_S5_NSA_INS8_10device_ptrIfEEEESG_SI_NS1_21upper_bound_search_opENS9_16wrapped_functionINS8_6system6detail7generic6detail18binary_search_lessEbEEEE10hipError_tPvRmT1_T2_T3_mmT4_T5_P12ihipStream_tbEUlRKfE_EESV_SZ_S10_mS11_S14_bEUlT_E_NS1_11comp_targetILNS1_3genE3ELNS1_11target_archE908ELNS1_3gpuE7ELNS1_3repE0EEENS1_30default_config_static_selectorELNS0_4arch9wavefront6targetE0EEEvSY_.num_vgpr, 0
	.set _ZN7rocprim17ROCPRIM_400000_NS6detail17trampoline_kernelINS0_14default_configENS1_27upper_bound_config_selectorIflEEZNS1_14transform_implILb0ES3_S5_N6thrust23THRUST_200600_302600_NS6detail15normal_iteratorINS8_7pointerIfNS8_11hip_rocprim9par_det_tENS8_11use_defaultESE_EEEENSA_INSB_IlSD_SE_SE_EEEEZNS1_13binary_searchIS3_S5_NSA_INS8_10device_ptrIfEEEESG_SI_NS1_21upper_bound_search_opENS9_16wrapped_functionINS8_6system6detail7generic6detail18binary_search_lessEbEEEE10hipError_tPvRmT1_T2_T3_mmT4_T5_P12ihipStream_tbEUlRKfE_EESV_SZ_S10_mS11_S14_bEUlT_E_NS1_11comp_targetILNS1_3genE3ELNS1_11target_archE908ELNS1_3gpuE7ELNS1_3repE0EEENS1_30default_config_static_selectorELNS0_4arch9wavefront6targetE0EEEvSY_.num_agpr, 0
	.set _ZN7rocprim17ROCPRIM_400000_NS6detail17trampoline_kernelINS0_14default_configENS1_27upper_bound_config_selectorIflEEZNS1_14transform_implILb0ES3_S5_N6thrust23THRUST_200600_302600_NS6detail15normal_iteratorINS8_7pointerIfNS8_11hip_rocprim9par_det_tENS8_11use_defaultESE_EEEENSA_INSB_IlSD_SE_SE_EEEEZNS1_13binary_searchIS3_S5_NSA_INS8_10device_ptrIfEEEESG_SI_NS1_21upper_bound_search_opENS9_16wrapped_functionINS8_6system6detail7generic6detail18binary_search_lessEbEEEE10hipError_tPvRmT1_T2_T3_mmT4_T5_P12ihipStream_tbEUlRKfE_EESV_SZ_S10_mS11_S14_bEUlT_E_NS1_11comp_targetILNS1_3genE3ELNS1_11target_archE908ELNS1_3gpuE7ELNS1_3repE0EEENS1_30default_config_static_selectorELNS0_4arch9wavefront6targetE0EEEvSY_.numbered_sgpr, 0
	.set _ZN7rocprim17ROCPRIM_400000_NS6detail17trampoline_kernelINS0_14default_configENS1_27upper_bound_config_selectorIflEEZNS1_14transform_implILb0ES3_S5_N6thrust23THRUST_200600_302600_NS6detail15normal_iteratorINS8_7pointerIfNS8_11hip_rocprim9par_det_tENS8_11use_defaultESE_EEEENSA_INSB_IlSD_SE_SE_EEEEZNS1_13binary_searchIS3_S5_NSA_INS8_10device_ptrIfEEEESG_SI_NS1_21upper_bound_search_opENS9_16wrapped_functionINS8_6system6detail7generic6detail18binary_search_lessEbEEEE10hipError_tPvRmT1_T2_T3_mmT4_T5_P12ihipStream_tbEUlRKfE_EESV_SZ_S10_mS11_S14_bEUlT_E_NS1_11comp_targetILNS1_3genE3ELNS1_11target_archE908ELNS1_3gpuE7ELNS1_3repE0EEENS1_30default_config_static_selectorELNS0_4arch9wavefront6targetE0EEEvSY_.num_named_barrier, 0
	.set _ZN7rocprim17ROCPRIM_400000_NS6detail17trampoline_kernelINS0_14default_configENS1_27upper_bound_config_selectorIflEEZNS1_14transform_implILb0ES3_S5_N6thrust23THRUST_200600_302600_NS6detail15normal_iteratorINS8_7pointerIfNS8_11hip_rocprim9par_det_tENS8_11use_defaultESE_EEEENSA_INSB_IlSD_SE_SE_EEEEZNS1_13binary_searchIS3_S5_NSA_INS8_10device_ptrIfEEEESG_SI_NS1_21upper_bound_search_opENS9_16wrapped_functionINS8_6system6detail7generic6detail18binary_search_lessEbEEEE10hipError_tPvRmT1_T2_T3_mmT4_T5_P12ihipStream_tbEUlRKfE_EESV_SZ_S10_mS11_S14_bEUlT_E_NS1_11comp_targetILNS1_3genE3ELNS1_11target_archE908ELNS1_3gpuE7ELNS1_3repE0EEENS1_30default_config_static_selectorELNS0_4arch9wavefront6targetE0EEEvSY_.private_seg_size, 0
	.set _ZN7rocprim17ROCPRIM_400000_NS6detail17trampoline_kernelINS0_14default_configENS1_27upper_bound_config_selectorIflEEZNS1_14transform_implILb0ES3_S5_N6thrust23THRUST_200600_302600_NS6detail15normal_iteratorINS8_7pointerIfNS8_11hip_rocprim9par_det_tENS8_11use_defaultESE_EEEENSA_INSB_IlSD_SE_SE_EEEEZNS1_13binary_searchIS3_S5_NSA_INS8_10device_ptrIfEEEESG_SI_NS1_21upper_bound_search_opENS9_16wrapped_functionINS8_6system6detail7generic6detail18binary_search_lessEbEEEE10hipError_tPvRmT1_T2_T3_mmT4_T5_P12ihipStream_tbEUlRKfE_EESV_SZ_S10_mS11_S14_bEUlT_E_NS1_11comp_targetILNS1_3genE3ELNS1_11target_archE908ELNS1_3gpuE7ELNS1_3repE0EEENS1_30default_config_static_selectorELNS0_4arch9wavefront6targetE0EEEvSY_.uses_vcc, 0
	.set _ZN7rocprim17ROCPRIM_400000_NS6detail17trampoline_kernelINS0_14default_configENS1_27upper_bound_config_selectorIflEEZNS1_14transform_implILb0ES3_S5_N6thrust23THRUST_200600_302600_NS6detail15normal_iteratorINS8_7pointerIfNS8_11hip_rocprim9par_det_tENS8_11use_defaultESE_EEEENSA_INSB_IlSD_SE_SE_EEEEZNS1_13binary_searchIS3_S5_NSA_INS8_10device_ptrIfEEEESG_SI_NS1_21upper_bound_search_opENS9_16wrapped_functionINS8_6system6detail7generic6detail18binary_search_lessEbEEEE10hipError_tPvRmT1_T2_T3_mmT4_T5_P12ihipStream_tbEUlRKfE_EESV_SZ_S10_mS11_S14_bEUlT_E_NS1_11comp_targetILNS1_3genE3ELNS1_11target_archE908ELNS1_3gpuE7ELNS1_3repE0EEENS1_30default_config_static_selectorELNS0_4arch9wavefront6targetE0EEEvSY_.uses_flat_scratch, 0
	.set _ZN7rocprim17ROCPRIM_400000_NS6detail17trampoline_kernelINS0_14default_configENS1_27upper_bound_config_selectorIflEEZNS1_14transform_implILb0ES3_S5_N6thrust23THRUST_200600_302600_NS6detail15normal_iteratorINS8_7pointerIfNS8_11hip_rocprim9par_det_tENS8_11use_defaultESE_EEEENSA_INSB_IlSD_SE_SE_EEEEZNS1_13binary_searchIS3_S5_NSA_INS8_10device_ptrIfEEEESG_SI_NS1_21upper_bound_search_opENS9_16wrapped_functionINS8_6system6detail7generic6detail18binary_search_lessEbEEEE10hipError_tPvRmT1_T2_T3_mmT4_T5_P12ihipStream_tbEUlRKfE_EESV_SZ_S10_mS11_S14_bEUlT_E_NS1_11comp_targetILNS1_3genE3ELNS1_11target_archE908ELNS1_3gpuE7ELNS1_3repE0EEENS1_30default_config_static_selectorELNS0_4arch9wavefront6targetE0EEEvSY_.has_dyn_sized_stack, 0
	.set _ZN7rocprim17ROCPRIM_400000_NS6detail17trampoline_kernelINS0_14default_configENS1_27upper_bound_config_selectorIflEEZNS1_14transform_implILb0ES3_S5_N6thrust23THRUST_200600_302600_NS6detail15normal_iteratorINS8_7pointerIfNS8_11hip_rocprim9par_det_tENS8_11use_defaultESE_EEEENSA_INSB_IlSD_SE_SE_EEEEZNS1_13binary_searchIS3_S5_NSA_INS8_10device_ptrIfEEEESG_SI_NS1_21upper_bound_search_opENS9_16wrapped_functionINS8_6system6detail7generic6detail18binary_search_lessEbEEEE10hipError_tPvRmT1_T2_T3_mmT4_T5_P12ihipStream_tbEUlRKfE_EESV_SZ_S10_mS11_S14_bEUlT_E_NS1_11comp_targetILNS1_3genE3ELNS1_11target_archE908ELNS1_3gpuE7ELNS1_3repE0EEENS1_30default_config_static_selectorELNS0_4arch9wavefront6targetE0EEEvSY_.has_recursion, 0
	.set _ZN7rocprim17ROCPRIM_400000_NS6detail17trampoline_kernelINS0_14default_configENS1_27upper_bound_config_selectorIflEEZNS1_14transform_implILb0ES3_S5_N6thrust23THRUST_200600_302600_NS6detail15normal_iteratorINS8_7pointerIfNS8_11hip_rocprim9par_det_tENS8_11use_defaultESE_EEEENSA_INSB_IlSD_SE_SE_EEEEZNS1_13binary_searchIS3_S5_NSA_INS8_10device_ptrIfEEEESG_SI_NS1_21upper_bound_search_opENS9_16wrapped_functionINS8_6system6detail7generic6detail18binary_search_lessEbEEEE10hipError_tPvRmT1_T2_T3_mmT4_T5_P12ihipStream_tbEUlRKfE_EESV_SZ_S10_mS11_S14_bEUlT_E_NS1_11comp_targetILNS1_3genE3ELNS1_11target_archE908ELNS1_3gpuE7ELNS1_3repE0EEENS1_30default_config_static_selectorELNS0_4arch9wavefront6targetE0EEEvSY_.has_indirect_call, 0
	.section	.AMDGPU.csdata,"",@progbits
; Kernel info:
; codeLenInByte = 0
; TotalNumSgprs: 0
; NumVgprs: 0
; ScratchSize: 0
; MemoryBound: 0
; FloatMode: 240
; IeeeMode: 1
; LDSByteSize: 0 bytes/workgroup (compile time only)
; SGPRBlocks: 0
; VGPRBlocks: 0
; NumSGPRsForWavesPerEU: 1
; NumVGPRsForWavesPerEU: 1
; Occupancy: 16
; WaveLimiterHint : 0
; COMPUTE_PGM_RSRC2:SCRATCH_EN: 0
; COMPUTE_PGM_RSRC2:USER_SGPR: 6
; COMPUTE_PGM_RSRC2:TRAP_HANDLER: 0
; COMPUTE_PGM_RSRC2:TGID_X_EN: 1
; COMPUTE_PGM_RSRC2:TGID_Y_EN: 0
; COMPUTE_PGM_RSRC2:TGID_Z_EN: 0
; COMPUTE_PGM_RSRC2:TIDIG_COMP_CNT: 0
	.section	.text._ZN7rocprim17ROCPRIM_400000_NS6detail17trampoline_kernelINS0_14default_configENS1_27upper_bound_config_selectorIflEEZNS1_14transform_implILb0ES3_S5_N6thrust23THRUST_200600_302600_NS6detail15normal_iteratorINS8_7pointerIfNS8_11hip_rocprim9par_det_tENS8_11use_defaultESE_EEEENSA_INSB_IlSD_SE_SE_EEEEZNS1_13binary_searchIS3_S5_NSA_INS8_10device_ptrIfEEEESG_SI_NS1_21upper_bound_search_opENS9_16wrapped_functionINS8_6system6detail7generic6detail18binary_search_lessEbEEEE10hipError_tPvRmT1_T2_T3_mmT4_T5_P12ihipStream_tbEUlRKfE_EESV_SZ_S10_mS11_S14_bEUlT_E_NS1_11comp_targetILNS1_3genE2ELNS1_11target_archE906ELNS1_3gpuE6ELNS1_3repE0EEENS1_30default_config_static_selectorELNS0_4arch9wavefront6targetE0EEEvSY_,"axG",@progbits,_ZN7rocprim17ROCPRIM_400000_NS6detail17trampoline_kernelINS0_14default_configENS1_27upper_bound_config_selectorIflEEZNS1_14transform_implILb0ES3_S5_N6thrust23THRUST_200600_302600_NS6detail15normal_iteratorINS8_7pointerIfNS8_11hip_rocprim9par_det_tENS8_11use_defaultESE_EEEENSA_INSB_IlSD_SE_SE_EEEEZNS1_13binary_searchIS3_S5_NSA_INS8_10device_ptrIfEEEESG_SI_NS1_21upper_bound_search_opENS9_16wrapped_functionINS8_6system6detail7generic6detail18binary_search_lessEbEEEE10hipError_tPvRmT1_T2_T3_mmT4_T5_P12ihipStream_tbEUlRKfE_EESV_SZ_S10_mS11_S14_bEUlT_E_NS1_11comp_targetILNS1_3genE2ELNS1_11target_archE906ELNS1_3gpuE6ELNS1_3repE0EEENS1_30default_config_static_selectorELNS0_4arch9wavefront6targetE0EEEvSY_,comdat
	.protected	_ZN7rocprim17ROCPRIM_400000_NS6detail17trampoline_kernelINS0_14default_configENS1_27upper_bound_config_selectorIflEEZNS1_14transform_implILb0ES3_S5_N6thrust23THRUST_200600_302600_NS6detail15normal_iteratorINS8_7pointerIfNS8_11hip_rocprim9par_det_tENS8_11use_defaultESE_EEEENSA_INSB_IlSD_SE_SE_EEEEZNS1_13binary_searchIS3_S5_NSA_INS8_10device_ptrIfEEEESG_SI_NS1_21upper_bound_search_opENS9_16wrapped_functionINS8_6system6detail7generic6detail18binary_search_lessEbEEEE10hipError_tPvRmT1_T2_T3_mmT4_T5_P12ihipStream_tbEUlRKfE_EESV_SZ_S10_mS11_S14_bEUlT_E_NS1_11comp_targetILNS1_3genE2ELNS1_11target_archE906ELNS1_3gpuE6ELNS1_3repE0EEENS1_30default_config_static_selectorELNS0_4arch9wavefront6targetE0EEEvSY_ ; -- Begin function _ZN7rocprim17ROCPRIM_400000_NS6detail17trampoline_kernelINS0_14default_configENS1_27upper_bound_config_selectorIflEEZNS1_14transform_implILb0ES3_S5_N6thrust23THRUST_200600_302600_NS6detail15normal_iteratorINS8_7pointerIfNS8_11hip_rocprim9par_det_tENS8_11use_defaultESE_EEEENSA_INSB_IlSD_SE_SE_EEEEZNS1_13binary_searchIS3_S5_NSA_INS8_10device_ptrIfEEEESG_SI_NS1_21upper_bound_search_opENS9_16wrapped_functionINS8_6system6detail7generic6detail18binary_search_lessEbEEEE10hipError_tPvRmT1_T2_T3_mmT4_T5_P12ihipStream_tbEUlRKfE_EESV_SZ_S10_mS11_S14_bEUlT_E_NS1_11comp_targetILNS1_3genE2ELNS1_11target_archE906ELNS1_3gpuE6ELNS1_3repE0EEENS1_30default_config_static_selectorELNS0_4arch9wavefront6targetE0EEEvSY_
	.globl	_ZN7rocprim17ROCPRIM_400000_NS6detail17trampoline_kernelINS0_14default_configENS1_27upper_bound_config_selectorIflEEZNS1_14transform_implILb0ES3_S5_N6thrust23THRUST_200600_302600_NS6detail15normal_iteratorINS8_7pointerIfNS8_11hip_rocprim9par_det_tENS8_11use_defaultESE_EEEENSA_INSB_IlSD_SE_SE_EEEEZNS1_13binary_searchIS3_S5_NSA_INS8_10device_ptrIfEEEESG_SI_NS1_21upper_bound_search_opENS9_16wrapped_functionINS8_6system6detail7generic6detail18binary_search_lessEbEEEE10hipError_tPvRmT1_T2_T3_mmT4_T5_P12ihipStream_tbEUlRKfE_EESV_SZ_S10_mS11_S14_bEUlT_E_NS1_11comp_targetILNS1_3genE2ELNS1_11target_archE906ELNS1_3gpuE6ELNS1_3repE0EEENS1_30default_config_static_selectorELNS0_4arch9wavefront6targetE0EEEvSY_
	.p2align	8
	.type	_ZN7rocprim17ROCPRIM_400000_NS6detail17trampoline_kernelINS0_14default_configENS1_27upper_bound_config_selectorIflEEZNS1_14transform_implILb0ES3_S5_N6thrust23THRUST_200600_302600_NS6detail15normal_iteratorINS8_7pointerIfNS8_11hip_rocprim9par_det_tENS8_11use_defaultESE_EEEENSA_INSB_IlSD_SE_SE_EEEEZNS1_13binary_searchIS3_S5_NSA_INS8_10device_ptrIfEEEESG_SI_NS1_21upper_bound_search_opENS9_16wrapped_functionINS8_6system6detail7generic6detail18binary_search_lessEbEEEE10hipError_tPvRmT1_T2_T3_mmT4_T5_P12ihipStream_tbEUlRKfE_EESV_SZ_S10_mS11_S14_bEUlT_E_NS1_11comp_targetILNS1_3genE2ELNS1_11target_archE906ELNS1_3gpuE6ELNS1_3repE0EEENS1_30default_config_static_selectorELNS0_4arch9wavefront6targetE0EEEvSY_,@function
_ZN7rocprim17ROCPRIM_400000_NS6detail17trampoline_kernelINS0_14default_configENS1_27upper_bound_config_selectorIflEEZNS1_14transform_implILb0ES3_S5_N6thrust23THRUST_200600_302600_NS6detail15normal_iteratorINS8_7pointerIfNS8_11hip_rocprim9par_det_tENS8_11use_defaultESE_EEEENSA_INSB_IlSD_SE_SE_EEEEZNS1_13binary_searchIS3_S5_NSA_INS8_10device_ptrIfEEEESG_SI_NS1_21upper_bound_search_opENS9_16wrapped_functionINS8_6system6detail7generic6detail18binary_search_lessEbEEEE10hipError_tPvRmT1_T2_T3_mmT4_T5_P12ihipStream_tbEUlRKfE_EESV_SZ_S10_mS11_S14_bEUlT_E_NS1_11comp_targetILNS1_3genE2ELNS1_11target_archE906ELNS1_3gpuE6ELNS1_3repE0EEENS1_30default_config_static_selectorELNS0_4arch9wavefront6targetE0EEEvSY_: ; @_ZN7rocprim17ROCPRIM_400000_NS6detail17trampoline_kernelINS0_14default_configENS1_27upper_bound_config_selectorIflEEZNS1_14transform_implILb0ES3_S5_N6thrust23THRUST_200600_302600_NS6detail15normal_iteratorINS8_7pointerIfNS8_11hip_rocprim9par_det_tENS8_11use_defaultESE_EEEENSA_INSB_IlSD_SE_SE_EEEEZNS1_13binary_searchIS3_S5_NSA_INS8_10device_ptrIfEEEESG_SI_NS1_21upper_bound_search_opENS9_16wrapped_functionINS8_6system6detail7generic6detail18binary_search_lessEbEEEE10hipError_tPvRmT1_T2_T3_mmT4_T5_P12ihipStream_tbEUlRKfE_EESV_SZ_S10_mS11_S14_bEUlT_E_NS1_11comp_targetILNS1_3genE2ELNS1_11target_archE906ELNS1_3gpuE6ELNS1_3repE0EEENS1_30default_config_static_selectorELNS0_4arch9wavefront6targetE0EEEvSY_
; %bb.0:
	.section	.rodata,"a",@progbits
	.p2align	6, 0x0
	.amdhsa_kernel _ZN7rocprim17ROCPRIM_400000_NS6detail17trampoline_kernelINS0_14default_configENS1_27upper_bound_config_selectorIflEEZNS1_14transform_implILb0ES3_S5_N6thrust23THRUST_200600_302600_NS6detail15normal_iteratorINS8_7pointerIfNS8_11hip_rocprim9par_det_tENS8_11use_defaultESE_EEEENSA_INSB_IlSD_SE_SE_EEEEZNS1_13binary_searchIS3_S5_NSA_INS8_10device_ptrIfEEEESG_SI_NS1_21upper_bound_search_opENS9_16wrapped_functionINS8_6system6detail7generic6detail18binary_search_lessEbEEEE10hipError_tPvRmT1_T2_T3_mmT4_T5_P12ihipStream_tbEUlRKfE_EESV_SZ_S10_mS11_S14_bEUlT_E_NS1_11comp_targetILNS1_3genE2ELNS1_11target_archE906ELNS1_3gpuE6ELNS1_3repE0EEENS1_30default_config_static_selectorELNS0_4arch9wavefront6targetE0EEEvSY_
		.amdhsa_group_segment_fixed_size 0
		.amdhsa_private_segment_fixed_size 0
		.amdhsa_kernarg_size 56
		.amdhsa_user_sgpr_count 6
		.amdhsa_user_sgpr_private_segment_buffer 1
		.amdhsa_user_sgpr_dispatch_ptr 0
		.amdhsa_user_sgpr_queue_ptr 0
		.amdhsa_user_sgpr_kernarg_segment_ptr 1
		.amdhsa_user_sgpr_dispatch_id 0
		.amdhsa_user_sgpr_flat_scratch_init 0
		.amdhsa_user_sgpr_private_segment_size 0
		.amdhsa_wavefront_size32 1
		.amdhsa_uses_dynamic_stack 0
		.amdhsa_system_sgpr_private_segment_wavefront_offset 0
		.amdhsa_system_sgpr_workgroup_id_x 1
		.amdhsa_system_sgpr_workgroup_id_y 0
		.amdhsa_system_sgpr_workgroup_id_z 0
		.amdhsa_system_sgpr_workgroup_info 0
		.amdhsa_system_vgpr_workitem_id 0
		.amdhsa_next_free_vgpr 1
		.amdhsa_next_free_sgpr 1
		.amdhsa_reserve_vcc 0
		.amdhsa_reserve_flat_scratch 0
		.amdhsa_float_round_mode_32 0
		.amdhsa_float_round_mode_16_64 0
		.amdhsa_float_denorm_mode_32 3
		.amdhsa_float_denorm_mode_16_64 3
		.amdhsa_dx10_clamp 1
		.amdhsa_ieee_mode 1
		.amdhsa_fp16_overflow 0
		.amdhsa_workgroup_processor_mode 1
		.amdhsa_memory_ordered 1
		.amdhsa_forward_progress 1
		.amdhsa_shared_vgpr_count 0
		.amdhsa_exception_fp_ieee_invalid_op 0
		.amdhsa_exception_fp_denorm_src 0
		.amdhsa_exception_fp_ieee_div_zero 0
		.amdhsa_exception_fp_ieee_overflow 0
		.amdhsa_exception_fp_ieee_underflow 0
		.amdhsa_exception_fp_ieee_inexact 0
		.amdhsa_exception_int_div_zero 0
	.end_amdhsa_kernel
	.section	.text._ZN7rocprim17ROCPRIM_400000_NS6detail17trampoline_kernelINS0_14default_configENS1_27upper_bound_config_selectorIflEEZNS1_14transform_implILb0ES3_S5_N6thrust23THRUST_200600_302600_NS6detail15normal_iteratorINS8_7pointerIfNS8_11hip_rocprim9par_det_tENS8_11use_defaultESE_EEEENSA_INSB_IlSD_SE_SE_EEEEZNS1_13binary_searchIS3_S5_NSA_INS8_10device_ptrIfEEEESG_SI_NS1_21upper_bound_search_opENS9_16wrapped_functionINS8_6system6detail7generic6detail18binary_search_lessEbEEEE10hipError_tPvRmT1_T2_T3_mmT4_T5_P12ihipStream_tbEUlRKfE_EESV_SZ_S10_mS11_S14_bEUlT_E_NS1_11comp_targetILNS1_3genE2ELNS1_11target_archE906ELNS1_3gpuE6ELNS1_3repE0EEENS1_30default_config_static_selectorELNS0_4arch9wavefront6targetE0EEEvSY_,"axG",@progbits,_ZN7rocprim17ROCPRIM_400000_NS6detail17trampoline_kernelINS0_14default_configENS1_27upper_bound_config_selectorIflEEZNS1_14transform_implILb0ES3_S5_N6thrust23THRUST_200600_302600_NS6detail15normal_iteratorINS8_7pointerIfNS8_11hip_rocprim9par_det_tENS8_11use_defaultESE_EEEENSA_INSB_IlSD_SE_SE_EEEEZNS1_13binary_searchIS3_S5_NSA_INS8_10device_ptrIfEEEESG_SI_NS1_21upper_bound_search_opENS9_16wrapped_functionINS8_6system6detail7generic6detail18binary_search_lessEbEEEE10hipError_tPvRmT1_T2_T3_mmT4_T5_P12ihipStream_tbEUlRKfE_EESV_SZ_S10_mS11_S14_bEUlT_E_NS1_11comp_targetILNS1_3genE2ELNS1_11target_archE906ELNS1_3gpuE6ELNS1_3repE0EEENS1_30default_config_static_selectorELNS0_4arch9wavefront6targetE0EEEvSY_,comdat
.Lfunc_end522:
	.size	_ZN7rocprim17ROCPRIM_400000_NS6detail17trampoline_kernelINS0_14default_configENS1_27upper_bound_config_selectorIflEEZNS1_14transform_implILb0ES3_S5_N6thrust23THRUST_200600_302600_NS6detail15normal_iteratorINS8_7pointerIfNS8_11hip_rocprim9par_det_tENS8_11use_defaultESE_EEEENSA_INSB_IlSD_SE_SE_EEEEZNS1_13binary_searchIS3_S5_NSA_INS8_10device_ptrIfEEEESG_SI_NS1_21upper_bound_search_opENS9_16wrapped_functionINS8_6system6detail7generic6detail18binary_search_lessEbEEEE10hipError_tPvRmT1_T2_T3_mmT4_T5_P12ihipStream_tbEUlRKfE_EESV_SZ_S10_mS11_S14_bEUlT_E_NS1_11comp_targetILNS1_3genE2ELNS1_11target_archE906ELNS1_3gpuE6ELNS1_3repE0EEENS1_30default_config_static_selectorELNS0_4arch9wavefront6targetE0EEEvSY_, .Lfunc_end522-_ZN7rocprim17ROCPRIM_400000_NS6detail17trampoline_kernelINS0_14default_configENS1_27upper_bound_config_selectorIflEEZNS1_14transform_implILb0ES3_S5_N6thrust23THRUST_200600_302600_NS6detail15normal_iteratorINS8_7pointerIfNS8_11hip_rocprim9par_det_tENS8_11use_defaultESE_EEEENSA_INSB_IlSD_SE_SE_EEEEZNS1_13binary_searchIS3_S5_NSA_INS8_10device_ptrIfEEEESG_SI_NS1_21upper_bound_search_opENS9_16wrapped_functionINS8_6system6detail7generic6detail18binary_search_lessEbEEEE10hipError_tPvRmT1_T2_T3_mmT4_T5_P12ihipStream_tbEUlRKfE_EESV_SZ_S10_mS11_S14_bEUlT_E_NS1_11comp_targetILNS1_3genE2ELNS1_11target_archE906ELNS1_3gpuE6ELNS1_3repE0EEENS1_30default_config_static_selectorELNS0_4arch9wavefront6targetE0EEEvSY_
                                        ; -- End function
	.set _ZN7rocprim17ROCPRIM_400000_NS6detail17trampoline_kernelINS0_14default_configENS1_27upper_bound_config_selectorIflEEZNS1_14transform_implILb0ES3_S5_N6thrust23THRUST_200600_302600_NS6detail15normal_iteratorINS8_7pointerIfNS8_11hip_rocprim9par_det_tENS8_11use_defaultESE_EEEENSA_INSB_IlSD_SE_SE_EEEEZNS1_13binary_searchIS3_S5_NSA_INS8_10device_ptrIfEEEESG_SI_NS1_21upper_bound_search_opENS9_16wrapped_functionINS8_6system6detail7generic6detail18binary_search_lessEbEEEE10hipError_tPvRmT1_T2_T3_mmT4_T5_P12ihipStream_tbEUlRKfE_EESV_SZ_S10_mS11_S14_bEUlT_E_NS1_11comp_targetILNS1_3genE2ELNS1_11target_archE906ELNS1_3gpuE6ELNS1_3repE0EEENS1_30default_config_static_selectorELNS0_4arch9wavefront6targetE0EEEvSY_.num_vgpr, 0
	.set _ZN7rocprim17ROCPRIM_400000_NS6detail17trampoline_kernelINS0_14default_configENS1_27upper_bound_config_selectorIflEEZNS1_14transform_implILb0ES3_S5_N6thrust23THRUST_200600_302600_NS6detail15normal_iteratorINS8_7pointerIfNS8_11hip_rocprim9par_det_tENS8_11use_defaultESE_EEEENSA_INSB_IlSD_SE_SE_EEEEZNS1_13binary_searchIS3_S5_NSA_INS8_10device_ptrIfEEEESG_SI_NS1_21upper_bound_search_opENS9_16wrapped_functionINS8_6system6detail7generic6detail18binary_search_lessEbEEEE10hipError_tPvRmT1_T2_T3_mmT4_T5_P12ihipStream_tbEUlRKfE_EESV_SZ_S10_mS11_S14_bEUlT_E_NS1_11comp_targetILNS1_3genE2ELNS1_11target_archE906ELNS1_3gpuE6ELNS1_3repE0EEENS1_30default_config_static_selectorELNS0_4arch9wavefront6targetE0EEEvSY_.num_agpr, 0
	.set _ZN7rocprim17ROCPRIM_400000_NS6detail17trampoline_kernelINS0_14default_configENS1_27upper_bound_config_selectorIflEEZNS1_14transform_implILb0ES3_S5_N6thrust23THRUST_200600_302600_NS6detail15normal_iteratorINS8_7pointerIfNS8_11hip_rocprim9par_det_tENS8_11use_defaultESE_EEEENSA_INSB_IlSD_SE_SE_EEEEZNS1_13binary_searchIS3_S5_NSA_INS8_10device_ptrIfEEEESG_SI_NS1_21upper_bound_search_opENS9_16wrapped_functionINS8_6system6detail7generic6detail18binary_search_lessEbEEEE10hipError_tPvRmT1_T2_T3_mmT4_T5_P12ihipStream_tbEUlRKfE_EESV_SZ_S10_mS11_S14_bEUlT_E_NS1_11comp_targetILNS1_3genE2ELNS1_11target_archE906ELNS1_3gpuE6ELNS1_3repE0EEENS1_30default_config_static_selectorELNS0_4arch9wavefront6targetE0EEEvSY_.numbered_sgpr, 0
	.set _ZN7rocprim17ROCPRIM_400000_NS6detail17trampoline_kernelINS0_14default_configENS1_27upper_bound_config_selectorIflEEZNS1_14transform_implILb0ES3_S5_N6thrust23THRUST_200600_302600_NS6detail15normal_iteratorINS8_7pointerIfNS8_11hip_rocprim9par_det_tENS8_11use_defaultESE_EEEENSA_INSB_IlSD_SE_SE_EEEEZNS1_13binary_searchIS3_S5_NSA_INS8_10device_ptrIfEEEESG_SI_NS1_21upper_bound_search_opENS9_16wrapped_functionINS8_6system6detail7generic6detail18binary_search_lessEbEEEE10hipError_tPvRmT1_T2_T3_mmT4_T5_P12ihipStream_tbEUlRKfE_EESV_SZ_S10_mS11_S14_bEUlT_E_NS1_11comp_targetILNS1_3genE2ELNS1_11target_archE906ELNS1_3gpuE6ELNS1_3repE0EEENS1_30default_config_static_selectorELNS0_4arch9wavefront6targetE0EEEvSY_.num_named_barrier, 0
	.set _ZN7rocprim17ROCPRIM_400000_NS6detail17trampoline_kernelINS0_14default_configENS1_27upper_bound_config_selectorIflEEZNS1_14transform_implILb0ES3_S5_N6thrust23THRUST_200600_302600_NS6detail15normal_iteratorINS8_7pointerIfNS8_11hip_rocprim9par_det_tENS8_11use_defaultESE_EEEENSA_INSB_IlSD_SE_SE_EEEEZNS1_13binary_searchIS3_S5_NSA_INS8_10device_ptrIfEEEESG_SI_NS1_21upper_bound_search_opENS9_16wrapped_functionINS8_6system6detail7generic6detail18binary_search_lessEbEEEE10hipError_tPvRmT1_T2_T3_mmT4_T5_P12ihipStream_tbEUlRKfE_EESV_SZ_S10_mS11_S14_bEUlT_E_NS1_11comp_targetILNS1_3genE2ELNS1_11target_archE906ELNS1_3gpuE6ELNS1_3repE0EEENS1_30default_config_static_selectorELNS0_4arch9wavefront6targetE0EEEvSY_.private_seg_size, 0
	.set _ZN7rocprim17ROCPRIM_400000_NS6detail17trampoline_kernelINS0_14default_configENS1_27upper_bound_config_selectorIflEEZNS1_14transform_implILb0ES3_S5_N6thrust23THRUST_200600_302600_NS6detail15normal_iteratorINS8_7pointerIfNS8_11hip_rocprim9par_det_tENS8_11use_defaultESE_EEEENSA_INSB_IlSD_SE_SE_EEEEZNS1_13binary_searchIS3_S5_NSA_INS8_10device_ptrIfEEEESG_SI_NS1_21upper_bound_search_opENS9_16wrapped_functionINS8_6system6detail7generic6detail18binary_search_lessEbEEEE10hipError_tPvRmT1_T2_T3_mmT4_T5_P12ihipStream_tbEUlRKfE_EESV_SZ_S10_mS11_S14_bEUlT_E_NS1_11comp_targetILNS1_3genE2ELNS1_11target_archE906ELNS1_3gpuE6ELNS1_3repE0EEENS1_30default_config_static_selectorELNS0_4arch9wavefront6targetE0EEEvSY_.uses_vcc, 0
	.set _ZN7rocprim17ROCPRIM_400000_NS6detail17trampoline_kernelINS0_14default_configENS1_27upper_bound_config_selectorIflEEZNS1_14transform_implILb0ES3_S5_N6thrust23THRUST_200600_302600_NS6detail15normal_iteratorINS8_7pointerIfNS8_11hip_rocprim9par_det_tENS8_11use_defaultESE_EEEENSA_INSB_IlSD_SE_SE_EEEEZNS1_13binary_searchIS3_S5_NSA_INS8_10device_ptrIfEEEESG_SI_NS1_21upper_bound_search_opENS9_16wrapped_functionINS8_6system6detail7generic6detail18binary_search_lessEbEEEE10hipError_tPvRmT1_T2_T3_mmT4_T5_P12ihipStream_tbEUlRKfE_EESV_SZ_S10_mS11_S14_bEUlT_E_NS1_11comp_targetILNS1_3genE2ELNS1_11target_archE906ELNS1_3gpuE6ELNS1_3repE0EEENS1_30default_config_static_selectorELNS0_4arch9wavefront6targetE0EEEvSY_.uses_flat_scratch, 0
	.set _ZN7rocprim17ROCPRIM_400000_NS6detail17trampoline_kernelINS0_14default_configENS1_27upper_bound_config_selectorIflEEZNS1_14transform_implILb0ES3_S5_N6thrust23THRUST_200600_302600_NS6detail15normal_iteratorINS8_7pointerIfNS8_11hip_rocprim9par_det_tENS8_11use_defaultESE_EEEENSA_INSB_IlSD_SE_SE_EEEEZNS1_13binary_searchIS3_S5_NSA_INS8_10device_ptrIfEEEESG_SI_NS1_21upper_bound_search_opENS9_16wrapped_functionINS8_6system6detail7generic6detail18binary_search_lessEbEEEE10hipError_tPvRmT1_T2_T3_mmT4_T5_P12ihipStream_tbEUlRKfE_EESV_SZ_S10_mS11_S14_bEUlT_E_NS1_11comp_targetILNS1_3genE2ELNS1_11target_archE906ELNS1_3gpuE6ELNS1_3repE0EEENS1_30default_config_static_selectorELNS0_4arch9wavefront6targetE0EEEvSY_.has_dyn_sized_stack, 0
	.set _ZN7rocprim17ROCPRIM_400000_NS6detail17trampoline_kernelINS0_14default_configENS1_27upper_bound_config_selectorIflEEZNS1_14transform_implILb0ES3_S5_N6thrust23THRUST_200600_302600_NS6detail15normal_iteratorINS8_7pointerIfNS8_11hip_rocprim9par_det_tENS8_11use_defaultESE_EEEENSA_INSB_IlSD_SE_SE_EEEEZNS1_13binary_searchIS3_S5_NSA_INS8_10device_ptrIfEEEESG_SI_NS1_21upper_bound_search_opENS9_16wrapped_functionINS8_6system6detail7generic6detail18binary_search_lessEbEEEE10hipError_tPvRmT1_T2_T3_mmT4_T5_P12ihipStream_tbEUlRKfE_EESV_SZ_S10_mS11_S14_bEUlT_E_NS1_11comp_targetILNS1_3genE2ELNS1_11target_archE906ELNS1_3gpuE6ELNS1_3repE0EEENS1_30default_config_static_selectorELNS0_4arch9wavefront6targetE0EEEvSY_.has_recursion, 0
	.set _ZN7rocprim17ROCPRIM_400000_NS6detail17trampoline_kernelINS0_14default_configENS1_27upper_bound_config_selectorIflEEZNS1_14transform_implILb0ES3_S5_N6thrust23THRUST_200600_302600_NS6detail15normal_iteratorINS8_7pointerIfNS8_11hip_rocprim9par_det_tENS8_11use_defaultESE_EEEENSA_INSB_IlSD_SE_SE_EEEEZNS1_13binary_searchIS3_S5_NSA_INS8_10device_ptrIfEEEESG_SI_NS1_21upper_bound_search_opENS9_16wrapped_functionINS8_6system6detail7generic6detail18binary_search_lessEbEEEE10hipError_tPvRmT1_T2_T3_mmT4_T5_P12ihipStream_tbEUlRKfE_EESV_SZ_S10_mS11_S14_bEUlT_E_NS1_11comp_targetILNS1_3genE2ELNS1_11target_archE906ELNS1_3gpuE6ELNS1_3repE0EEENS1_30default_config_static_selectorELNS0_4arch9wavefront6targetE0EEEvSY_.has_indirect_call, 0
	.section	.AMDGPU.csdata,"",@progbits
; Kernel info:
; codeLenInByte = 0
; TotalNumSgprs: 0
; NumVgprs: 0
; ScratchSize: 0
; MemoryBound: 0
; FloatMode: 240
; IeeeMode: 1
; LDSByteSize: 0 bytes/workgroup (compile time only)
; SGPRBlocks: 0
; VGPRBlocks: 0
; NumSGPRsForWavesPerEU: 1
; NumVGPRsForWavesPerEU: 1
; Occupancy: 16
; WaveLimiterHint : 0
; COMPUTE_PGM_RSRC2:SCRATCH_EN: 0
; COMPUTE_PGM_RSRC2:USER_SGPR: 6
; COMPUTE_PGM_RSRC2:TRAP_HANDLER: 0
; COMPUTE_PGM_RSRC2:TGID_X_EN: 1
; COMPUTE_PGM_RSRC2:TGID_Y_EN: 0
; COMPUTE_PGM_RSRC2:TGID_Z_EN: 0
; COMPUTE_PGM_RSRC2:TIDIG_COMP_CNT: 0
	.section	.text._ZN7rocprim17ROCPRIM_400000_NS6detail17trampoline_kernelINS0_14default_configENS1_27upper_bound_config_selectorIflEEZNS1_14transform_implILb0ES3_S5_N6thrust23THRUST_200600_302600_NS6detail15normal_iteratorINS8_7pointerIfNS8_11hip_rocprim9par_det_tENS8_11use_defaultESE_EEEENSA_INSB_IlSD_SE_SE_EEEEZNS1_13binary_searchIS3_S5_NSA_INS8_10device_ptrIfEEEESG_SI_NS1_21upper_bound_search_opENS9_16wrapped_functionINS8_6system6detail7generic6detail18binary_search_lessEbEEEE10hipError_tPvRmT1_T2_T3_mmT4_T5_P12ihipStream_tbEUlRKfE_EESV_SZ_S10_mS11_S14_bEUlT_E_NS1_11comp_targetILNS1_3genE10ELNS1_11target_archE1201ELNS1_3gpuE5ELNS1_3repE0EEENS1_30default_config_static_selectorELNS0_4arch9wavefront6targetE0EEEvSY_,"axG",@progbits,_ZN7rocprim17ROCPRIM_400000_NS6detail17trampoline_kernelINS0_14default_configENS1_27upper_bound_config_selectorIflEEZNS1_14transform_implILb0ES3_S5_N6thrust23THRUST_200600_302600_NS6detail15normal_iteratorINS8_7pointerIfNS8_11hip_rocprim9par_det_tENS8_11use_defaultESE_EEEENSA_INSB_IlSD_SE_SE_EEEEZNS1_13binary_searchIS3_S5_NSA_INS8_10device_ptrIfEEEESG_SI_NS1_21upper_bound_search_opENS9_16wrapped_functionINS8_6system6detail7generic6detail18binary_search_lessEbEEEE10hipError_tPvRmT1_T2_T3_mmT4_T5_P12ihipStream_tbEUlRKfE_EESV_SZ_S10_mS11_S14_bEUlT_E_NS1_11comp_targetILNS1_3genE10ELNS1_11target_archE1201ELNS1_3gpuE5ELNS1_3repE0EEENS1_30default_config_static_selectorELNS0_4arch9wavefront6targetE0EEEvSY_,comdat
	.protected	_ZN7rocprim17ROCPRIM_400000_NS6detail17trampoline_kernelINS0_14default_configENS1_27upper_bound_config_selectorIflEEZNS1_14transform_implILb0ES3_S5_N6thrust23THRUST_200600_302600_NS6detail15normal_iteratorINS8_7pointerIfNS8_11hip_rocprim9par_det_tENS8_11use_defaultESE_EEEENSA_INSB_IlSD_SE_SE_EEEEZNS1_13binary_searchIS3_S5_NSA_INS8_10device_ptrIfEEEESG_SI_NS1_21upper_bound_search_opENS9_16wrapped_functionINS8_6system6detail7generic6detail18binary_search_lessEbEEEE10hipError_tPvRmT1_T2_T3_mmT4_T5_P12ihipStream_tbEUlRKfE_EESV_SZ_S10_mS11_S14_bEUlT_E_NS1_11comp_targetILNS1_3genE10ELNS1_11target_archE1201ELNS1_3gpuE5ELNS1_3repE0EEENS1_30default_config_static_selectorELNS0_4arch9wavefront6targetE0EEEvSY_ ; -- Begin function _ZN7rocprim17ROCPRIM_400000_NS6detail17trampoline_kernelINS0_14default_configENS1_27upper_bound_config_selectorIflEEZNS1_14transform_implILb0ES3_S5_N6thrust23THRUST_200600_302600_NS6detail15normal_iteratorINS8_7pointerIfNS8_11hip_rocprim9par_det_tENS8_11use_defaultESE_EEEENSA_INSB_IlSD_SE_SE_EEEEZNS1_13binary_searchIS3_S5_NSA_INS8_10device_ptrIfEEEESG_SI_NS1_21upper_bound_search_opENS9_16wrapped_functionINS8_6system6detail7generic6detail18binary_search_lessEbEEEE10hipError_tPvRmT1_T2_T3_mmT4_T5_P12ihipStream_tbEUlRKfE_EESV_SZ_S10_mS11_S14_bEUlT_E_NS1_11comp_targetILNS1_3genE10ELNS1_11target_archE1201ELNS1_3gpuE5ELNS1_3repE0EEENS1_30default_config_static_selectorELNS0_4arch9wavefront6targetE0EEEvSY_
	.globl	_ZN7rocprim17ROCPRIM_400000_NS6detail17trampoline_kernelINS0_14default_configENS1_27upper_bound_config_selectorIflEEZNS1_14transform_implILb0ES3_S5_N6thrust23THRUST_200600_302600_NS6detail15normal_iteratorINS8_7pointerIfNS8_11hip_rocprim9par_det_tENS8_11use_defaultESE_EEEENSA_INSB_IlSD_SE_SE_EEEEZNS1_13binary_searchIS3_S5_NSA_INS8_10device_ptrIfEEEESG_SI_NS1_21upper_bound_search_opENS9_16wrapped_functionINS8_6system6detail7generic6detail18binary_search_lessEbEEEE10hipError_tPvRmT1_T2_T3_mmT4_T5_P12ihipStream_tbEUlRKfE_EESV_SZ_S10_mS11_S14_bEUlT_E_NS1_11comp_targetILNS1_3genE10ELNS1_11target_archE1201ELNS1_3gpuE5ELNS1_3repE0EEENS1_30default_config_static_selectorELNS0_4arch9wavefront6targetE0EEEvSY_
	.p2align	8
	.type	_ZN7rocprim17ROCPRIM_400000_NS6detail17trampoline_kernelINS0_14default_configENS1_27upper_bound_config_selectorIflEEZNS1_14transform_implILb0ES3_S5_N6thrust23THRUST_200600_302600_NS6detail15normal_iteratorINS8_7pointerIfNS8_11hip_rocprim9par_det_tENS8_11use_defaultESE_EEEENSA_INSB_IlSD_SE_SE_EEEEZNS1_13binary_searchIS3_S5_NSA_INS8_10device_ptrIfEEEESG_SI_NS1_21upper_bound_search_opENS9_16wrapped_functionINS8_6system6detail7generic6detail18binary_search_lessEbEEEE10hipError_tPvRmT1_T2_T3_mmT4_T5_P12ihipStream_tbEUlRKfE_EESV_SZ_S10_mS11_S14_bEUlT_E_NS1_11comp_targetILNS1_3genE10ELNS1_11target_archE1201ELNS1_3gpuE5ELNS1_3repE0EEENS1_30default_config_static_selectorELNS0_4arch9wavefront6targetE0EEEvSY_,@function
_ZN7rocprim17ROCPRIM_400000_NS6detail17trampoline_kernelINS0_14default_configENS1_27upper_bound_config_selectorIflEEZNS1_14transform_implILb0ES3_S5_N6thrust23THRUST_200600_302600_NS6detail15normal_iteratorINS8_7pointerIfNS8_11hip_rocprim9par_det_tENS8_11use_defaultESE_EEEENSA_INSB_IlSD_SE_SE_EEEEZNS1_13binary_searchIS3_S5_NSA_INS8_10device_ptrIfEEEESG_SI_NS1_21upper_bound_search_opENS9_16wrapped_functionINS8_6system6detail7generic6detail18binary_search_lessEbEEEE10hipError_tPvRmT1_T2_T3_mmT4_T5_P12ihipStream_tbEUlRKfE_EESV_SZ_S10_mS11_S14_bEUlT_E_NS1_11comp_targetILNS1_3genE10ELNS1_11target_archE1201ELNS1_3gpuE5ELNS1_3repE0EEENS1_30default_config_static_selectorELNS0_4arch9wavefront6targetE0EEEvSY_: ; @_ZN7rocprim17ROCPRIM_400000_NS6detail17trampoline_kernelINS0_14default_configENS1_27upper_bound_config_selectorIflEEZNS1_14transform_implILb0ES3_S5_N6thrust23THRUST_200600_302600_NS6detail15normal_iteratorINS8_7pointerIfNS8_11hip_rocprim9par_det_tENS8_11use_defaultESE_EEEENSA_INSB_IlSD_SE_SE_EEEEZNS1_13binary_searchIS3_S5_NSA_INS8_10device_ptrIfEEEESG_SI_NS1_21upper_bound_search_opENS9_16wrapped_functionINS8_6system6detail7generic6detail18binary_search_lessEbEEEE10hipError_tPvRmT1_T2_T3_mmT4_T5_P12ihipStream_tbEUlRKfE_EESV_SZ_S10_mS11_S14_bEUlT_E_NS1_11comp_targetILNS1_3genE10ELNS1_11target_archE1201ELNS1_3gpuE5ELNS1_3repE0EEENS1_30default_config_static_selectorELNS0_4arch9wavefront6targetE0EEEvSY_
; %bb.0:
	.section	.rodata,"a",@progbits
	.p2align	6, 0x0
	.amdhsa_kernel _ZN7rocprim17ROCPRIM_400000_NS6detail17trampoline_kernelINS0_14default_configENS1_27upper_bound_config_selectorIflEEZNS1_14transform_implILb0ES3_S5_N6thrust23THRUST_200600_302600_NS6detail15normal_iteratorINS8_7pointerIfNS8_11hip_rocprim9par_det_tENS8_11use_defaultESE_EEEENSA_INSB_IlSD_SE_SE_EEEEZNS1_13binary_searchIS3_S5_NSA_INS8_10device_ptrIfEEEESG_SI_NS1_21upper_bound_search_opENS9_16wrapped_functionINS8_6system6detail7generic6detail18binary_search_lessEbEEEE10hipError_tPvRmT1_T2_T3_mmT4_T5_P12ihipStream_tbEUlRKfE_EESV_SZ_S10_mS11_S14_bEUlT_E_NS1_11comp_targetILNS1_3genE10ELNS1_11target_archE1201ELNS1_3gpuE5ELNS1_3repE0EEENS1_30default_config_static_selectorELNS0_4arch9wavefront6targetE0EEEvSY_
		.amdhsa_group_segment_fixed_size 0
		.amdhsa_private_segment_fixed_size 0
		.amdhsa_kernarg_size 56
		.amdhsa_user_sgpr_count 6
		.amdhsa_user_sgpr_private_segment_buffer 1
		.amdhsa_user_sgpr_dispatch_ptr 0
		.amdhsa_user_sgpr_queue_ptr 0
		.amdhsa_user_sgpr_kernarg_segment_ptr 1
		.amdhsa_user_sgpr_dispatch_id 0
		.amdhsa_user_sgpr_flat_scratch_init 0
		.amdhsa_user_sgpr_private_segment_size 0
		.amdhsa_wavefront_size32 1
		.amdhsa_uses_dynamic_stack 0
		.amdhsa_system_sgpr_private_segment_wavefront_offset 0
		.amdhsa_system_sgpr_workgroup_id_x 1
		.amdhsa_system_sgpr_workgroup_id_y 0
		.amdhsa_system_sgpr_workgroup_id_z 0
		.amdhsa_system_sgpr_workgroup_info 0
		.amdhsa_system_vgpr_workitem_id 0
		.amdhsa_next_free_vgpr 1
		.amdhsa_next_free_sgpr 1
		.amdhsa_reserve_vcc 0
		.amdhsa_reserve_flat_scratch 0
		.amdhsa_float_round_mode_32 0
		.amdhsa_float_round_mode_16_64 0
		.amdhsa_float_denorm_mode_32 3
		.amdhsa_float_denorm_mode_16_64 3
		.amdhsa_dx10_clamp 1
		.amdhsa_ieee_mode 1
		.amdhsa_fp16_overflow 0
		.amdhsa_workgroup_processor_mode 1
		.amdhsa_memory_ordered 1
		.amdhsa_forward_progress 1
		.amdhsa_shared_vgpr_count 0
		.amdhsa_exception_fp_ieee_invalid_op 0
		.amdhsa_exception_fp_denorm_src 0
		.amdhsa_exception_fp_ieee_div_zero 0
		.amdhsa_exception_fp_ieee_overflow 0
		.amdhsa_exception_fp_ieee_underflow 0
		.amdhsa_exception_fp_ieee_inexact 0
		.amdhsa_exception_int_div_zero 0
	.end_amdhsa_kernel
	.section	.text._ZN7rocprim17ROCPRIM_400000_NS6detail17trampoline_kernelINS0_14default_configENS1_27upper_bound_config_selectorIflEEZNS1_14transform_implILb0ES3_S5_N6thrust23THRUST_200600_302600_NS6detail15normal_iteratorINS8_7pointerIfNS8_11hip_rocprim9par_det_tENS8_11use_defaultESE_EEEENSA_INSB_IlSD_SE_SE_EEEEZNS1_13binary_searchIS3_S5_NSA_INS8_10device_ptrIfEEEESG_SI_NS1_21upper_bound_search_opENS9_16wrapped_functionINS8_6system6detail7generic6detail18binary_search_lessEbEEEE10hipError_tPvRmT1_T2_T3_mmT4_T5_P12ihipStream_tbEUlRKfE_EESV_SZ_S10_mS11_S14_bEUlT_E_NS1_11comp_targetILNS1_3genE10ELNS1_11target_archE1201ELNS1_3gpuE5ELNS1_3repE0EEENS1_30default_config_static_selectorELNS0_4arch9wavefront6targetE0EEEvSY_,"axG",@progbits,_ZN7rocprim17ROCPRIM_400000_NS6detail17trampoline_kernelINS0_14default_configENS1_27upper_bound_config_selectorIflEEZNS1_14transform_implILb0ES3_S5_N6thrust23THRUST_200600_302600_NS6detail15normal_iteratorINS8_7pointerIfNS8_11hip_rocprim9par_det_tENS8_11use_defaultESE_EEEENSA_INSB_IlSD_SE_SE_EEEEZNS1_13binary_searchIS3_S5_NSA_INS8_10device_ptrIfEEEESG_SI_NS1_21upper_bound_search_opENS9_16wrapped_functionINS8_6system6detail7generic6detail18binary_search_lessEbEEEE10hipError_tPvRmT1_T2_T3_mmT4_T5_P12ihipStream_tbEUlRKfE_EESV_SZ_S10_mS11_S14_bEUlT_E_NS1_11comp_targetILNS1_3genE10ELNS1_11target_archE1201ELNS1_3gpuE5ELNS1_3repE0EEENS1_30default_config_static_selectorELNS0_4arch9wavefront6targetE0EEEvSY_,comdat
.Lfunc_end523:
	.size	_ZN7rocprim17ROCPRIM_400000_NS6detail17trampoline_kernelINS0_14default_configENS1_27upper_bound_config_selectorIflEEZNS1_14transform_implILb0ES3_S5_N6thrust23THRUST_200600_302600_NS6detail15normal_iteratorINS8_7pointerIfNS8_11hip_rocprim9par_det_tENS8_11use_defaultESE_EEEENSA_INSB_IlSD_SE_SE_EEEEZNS1_13binary_searchIS3_S5_NSA_INS8_10device_ptrIfEEEESG_SI_NS1_21upper_bound_search_opENS9_16wrapped_functionINS8_6system6detail7generic6detail18binary_search_lessEbEEEE10hipError_tPvRmT1_T2_T3_mmT4_T5_P12ihipStream_tbEUlRKfE_EESV_SZ_S10_mS11_S14_bEUlT_E_NS1_11comp_targetILNS1_3genE10ELNS1_11target_archE1201ELNS1_3gpuE5ELNS1_3repE0EEENS1_30default_config_static_selectorELNS0_4arch9wavefront6targetE0EEEvSY_, .Lfunc_end523-_ZN7rocprim17ROCPRIM_400000_NS6detail17trampoline_kernelINS0_14default_configENS1_27upper_bound_config_selectorIflEEZNS1_14transform_implILb0ES3_S5_N6thrust23THRUST_200600_302600_NS6detail15normal_iteratorINS8_7pointerIfNS8_11hip_rocprim9par_det_tENS8_11use_defaultESE_EEEENSA_INSB_IlSD_SE_SE_EEEEZNS1_13binary_searchIS3_S5_NSA_INS8_10device_ptrIfEEEESG_SI_NS1_21upper_bound_search_opENS9_16wrapped_functionINS8_6system6detail7generic6detail18binary_search_lessEbEEEE10hipError_tPvRmT1_T2_T3_mmT4_T5_P12ihipStream_tbEUlRKfE_EESV_SZ_S10_mS11_S14_bEUlT_E_NS1_11comp_targetILNS1_3genE10ELNS1_11target_archE1201ELNS1_3gpuE5ELNS1_3repE0EEENS1_30default_config_static_selectorELNS0_4arch9wavefront6targetE0EEEvSY_
                                        ; -- End function
	.set _ZN7rocprim17ROCPRIM_400000_NS6detail17trampoline_kernelINS0_14default_configENS1_27upper_bound_config_selectorIflEEZNS1_14transform_implILb0ES3_S5_N6thrust23THRUST_200600_302600_NS6detail15normal_iteratorINS8_7pointerIfNS8_11hip_rocprim9par_det_tENS8_11use_defaultESE_EEEENSA_INSB_IlSD_SE_SE_EEEEZNS1_13binary_searchIS3_S5_NSA_INS8_10device_ptrIfEEEESG_SI_NS1_21upper_bound_search_opENS9_16wrapped_functionINS8_6system6detail7generic6detail18binary_search_lessEbEEEE10hipError_tPvRmT1_T2_T3_mmT4_T5_P12ihipStream_tbEUlRKfE_EESV_SZ_S10_mS11_S14_bEUlT_E_NS1_11comp_targetILNS1_3genE10ELNS1_11target_archE1201ELNS1_3gpuE5ELNS1_3repE0EEENS1_30default_config_static_selectorELNS0_4arch9wavefront6targetE0EEEvSY_.num_vgpr, 0
	.set _ZN7rocprim17ROCPRIM_400000_NS6detail17trampoline_kernelINS0_14default_configENS1_27upper_bound_config_selectorIflEEZNS1_14transform_implILb0ES3_S5_N6thrust23THRUST_200600_302600_NS6detail15normal_iteratorINS8_7pointerIfNS8_11hip_rocprim9par_det_tENS8_11use_defaultESE_EEEENSA_INSB_IlSD_SE_SE_EEEEZNS1_13binary_searchIS3_S5_NSA_INS8_10device_ptrIfEEEESG_SI_NS1_21upper_bound_search_opENS9_16wrapped_functionINS8_6system6detail7generic6detail18binary_search_lessEbEEEE10hipError_tPvRmT1_T2_T3_mmT4_T5_P12ihipStream_tbEUlRKfE_EESV_SZ_S10_mS11_S14_bEUlT_E_NS1_11comp_targetILNS1_3genE10ELNS1_11target_archE1201ELNS1_3gpuE5ELNS1_3repE0EEENS1_30default_config_static_selectorELNS0_4arch9wavefront6targetE0EEEvSY_.num_agpr, 0
	.set _ZN7rocprim17ROCPRIM_400000_NS6detail17trampoline_kernelINS0_14default_configENS1_27upper_bound_config_selectorIflEEZNS1_14transform_implILb0ES3_S5_N6thrust23THRUST_200600_302600_NS6detail15normal_iteratorINS8_7pointerIfNS8_11hip_rocprim9par_det_tENS8_11use_defaultESE_EEEENSA_INSB_IlSD_SE_SE_EEEEZNS1_13binary_searchIS3_S5_NSA_INS8_10device_ptrIfEEEESG_SI_NS1_21upper_bound_search_opENS9_16wrapped_functionINS8_6system6detail7generic6detail18binary_search_lessEbEEEE10hipError_tPvRmT1_T2_T3_mmT4_T5_P12ihipStream_tbEUlRKfE_EESV_SZ_S10_mS11_S14_bEUlT_E_NS1_11comp_targetILNS1_3genE10ELNS1_11target_archE1201ELNS1_3gpuE5ELNS1_3repE0EEENS1_30default_config_static_selectorELNS0_4arch9wavefront6targetE0EEEvSY_.numbered_sgpr, 0
	.set _ZN7rocprim17ROCPRIM_400000_NS6detail17trampoline_kernelINS0_14default_configENS1_27upper_bound_config_selectorIflEEZNS1_14transform_implILb0ES3_S5_N6thrust23THRUST_200600_302600_NS6detail15normal_iteratorINS8_7pointerIfNS8_11hip_rocprim9par_det_tENS8_11use_defaultESE_EEEENSA_INSB_IlSD_SE_SE_EEEEZNS1_13binary_searchIS3_S5_NSA_INS8_10device_ptrIfEEEESG_SI_NS1_21upper_bound_search_opENS9_16wrapped_functionINS8_6system6detail7generic6detail18binary_search_lessEbEEEE10hipError_tPvRmT1_T2_T3_mmT4_T5_P12ihipStream_tbEUlRKfE_EESV_SZ_S10_mS11_S14_bEUlT_E_NS1_11comp_targetILNS1_3genE10ELNS1_11target_archE1201ELNS1_3gpuE5ELNS1_3repE0EEENS1_30default_config_static_selectorELNS0_4arch9wavefront6targetE0EEEvSY_.num_named_barrier, 0
	.set _ZN7rocprim17ROCPRIM_400000_NS6detail17trampoline_kernelINS0_14default_configENS1_27upper_bound_config_selectorIflEEZNS1_14transform_implILb0ES3_S5_N6thrust23THRUST_200600_302600_NS6detail15normal_iteratorINS8_7pointerIfNS8_11hip_rocprim9par_det_tENS8_11use_defaultESE_EEEENSA_INSB_IlSD_SE_SE_EEEEZNS1_13binary_searchIS3_S5_NSA_INS8_10device_ptrIfEEEESG_SI_NS1_21upper_bound_search_opENS9_16wrapped_functionINS8_6system6detail7generic6detail18binary_search_lessEbEEEE10hipError_tPvRmT1_T2_T3_mmT4_T5_P12ihipStream_tbEUlRKfE_EESV_SZ_S10_mS11_S14_bEUlT_E_NS1_11comp_targetILNS1_3genE10ELNS1_11target_archE1201ELNS1_3gpuE5ELNS1_3repE0EEENS1_30default_config_static_selectorELNS0_4arch9wavefront6targetE0EEEvSY_.private_seg_size, 0
	.set _ZN7rocprim17ROCPRIM_400000_NS6detail17trampoline_kernelINS0_14default_configENS1_27upper_bound_config_selectorIflEEZNS1_14transform_implILb0ES3_S5_N6thrust23THRUST_200600_302600_NS6detail15normal_iteratorINS8_7pointerIfNS8_11hip_rocprim9par_det_tENS8_11use_defaultESE_EEEENSA_INSB_IlSD_SE_SE_EEEEZNS1_13binary_searchIS3_S5_NSA_INS8_10device_ptrIfEEEESG_SI_NS1_21upper_bound_search_opENS9_16wrapped_functionINS8_6system6detail7generic6detail18binary_search_lessEbEEEE10hipError_tPvRmT1_T2_T3_mmT4_T5_P12ihipStream_tbEUlRKfE_EESV_SZ_S10_mS11_S14_bEUlT_E_NS1_11comp_targetILNS1_3genE10ELNS1_11target_archE1201ELNS1_3gpuE5ELNS1_3repE0EEENS1_30default_config_static_selectorELNS0_4arch9wavefront6targetE0EEEvSY_.uses_vcc, 0
	.set _ZN7rocprim17ROCPRIM_400000_NS6detail17trampoline_kernelINS0_14default_configENS1_27upper_bound_config_selectorIflEEZNS1_14transform_implILb0ES3_S5_N6thrust23THRUST_200600_302600_NS6detail15normal_iteratorINS8_7pointerIfNS8_11hip_rocprim9par_det_tENS8_11use_defaultESE_EEEENSA_INSB_IlSD_SE_SE_EEEEZNS1_13binary_searchIS3_S5_NSA_INS8_10device_ptrIfEEEESG_SI_NS1_21upper_bound_search_opENS9_16wrapped_functionINS8_6system6detail7generic6detail18binary_search_lessEbEEEE10hipError_tPvRmT1_T2_T3_mmT4_T5_P12ihipStream_tbEUlRKfE_EESV_SZ_S10_mS11_S14_bEUlT_E_NS1_11comp_targetILNS1_3genE10ELNS1_11target_archE1201ELNS1_3gpuE5ELNS1_3repE0EEENS1_30default_config_static_selectorELNS0_4arch9wavefront6targetE0EEEvSY_.uses_flat_scratch, 0
	.set _ZN7rocprim17ROCPRIM_400000_NS6detail17trampoline_kernelINS0_14default_configENS1_27upper_bound_config_selectorIflEEZNS1_14transform_implILb0ES3_S5_N6thrust23THRUST_200600_302600_NS6detail15normal_iteratorINS8_7pointerIfNS8_11hip_rocprim9par_det_tENS8_11use_defaultESE_EEEENSA_INSB_IlSD_SE_SE_EEEEZNS1_13binary_searchIS3_S5_NSA_INS8_10device_ptrIfEEEESG_SI_NS1_21upper_bound_search_opENS9_16wrapped_functionINS8_6system6detail7generic6detail18binary_search_lessEbEEEE10hipError_tPvRmT1_T2_T3_mmT4_T5_P12ihipStream_tbEUlRKfE_EESV_SZ_S10_mS11_S14_bEUlT_E_NS1_11comp_targetILNS1_3genE10ELNS1_11target_archE1201ELNS1_3gpuE5ELNS1_3repE0EEENS1_30default_config_static_selectorELNS0_4arch9wavefront6targetE0EEEvSY_.has_dyn_sized_stack, 0
	.set _ZN7rocprim17ROCPRIM_400000_NS6detail17trampoline_kernelINS0_14default_configENS1_27upper_bound_config_selectorIflEEZNS1_14transform_implILb0ES3_S5_N6thrust23THRUST_200600_302600_NS6detail15normal_iteratorINS8_7pointerIfNS8_11hip_rocprim9par_det_tENS8_11use_defaultESE_EEEENSA_INSB_IlSD_SE_SE_EEEEZNS1_13binary_searchIS3_S5_NSA_INS8_10device_ptrIfEEEESG_SI_NS1_21upper_bound_search_opENS9_16wrapped_functionINS8_6system6detail7generic6detail18binary_search_lessEbEEEE10hipError_tPvRmT1_T2_T3_mmT4_T5_P12ihipStream_tbEUlRKfE_EESV_SZ_S10_mS11_S14_bEUlT_E_NS1_11comp_targetILNS1_3genE10ELNS1_11target_archE1201ELNS1_3gpuE5ELNS1_3repE0EEENS1_30default_config_static_selectorELNS0_4arch9wavefront6targetE0EEEvSY_.has_recursion, 0
	.set _ZN7rocprim17ROCPRIM_400000_NS6detail17trampoline_kernelINS0_14default_configENS1_27upper_bound_config_selectorIflEEZNS1_14transform_implILb0ES3_S5_N6thrust23THRUST_200600_302600_NS6detail15normal_iteratorINS8_7pointerIfNS8_11hip_rocprim9par_det_tENS8_11use_defaultESE_EEEENSA_INSB_IlSD_SE_SE_EEEEZNS1_13binary_searchIS3_S5_NSA_INS8_10device_ptrIfEEEESG_SI_NS1_21upper_bound_search_opENS9_16wrapped_functionINS8_6system6detail7generic6detail18binary_search_lessEbEEEE10hipError_tPvRmT1_T2_T3_mmT4_T5_P12ihipStream_tbEUlRKfE_EESV_SZ_S10_mS11_S14_bEUlT_E_NS1_11comp_targetILNS1_3genE10ELNS1_11target_archE1201ELNS1_3gpuE5ELNS1_3repE0EEENS1_30default_config_static_selectorELNS0_4arch9wavefront6targetE0EEEvSY_.has_indirect_call, 0
	.section	.AMDGPU.csdata,"",@progbits
; Kernel info:
; codeLenInByte = 0
; TotalNumSgprs: 0
; NumVgprs: 0
; ScratchSize: 0
; MemoryBound: 0
; FloatMode: 240
; IeeeMode: 1
; LDSByteSize: 0 bytes/workgroup (compile time only)
; SGPRBlocks: 0
; VGPRBlocks: 0
; NumSGPRsForWavesPerEU: 1
; NumVGPRsForWavesPerEU: 1
; Occupancy: 16
; WaveLimiterHint : 0
; COMPUTE_PGM_RSRC2:SCRATCH_EN: 0
; COMPUTE_PGM_RSRC2:USER_SGPR: 6
; COMPUTE_PGM_RSRC2:TRAP_HANDLER: 0
; COMPUTE_PGM_RSRC2:TGID_X_EN: 1
; COMPUTE_PGM_RSRC2:TGID_Y_EN: 0
; COMPUTE_PGM_RSRC2:TGID_Z_EN: 0
; COMPUTE_PGM_RSRC2:TIDIG_COMP_CNT: 0
	.section	.text._ZN7rocprim17ROCPRIM_400000_NS6detail17trampoline_kernelINS0_14default_configENS1_27upper_bound_config_selectorIflEEZNS1_14transform_implILb0ES3_S5_N6thrust23THRUST_200600_302600_NS6detail15normal_iteratorINS8_7pointerIfNS8_11hip_rocprim9par_det_tENS8_11use_defaultESE_EEEENSA_INSB_IlSD_SE_SE_EEEEZNS1_13binary_searchIS3_S5_NSA_INS8_10device_ptrIfEEEESG_SI_NS1_21upper_bound_search_opENS9_16wrapped_functionINS8_6system6detail7generic6detail18binary_search_lessEbEEEE10hipError_tPvRmT1_T2_T3_mmT4_T5_P12ihipStream_tbEUlRKfE_EESV_SZ_S10_mS11_S14_bEUlT_E_NS1_11comp_targetILNS1_3genE10ELNS1_11target_archE1200ELNS1_3gpuE4ELNS1_3repE0EEENS1_30default_config_static_selectorELNS0_4arch9wavefront6targetE0EEEvSY_,"axG",@progbits,_ZN7rocprim17ROCPRIM_400000_NS6detail17trampoline_kernelINS0_14default_configENS1_27upper_bound_config_selectorIflEEZNS1_14transform_implILb0ES3_S5_N6thrust23THRUST_200600_302600_NS6detail15normal_iteratorINS8_7pointerIfNS8_11hip_rocprim9par_det_tENS8_11use_defaultESE_EEEENSA_INSB_IlSD_SE_SE_EEEEZNS1_13binary_searchIS3_S5_NSA_INS8_10device_ptrIfEEEESG_SI_NS1_21upper_bound_search_opENS9_16wrapped_functionINS8_6system6detail7generic6detail18binary_search_lessEbEEEE10hipError_tPvRmT1_T2_T3_mmT4_T5_P12ihipStream_tbEUlRKfE_EESV_SZ_S10_mS11_S14_bEUlT_E_NS1_11comp_targetILNS1_3genE10ELNS1_11target_archE1200ELNS1_3gpuE4ELNS1_3repE0EEENS1_30default_config_static_selectorELNS0_4arch9wavefront6targetE0EEEvSY_,comdat
	.protected	_ZN7rocprim17ROCPRIM_400000_NS6detail17trampoline_kernelINS0_14default_configENS1_27upper_bound_config_selectorIflEEZNS1_14transform_implILb0ES3_S5_N6thrust23THRUST_200600_302600_NS6detail15normal_iteratorINS8_7pointerIfNS8_11hip_rocprim9par_det_tENS8_11use_defaultESE_EEEENSA_INSB_IlSD_SE_SE_EEEEZNS1_13binary_searchIS3_S5_NSA_INS8_10device_ptrIfEEEESG_SI_NS1_21upper_bound_search_opENS9_16wrapped_functionINS8_6system6detail7generic6detail18binary_search_lessEbEEEE10hipError_tPvRmT1_T2_T3_mmT4_T5_P12ihipStream_tbEUlRKfE_EESV_SZ_S10_mS11_S14_bEUlT_E_NS1_11comp_targetILNS1_3genE10ELNS1_11target_archE1200ELNS1_3gpuE4ELNS1_3repE0EEENS1_30default_config_static_selectorELNS0_4arch9wavefront6targetE0EEEvSY_ ; -- Begin function _ZN7rocprim17ROCPRIM_400000_NS6detail17trampoline_kernelINS0_14default_configENS1_27upper_bound_config_selectorIflEEZNS1_14transform_implILb0ES3_S5_N6thrust23THRUST_200600_302600_NS6detail15normal_iteratorINS8_7pointerIfNS8_11hip_rocprim9par_det_tENS8_11use_defaultESE_EEEENSA_INSB_IlSD_SE_SE_EEEEZNS1_13binary_searchIS3_S5_NSA_INS8_10device_ptrIfEEEESG_SI_NS1_21upper_bound_search_opENS9_16wrapped_functionINS8_6system6detail7generic6detail18binary_search_lessEbEEEE10hipError_tPvRmT1_T2_T3_mmT4_T5_P12ihipStream_tbEUlRKfE_EESV_SZ_S10_mS11_S14_bEUlT_E_NS1_11comp_targetILNS1_3genE10ELNS1_11target_archE1200ELNS1_3gpuE4ELNS1_3repE0EEENS1_30default_config_static_selectorELNS0_4arch9wavefront6targetE0EEEvSY_
	.globl	_ZN7rocprim17ROCPRIM_400000_NS6detail17trampoline_kernelINS0_14default_configENS1_27upper_bound_config_selectorIflEEZNS1_14transform_implILb0ES3_S5_N6thrust23THRUST_200600_302600_NS6detail15normal_iteratorINS8_7pointerIfNS8_11hip_rocprim9par_det_tENS8_11use_defaultESE_EEEENSA_INSB_IlSD_SE_SE_EEEEZNS1_13binary_searchIS3_S5_NSA_INS8_10device_ptrIfEEEESG_SI_NS1_21upper_bound_search_opENS9_16wrapped_functionINS8_6system6detail7generic6detail18binary_search_lessEbEEEE10hipError_tPvRmT1_T2_T3_mmT4_T5_P12ihipStream_tbEUlRKfE_EESV_SZ_S10_mS11_S14_bEUlT_E_NS1_11comp_targetILNS1_3genE10ELNS1_11target_archE1200ELNS1_3gpuE4ELNS1_3repE0EEENS1_30default_config_static_selectorELNS0_4arch9wavefront6targetE0EEEvSY_
	.p2align	8
	.type	_ZN7rocprim17ROCPRIM_400000_NS6detail17trampoline_kernelINS0_14default_configENS1_27upper_bound_config_selectorIflEEZNS1_14transform_implILb0ES3_S5_N6thrust23THRUST_200600_302600_NS6detail15normal_iteratorINS8_7pointerIfNS8_11hip_rocprim9par_det_tENS8_11use_defaultESE_EEEENSA_INSB_IlSD_SE_SE_EEEEZNS1_13binary_searchIS3_S5_NSA_INS8_10device_ptrIfEEEESG_SI_NS1_21upper_bound_search_opENS9_16wrapped_functionINS8_6system6detail7generic6detail18binary_search_lessEbEEEE10hipError_tPvRmT1_T2_T3_mmT4_T5_P12ihipStream_tbEUlRKfE_EESV_SZ_S10_mS11_S14_bEUlT_E_NS1_11comp_targetILNS1_3genE10ELNS1_11target_archE1200ELNS1_3gpuE4ELNS1_3repE0EEENS1_30default_config_static_selectorELNS0_4arch9wavefront6targetE0EEEvSY_,@function
_ZN7rocprim17ROCPRIM_400000_NS6detail17trampoline_kernelINS0_14default_configENS1_27upper_bound_config_selectorIflEEZNS1_14transform_implILb0ES3_S5_N6thrust23THRUST_200600_302600_NS6detail15normal_iteratorINS8_7pointerIfNS8_11hip_rocprim9par_det_tENS8_11use_defaultESE_EEEENSA_INSB_IlSD_SE_SE_EEEEZNS1_13binary_searchIS3_S5_NSA_INS8_10device_ptrIfEEEESG_SI_NS1_21upper_bound_search_opENS9_16wrapped_functionINS8_6system6detail7generic6detail18binary_search_lessEbEEEE10hipError_tPvRmT1_T2_T3_mmT4_T5_P12ihipStream_tbEUlRKfE_EESV_SZ_S10_mS11_S14_bEUlT_E_NS1_11comp_targetILNS1_3genE10ELNS1_11target_archE1200ELNS1_3gpuE4ELNS1_3repE0EEENS1_30default_config_static_selectorELNS0_4arch9wavefront6targetE0EEEvSY_: ; @_ZN7rocprim17ROCPRIM_400000_NS6detail17trampoline_kernelINS0_14default_configENS1_27upper_bound_config_selectorIflEEZNS1_14transform_implILb0ES3_S5_N6thrust23THRUST_200600_302600_NS6detail15normal_iteratorINS8_7pointerIfNS8_11hip_rocprim9par_det_tENS8_11use_defaultESE_EEEENSA_INSB_IlSD_SE_SE_EEEEZNS1_13binary_searchIS3_S5_NSA_INS8_10device_ptrIfEEEESG_SI_NS1_21upper_bound_search_opENS9_16wrapped_functionINS8_6system6detail7generic6detail18binary_search_lessEbEEEE10hipError_tPvRmT1_T2_T3_mmT4_T5_P12ihipStream_tbEUlRKfE_EESV_SZ_S10_mS11_S14_bEUlT_E_NS1_11comp_targetILNS1_3genE10ELNS1_11target_archE1200ELNS1_3gpuE4ELNS1_3repE0EEENS1_30default_config_static_selectorELNS0_4arch9wavefront6targetE0EEEvSY_
; %bb.0:
	.section	.rodata,"a",@progbits
	.p2align	6, 0x0
	.amdhsa_kernel _ZN7rocprim17ROCPRIM_400000_NS6detail17trampoline_kernelINS0_14default_configENS1_27upper_bound_config_selectorIflEEZNS1_14transform_implILb0ES3_S5_N6thrust23THRUST_200600_302600_NS6detail15normal_iteratorINS8_7pointerIfNS8_11hip_rocprim9par_det_tENS8_11use_defaultESE_EEEENSA_INSB_IlSD_SE_SE_EEEEZNS1_13binary_searchIS3_S5_NSA_INS8_10device_ptrIfEEEESG_SI_NS1_21upper_bound_search_opENS9_16wrapped_functionINS8_6system6detail7generic6detail18binary_search_lessEbEEEE10hipError_tPvRmT1_T2_T3_mmT4_T5_P12ihipStream_tbEUlRKfE_EESV_SZ_S10_mS11_S14_bEUlT_E_NS1_11comp_targetILNS1_3genE10ELNS1_11target_archE1200ELNS1_3gpuE4ELNS1_3repE0EEENS1_30default_config_static_selectorELNS0_4arch9wavefront6targetE0EEEvSY_
		.amdhsa_group_segment_fixed_size 0
		.amdhsa_private_segment_fixed_size 0
		.amdhsa_kernarg_size 56
		.amdhsa_user_sgpr_count 6
		.amdhsa_user_sgpr_private_segment_buffer 1
		.amdhsa_user_sgpr_dispatch_ptr 0
		.amdhsa_user_sgpr_queue_ptr 0
		.amdhsa_user_sgpr_kernarg_segment_ptr 1
		.amdhsa_user_sgpr_dispatch_id 0
		.amdhsa_user_sgpr_flat_scratch_init 0
		.amdhsa_user_sgpr_private_segment_size 0
		.amdhsa_wavefront_size32 1
		.amdhsa_uses_dynamic_stack 0
		.amdhsa_system_sgpr_private_segment_wavefront_offset 0
		.amdhsa_system_sgpr_workgroup_id_x 1
		.amdhsa_system_sgpr_workgroup_id_y 0
		.amdhsa_system_sgpr_workgroup_id_z 0
		.amdhsa_system_sgpr_workgroup_info 0
		.amdhsa_system_vgpr_workitem_id 0
		.amdhsa_next_free_vgpr 1
		.amdhsa_next_free_sgpr 1
		.amdhsa_reserve_vcc 0
		.amdhsa_reserve_flat_scratch 0
		.amdhsa_float_round_mode_32 0
		.amdhsa_float_round_mode_16_64 0
		.amdhsa_float_denorm_mode_32 3
		.amdhsa_float_denorm_mode_16_64 3
		.amdhsa_dx10_clamp 1
		.amdhsa_ieee_mode 1
		.amdhsa_fp16_overflow 0
		.amdhsa_workgroup_processor_mode 1
		.amdhsa_memory_ordered 1
		.amdhsa_forward_progress 1
		.amdhsa_shared_vgpr_count 0
		.amdhsa_exception_fp_ieee_invalid_op 0
		.amdhsa_exception_fp_denorm_src 0
		.amdhsa_exception_fp_ieee_div_zero 0
		.amdhsa_exception_fp_ieee_overflow 0
		.amdhsa_exception_fp_ieee_underflow 0
		.amdhsa_exception_fp_ieee_inexact 0
		.amdhsa_exception_int_div_zero 0
	.end_amdhsa_kernel
	.section	.text._ZN7rocprim17ROCPRIM_400000_NS6detail17trampoline_kernelINS0_14default_configENS1_27upper_bound_config_selectorIflEEZNS1_14transform_implILb0ES3_S5_N6thrust23THRUST_200600_302600_NS6detail15normal_iteratorINS8_7pointerIfNS8_11hip_rocprim9par_det_tENS8_11use_defaultESE_EEEENSA_INSB_IlSD_SE_SE_EEEEZNS1_13binary_searchIS3_S5_NSA_INS8_10device_ptrIfEEEESG_SI_NS1_21upper_bound_search_opENS9_16wrapped_functionINS8_6system6detail7generic6detail18binary_search_lessEbEEEE10hipError_tPvRmT1_T2_T3_mmT4_T5_P12ihipStream_tbEUlRKfE_EESV_SZ_S10_mS11_S14_bEUlT_E_NS1_11comp_targetILNS1_3genE10ELNS1_11target_archE1200ELNS1_3gpuE4ELNS1_3repE0EEENS1_30default_config_static_selectorELNS0_4arch9wavefront6targetE0EEEvSY_,"axG",@progbits,_ZN7rocprim17ROCPRIM_400000_NS6detail17trampoline_kernelINS0_14default_configENS1_27upper_bound_config_selectorIflEEZNS1_14transform_implILb0ES3_S5_N6thrust23THRUST_200600_302600_NS6detail15normal_iteratorINS8_7pointerIfNS8_11hip_rocprim9par_det_tENS8_11use_defaultESE_EEEENSA_INSB_IlSD_SE_SE_EEEEZNS1_13binary_searchIS3_S5_NSA_INS8_10device_ptrIfEEEESG_SI_NS1_21upper_bound_search_opENS9_16wrapped_functionINS8_6system6detail7generic6detail18binary_search_lessEbEEEE10hipError_tPvRmT1_T2_T3_mmT4_T5_P12ihipStream_tbEUlRKfE_EESV_SZ_S10_mS11_S14_bEUlT_E_NS1_11comp_targetILNS1_3genE10ELNS1_11target_archE1200ELNS1_3gpuE4ELNS1_3repE0EEENS1_30default_config_static_selectorELNS0_4arch9wavefront6targetE0EEEvSY_,comdat
.Lfunc_end524:
	.size	_ZN7rocprim17ROCPRIM_400000_NS6detail17trampoline_kernelINS0_14default_configENS1_27upper_bound_config_selectorIflEEZNS1_14transform_implILb0ES3_S5_N6thrust23THRUST_200600_302600_NS6detail15normal_iteratorINS8_7pointerIfNS8_11hip_rocprim9par_det_tENS8_11use_defaultESE_EEEENSA_INSB_IlSD_SE_SE_EEEEZNS1_13binary_searchIS3_S5_NSA_INS8_10device_ptrIfEEEESG_SI_NS1_21upper_bound_search_opENS9_16wrapped_functionINS8_6system6detail7generic6detail18binary_search_lessEbEEEE10hipError_tPvRmT1_T2_T3_mmT4_T5_P12ihipStream_tbEUlRKfE_EESV_SZ_S10_mS11_S14_bEUlT_E_NS1_11comp_targetILNS1_3genE10ELNS1_11target_archE1200ELNS1_3gpuE4ELNS1_3repE0EEENS1_30default_config_static_selectorELNS0_4arch9wavefront6targetE0EEEvSY_, .Lfunc_end524-_ZN7rocprim17ROCPRIM_400000_NS6detail17trampoline_kernelINS0_14default_configENS1_27upper_bound_config_selectorIflEEZNS1_14transform_implILb0ES3_S5_N6thrust23THRUST_200600_302600_NS6detail15normal_iteratorINS8_7pointerIfNS8_11hip_rocprim9par_det_tENS8_11use_defaultESE_EEEENSA_INSB_IlSD_SE_SE_EEEEZNS1_13binary_searchIS3_S5_NSA_INS8_10device_ptrIfEEEESG_SI_NS1_21upper_bound_search_opENS9_16wrapped_functionINS8_6system6detail7generic6detail18binary_search_lessEbEEEE10hipError_tPvRmT1_T2_T3_mmT4_T5_P12ihipStream_tbEUlRKfE_EESV_SZ_S10_mS11_S14_bEUlT_E_NS1_11comp_targetILNS1_3genE10ELNS1_11target_archE1200ELNS1_3gpuE4ELNS1_3repE0EEENS1_30default_config_static_selectorELNS0_4arch9wavefront6targetE0EEEvSY_
                                        ; -- End function
	.set _ZN7rocprim17ROCPRIM_400000_NS6detail17trampoline_kernelINS0_14default_configENS1_27upper_bound_config_selectorIflEEZNS1_14transform_implILb0ES3_S5_N6thrust23THRUST_200600_302600_NS6detail15normal_iteratorINS8_7pointerIfNS8_11hip_rocprim9par_det_tENS8_11use_defaultESE_EEEENSA_INSB_IlSD_SE_SE_EEEEZNS1_13binary_searchIS3_S5_NSA_INS8_10device_ptrIfEEEESG_SI_NS1_21upper_bound_search_opENS9_16wrapped_functionINS8_6system6detail7generic6detail18binary_search_lessEbEEEE10hipError_tPvRmT1_T2_T3_mmT4_T5_P12ihipStream_tbEUlRKfE_EESV_SZ_S10_mS11_S14_bEUlT_E_NS1_11comp_targetILNS1_3genE10ELNS1_11target_archE1200ELNS1_3gpuE4ELNS1_3repE0EEENS1_30default_config_static_selectorELNS0_4arch9wavefront6targetE0EEEvSY_.num_vgpr, 0
	.set _ZN7rocprim17ROCPRIM_400000_NS6detail17trampoline_kernelINS0_14default_configENS1_27upper_bound_config_selectorIflEEZNS1_14transform_implILb0ES3_S5_N6thrust23THRUST_200600_302600_NS6detail15normal_iteratorINS8_7pointerIfNS8_11hip_rocprim9par_det_tENS8_11use_defaultESE_EEEENSA_INSB_IlSD_SE_SE_EEEEZNS1_13binary_searchIS3_S5_NSA_INS8_10device_ptrIfEEEESG_SI_NS1_21upper_bound_search_opENS9_16wrapped_functionINS8_6system6detail7generic6detail18binary_search_lessEbEEEE10hipError_tPvRmT1_T2_T3_mmT4_T5_P12ihipStream_tbEUlRKfE_EESV_SZ_S10_mS11_S14_bEUlT_E_NS1_11comp_targetILNS1_3genE10ELNS1_11target_archE1200ELNS1_3gpuE4ELNS1_3repE0EEENS1_30default_config_static_selectorELNS0_4arch9wavefront6targetE0EEEvSY_.num_agpr, 0
	.set _ZN7rocprim17ROCPRIM_400000_NS6detail17trampoline_kernelINS0_14default_configENS1_27upper_bound_config_selectorIflEEZNS1_14transform_implILb0ES3_S5_N6thrust23THRUST_200600_302600_NS6detail15normal_iteratorINS8_7pointerIfNS8_11hip_rocprim9par_det_tENS8_11use_defaultESE_EEEENSA_INSB_IlSD_SE_SE_EEEEZNS1_13binary_searchIS3_S5_NSA_INS8_10device_ptrIfEEEESG_SI_NS1_21upper_bound_search_opENS9_16wrapped_functionINS8_6system6detail7generic6detail18binary_search_lessEbEEEE10hipError_tPvRmT1_T2_T3_mmT4_T5_P12ihipStream_tbEUlRKfE_EESV_SZ_S10_mS11_S14_bEUlT_E_NS1_11comp_targetILNS1_3genE10ELNS1_11target_archE1200ELNS1_3gpuE4ELNS1_3repE0EEENS1_30default_config_static_selectorELNS0_4arch9wavefront6targetE0EEEvSY_.numbered_sgpr, 0
	.set _ZN7rocprim17ROCPRIM_400000_NS6detail17trampoline_kernelINS0_14default_configENS1_27upper_bound_config_selectorIflEEZNS1_14transform_implILb0ES3_S5_N6thrust23THRUST_200600_302600_NS6detail15normal_iteratorINS8_7pointerIfNS8_11hip_rocprim9par_det_tENS8_11use_defaultESE_EEEENSA_INSB_IlSD_SE_SE_EEEEZNS1_13binary_searchIS3_S5_NSA_INS8_10device_ptrIfEEEESG_SI_NS1_21upper_bound_search_opENS9_16wrapped_functionINS8_6system6detail7generic6detail18binary_search_lessEbEEEE10hipError_tPvRmT1_T2_T3_mmT4_T5_P12ihipStream_tbEUlRKfE_EESV_SZ_S10_mS11_S14_bEUlT_E_NS1_11comp_targetILNS1_3genE10ELNS1_11target_archE1200ELNS1_3gpuE4ELNS1_3repE0EEENS1_30default_config_static_selectorELNS0_4arch9wavefront6targetE0EEEvSY_.num_named_barrier, 0
	.set _ZN7rocprim17ROCPRIM_400000_NS6detail17trampoline_kernelINS0_14default_configENS1_27upper_bound_config_selectorIflEEZNS1_14transform_implILb0ES3_S5_N6thrust23THRUST_200600_302600_NS6detail15normal_iteratorINS8_7pointerIfNS8_11hip_rocprim9par_det_tENS8_11use_defaultESE_EEEENSA_INSB_IlSD_SE_SE_EEEEZNS1_13binary_searchIS3_S5_NSA_INS8_10device_ptrIfEEEESG_SI_NS1_21upper_bound_search_opENS9_16wrapped_functionINS8_6system6detail7generic6detail18binary_search_lessEbEEEE10hipError_tPvRmT1_T2_T3_mmT4_T5_P12ihipStream_tbEUlRKfE_EESV_SZ_S10_mS11_S14_bEUlT_E_NS1_11comp_targetILNS1_3genE10ELNS1_11target_archE1200ELNS1_3gpuE4ELNS1_3repE0EEENS1_30default_config_static_selectorELNS0_4arch9wavefront6targetE0EEEvSY_.private_seg_size, 0
	.set _ZN7rocprim17ROCPRIM_400000_NS6detail17trampoline_kernelINS0_14default_configENS1_27upper_bound_config_selectorIflEEZNS1_14transform_implILb0ES3_S5_N6thrust23THRUST_200600_302600_NS6detail15normal_iteratorINS8_7pointerIfNS8_11hip_rocprim9par_det_tENS8_11use_defaultESE_EEEENSA_INSB_IlSD_SE_SE_EEEEZNS1_13binary_searchIS3_S5_NSA_INS8_10device_ptrIfEEEESG_SI_NS1_21upper_bound_search_opENS9_16wrapped_functionINS8_6system6detail7generic6detail18binary_search_lessEbEEEE10hipError_tPvRmT1_T2_T3_mmT4_T5_P12ihipStream_tbEUlRKfE_EESV_SZ_S10_mS11_S14_bEUlT_E_NS1_11comp_targetILNS1_3genE10ELNS1_11target_archE1200ELNS1_3gpuE4ELNS1_3repE0EEENS1_30default_config_static_selectorELNS0_4arch9wavefront6targetE0EEEvSY_.uses_vcc, 0
	.set _ZN7rocprim17ROCPRIM_400000_NS6detail17trampoline_kernelINS0_14default_configENS1_27upper_bound_config_selectorIflEEZNS1_14transform_implILb0ES3_S5_N6thrust23THRUST_200600_302600_NS6detail15normal_iteratorINS8_7pointerIfNS8_11hip_rocprim9par_det_tENS8_11use_defaultESE_EEEENSA_INSB_IlSD_SE_SE_EEEEZNS1_13binary_searchIS3_S5_NSA_INS8_10device_ptrIfEEEESG_SI_NS1_21upper_bound_search_opENS9_16wrapped_functionINS8_6system6detail7generic6detail18binary_search_lessEbEEEE10hipError_tPvRmT1_T2_T3_mmT4_T5_P12ihipStream_tbEUlRKfE_EESV_SZ_S10_mS11_S14_bEUlT_E_NS1_11comp_targetILNS1_3genE10ELNS1_11target_archE1200ELNS1_3gpuE4ELNS1_3repE0EEENS1_30default_config_static_selectorELNS0_4arch9wavefront6targetE0EEEvSY_.uses_flat_scratch, 0
	.set _ZN7rocprim17ROCPRIM_400000_NS6detail17trampoline_kernelINS0_14default_configENS1_27upper_bound_config_selectorIflEEZNS1_14transform_implILb0ES3_S5_N6thrust23THRUST_200600_302600_NS6detail15normal_iteratorINS8_7pointerIfNS8_11hip_rocprim9par_det_tENS8_11use_defaultESE_EEEENSA_INSB_IlSD_SE_SE_EEEEZNS1_13binary_searchIS3_S5_NSA_INS8_10device_ptrIfEEEESG_SI_NS1_21upper_bound_search_opENS9_16wrapped_functionINS8_6system6detail7generic6detail18binary_search_lessEbEEEE10hipError_tPvRmT1_T2_T3_mmT4_T5_P12ihipStream_tbEUlRKfE_EESV_SZ_S10_mS11_S14_bEUlT_E_NS1_11comp_targetILNS1_3genE10ELNS1_11target_archE1200ELNS1_3gpuE4ELNS1_3repE0EEENS1_30default_config_static_selectorELNS0_4arch9wavefront6targetE0EEEvSY_.has_dyn_sized_stack, 0
	.set _ZN7rocprim17ROCPRIM_400000_NS6detail17trampoline_kernelINS0_14default_configENS1_27upper_bound_config_selectorIflEEZNS1_14transform_implILb0ES3_S5_N6thrust23THRUST_200600_302600_NS6detail15normal_iteratorINS8_7pointerIfNS8_11hip_rocprim9par_det_tENS8_11use_defaultESE_EEEENSA_INSB_IlSD_SE_SE_EEEEZNS1_13binary_searchIS3_S5_NSA_INS8_10device_ptrIfEEEESG_SI_NS1_21upper_bound_search_opENS9_16wrapped_functionINS8_6system6detail7generic6detail18binary_search_lessEbEEEE10hipError_tPvRmT1_T2_T3_mmT4_T5_P12ihipStream_tbEUlRKfE_EESV_SZ_S10_mS11_S14_bEUlT_E_NS1_11comp_targetILNS1_3genE10ELNS1_11target_archE1200ELNS1_3gpuE4ELNS1_3repE0EEENS1_30default_config_static_selectorELNS0_4arch9wavefront6targetE0EEEvSY_.has_recursion, 0
	.set _ZN7rocprim17ROCPRIM_400000_NS6detail17trampoline_kernelINS0_14default_configENS1_27upper_bound_config_selectorIflEEZNS1_14transform_implILb0ES3_S5_N6thrust23THRUST_200600_302600_NS6detail15normal_iteratorINS8_7pointerIfNS8_11hip_rocprim9par_det_tENS8_11use_defaultESE_EEEENSA_INSB_IlSD_SE_SE_EEEEZNS1_13binary_searchIS3_S5_NSA_INS8_10device_ptrIfEEEESG_SI_NS1_21upper_bound_search_opENS9_16wrapped_functionINS8_6system6detail7generic6detail18binary_search_lessEbEEEE10hipError_tPvRmT1_T2_T3_mmT4_T5_P12ihipStream_tbEUlRKfE_EESV_SZ_S10_mS11_S14_bEUlT_E_NS1_11comp_targetILNS1_3genE10ELNS1_11target_archE1200ELNS1_3gpuE4ELNS1_3repE0EEENS1_30default_config_static_selectorELNS0_4arch9wavefront6targetE0EEEvSY_.has_indirect_call, 0
	.section	.AMDGPU.csdata,"",@progbits
; Kernel info:
; codeLenInByte = 0
; TotalNumSgprs: 0
; NumVgprs: 0
; ScratchSize: 0
; MemoryBound: 0
; FloatMode: 240
; IeeeMode: 1
; LDSByteSize: 0 bytes/workgroup (compile time only)
; SGPRBlocks: 0
; VGPRBlocks: 0
; NumSGPRsForWavesPerEU: 1
; NumVGPRsForWavesPerEU: 1
; Occupancy: 16
; WaveLimiterHint : 0
; COMPUTE_PGM_RSRC2:SCRATCH_EN: 0
; COMPUTE_PGM_RSRC2:USER_SGPR: 6
; COMPUTE_PGM_RSRC2:TRAP_HANDLER: 0
; COMPUTE_PGM_RSRC2:TGID_X_EN: 1
; COMPUTE_PGM_RSRC2:TGID_Y_EN: 0
; COMPUTE_PGM_RSRC2:TGID_Z_EN: 0
; COMPUTE_PGM_RSRC2:TIDIG_COMP_CNT: 0
	.section	.text._ZN7rocprim17ROCPRIM_400000_NS6detail17trampoline_kernelINS0_14default_configENS1_27upper_bound_config_selectorIflEEZNS1_14transform_implILb0ES3_S5_N6thrust23THRUST_200600_302600_NS6detail15normal_iteratorINS8_7pointerIfNS8_11hip_rocprim9par_det_tENS8_11use_defaultESE_EEEENSA_INSB_IlSD_SE_SE_EEEEZNS1_13binary_searchIS3_S5_NSA_INS8_10device_ptrIfEEEESG_SI_NS1_21upper_bound_search_opENS9_16wrapped_functionINS8_6system6detail7generic6detail18binary_search_lessEbEEEE10hipError_tPvRmT1_T2_T3_mmT4_T5_P12ihipStream_tbEUlRKfE_EESV_SZ_S10_mS11_S14_bEUlT_E_NS1_11comp_targetILNS1_3genE9ELNS1_11target_archE1100ELNS1_3gpuE3ELNS1_3repE0EEENS1_30default_config_static_selectorELNS0_4arch9wavefront6targetE0EEEvSY_,"axG",@progbits,_ZN7rocprim17ROCPRIM_400000_NS6detail17trampoline_kernelINS0_14default_configENS1_27upper_bound_config_selectorIflEEZNS1_14transform_implILb0ES3_S5_N6thrust23THRUST_200600_302600_NS6detail15normal_iteratorINS8_7pointerIfNS8_11hip_rocprim9par_det_tENS8_11use_defaultESE_EEEENSA_INSB_IlSD_SE_SE_EEEEZNS1_13binary_searchIS3_S5_NSA_INS8_10device_ptrIfEEEESG_SI_NS1_21upper_bound_search_opENS9_16wrapped_functionINS8_6system6detail7generic6detail18binary_search_lessEbEEEE10hipError_tPvRmT1_T2_T3_mmT4_T5_P12ihipStream_tbEUlRKfE_EESV_SZ_S10_mS11_S14_bEUlT_E_NS1_11comp_targetILNS1_3genE9ELNS1_11target_archE1100ELNS1_3gpuE3ELNS1_3repE0EEENS1_30default_config_static_selectorELNS0_4arch9wavefront6targetE0EEEvSY_,comdat
	.protected	_ZN7rocprim17ROCPRIM_400000_NS6detail17trampoline_kernelINS0_14default_configENS1_27upper_bound_config_selectorIflEEZNS1_14transform_implILb0ES3_S5_N6thrust23THRUST_200600_302600_NS6detail15normal_iteratorINS8_7pointerIfNS8_11hip_rocprim9par_det_tENS8_11use_defaultESE_EEEENSA_INSB_IlSD_SE_SE_EEEEZNS1_13binary_searchIS3_S5_NSA_INS8_10device_ptrIfEEEESG_SI_NS1_21upper_bound_search_opENS9_16wrapped_functionINS8_6system6detail7generic6detail18binary_search_lessEbEEEE10hipError_tPvRmT1_T2_T3_mmT4_T5_P12ihipStream_tbEUlRKfE_EESV_SZ_S10_mS11_S14_bEUlT_E_NS1_11comp_targetILNS1_3genE9ELNS1_11target_archE1100ELNS1_3gpuE3ELNS1_3repE0EEENS1_30default_config_static_selectorELNS0_4arch9wavefront6targetE0EEEvSY_ ; -- Begin function _ZN7rocprim17ROCPRIM_400000_NS6detail17trampoline_kernelINS0_14default_configENS1_27upper_bound_config_selectorIflEEZNS1_14transform_implILb0ES3_S5_N6thrust23THRUST_200600_302600_NS6detail15normal_iteratorINS8_7pointerIfNS8_11hip_rocprim9par_det_tENS8_11use_defaultESE_EEEENSA_INSB_IlSD_SE_SE_EEEEZNS1_13binary_searchIS3_S5_NSA_INS8_10device_ptrIfEEEESG_SI_NS1_21upper_bound_search_opENS9_16wrapped_functionINS8_6system6detail7generic6detail18binary_search_lessEbEEEE10hipError_tPvRmT1_T2_T3_mmT4_T5_P12ihipStream_tbEUlRKfE_EESV_SZ_S10_mS11_S14_bEUlT_E_NS1_11comp_targetILNS1_3genE9ELNS1_11target_archE1100ELNS1_3gpuE3ELNS1_3repE0EEENS1_30default_config_static_selectorELNS0_4arch9wavefront6targetE0EEEvSY_
	.globl	_ZN7rocprim17ROCPRIM_400000_NS6detail17trampoline_kernelINS0_14default_configENS1_27upper_bound_config_selectorIflEEZNS1_14transform_implILb0ES3_S5_N6thrust23THRUST_200600_302600_NS6detail15normal_iteratorINS8_7pointerIfNS8_11hip_rocprim9par_det_tENS8_11use_defaultESE_EEEENSA_INSB_IlSD_SE_SE_EEEEZNS1_13binary_searchIS3_S5_NSA_INS8_10device_ptrIfEEEESG_SI_NS1_21upper_bound_search_opENS9_16wrapped_functionINS8_6system6detail7generic6detail18binary_search_lessEbEEEE10hipError_tPvRmT1_T2_T3_mmT4_T5_P12ihipStream_tbEUlRKfE_EESV_SZ_S10_mS11_S14_bEUlT_E_NS1_11comp_targetILNS1_3genE9ELNS1_11target_archE1100ELNS1_3gpuE3ELNS1_3repE0EEENS1_30default_config_static_selectorELNS0_4arch9wavefront6targetE0EEEvSY_
	.p2align	8
	.type	_ZN7rocprim17ROCPRIM_400000_NS6detail17trampoline_kernelINS0_14default_configENS1_27upper_bound_config_selectorIflEEZNS1_14transform_implILb0ES3_S5_N6thrust23THRUST_200600_302600_NS6detail15normal_iteratorINS8_7pointerIfNS8_11hip_rocprim9par_det_tENS8_11use_defaultESE_EEEENSA_INSB_IlSD_SE_SE_EEEEZNS1_13binary_searchIS3_S5_NSA_INS8_10device_ptrIfEEEESG_SI_NS1_21upper_bound_search_opENS9_16wrapped_functionINS8_6system6detail7generic6detail18binary_search_lessEbEEEE10hipError_tPvRmT1_T2_T3_mmT4_T5_P12ihipStream_tbEUlRKfE_EESV_SZ_S10_mS11_S14_bEUlT_E_NS1_11comp_targetILNS1_3genE9ELNS1_11target_archE1100ELNS1_3gpuE3ELNS1_3repE0EEENS1_30default_config_static_selectorELNS0_4arch9wavefront6targetE0EEEvSY_,@function
_ZN7rocprim17ROCPRIM_400000_NS6detail17trampoline_kernelINS0_14default_configENS1_27upper_bound_config_selectorIflEEZNS1_14transform_implILb0ES3_S5_N6thrust23THRUST_200600_302600_NS6detail15normal_iteratorINS8_7pointerIfNS8_11hip_rocprim9par_det_tENS8_11use_defaultESE_EEEENSA_INSB_IlSD_SE_SE_EEEEZNS1_13binary_searchIS3_S5_NSA_INS8_10device_ptrIfEEEESG_SI_NS1_21upper_bound_search_opENS9_16wrapped_functionINS8_6system6detail7generic6detail18binary_search_lessEbEEEE10hipError_tPvRmT1_T2_T3_mmT4_T5_P12ihipStream_tbEUlRKfE_EESV_SZ_S10_mS11_S14_bEUlT_E_NS1_11comp_targetILNS1_3genE9ELNS1_11target_archE1100ELNS1_3gpuE3ELNS1_3repE0EEENS1_30default_config_static_selectorELNS0_4arch9wavefront6targetE0EEEvSY_: ; @_ZN7rocprim17ROCPRIM_400000_NS6detail17trampoline_kernelINS0_14default_configENS1_27upper_bound_config_selectorIflEEZNS1_14transform_implILb0ES3_S5_N6thrust23THRUST_200600_302600_NS6detail15normal_iteratorINS8_7pointerIfNS8_11hip_rocprim9par_det_tENS8_11use_defaultESE_EEEENSA_INSB_IlSD_SE_SE_EEEEZNS1_13binary_searchIS3_S5_NSA_INS8_10device_ptrIfEEEESG_SI_NS1_21upper_bound_search_opENS9_16wrapped_functionINS8_6system6detail7generic6detail18binary_search_lessEbEEEE10hipError_tPvRmT1_T2_T3_mmT4_T5_P12ihipStream_tbEUlRKfE_EESV_SZ_S10_mS11_S14_bEUlT_E_NS1_11comp_targetILNS1_3genE9ELNS1_11target_archE1100ELNS1_3gpuE3ELNS1_3repE0EEENS1_30default_config_static_selectorELNS0_4arch9wavefront6targetE0EEEvSY_
; %bb.0:
	.section	.rodata,"a",@progbits
	.p2align	6, 0x0
	.amdhsa_kernel _ZN7rocprim17ROCPRIM_400000_NS6detail17trampoline_kernelINS0_14default_configENS1_27upper_bound_config_selectorIflEEZNS1_14transform_implILb0ES3_S5_N6thrust23THRUST_200600_302600_NS6detail15normal_iteratorINS8_7pointerIfNS8_11hip_rocprim9par_det_tENS8_11use_defaultESE_EEEENSA_INSB_IlSD_SE_SE_EEEEZNS1_13binary_searchIS3_S5_NSA_INS8_10device_ptrIfEEEESG_SI_NS1_21upper_bound_search_opENS9_16wrapped_functionINS8_6system6detail7generic6detail18binary_search_lessEbEEEE10hipError_tPvRmT1_T2_T3_mmT4_T5_P12ihipStream_tbEUlRKfE_EESV_SZ_S10_mS11_S14_bEUlT_E_NS1_11comp_targetILNS1_3genE9ELNS1_11target_archE1100ELNS1_3gpuE3ELNS1_3repE0EEENS1_30default_config_static_selectorELNS0_4arch9wavefront6targetE0EEEvSY_
		.amdhsa_group_segment_fixed_size 0
		.amdhsa_private_segment_fixed_size 0
		.amdhsa_kernarg_size 56
		.amdhsa_user_sgpr_count 6
		.amdhsa_user_sgpr_private_segment_buffer 1
		.amdhsa_user_sgpr_dispatch_ptr 0
		.amdhsa_user_sgpr_queue_ptr 0
		.amdhsa_user_sgpr_kernarg_segment_ptr 1
		.amdhsa_user_sgpr_dispatch_id 0
		.amdhsa_user_sgpr_flat_scratch_init 0
		.amdhsa_user_sgpr_private_segment_size 0
		.amdhsa_wavefront_size32 1
		.amdhsa_uses_dynamic_stack 0
		.amdhsa_system_sgpr_private_segment_wavefront_offset 0
		.amdhsa_system_sgpr_workgroup_id_x 1
		.amdhsa_system_sgpr_workgroup_id_y 0
		.amdhsa_system_sgpr_workgroup_id_z 0
		.amdhsa_system_sgpr_workgroup_info 0
		.amdhsa_system_vgpr_workitem_id 0
		.amdhsa_next_free_vgpr 1
		.amdhsa_next_free_sgpr 1
		.amdhsa_reserve_vcc 0
		.amdhsa_reserve_flat_scratch 0
		.amdhsa_float_round_mode_32 0
		.amdhsa_float_round_mode_16_64 0
		.amdhsa_float_denorm_mode_32 3
		.amdhsa_float_denorm_mode_16_64 3
		.amdhsa_dx10_clamp 1
		.amdhsa_ieee_mode 1
		.amdhsa_fp16_overflow 0
		.amdhsa_workgroup_processor_mode 1
		.amdhsa_memory_ordered 1
		.amdhsa_forward_progress 1
		.amdhsa_shared_vgpr_count 0
		.amdhsa_exception_fp_ieee_invalid_op 0
		.amdhsa_exception_fp_denorm_src 0
		.amdhsa_exception_fp_ieee_div_zero 0
		.amdhsa_exception_fp_ieee_overflow 0
		.amdhsa_exception_fp_ieee_underflow 0
		.amdhsa_exception_fp_ieee_inexact 0
		.amdhsa_exception_int_div_zero 0
	.end_amdhsa_kernel
	.section	.text._ZN7rocprim17ROCPRIM_400000_NS6detail17trampoline_kernelINS0_14default_configENS1_27upper_bound_config_selectorIflEEZNS1_14transform_implILb0ES3_S5_N6thrust23THRUST_200600_302600_NS6detail15normal_iteratorINS8_7pointerIfNS8_11hip_rocprim9par_det_tENS8_11use_defaultESE_EEEENSA_INSB_IlSD_SE_SE_EEEEZNS1_13binary_searchIS3_S5_NSA_INS8_10device_ptrIfEEEESG_SI_NS1_21upper_bound_search_opENS9_16wrapped_functionINS8_6system6detail7generic6detail18binary_search_lessEbEEEE10hipError_tPvRmT1_T2_T3_mmT4_T5_P12ihipStream_tbEUlRKfE_EESV_SZ_S10_mS11_S14_bEUlT_E_NS1_11comp_targetILNS1_3genE9ELNS1_11target_archE1100ELNS1_3gpuE3ELNS1_3repE0EEENS1_30default_config_static_selectorELNS0_4arch9wavefront6targetE0EEEvSY_,"axG",@progbits,_ZN7rocprim17ROCPRIM_400000_NS6detail17trampoline_kernelINS0_14default_configENS1_27upper_bound_config_selectorIflEEZNS1_14transform_implILb0ES3_S5_N6thrust23THRUST_200600_302600_NS6detail15normal_iteratorINS8_7pointerIfNS8_11hip_rocprim9par_det_tENS8_11use_defaultESE_EEEENSA_INSB_IlSD_SE_SE_EEEEZNS1_13binary_searchIS3_S5_NSA_INS8_10device_ptrIfEEEESG_SI_NS1_21upper_bound_search_opENS9_16wrapped_functionINS8_6system6detail7generic6detail18binary_search_lessEbEEEE10hipError_tPvRmT1_T2_T3_mmT4_T5_P12ihipStream_tbEUlRKfE_EESV_SZ_S10_mS11_S14_bEUlT_E_NS1_11comp_targetILNS1_3genE9ELNS1_11target_archE1100ELNS1_3gpuE3ELNS1_3repE0EEENS1_30default_config_static_selectorELNS0_4arch9wavefront6targetE0EEEvSY_,comdat
.Lfunc_end525:
	.size	_ZN7rocprim17ROCPRIM_400000_NS6detail17trampoline_kernelINS0_14default_configENS1_27upper_bound_config_selectorIflEEZNS1_14transform_implILb0ES3_S5_N6thrust23THRUST_200600_302600_NS6detail15normal_iteratorINS8_7pointerIfNS8_11hip_rocprim9par_det_tENS8_11use_defaultESE_EEEENSA_INSB_IlSD_SE_SE_EEEEZNS1_13binary_searchIS3_S5_NSA_INS8_10device_ptrIfEEEESG_SI_NS1_21upper_bound_search_opENS9_16wrapped_functionINS8_6system6detail7generic6detail18binary_search_lessEbEEEE10hipError_tPvRmT1_T2_T3_mmT4_T5_P12ihipStream_tbEUlRKfE_EESV_SZ_S10_mS11_S14_bEUlT_E_NS1_11comp_targetILNS1_3genE9ELNS1_11target_archE1100ELNS1_3gpuE3ELNS1_3repE0EEENS1_30default_config_static_selectorELNS0_4arch9wavefront6targetE0EEEvSY_, .Lfunc_end525-_ZN7rocprim17ROCPRIM_400000_NS6detail17trampoline_kernelINS0_14default_configENS1_27upper_bound_config_selectorIflEEZNS1_14transform_implILb0ES3_S5_N6thrust23THRUST_200600_302600_NS6detail15normal_iteratorINS8_7pointerIfNS8_11hip_rocprim9par_det_tENS8_11use_defaultESE_EEEENSA_INSB_IlSD_SE_SE_EEEEZNS1_13binary_searchIS3_S5_NSA_INS8_10device_ptrIfEEEESG_SI_NS1_21upper_bound_search_opENS9_16wrapped_functionINS8_6system6detail7generic6detail18binary_search_lessEbEEEE10hipError_tPvRmT1_T2_T3_mmT4_T5_P12ihipStream_tbEUlRKfE_EESV_SZ_S10_mS11_S14_bEUlT_E_NS1_11comp_targetILNS1_3genE9ELNS1_11target_archE1100ELNS1_3gpuE3ELNS1_3repE0EEENS1_30default_config_static_selectorELNS0_4arch9wavefront6targetE0EEEvSY_
                                        ; -- End function
	.set _ZN7rocprim17ROCPRIM_400000_NS6detail17trampoline_kernelINS0_14default_configENS1_27upper_bound_config_selectorIflEEZNS1_14transform_implILb0ES3_S5_N6thrust23THRUST_200600_302600_NS6detail15normal_iteratorINS8_7pointerIfNS8_11hip_rocprim9par_det_tENS8_11use_defaultESE_EEEENSA_INSB_IlSD_SE_SE_EEEEZNS1_13binary_searchIS3_S5_NSA_INS8_10device_ptrIfEEEESG_SI_NS1_21upper_bound_search_opENS9_16wrapped_functionINS8_6system6detail7generic6detail18binary_search_lessEbEEEE10hipError_tPvRmT1_T2_T3_mmT4_T5_P12ihipStream_tbEUlRKfE_EESV_SZ_S10_mS11_S14_bEUlT_E_NS1_11comp_targetILNS1_3genE9ELNS1_11target_archE1100ELNS1_3gpuE3ELNS1_3repE0EEENS1_30default_config_static_selectorELNS0_4arch9wavefront6targetE0EEEvSY_.num_vgpr, 0
	.set _ZN7rocprim17ROCPRIM_400000_NS6detail17trampoline_kernelINS0_14default_configENS1_27upper_bound_config_selectorIflEEZNS1_14transform_implILb0ES3_S5_N6thrust23THRUST_200600_302600_NS6detail15normal_iteratorINS8_7pointerIfNS8_11hip_rocprim9par_det_tENS8_11use_defaultESE_EEEENSA_INSB_IlSD_SE_SE_EEEEZNS1_13binary_searchIS3_S5_NSA_INS8_10device_ptrIfEEEESG_SI_NS1_21upper_bound_search_opENS9_16wrapped_functionINS8_6system6detail7generic6detail18binary_search_lessEbEEEE10hipError_tPvRmT1_T2_T3_mmT4_T5_P12ihipStream_tbEUlRKfE_EESV_SZ_S10_mS11_S14_bEUlT_E_NS1_11comp_targetILNS1_3genE9ELNS1_11target_archE1100ELNS1_3gpuE3ELNS1_3repE0EEENS1_30default_config_static_selectorELNS0_4arch9wavefront6targetE0EEEvSY_.num_agpr, 0
	.set _ZN7rocprim17ROCPRIM_400000_NS6detail17trampoline_kernelINS0_14default_configENS1_27upper_bound_config_selectorIflEEZNS1_14transform_implILb0ES3_S5_N6thrust23THRUST_200600_302600_NS6detail15normal_iteratorINS8_7pointerIfNS8_11hip_rocprim9par_det_tENS8_11use_defaultESE_EEEENSA_INSB_IlSD_SE_SE_EEEEZNS1_13binary_searchIS3_S5_NSA_INS8_10device_ptrIfEEEESG_SI_NS1_21upper_bound_search_opENS9_16wrapped_functionINS8_6system6detail7generic6detail18binary_search_lessEbEEEE10hipError_tPvRmT1_T2_T3_mmT4_T5_P12ihipStream_tbEUlRKfE_EESV_SZ_S10_mS11_S14_bEUlT_E_NS1_11comp_targetILNS1_3genE9ELNS1_11target_archE1100ELNS1_3gpuE3ELNS1_3repE0EEENS1_30default_config_static_selectorELNS0_4arch9wavefront6targetE0EEEvSY_.numbered_sgpr, 0
	.set _ZN7rocprim17ROCPRIM_400000_NS6detail17trampoline_kernelINS0_14default_configENS1_27upper_bound_config_selectorIflEEZNS1_14transform_implILb0ES3_S5_N6thrust23THRUST_200600_302600_NS6detail15normal_iteratorINS8_7pointerIfNS8_11hip_rocprim9par_det_tENS8_11use_defaultESE_EEEENSA_INSB_IlSD_SE_SE_EEEEZNS1_13binary_searchIS3_S5_NSA_INS8_10device_ptrIfEEEESG_SI_NS1_21upper_bound_search_opENS9_16wrapped_functionINS8_6system6detail7generic6detail18binary_search_lessEbEEEE10hipError_tPvRmT1_T2_T3_mmT4_T5_P12ihipStream_tbEUlRKfE_EESV_SZ_S10_mS11_S14_bEUlT_E_NS1_11comp_targetILNS1_3genE9ELNS1_11target_archE1100ELNS1_3gpuE3ELNS1_3repE0EEENS1_30default_config_static_selectorELNS0_4arch9wavefront6targetE0EEEvSY_.num_named_barrier, 0
	.set _ZN7rocprim17ROCPRIM_400000_NS6detail17trampoline_kernelINS0_14default_configENS1_27upper_bound_config_selectorIflEEZNS1_14transform_implILb0ES3_S5_N6thrust23THRUST_200600_302600_NS6detail15normal_iteratorINS8_7pointerIfNS8_11hip_rocprim9par_det_tENS8_11use_defaultESE_EEEENSA_INSB_IlSD_SE_SE_EEEEZNS1_13binary_searchIS3_S5_NSA_INS8_10device_ptrIfEEEESG_SI_NS1_21upper_bound_search_opENS9_16wrapped_functionINS8_6system6detail7generic6detail18binary_search_lessEbEEEE10hipError_tPvRmT1_T2_T3_mmT4_T5_P12ihipStream_tbEUlRKfE_EESV_SZ_S10_mS11_S14_bEUlT_E_NS1_11comp_targetILNS1_3genE9ELNS1_11target_archE1100ELNS1_3gpuE3ELNS1_3repE0EEENS1_30default_config_static_selectorELNS0_4arch9wavefront6targetE0EEEvSY_.private_seg_size, 0
	.set _ZN7rocprim17ROCPRIM_400000_NS6detail17trampoline_kernelINS0_14default_configENS1_27upper_bound_config_selectorIflEEZNS1_14transform_implILb0ES3_S5_N6thrust23THRUST_200600_302600_NS6detail15normal_iteratorINS8_7pointerIfNS8_11hip_rocprim9par_det_tENS8_11use_defaultESE_EEEENSA_INSB_IlSD_SE_SE_EEEEZNS1_13binary_searchIS3_S5_NSA_INS8_10device_ptrIfEEEESG_SI_NS1_21upper_bound_search_opENS9_16wrapped_functionINS8_6system6detail7generic6detail18binary_search_lessEbEEEE10hipError_tPvRmT1_T2_T3_mmT4_T5_P12ihipStream_tbEUlRKfE_EESV_SZ_S10_mS11_S14_bEUlT_E_NS1_11comp_targetILNS1_3genE9ELNS1_11target_archE1100ELNS1_3gpuE3ELNS1_3repE0EEENS1_30default_config_static_selectorELNS0_4arch9wavefront6targetE0EEEvSY_.uses_vcc, 0
	.set _ZN7rocprim17ROCPRIM_400000_NS6detail17trampoline_kernelINS0_14default_configENS1_27upper_bound_config_selectorIflEEZNS1_14transform_implILb0ES3_S5_N6thrust23THRUST_200600_302600_NS6detail15normal_iteratorINS8_7pointerIfNS8_11hip_rocprim9par_det_tENS8_11use_defaultESE_EEEENSA_INSB_IlSD_SE_SE_EEEEZNS1_13binary_searchIS3_S5_NSA_INS8_10device_ptrIfEEEESG_SI_NS1_21upper_bound_search_opENS9_16wrapped_functionINS8_6system6detail7generic6detail18binary_search_lessEbEEEE10hipError_tPvRmT1_T2_T3_mmT4_T5_P12ihipStream_tbEUlRKfE_EESV_SZ_S10_mS11_S14_bEUlT_E_NS1_11comp_targetILNS1_3genE9ELNS1_11target_archE1100ELNS1_3gpuE3ELNS1_3repE0EEENS1_30default_config_static_selectorELNS0_4arch9wavefront6targetE0EEEvSY_.uses_flat_scratch, 0
	.set _ZN7rocprim17ROCPRIM_400000_NS6detail17trampoline_kernelINS0_14default_configENS1_27upper_bound_config_selectorIflEEZNS1_14transform_implILb0ES3_S5_N6thrust23THRUST_200600_302600_NS6detail15normal_iteratorINS8_7pointerIfNS8_11hip_rocprim9par_det_tENS8_11use_defaultESE_EEEENSA_INSB_IlSD_SE_SE_EEEEZNS1_13binary_searchIS3_S5_NSA_INS8_10device_ptrIfEEEESG_SI_NS1_21upper_bound_search_opENS9_16wrapped_functionINS8_6system6detail7generic6detail18binary_search_lessEbEEEE10hipError_tPvRmT1_T2_T3_mmT4_T5_P12ihipStream_tbEUlRKfE_EESV_SZ_S10_mS11_S14_bEUlT_E_NS1_11comp_targetILNS1_3genE9ELNS1_11target_archE1100ELNS1_3gpuE3ELNS1_3repE0EEENS1_30default_config_static_selectorELNS0_4arch9wavefront6targetE0EEEvSY_.has_dyn_sized_stack, 0
	.set _ZN7rocprim17ROCPRIM_400000_NS6detail17trampoline_kernelINS0_14default_configENS1_27upper_bound_config_selectorIflEEZNS1_14transform_implILb0ES3_S5_N6thrust23THRUST_200600_302600_NS6detail15normal_iteratorINS8_7pointerIfNS8_11hip_rocprim9par_det_tENS8_11use_defaultESE_EEEENSA_INSB_IlSD_SE_SE_EEEEZNS1_13binary_searchIS3_S5_NSA_INS8_10device_ptrIfEEEESG_SI_NS1_21upper_bound_search_opENS9_16wrapped_functionINS8_6system6detail7generic6detail18binary_search_lessEbEEEE10hipError_tPvRmT1_T2_T3_mmT4_T5_P12ihipStream_tbEUlRKfE_EESV_SZ_S10_mS11_S14_bEUlT_E_NS1_11comp_targetILNS1_3genE9ELNS1_11target_archE1100ELNS1_3gpuE3ELNS1_3repE0EEENS1_30default_config_static_selectorELNS0_4arch9wavefront6targetE0EEEvSY_.has_recursion, 0
	.set _ZN7rocprim17ROCPRIM_400000_NS6detail17trampoline_kernelINS0_14default_configENS1_27upper_bound_config_selectorIflEEZNS1_14transform_implILb0ES3_S5_N6thrust23THRUST_200600_302600_NS6detail15normal_iteratorINS8_7pointerIfNS8_11hip_rocprim9par_det_tENS8_11use_defaultESE_EEEENSA_INSB_IlSD_SE_SE_EEEEZNS1_13binary_searchIS3_S5_NSA_INS8_10device_ptrIfEEEESG_SI_NS1_21upper_bound_search_opENS9_16wrapped_functionINS8_6system6detail7generic6detail18binary_search_lessEbEEEE10hipError_tPvRmT1_T2_T3_mmT4_T5_P12ihipStream_tbEUlRKfE_EESV_SZ_S10_mS11_S14_bEUlT_E_NS1_11comp_targetILNS1_3genE9ELNS1_11target_archE1100ELNS1_3gpuE3ELNS1_3repE0EEENS1_30default_config_static_selectorELNS0_4arch9wavefront6targetE0EEEvSY_.has_indirect_call, 0
	.section	.AMDGPU.csdata,"",@progbits
; Kernel info:
; codeLenInByte = 0
; TotalNumSgprs: 0
; NumVgprs: 0
; ScratchSize: 0
; MemoryBound: 0
; FloatMode: 240
; IeeeMode: 1
; LDSByteSize: 0 bytes/workgroup (compile time only)
; SGPRBlocks: 0
; VGPRBlocks: 0
; NumSGPRsForWavesPerEU: 1
; NumVGPRsForWavesPerEU: 1
; Occupancy: 16
; WaveLimiterHint : 0
; COMPUTE_PGM_RSRC2:SCRATCH_EN: 0
; COMPUTE_PGM_RSRC2:USER_SGPR: 6
; COMPUTE_PGM_RSRC2:TRAP_HANDLER: 0
; COMPUTE_PGM_RSRC2:TGID_X_EN: 1
; COMPUTE_PGM_RSRC2:TGID_Y_EN: 0
; COMPUTE_PGM_RSRC2:TGID_Z_EN: 0
; COMPUTE_PGM_RSRC2:TIDIG_COMP_CNT: 0
	.section	.text._ZN7rocprim17ROCPRIM_400000_NS6detail17trampoline_kernelINS0_14default_configENS1_27upper_bound_config_selectorIflEEZNS1_14transform_implILb0ES3_S5_N6thrust23THRUST_200600_302600_NS6detail15normal_iteratorINS8_7pointerIfNS8_11hip_rocprim9par_det_tENS8_11use_defaultESE_EEEENSA_INSB_IlSD_SE_SE_EEEEZNS1_13binary_searchIS3_S5_NSA_INS8_10device_ptrIfEEEESG_SI_NS1_21upper_bound_search_opENS9_16wrapped_functionINS8_6system6detail7generic6detail18binary_search_lessEbEEEE10hipError_tPvRmT1_T2_T3_mmT4_T5_P12ihipStream_tbEUlRKfE_EESV_SZ_S10_mS11_S14_bEUlT_E_NS1_11comp_targetILNS1_3genE8ELNS1_11target_archE1030ELNS1_3gpuE2ELNS1_3repE0EEENS1_30default_config_static_selectorELNS0_4arch9wavefront6targetE0EEEvSY_,"axG",@progbits,_ZN7rocprim17ROCPRIM_400000_NS6detail17trampoline_kernelINS0_14default_configENS1_27upper_bound_config_selectorIflEEZNS1_14transform_implILb0ES3_S5_N6thrust23THRUST_200600_302600_NS6detail15normal_iteratorINS8_7pointerIfNS8_11hip_rocprim9par_det_tENS8_11use_defaultESE_EEEENSA_INSB_IlSD_SE_SE_EEEEZNS1_13binary_searchIS3_S5_NSA_INS8_10device_ptrIfEEEESG_SI_NS1_21upper_bound_search_opENS9_16wrapped_functionINS8_6system6detail7generic6detail18binary_search_lessEbEEEE10hipError_tPvRmT1_T2_T3_mmT4_T5_P12ihipStream_tbEUlRKfE_EESV_SZ_S10_mS11_S14_bEUlT_E_NS1_11comp_targetILNS1_3genE8ELNS1_11target_archE1030ELNS1_3gpuE2ELNS1_3repE0EEENS1_30default_config_static_selectorELNS0_4arch9wavefront6targetE0EEEvSY_,comdat
	.protected	_ZN7rocprim17ROCPRIM_400000_NS6detail17trampoline_kernelINS0_14default_configENS1_27upper_bound_config_selectorIflEEZNS1_14transform_implILb0ES3_S5_N6thrust23THRUST_200600_302600_NS6detail15normal_iteratorINS8_7pointerIfNS8_11hip_rocprim9par_det_tENS8_11use_defaultESE_EEEENSA_INSB_IlSD_SE_SE_EEEEZNS1_13binary_searchIS3_S5_NSA_INS8_10device_ptrIfEEEESG_SI_NS1_21upper_bound_search_opENS9_16wrapped_functionINS8_6system6detail7generic6detail18binary_search_lessEbEEEE10hipError_tPvRmT1_T2_T3_mmT4_T5_P12ihipStream_tbEUlRKfE_EESV_SZ_S10_mS11_S14_bEUlT_E_NS1_11comp_targetILNS1_3genE8ELNS1_11target_archE1030ELNS1_3gpuE2ELNS1_3repE0EEENS1_30default_config_static_selectorELNS0_4arch9wavefront6targetE0EEEvSY_ ; -- Begin function _ZN7rocprim17ROCPRIM_400000_NS6detail17trampoline_kernelINS0_14default_configENS1_27upper_bound_config_selectorIflEEZNS1_14transform_implILb0ES3_S5_N6thrust23THRUST_200600_302600_NS6detail15normal_iteratorINS8_7pointerIfNS8_11hip_rocprim9par_det_tENS8_11use_defaultESE_EEEENSA_INSB_IlSD_SE_SE_EEEEZNS1_13binary_searchIS3_S5_NSA_INS8_10device_ptrIfEEEESG_SI_NS1_21upper_bound_search_opENS9_16wrapped_functionINS8_6system6detail7generic6detail18binary_search_lessEbEEEE10hipError_tPvRmT1_T2_T3_mmT4_T5_P12ihipStream_tbEUlRKfE_EESV_SZ_S10_mS11_S14_bEUlT_E_NS1_11comp_targetILNS1_3genE8ELNS1_11target_archE1030ELNS1_3gpuE2ELNS1_3repE0EEENS1_30default_config_static_selectorELNS0_4arch9wavefront6targetE0EEEvSY_
	.globl	_ZN7rocprim17ROCPRIM_400000_NS6detail17trampoline_kernelINS0_14default_configENS1_27upper_bound_config_selectorIflEEZNS1_14transform_implILb0ES3_S5_N6thrust23THRUST_200600_302600_NS6detail15normal_iteratorINS8_7pointerIfNS8_11hip_rocprim9par_det_tENS8_11use_defaultESE_EEEENSA_INSB_IlSD_SE_SE_EEEEZNS1_13binary_searchIS3_S5_NSA_INS8_10device_ptrIfEEEESG_SI_NS1_21upper_bound_search_opENS9_16wrapped_functionINS8_6system6detail7generic6detail18binary_search_lessEbEEEE10hipError_tPvRmT1_T2_T3_mmT4_T5_P12ihipStream_tbEUlRKfE_EESV_SZ_S10_mS11_S14_bEUlT_E_NS1_11comp_targetILNS1_3genE8ELNS1_11target_archE1030ELNS1_3gpuE2ELNS1_3repE0EEENS1_30default_config_static_selectorELNS0_4arch9wavefront6targetE0EEEvSY_
	.p2align	8
	.type	_ZN7rocprim17ROCPRIM_400000_NS6detail17trampoline_kernelINS0_14default_configENS1_27upper_bound_config_selectorIflEEZNS1_14transform_implILb0ES3_S5_N6thrust23THRUST_200600_302600_NS6detail15normal_iteratorINS8_7pointerIfNS8_11hip_rocprim9par_det_tENS8_11use_defaultESE_EEEENSA_INSB_IlSD_SE_SE_EEEEZNS1_13binary_searchIS3_S5_NSA_INS8_10device_ptrIfEEEESG_SI_NS1_21upper_bound_search_opENS9_16wrapped_functionINS8_6system6detail7generic6detail18binary_search_lessEbEEEE10hipError_tPvRmT1_T2_T3_mmT4_T5_P12ihipStream_tbEUlRKfE_EESV_SZ_S10_mS11_S14_bEUlT_E_NS1_11comp_targetILNS1_3genE8ELNS1_11target_archE1030ELNS1_3gpuE2ELNS1_3repE0EEENS1_30default_config_static_selectorELNS0_4arch9wavefront6targetE0EEEvSY_,@function
_ZN7rocprim17ROCPRIM_400000_NS6detail17trampoline_kernelINS0_14default_configENS1_27upper_bound_config_selectorIflEEZNS1_14transform_implILb0ES3_S5_N6thrust23THRUST_200600_302600_NS6detail15normal_iteratorINS8_7pointerIfNS8_11hip_rocprim9par_det_tENS8_11use_defaultESE_EEEENSA_INSB_IlSD_SE_SE_EEEEZNS1_13binary_searchIS3_S5_NSA_INS8_10device_ptrIfEEEESG_SI_NS1_21upper_bound_search_opENS9_16wrapped_functionINS8_6system6detail7generic6detail18binary_search_lessEbEEEE10hipError_tPvRmT1_T2_T3_mmT4_T5_P12ihipStream_tbEUlRKfE_EESV_SZ_S10_mS11_S14_bEUlT_E_NS1_11comp_targetILNS1_3genE8ELNS1_11target_archE1030ELNS1_3gpuE2ELNS1_3repE0EEENS1_30default_config_static_selectorELNS0_4arch9wavefront6targetE0EEEvSY_: ; @_ZN7rocprim17ROCPRIM_400000_NS6detail17trampoline_kernelINS0_14default_configENS1_27upper_bound_config_selectorIflEEZNS1_14transform_implILb0ES3_S5_N6thrust23THRUST_200600_302600_NS6detail15normal_iteratorINS8_7pointerIfNS8_11hip_rocprim9par_det_tENS8_11use_defaultESE_EEEENSA_INSB_IlSD_SE_SE_EEEEZNS1_13binary_searchIS3_S5_NSA_INS8_10device_ptrIfEEEESG_SI_NS1_21upper_bound_search_opENS9_16wrapped_functionINS8_6system6detail7generic6detail18binary_search_lessEbEEEE10hipError_tPvRmT1_T2_T3_mmT4_T5_P12ihipStream_tbEUlRKfE_EESV_SZ_S10_mS11_S14_bEUlT_E_NS1_11comp_targetILNS1_3genE8ELNS1_11target_archE1030ELNS1_3gpuE2ELNS1_3repE0EEENS1_30default_config_static_selectorELNS0_4arch9wavefront6targetE0EEEvSY_
; %bb.0:
	s_clause 0x3
	s_load_dwordx4 s[12:15], s[4:5], 0x0
	s_load_dwordx4 s[0:3], s[4:5], 0x18
	s_load_dword s16, s[4:5], 0x38
	s_load_dwordx2 s[10:11], s[4:5], 0x28
	s_waitcnt lgkmcnt(0)
	s_lshl_b64 s[8:9], s[14:15], 2
	s_add_u32 s12, s12, s8
	s_addc_u32 s13, s13, s9
	s_lshl_b64 s[8:9], s[14:15], 3
	s_add_u32 s7, s0, s8
	s_addc_u32 s1, s1, s9
	s_add_i32 s16, s16, -1
	s_lshl_b32 s8, s6, 8
	s_mov_b32 s9, 0
	s_cmp_lg_u32 s6, s16
	s_mov_b32 s0, -1
	s_cbranch_scc0 .LBB526_7
; %bb.1:
	s_cmp_eq_u64 s[10:11], 0
	s_cbranch_scc1 .LBB526_5
; %bb.2:
	v_lshlrev_b32_e32 v1, 2, v0
	s_lshl_b64 s[14:15], s[8:9], 2
	v_mov_b32_e32 v3, s10
	s_add_u32 s0, s12, s14
	s_addc_u32 s6, s13, s15
	v_add_co_u32 v1, s0, s0, v1
	v_add_co_ci_u32_e64 v2, null, s6, 0, s0
	v_mov_b32_e32 v4, s11
	s_mov_b32 s0, 0
	flat_load_dword v5, v[1:2]
	v_mov_b32_e32 v1, 0
	v_mov_b32_e32 v2, 0
	s_inst_prefetch 0x1
	.p2align	6
.LBB526_3:                              ; =>This Inner Loop Header: Depth=1
	v_sub_co_u32 v6, vcc_lo, v3, v1
	v_sub_co_ci_u32_e64 v7, null, v4, v2, vcc_lo
	v_lshrrev_b64 v[8:9], 1, v[6:7]
	v_lshrrev_b64 v[6:7], 6, v[6:7]
	v_add_co_u32 v8, vcc_lo, v8, v1
	v_add_co_ci_u32_e64 v9, null, v9, v2, vcc_lo
	v_add_co_u32 v6, vcc_lo, v8, v6
	v_add_co_ci_u32_e64 v7, null, v9, v7, vcc_lo
	v_lshlrev_b64 v[8:9], 2, v[6:7]
	v_add_co_u32 v8, vcc_lo, s2, v8
	v_add_co_ci_u32_e64 v9, null, s3, v9, vcc_lo
	global_load_dword v8, v[8:9], off
	v_add_co_u32 v9, vcc_lo, v6, 1
	v_add_co_ci_u32_e64 v10, null, 0, v7, vcc_lo
	s_waitcnt vmcnt(0) lgkmcnt(0)
	v_cmp_lt_f32_e32 vcc_lo, v5, v8
	v_cndmask_b32_e32 v4, v4, v7, vcc_lo
	v_cndmask_b32_e32 v3, v3, v6, vcc_lo
	;; [unrolled: 1-line block ×4, first 2 shown]
	v_cmp_ge_u64_e32 vcc_lo, v[1:2], v[3:4]
	s_or_b32 s0, vcc_lo, s0
	s_andn2_b32 exec_lo, exec_lo, s0
	s_cbranch_execnz .LBB526_3
; %bb.4:
	s_inst_prefetch 0x2
	s_or_b32 exec_lo, exec_lo, s0
	s_branch .LBB526_6
.LBB526_5:
	v_mov_b32_e32 v1, 0
	v_mov_b32_e32 v2, 0
.LBB526_6:
	v_lshlrev_b32_e32 v3, 3, v0
	s_lshl_b64 s[14:15], s[8:9], 3
	s_add_u32 s0, s7, s14
	s_addc_u32 s6, s1, s15
	v_add_co_u32 v3, s0, s0, v3
	v_add_co_ci_u32_e64 v4, null, s6, 0, s0
	s_mov_b32 s0, 0
	flat_store_dwordx2 v[3:4], v[1:2]
.LBB526_7:
	s_and_b32 vcc_lo, exec_lo, s0
	s_cbranch_vccz .LBB526_16
; %bb.8:
	s_load_dword s0, s[4:5], 0x10
                                        ; implicit-def: $vgpr5
	s_waitcnt lgkmcnt(0)
	s_sub_i32 s4, s0, s8
	v_cmp_le_u32_e64 s0, s4, v0
	v_cmp_gt_u32_e32 vcc_lo, s4, v0
	s_and_saveexec_b32 s4, vcc_lo
	s_cbranch_execz .LBB526_10
; %bb.9:
	v_lshlrev_b32_e32 v1, 2, v0
	s_lshl_b64 s[14:15], s[8:9], 2
	s_add_u32 s5, s12, s14
	s_addc_u32 s6, s13, s15
	v_add_co_u32 v1, s5, s5, v1
	v_add_co_ci_u32_e64 v2, null, s6, 0, s5
	flat_load_dword v5, v[1:2]
.LBB526_10:
	s_or_b32 exec_lo, exec_lo, s4
	s_cmp_lg_u64 s[10:11], 0
	v_mov_b32_e32 v1, 0
	v_mov_b32_e32 v2, 0
	s_cselect_b32 s4, -1, 0
	s_xor_b32 s0, s0, -1
	s_and_b32 s0, s0, s4
	s_and_saveexec_b32 s4, s0
	s_cbranch_execz .LBB526_14
; %bb.11:
	v_mov_b32_e32 v1, 0
	v_mov_b32_e32 v3, s10
	;; [unrolled: 1-line block ×4, first 2 shown]
	s_mov_b32 s5, 0
	s_inst_prefetch 0x1
	.p2align	6
.LBB526_12:                             ; =>This Inner Loop Header: Depth=1
	v_sub_co_u32 v6, s0, v3, v1
	v_sub_co_ci_u32_e64 v7, null, v4, v2, s0
	v_lshrrev_b64 v[8:9], 1, v[6:7]
	v_lshrrev_b64 v[6:7], 6, v[6:7]
	v_add_co_u32 v8, s0, v8, v1
	v_add_co_ci_u32_e64 v9, null, v9, v2, s0
	v_add_co_u32 v6, s0, v8, v6
	v_add_co_ci_u32_e64 v7, null, v9, v7, s0
	v_lshlrev_b64 v[8:9], 2, v[6:7]
	v_add_co_u32 v8, s0, s2, v8
	v_add_co_ci_u32_e64 v9, null, s3, v9, s0
	global_load_dword v8, v[8:9], off
	v_add_co_u32 v9, s0, v6, 1
	v_add_co_ci_u32_e64 v10, null, 0, v7, s0
	s_waitcnt vmcnt(0) lgkmcnt(0)
	v_cmp_lt_f32_e64 s0, v5, v8
	v_cndmask_b32_e64 v4, v4, v7, s0
	v_cndmask_b32_e64 v3, v3, v6, s0
	;; [unrolled: 1-line block ×4, first 2 shown]
	v_cmp_ge_u64_e64 s0, v[1:2], v[3:4]
	s_or_b32 s5, s0, s5
	s_andn2_b32 exec_lo, exec_lo, s5
	s_cbranch_execnz .LBB526_12
; %bb.13:
	s_inst_prefetch 0x2
	s_or_b32 exec_lo, exec_lo, s5
.LBB526_14:
	s_or_b32 exec_lo, exec_lo, s4
	s_and_saveexec_b32 s0, vcc_lo
	s_cbranch_execz .LBB526_16
; %bb.15:
	v_lshlrev_b32_e32 v0, 3, v0
	s_lshl_b64 s[2:3], s[8:9], 3
	s_add_u32 s0, s7, s2
	s_addc_u32 s1, s1, s3
	v_add_co_u32 v3, s0, s0, v0
	v_add_co_ci_u32_e64 v4, null, s1, 0, s0
	flat_store_dwordx2 v[3:4], v[1:2]
.LBB526_16:
	s_endpgm
	.section	.rodata,"a",@progbits
	.p2align	6, 0x0
	.amdhsa_kernel _ZN7rocprim17ROCPRIM_400000_NS6detail17trampoline_kernelINS0_14default_configENS1_27upper_bound_config_selectorIflEEZNS1_14transform_implILb0ES3_S5_N6thrust23THRUST_200600_302600_NS6detail15normal_iteratorINS8_7pointerIfNS8_11hip_rocprim9par_det_tENS8_11use_defaultESE_EEEENSA_INSB_IlSD_SE_SE_EEEEZNS1_13binary_searchIS3_S5_NSA_INS8_10device_ptrIfEEEESG_SI_NS1_21upper_bound_search_opENS9_16wrapped_functionINS8_6system6detail7generic6detail18binary_search_lessEbEEEE10hipError_tPvRmT1_T2_T3_mmT4_T5_P12ihipStream_tbEUlRKfE_EESV_SZ_S10_mS11_S14_bEUlT_E_NS1_11comp_targetILNS1_3genE8ELNS1_11target_archE1030ELNS1_3gpuE2ELNS1_3repE0EEENS1_30default_config_static_selectorELNS0_4arch9wavefront6targetE0EEEvSY_
		.amdhsa_group_segment_fixed_size 0
		.amdhsa_private_segment_fixed_size 0
		.amdhsa_kernarg_size 312
		.amdhsa_user_sgpr_count 6
		.amdhsa_user_sgpr_private_segment_buffer 1
		.amdhsa_user_sgpr_dispatch_ptr 0
		.amdhsa_user_sgpr_queue_ptr 0
		.amdhsa_user_sgpr_kernarg_segment_ptr 1
		.amdhsa_user_sgpr_dispatch_id 0
		.amdhsa_user_sgpr_flat_scratch_init 0
		.amdhsa_user_sgpr_private_segment_size 0
		.amdhsa_wavefront_size32 1
		.amdhsa_uses_dynamic_stack 0
		.amdhsa_system_sgpr_private_segment_wavefront_offset 0
		.amdhsa_system_sgpr_workgroup_id_x 1
		.amdhsa_system_sgpr_workgroup_id_y 0
		.amdhsa_system_sgpr_workgroup_id_z 0
		.amdhsa_system_sgpr_workgroup_info 0
		.amdhsa_system_vgpr_workitem_id 0
		.amdhsa_next_free_vgpr 11
		.amdhsa_next_free_sgpr 17
		.amdhsa_reserve_vcc 1
		.amdhsa_reserve_flat_scratch 0
		.amdhsa_float_round_mode_32 0
		.amdhsa_float_round_mode_16_64 0
		.amdhsa_float_denorm_mode_32 3
		.amdhsa_float_denorm_mode_16_64 3
		.amdhsa_dx10_clamp 1
		.amdhsa_ieee_mode 1
		.amdhsa_fp16_overflow 0
		.amdhsa_workgroup_processor_mode 1
		.amdhsa_memory_ordered 1
		.amdhsa_forward_progress 1
		.amdhsa_shared_vgpr_count 0
		.amdhsa_exception_fp_ieee_invalid_op 0
		.amdhsa_exception_fp_denorm_src 0
		.amdhsa_exception_fp_ieee_div_zero 0
		.amdhsa_exception_fp_ieee_overflow 0
		.amdhsa_exception_fp_ieee_underflow 0
		.amdhsa_exception_fp_ieee_inexact 0
		.amdhsa_exception_int_div_zero 0
	.end_amdhsa_kernel
	.section	.text._ZN7rocprim17ROCPRIM_400000_NS6detail17trampoline_kernelINS0_14default_configENS1_27upper_bound_config_selectorIflEEZNS1_14transform_implILb0ES3_S5_N6thrust23THRUST_200600_302600_NS6detail15normal_iteratorINS8_7pointerIfNS8_11hip_rocprim9par_det_tENS8_11use_defaultESE_EEEENSA_INSB_IlSD_SE_SE_EEEEZNS1_13binary_searchIS3_S5_NSA_INS8_10device_ptrIfEEEESG_SI_NS1_21upper_bound_search_opENS9_16wrapped_functionINS8_6system6detail7generic6detail18binary_search_lessEbEEEE10hipError_tPvRmT1_T2_T3_mmT4_T5_P12ihipStream_tbEUlRKfE_EESV_SZ_S10_mS11_S14_bEUlT_E_NS1_11comp_targetILNS1_3genE8ELNS1_11target_archE1030ELNS1_3gpuE2ELNS1_3repE0EEENS1_30default_config_static_selectorELNS0_4arch9wavefront6targetE0EEEvSY_,"axG",@progbits,_ZN7rocprim17ROCPRIM_400000_NS6detail17trampoline_kernelINS0_14default_configENS1_27upper_bound_config_selectorIflEEZNS1_14transform_implILb0ES3_S5_N6thrust23THRUST_200600_302600_NS6detail15normal_iteratorINS8_7pointerIfNS8_11hip_rocprim9par_det_tENS8_11use_defaultESE_EEEENSA_INSB_IlSD_SE_SE_EEEEZNS1_13binary_searchIS3_S5_NSA_INS8_10device_ptrIfEEEESG_SI_NS1_21upper_bound_search_opENS9_16wrapped_functionINS8_6system6detail7generic6detail18binary_search_lessEbEEEE10hipError_tPvRmT1_T2_T3_mmT4_T5_P12ihipStream_tbEUlRKfE_EESV_SZ_S10_mS11_S14_bEUlT_E_NS1_11comp_targetILNS1_3genE8ELNS1_11target_archE1030ELNS1_3gpuE2ELNS1_3repE0EEENS1_30default_config_static_selectorELNS0_4arch9wavefront6targetE0EEEvSY_,comdat
.Lfunc_end526:
	.size	_ZN7rocprim17ROCPRIM_400000_NS6detail17trampoline_kernelINS0_14default_configENS1_27upper_bound_config_selectorIflEEZNS1_14transform_implILb0ES3_S5_N6thrust23THRUST_200600_302600_NS6detail15normal_iteratorINS8_7pointerIfNS8_11hip_rocprim9par_det_tENS8_11use_defaultESE_EEEENSA_INSB_IlSD_SE_SE_EEEEZNS1_13binary_searchIS3_S5_NSA_INS8_10device_ptrIfEEEESG_SI_NS1_21upper_bound_search_opENS9_16wrapped_functionINS8_6system6detail7generic6detail18binary_search_lessEbEEEE10hipError_tPvRmT1_T2_T3_mmT4_T5_P12ihipStream_tbEUlRKfE_EESV_SZ_S10_mS11_S14_bEUlT_E_NS1_11comp_targetILNS1_3genE8ELNS1_11target_archE1030ELNS1_3gpuE2ELNS1_3repE0EEENS1_30default_config_static_selectorELNS0_4arch9wavefront6targetE0EEEvSY_, .Lfunc_end526-_ZN7rocprim17ROCPRIM_400000_NS6detail17trampoline_kernelINS0_14default_configENS1_27upper_bound_config_selectorIflEEZNS1_14transform_implILb0ES3_S5_N6thrust23THRUST_200600_302600_NS6detail15normal_iteratorINS8_7pointerIfNS8_11hip_rocprim9par_det_tENS8_11use_defaultESE_EEEENSA_INSB_IlSD_SE_SE_EEEEZNS1_13binary_searchIS3_S5_NSA_INS8_10device_ptrIfEEEESG_SI_NS1_21upper_bound_search_opENS9_16wrapped_functionINS8_6system6detail7generic6detail18binary_search_lessEbEEEE10hipError_tPvRmT1_T2_T3_mmT4_T5_P12ihipStream_tbEUlRKfE_EESV_SZ_S10_mS11_S14_bEUlT_E_NS1_11comp_targetILNS1_3genE8ELNS1_11target_archE1030ELNS1_3gpuE2ELNS1_3repE0EEENS1_30default_config_static_selectorELNS0_4arch9wavefront6targetE0EEEvSY_
                                        ; -- End function
	.set _ZN7rocprim17ROCPRIM_400000_NS6detail17trampoline_kernelINS0_14default_configENS1_27upper_bound_config_selectorIflEEZNS1_14transform_implILb0ES3_S5_N6thrust23THRUST_200600_302600_NS6detail15normal_iteratorINS8_7pointerIfNS8_11hip_rocprim9par_det_tENS8_11use_defaultESE_EEEENSA_INSB_IlSD_SE_SE_EEEEZNS1_13binary_searchIS3_S5_NSA_INS8_10device_ptrIfEEEESG_SI_NS1_21upper_bound_search_opENS9_16wrapped_functionINS8_6system6detail7generic6detail18binary_search_lessEbEEEE10hipError_tPvRmT1_T2_T3_mmT4_T5_P12ihipStream_tbEUlRKfE_EESV_SZ_S10_mS11_S14_bEUlT_E_NS1_11comp_targetILNS1_3genE8ELNS1_11target_archE1030ELNS1_3gpuE2ELNS1_3repE0EEENS1_30default_config_static_selectorELNS0_4arch9wavefront6targetE0EEEvSY_.num_vgpr, 11
	.set _ZN7rocprim17ROCPRIM_400000_NS6detail17trampoline_kernelINS0_14default_configENS1_27upper_bound_config_selectorIflEEZNS1_14transform_implILb0ES3_S5_N6thrust23THRUST_200600_302600_NS6detail15normal_iteratorINS8_7pointerIfNS8_11hip_rocprim9par_det_tENS8_11use_defaultESE_EEEENSA_INSB_IlSD_SE_SE_EEEEZNS1_13binary_searchIS3_S5_NSA_INS8_10device_ptrIfEEEESG_SI_NS1_21upper_bound_search_opENS9_16wrapped_functionINS8_6system6detail7generic6detail18binary_search_lessEbEEEE10hipError_tPvRmT1_T2_T3_mmT4_T5_P12ihipStream_tbEUlRKfE_EESV_SZ_S10_mS11_S14_bEUlT_E_NS1_11comp_targetILNS1_3genE8ELNS1_11target_archE1030ELNS1_3gpuE2ELNS1_3repE0EEENS1_30default_config_static_selectorELNS0_4arch9wavefront6targetE0EEEvSY_.num_agpr, 0
	.set _ZN7rocprim17ROCPRIM_400000_NS6detail17trampoline_kernelINS0_14default_configENS1_27upper_bound_config_selectorIflEEZNS1_14transform_implILb0ES3_S5_N6thrust23THRUST_200600_302600_NS6detail15normal_iteratorINS8_7pointerIfNS8_11hip_rocprim9par_det_tENS8_11use_defaultESE_EEEENSA_INSB_IlSD_SE_SE_EEEEZNS1_13binary_searchIS3_S5_NSA_INS8_10device_ptrIfEEEESG_SI_NS1_21upper_bound_search_opENS9_16wrapped_functionINS8_6system6detail7generic6detail18binary_search_lessEbEEEE10hipError_tPvRmT1_T2_T3_mmT4_T5_P12ihipStream_tbEUlRKfE_EESV_SZ_S10_mS11_S14_bEUlT_E_NS1_11comp_targetILNS1_3genE8ELNS1_11target_archE1030ELNS1_3gpuE2ELNS1_3repE0EEENS1_30default_config_static_selectorELNS0_4arch9wavefront6targetE0EEEvSY_.numbered_sgpr, 17
	.set _ZN7rocprim17ROCPRIM_400000_NS6detail17trampoline_kernelINS0_14default_configENS1_27upper_bound_config_selectorIflEEZNS1_14transform_implILb0ES3_S5_N6thrust23THRUST_200600_302600_NS6detail15normal_iteratorINS8_7pointerIfNS8_11hip_rocprim9par_det_tENS8_11use_defaultESE_EEEENSA_INSB_IlSD_SE_SE_EEEEZNS1_13binary_searchIS3_S5_NSA_INS8_10device_ptrIfEEEESG_SI_NS1_21upper_bound_search_opENS9_16wrapped_functionINS8_6system6detail7generic6detail18binary_search_lessEbEEEE10hipError_tPvRmT1_T2_T3_mmT4_T5_P12ihipStream_tbEUlRKfE_EESV_SZ_S10_mS11_S14_bEUlT_E_NS1_11comp_targetILNS1_3genE8ELNS1_11target_archE1030ELNS1_3gpuE2ELNS1_3repE0EEENS1_30default_config_static_selectorELNS0_4arch9wavefront6targetE0EEEvSY_.num_named_barrier, 0
	.set _ZN7rocprim17ROCPRIM_400000_NS6detail17trampoline_kernelINS0_14default_configENS1_27upper_bound_config_selectorIflEEZNS1_14transform_implILb0ES3_S5_N6thrust23THRUST_200600_302600_NS6detail15normal_iteratorINS8_7pointerIfNS8_11hip_rocprim9par_det_tENS8_11use_defaultESE_EEEENSA_INSB_IlSD_SE_SE_EEEEZNS1_13binary_searchIS3_S5_NSA_INS8_10device_ptrIfEEEESG_SI_NS1_21upper_bound_search_opENS9_16wrapped_functionINS8_6system6detail7generic6detail18binary_search_lessEbEEEE10hipError_tPvRmT1_T2_T3_mmT4_T5_P12ihipStream_tbEUlRKfE_EESV_SZ_S10_mS11_S14_bEUlT_E_NS1_11comp_targetILNS1_3genE8ELNS1_11target_archE1030ELNS1_3gpuE2ELNS1_3repE0EEENS1_30default_config_static_selectorELNS0_4arch9wavefront6targetE0EEEvSY_.private_seg_size, 0
	.set _ZN7rocprim17ROCPRIM_400000_NS6detail17trampoline_kernelINS0_14default_configENS1_27upper_bound_config_selectorIflEEZNS1_14transform_implILb0ES3_S5_N6thrust23THRUST_200600_302600_NS6detail15normal_iteratorINS8_7pointerIfNS8_11hip_rocprim9par_det_tENS8_11use_defaultESE_EEEENSA_INSB_IlSD_SE_SE_EEEEZNS1_13binary_searchIS3_S5_NSA_INS8_10device_ptrIfEEEESG_SI_NS1_21upper_bound_search_opENS9_16wrapped_functionINS8_6system6detail7generic6detail18binary_search_lessEbEEEE10hipError_tPvRmT1_T2_T3_mmT4_T5_P12ihipStream_tbEUlRKfE_EESV_SZ_S10_mS11_S14_bEUlT_E_NS1_11comp_targetILNS1_3genE8ELNS1_11target_archE1030ELNS1_3gpuE2ELNS1_3repE0EEENS1_30default_config_static_selectorELNS0_4arch9wavefront6targetE0EEEvSY_.uses_vcc, 1
	.set _ZN7rocprim17ROCPRIM_400000_NS6detail17trampoline_kernelINS0_14default_configENS1_27upper_bound_config_selectorIflEEZNS1_14transform_implILb0ES3_S5_N6thrust23THRUST_200600_302600_NS6detail15normal_iteratorINS8_7pointerIfNS8_11hip_rocprim9par_det_tENS8_11use_defaultESE_EEEENSA_INSB_IlSD_SE_SE_EEEEZNS1_13binary_searchIS3_S5_NSA_INS8_10device_ptrIfEEEESG_SI_NS1_21upper_bound_search_opENS9_16wrapped_functionINS8_6system6detail7generic6detail18binary_search_lessEbEEEE10hipError_tPvRmT1_T2_T3_mmT4_T5_P12ihipStream_tbEUlRKfE_EESV_SZ_S10_mS11_S14_bEUlT_E_NS1_11comp_targetILNS1_3genE8ELNS1_11target_archE1030ELNS1_3gpuE2ELNS1_3repE0EEENS1_30default_config_static_selectorELNS0_4arch9wavefront6targetE0EEEvSY_.uses_flat_scratch, 0
	.set _ZN7rocprim17ROCPRIM_400000_NS6detail17trampoline_kernelINS0_14default_configENS1_27upper_bound_config_selectorIflEEZNS1_14transform_implILb0ES3_S5_N6thrust23THRUST_200600_302600_NS6detail15normal_iteratorINS8_7pointerIfNS8_11hip_rocprim9par_det_tENS8_11use_defaultESE_EEEENSA_INSB_IlSD_SE_SE_EEEEZNS1_13binary_searchIS3_S5_NSA_INS8_10device_ptrIfEEEESG_SI_NS1_21upper_bound_search_opENS9_16wrapped_functionINS8_6system6detail7generic6detail18binary_search_lessEbEEEE10hipError_tPvRmT1_T2_T3_mmT4_T5_P12ihipStream_tbEUlRKfE_EESV_SZ_S10_mS11_S14_bEUlT_E_NS1_11comp_targetILNS1_3genE8ELNS1_11target_archE1030ELNS1_3gpuE2ELNS1_3repE0EEENS1_30default_config_static_selectorELNS0_4arch9wavefront6targetE0EEEvSY_.has_dyn_sized_stack, 0
	.set _ZN7rocprim17ROCPRIM_400000_NS6detail17trampoline_kernelINS0_14default_configENS1_27upper_bound_config_selectorIflEEZNS1_14transform_implILb0ES3_S5_N6thrust23THRUST_200600_302600_NS6detail15normal_iteratorINS8_7pointerIfNS8_11hip_rocprim9par_det_tENS8_11use_defaultESE_EEEENSA_INSB_IlSD_SE_SE_EEEEZNS1_13binary_searchIS3_S5_NSA_INS8_10device_ptrIfEEEESG_SI_NS1_21upper_bound_search_opENS9_16wrapped_functionINS8_6system6detail7generic6detail18binary_search_lessEbEEEE10hipError_tPvRmT1_T2_T3_mmT4_T5_P12ihipStream_tbEUlRKfE_EESV_SZ_S10_mS11_S14_bEUlT_E_NS1_11comp_targetILNS1_3genE8ELNS1_11target_archE1030ELNS1_3gpuE2ELNS1_3repE0EEENS1_30default_config_static_selectorELNS0_4arch9wavefront6targetE0EEEvSY_.has_recursion, 0
	.set _ZN7rocprim17ROCPRIM_400000_NS6detail17trampoline_kernelINS0_14default_configENS1_27upper_bound_config_selectorIflEEZNS1_14transform_implILb0ES3_S5_N6thrust23THRUST_200600_302600_NS6detail15normal_iteratorINS8_7pointerIfNS8_11hip_rocprim9par_det_tENS8_11use_defaultESE_EEEENSA_INSB_IlSD_SE_SE_EEEEZNS1_13binary_searchIS3_S5_NSA_INS8_10device_ptrIfEEEESG_SI_NS1_21upper_bound_search_opENS9_16wrapped_functionINS8_6system6detail7generic6detail18binary_search_lessEbEEEE10hipError_tPvRmT1_T2_T3_mmT4_T5_P12ihipStream_tbEUlRKfE_EESV_SZ_S10_mS11_S14_bEUlT_E_NS1_11comp_targetILNS1_3genE8ELNS1_11target_archE1030ELNS1_3gpuE2ELNS1_3repE0EEENS1_30default_config_static_selectorELNS0_4arch9wavefront6targetE0EEEvSY_.has_indirect_call, 0
	.section	.AMDGPU.csdata,"",@progbits
; Kernel info:
; codeLenInByte = 816
; TotalNumSgprs: 19
; NumVgprs: 11
; ScratchSize: 0
; MemoryBound: 0
; FloatMode: 240
; IeeeMode: 1
; LDSByteSize: 0 bytes/workgroup (compile time only)
; SGPRBlocks: 0
; VGPRBlocks: 1
; NumSGPRsForWavesPerEU: 19
; NumVGPRsForWavesPerEU: 11
; Occupancy: 16
; WaveLimiterHint : 0
; COMPUTE_PGM_RSRC2:SCRATCH_EN: 0
; COMPUTE_PGM_RSRC2:USER_SGPR: 6
; COMPUTE_PGM_RSRC2:TRAP_HANDLER: 0
; COMPUTE_PGM_RSRC2:TGID_X_EN: 1
; COMPUTE_PGM_RSRC2:TGID_Y_EN: 0
; COMPUTE_PGM_RSRC2:TGID_Z_EN: 0
; COMPUTE_PGM_RSRC2:TIDIG_COMP_CNT: 0
	.section	.text._ZN7rocprim17ROCPRIM_400000_NS6detail17trampoline_kernelINS0_14default_configENS1_27upper_bound_config_selectorIflEEZNS1_14transform_implILb0ES3_S5_N6thrust23THRUST_200600_302600_NS6detail15normal_iteratorINS8_7pointerIfNS8_11hip_rocprim5par_tENS8_11use_defaultESE_EEEENSA_INSB_IlSD_SE_SE_EEEEZNS1_13binary_searchIS3_S5_NSA_INS8_10device_ptrIfEEEESG_SI_NS1_21upper_bound_search_opENS9_16wrapped_functionINS8_6system6detail7generic6detail18binary_search_lessEbEEEE10hipError_tPvRmT1_T2_T3_mmT4_T5_P12ihipStream_tbEUlRKfE_EESV_SZ_S10_mS11_S14_bEUlT_E_NS1_11comp_targetILNS1_3genE0ELNS1_11target_archE4294967295ELNS1_3gpuE0ELNS1_3repE0EEENS1_30default_config_static_selectorELNS0_4arch9wavefront6targetE0EEEvSY_,"axG",@progbits,_ZN7rocprim17ROCPRIM_400000_NS6detail17trampoline_kernelINS0_14default_configENS1_27upper_bound_config_selectorIflEEZNS1_14transform_implILb0ES3_S5_N6thrust23THRUST_200600_302600_NS6detail15normal_iteratorINS8_7pointerIfNS8_11hip_rocprim5par_tENS8_11use_defaultESE_EEEENSA_INSB_IlSD_SE_SE_EEEEZNS1_13binary_searchIS3_S5_NSA_INS8_10device_ptrIfEEEESG_SI_NS1_21upper_bound_search_opENS9_16wrapped_functionINS8_6system6detail7generic6detail18binary_search_lessEbEEEE10hipError_tPvRmT1_T2_T3_mmT4_T5_P12ihipStream_tbEUlRKfE_EESV_SZ_S10_mS11_S14_bEUlT_E_NS1_11comp_targetILNS1_3genE0ELNS1_11target_archE4294967295ELNS1_3gpuE0ELNS1_3repE0EEENS1_30default_config_static_selectorELNS0_4arch9wavefront6targetE0EEEvSY_,comdat
	.protected	_ZN7rocprim17ROCPRIM_400000_NS6detail17trampoline_kernelINS0_14default_configENS1_27upper_bound_config_selectorIflEEZNS1_14transform_implILb0ES3_S5_N6thrust23THRUST_200600_302600_NS6detail15normal_iteratorINS8_7pointerIfNS8_11hip_rocprim5par_tENS8_11use_defaultESE_EEEENSA_INSB_IlSD_SE_SE_EEEEZNS1_13binary_searchIS3_S5_NSA_INS8_10device_ptrIfEEEESG_SI_NS1_21upper_bound_search_opENS9_16wrapped_functionINS8_6system6detail7generic6detail18binary_search_lessEbEEEE10hipError_tPvRmT1_T2_T3_mmT4_T5_P12ihipStream_tbEUlRKfE_EESV_SZ_S10_mS11_S14_bEUlT_E_NS1_11comp_targetILNS1_3genE0ELNS1_11target_archE4294967295ELNS1_3gpuE0ELNS1_3repE0EEENS1_30default_config_static_selectorELNS0_4arch9wavefront6targetE0EEEvSY_ ; -- Begin function _ZN7rocprim17ROCPRIM_400000_NS6detail17trampoline_kernelINS0_14default_configENS1_27upper_bound_config_selectorIflEEZNS1_14transform_implILb0ES3_S5_N6thrust23THRUST_200600_302600_NS6detail15normal_iteratorINS8_7pointerIfNS8_11hip_rocprim5par_tENS8_11use_defaultESE_EEEENSA_INSB_IlSD_SE_SE_EEEEZNS1_13binary_searchIS3_S5_NSA_INS8_10device_ptrIfEEEESG_SI_NS1_21upper_bound_search_opENS9_16wrapped_functionINS8_6system6detail7generic6detail18binary_search_lessEbEEEE10hipError_tPvRmT1_T2_T3_mmT4_T5_P12ihipStream_tbEUlRKfE_EESV_SZ_S10_mS11_S14_bEUlT_E_NS1_11comp_targetILNS1_3genE0ELNS1_11target_archE4294967295ELNS1_3gpuE0ELNS1_3repE0EEENS1_30default_config_static_selectorELNS0_4arch9wavefront6targetE0EEEvSY_
	.globl	_ZN7rocprim17ROCPRIM_400000_NS6detail17trampoline_kernelINS0_14default_configENS1_27upper_bound_config_selectorIflEEZNS1_14transform_implILb0ES3_S5_N6thrust23THRUST_200600_302600_NS6detail15normal_iteratorINS8_7pointerIfNS8_11hip_rocprim5par_tENS8_11use_defaultESE_EEEENSA_INSB_IlSD_SE_SE_EEEEZNS1_13binary_searchIS3_S5_NSA_INS8_10device_ptrIfEEEESG_SI_NS1_21upper_bound_search_opENS9_16wrapped_functionINS8_6system6detail7generic6detail18binary_search_lessEbEEEE10hipError_tPvRmT1_T2_T3_mmT4_T5_P12ihipStream_tbEUlRKfE_EESV_SZ_S10_mS11_S14_bEUlT_E_NS1_11comp_targetILNS1_3genE0ELNS1_11target_archE4294967295ELNS1_3gpuE0ELNS1_3repE0EEENS1_30default_config_static_selectorELNS0_4arch9wavefront6targetE0EEEvSY_
	.p2align	8
	.type	_ZN7rocprim17ROCPRIM_400000_NS6detail17trampoline_kernelINS0_14default_configENS1_27upper_bound_config_selectorIflEEZNS1_14transform_implILb0ES3_S5_N6thrust23THRUST_200600_302600_NS6detail15normal_iteratorINS8_7pointerIfNS8_11hip_rocprim5par_tENS8_11use_defaultESE_EEEENSA_INSB_IlSD_SE_SE_EEEEZNS1_13binary_searchIS3_S5_NSA_INS8_10device_ptrIfEEEESG_SI_NS1_21upper_bound_search_opENS9_16wrapped_functionINS8_6system6detail7generic6detail18binary_search_lessEbEEEE10hipError_tPvRmT1_T2_T3_mmT4_T5_P12ihipStream_tbEUlRKfE_EESV_SZ_S10_mS11_S14_bEUlT_E_NS1_11comp_targetILNS1_3genE0ELNS1_11target_archE4294967295ELNS1_3gpuE0ELNS1_3repE0EEENS1_30default_config_static_selectorELNS0_4arch9wavefront6targetE0EEEvSY_,@function
_ZN7rocprim17ROCPRIM_400000_NS6detail17trampoline_kernelINS0_14default_configENS1_27upper_bound_config_selectorIflEEZNS1_14transform_implILb0ES3_S5_N6thrust23THRUST_200600_302600_NS6detail15normal_iteratorINS8_7pointerIfNS8_11hip_rocprim5par_tENS8_11use_defaultESE_EEEENSA_INSB_IlSD_SE_SE_EEEEZNS1_13binary_searchIS3_S5_NSA_INS8_10device_ptrIfEEEESG_SI_NS1_21upper_bound_search_opENS9_16wrapped_functionINS8_6system6detail7generic6detail18binary_search_lessEbEEEE10hipError_tPvRmT1_T2_T3_mmT4_T5_P12ihipStream_tbEUlRKfE_EESV_SZ_S10_mS11_S14_bEUlT_E_NS1_11comp_targetILNS1_3genE0ELNS1_11target_archE4294967295ELNS1_3gpuE0ELNS1_3repE0EEENS1_30default_config_static_selectorELNS0_4arch9wavefront6targetE0EEEvSY_: ; @_ZN7rocprim17ROCPRIM_400000_NS6detail17trampoline_kernelINS0_14default_configENS1_27upper_bound_config_selectorIflEEZNS1_14transform_implILb0ES3_S5_N6thrust23THRUST_200600_302600_NS6detail15normal_iteratorINS8_7pointerIfNS8_11hip_rocprim5par_tENS8_11use_defaultESE_EEEENSA_INSB_IlSD_SE_SE_EEEEZNS1_13binary_searchIS3_S5_NSA_INS8_10device_ptrIfEEEESG_SI_NS1_21upper_bound_search_opENS9_16wrapped_functionINS8_6system6detail7generic6detail18binary_search_lessEbEEEE10hipError_tPvRmT1_T2_T3_mmT4_T5_P12ihipStream_tbEUlRKfE_EESV_SZ_S10_mS11_S14_bEUlT_E_NS1_11comp_targetILNS1_3genE0ELNS1_11target_archE4294967295ELNS1_3gpuE0ELNS1_3repE0EEENS1_30default_config_static_selectorELNS0_4arch9wavefront6targetE0EEEvSY_
; %bb.0:
	.section	.rodata,"a",@progbits
	.p2align	6, 0x0
	.amdhsa_kernel _ZN7rocprim17ROCPRIM_400000_NS6detail17trampoline_kernelINS0_14default_configENS1_27upper_bound_config_selectorIflEEZNS1_14transform_implILb0ES3_S5_N6thrust23THRUST_200600_302600_NS6detail15normal_iteratorINS8_7pointerIfNS8_11hip_rocprim5par_tENS8_11use_defaultESE_EEEENSA_INSB_IlSD_SE_SE_EEEEZNS1_13binary_searchIS3_S5_NSA_INS8_10device_ptrIfEEEESG_SI_NS1_21upper_bound_search_opENS9_16wrapped_functionINS8_6system6detail7generic6detail18binary_search_lessEbEEEE10hipError_tPvRmT1_T2_T3_mmT4_T5_P12ihipStream_tbEUlRKfE_EESV_SZ_S10_mS11_S14_bEUlT_E_NS1_11comp_targetILNS1_3genE0ELNS1_11target_archE4294967295ELNS1_3gpuE0ELNS1_3repE0EEENS1_30default_config_static_selectorELNS0_4arch9wavefront6targetE0EEEvSY_
		.amdhsa_group_segment_fixed_size 0
		.amdhsa_private_segment_fixed_size 0
		.amdhsa_kernarg_size 56
		.amdhsa_user_sgpr_count 6
		.amdhsa_user_sgpr_private_segment_buffer 1
		.amdhsa_user_sgpr_dispatch_ptr 0
		.amdhsa_user_sgpr_queue_ptr 0
		.amdhsa_user_sgpr_kernarg_segment_ptr 1
		.amdhsa_user_sgpr_dispatch_id 0
		.amdhsa_user_sgpr_flat_scratch_init 0
		.amdhsa_user_sgpr_private_segment_size 0
		.amdhsa_wavefront_size32 1
		.amdhsa_uses_dynamic_stack 0
		.amdhsa_system_sgpr_private_segment_wavefront_offset 0
		.amdhsa_system_sgpr_workgroup_id_x 1
		.amdhsa_system_sgpr_workgroup_id_y 0
		.amdhsa_system_sgpr_workgroup_id_z 0
		.amdhsa_system_sgpr_workgroup_info 0
		.amdhsa_system_vgpr_workitem_id 0
		.amdhsa_next_free_vgpr 1
		.amdhsa_next_free_sgpr 1
		.amdhsa_reserve_vcc 0
		.amdhsa_reserve_flat_scratch 0
		.amdhsa_float_round_mode_32 0
		.amdhsa_float_round_mode_16_64 0
		.amdhsa_float_denorm_mode_32 3
		.amdhsa_float_denorm_mode_16_64 3
		.amdhsa_dx10_clamp 1
		.amdhsa_ieee_mode 1
		.amdhsa_fp16_overflow 0
		.amdhsa_workgroup_processor_mode 1
		.amdhsa_memory_ordered 1
		.amdhsa_forward_progress 1
		.amdhsa_shared_vgpr_count 0
		.amdhsa_exception_fp_ieee_invalid_op 0
		.amdhsa_exception_fp_denorm_src 0
		.amdhsa_exception_fp_ieee_div_zero 0
		.amdhsa_exception_fp_ieee_overflow 0
		.amdhsa_exception_fp_ieee_underflow 0
		.amdhsa_exception_fp_ieee_inexact 0
		.amdhsa_exception_int_div_zero 0
	.end_amdhsa_kernel
	.section	.text._ZN7rocprim17ROCPRIM_400000_NS6detail17trampoline_kernelINS0_14default_configENS1_27upper_bound_config_selectorIflEEZNS1_14transform_implILb0ES3_S5_N6thrust23THRUST_200600_302600_NS6detail15normal_iteratorINS8_7pointerIfNS8_11hip_rocprim5par_tENS8_11use_defaultESE_EEEENSA_INSB_IlSD_SE_SE_EEEEZNS1_13binary_searchIS3_S5_NSA_INS8_10device_ptrIfEEEESG_SI_NS1_21upper_bound_search_opENS9_16wrapped_functionINS8_6system6detail7generic6detail18binary_search_lessEbEEEE10hipError_tPvRmT1_T2_T3_mmT4_T5_P12ihipStream_tbEUlRKfE_EESV_SZ_S10_mS11_S14_bEUlT_E_NS1_11comp_targetILNS1_3genE0ELNS1_11target_archE4294967295ELNS1_3gpuE0ELNS1_3repE0EEENS1_30default_config_static_selectorELNS0_4arch9wavefront6targetE0EEEvSY_,"axG",@progbits,_ZN7rocprim17ROCPRIM_400000_NS6detail17trampoline_kernelINS0_14default_configENS1_27upper_bound_config_selectorIflEEZNS1_14transform_implILb0ES3_S5_N6thrust23THRUST_200600_302600_NS6detail15normal_iteratorINS8_7pointerIfNS8_11hip_rocprim5par_tENS8_11use_defaultESE_EEEENSA_INSB_IlSD_SE_SE_EEEEZNS1_13binary_searchIS3_S5_NSA_INS8_10device_ptrIfEEEESG_SI_NS1_21upper_bound_search_opENS9_16wrapped_functionINS8_6system6detail7generic6detail18binary_search_lessEbEEEE10hipError_tPvRmT1_T2_T3_mmT4_T5_P12ihipStream_tbEUlRKfE_EESV_SZ_S10_mS11_S14_bEUlT_E_NS1_11comp_targetILNS1_3genE0ELNS1_11target_archE4294967295ELNS1_3gpuE0ELNS1_3repE0EEENS1_30default_config_static_selectorELNS0_4arch9wavefront6targetE0EEEvSY_,comdat
.Lfunc_end527:
	.size	_ZN7rocprim17ROCPRIM_400000_NS6detail17trampoline_kernelINS0_14default_configENS1_27upper_bound_config_selectorIflEEZNS1_14transform_implILb0ES3_S5_N6thrust23THRUST_200600_302600_NS6detail15normal_iteratorINS8_7pointerIfNS8_11hip_rocprim5par_tENS8_11use_defaultESE_EEEENSA_INSB_IlSD_SE_SE_EEEEZNS1_13binary_searchIS3_S5_NSA_INS8_10device_ptrIfEEEESG_SI_NS1_21upper_bound_search_opENS9_16wrapped_functionINS8_6system6detail7generic6detail18binary_search_lessEbEEEE10hipError_tPvRmT1_T2_T3_mmT4_T5_P12ihipStream_tbEUlRKfE_EESV_SZ_S10_mS11_S14_bEUlT_E_NS1_11comp_targetILNS1_3genE0ELNS1_11target_archE4294967295ELNS1_3gpuE0ELNS1_3repE0EEENS1_30default_config_static_selectorELNS0_4arch9wavefront6targetE0EEEvSY_, .Lfunc_end527-_ZN7rocprim17ROCPRIM_400000_NS6detail17trampoline_kernelINS0_14default_configENS1_27upper_bound_config_selectorIflEEZNS1_14transform_implILb0ES3_S5_N6thrust23THRUST_200600_302600_NS6detail15normal_iteratorINS8_7pointerIfNS8_11hip_rocprim5par_tENS8_11use_defaultESE_EEEENSA_INSB_IlSD_SE_SE_EEEEZNS1_13binary_searchIS3_S5_NSA_INS8_10device_ptrIfEEEESG_SI_NS1_21upper_bound_search_opENS9_16wrapped_functionINS8_6system6detail7generic6detail18binary_search_lessEbEEEE10hipError_tPvRmT1_T2_T3_mmT4_T5_P12ihipStream_tbEUlRKfE_EESV_SZ_S10_mS11_S14_bEUlT_E_NS1_11comp_targetILNS1_3genE0ELNS1_11target_archE4294967295ELNS1_3gpuE0ELNS1_3repE0EEENS1_30default_config_static_selectorELNS0_4arch9wavefront6targetE0EEEvSY_
                                        ; -- End function
	.set _ZN7rocprim17ROCPRIM_400000_NS6detail17trampoline_kernelINS0_14default_configENS1_27upper_bound_config_selectorIflEEZNS1_14transform_implILb0ES3_S5_N6thrust23THRUST_200600_302600_NS6detail15normal_iteratorINS8_7pointerIfNS8_11hip_rocprim5par_tENS8_11use_defaultESE_EEEENSA_INSB_IlSD_SE_SE_EEEEZNS1_13binary_searchIS3_S5_NSA_INS8_10device_ptrIfEEEESG_SI_NS1_21upper_bound_search_opENS9_16wrapped_functionINS8_6system6detail7generic6detail18binary_search_lessEbEEEE10hipError_tPvRmT1_T2_T3_mmT4_T5_P12ihipStream_tbEUlRKfE_EESV_SZ_S10_mS11_S14_bEUlT_E_NS1_11comp_targetILNS1_3genE0ELNS1_11target_archE4294967295ELNS1_3gpuE0ELNS1_3repE0EEENS1_30default_config_static_selectorELNS0_4arch9wavefront6targetE0EEEvSY_.num_vgpr, 0
	.set _ZN7rocprim17ROCPRIM_400000_NS6detail17trampoline_kernelINS0_14default_configENS1_27upper_bound_config_selectorIflEEZNS1_14transform_implILb0ES3_S5_N6thrust23THRUST_200600_302600_NS6detail15normal_iteratorINS8_7pointerIfNS8_11hip_rocprim5par_tENS8_11use_defaultESE_EEEENSA_INSB_IlSD_SE_SE_EEEEZNS1_13binary_searchIS3_S5_NSA_INS8_10device_ptrIfEEEESG_SI_NS1_21upper_bound_search_opENS9_16wrapped_functionINS8_6system6detail7generic6detail18binary_search_lessEbEEEE10hipError_tPvRmT1_T2_T3_mmT4_T5_P12ihipStream_tbEUlRKfE_EESV_SZ_S10_mS11_S14_bEUlT_E_NS1_11comp_targetILNS1_3genE0ELNS1_11target_archE4294967295ELNS1_3gpuE0ELNS1_3repE0EEENS1_30default_config_static_selectorELNS0_4arch9wavefront6targetE0EEEvSY_.num_agpr, 0
	.set _ZN7rocprim17ROCPRIM_400000_NS6detail17trampoline_kernelINS0_14default_configENS1_27upper_bound_config_selectorIflEEZNS1_14transform_implILb0ES3_S5_N6thrust23THRUST_200600_302600_NS6detail15normal_iteratorINS8_7pointerIfNS8_11hip_rocprim5par_tENS8_11use_defaultESE_EEEENSA_INSB_IlSD_SE_SE_EEEEZNS1_13binary_searchIS3_S5_NSA_INS8_10device_ptrIfEEEESG_SI_NS1_21upper_bound_search_opENS9_16wrapped_functionINS8_6system6detail7generic6detail18binary_search_lessEbEEEE10hipError_tPvRmT1_T2_T3_mmT4_T5_P12ihipStream_tbEUlRKfE_EESV_SZ_S10_mS11_S14_bEUlT_E_NS1_11comp_targetILNS1_3genE0ELNS1_11target_archE4294967295ELNS1_3gpuE0ELNS1_3repE0EEENS1_30default_config_static_selectorELNS0_4arch9wavefront6targetE0EEEvSY_.numbered_sgpr, 0
	.set _ZN7rocprim17ROCPRIM_400000_NS6detail17trampoline_kernelINS0_14default_configENS1_27upper_bound_config_selectorIflEEZNS1_14transform_implILb0ES3_S5_N6thrust23THRUST_200600_302600_NS6detail15normal_iteratorINS8_7pointerIfNS8_11hip_rocprim5par_tENS8_11use_defaultESE_EEEENSA_INSB_IlSD_SE_SE_EEEEZNS1_13binary_searchIS3_S5_NSA_INS8_10device_ptrIfEEEESG_SI_NS1_21upper_bound_search_opENS9_16wrapped_functionINS8_6system6detail7generic6detail18binary_search_lessEbEEEE10hipError_tPvRmT1_T2_T3_mmT4_T5_P12ihipStream_tbEUlRKfE_EESV_SZ_S10_mS11_S14_bEUlT_E_NS1_11comp_targetILNS1_3genE0ELNS1_11target_archE4294967295ELNS1_3gpuE0ELNS1_3repE0EEENS1_30default_config_static_selectorELNS0_4arch9wavefront6targetE0EEEvSY_.num_named_barrier, 0
	.set _ZN7rocprim17ROCPRIM_400000_NS6detail17trampoline_kernelINS0_14default_configENS1_27upper_bound_config_selectorIflEEZNS1_14transform_implILb0ES3_S5_N6thrust23THRUST_200600_302600_NS6detail15normal_iteratorINS8_7pointerIfNS8_11hip_rocprim5par_tENS8_11use_defaultESE_EEEENSA_INSB_IlSD_SE_SE_EEEEZNS1_13binary_searchIS3_S5_NSA_INS8_10device_ptrIfEEEESG_SI_NS1_21upper_bound_search_opENS9_16wrapped_functionINS8_6system6detail7generic6detail18binary_search_lessEbEEEE10hipError_tPvRmT1_T2_T3_mmT4_T5_P12ihipStream_tbEUlRKfE_EESV_SZ_S10_mS11_S14_bEUlT_E_NS1_11comp_targetILNS1_3genE0ELNS1_11target_archE4294967295ELNS1_3gpuE0ELNS1_3repE0EEENS1_30default_config_static_selectorELNS0_4arch9wavefront6targetE0EEEvSY_.private_seg_size, 0
	.set _ZN7rocprim17ROCPRIM_400000_NS6detail17trampoline_kernelINS0_14default_configENS1_27upper_bound_config_selectorIflEEZNS1_14transform_implILb0ES3_S5_N6thrust23THRUST_200600_302600_NS6detail15normal_iteratorINS8_7pointerIfNS8_11hip_rocprim5par_tENS8_11use_defaultESE_EEEENSA_INSB_IlSD_SE_SE_EEEEZNS1_13binary_searchIS3_S5_NSA_INS8_10device_ptrIfEEEESG_SI_NS1_21upper_bound_search_opENS9_16wrapped_functionINS8_6system6detail7generic6detail18binary_search_lessEbEEEE10hipError_tPvRmT1_T2_T3_mmT4_T5_P12ihipStream_tbEUlRKfE_EESV_SZ_S10_mS11_S14_bEUlT_E_NS1_11comp_targetILNS1_3genE0ELNS1_11target_archE4294967295ELNS1_3gpuE0ELNS1_3repE0EEENS1_30default_config_static_selectorELNS0_4arch9wavefront6targetE0EEEvSY_.uses_vcc, 0
	.set _ZN7rocprim17ROCPRIM_400000_NS6detail17trampoline_kernelINS0_14default_configENS1_27upper_bound_config_selectorIflEEZNS1_14transform_implILb0ES3_S5_N6thrust23THRUST_200600_302600_NS6detail15normal_iteratorINS8_7pointerIfNS8_11hip_rocprim5par_tENS8_11use_defaultESE_EEEENSA_INSB_IlSD_SE_SE_EEEEZNS1_13binary_searchIS3_S5_NSA_INS8_10device_ptrIfEEEESG_SI_NS1_21upper_bound_search_opENS9_16wrapped_functionINS8_6system6detail7generic6detail18binary_search_lessEbEEEE10hipError_tPvRmT1_T2_T3_mmT4_T5_P12ihipStream_tbEUlRKfE_EESV_SZ_S10_mS11_S14_bEUlT_E_NS1_11comp_targetILNS1_3genE0ELNS1_11target_archE4294967295ELNS1_3gpuE0ELNS1_3repE0EEENS1_30default_config_static_selectorELNS0_4arch9wavefront6targetE0EEEvSY_.uses_flat_scratch, 0
	.set _ZN7rocprim17ROCPRIM_400000_NS6detail17trampoline_kernelINS0_14default_configENS1_27upper_bound_config_selectorIflEEZNS1_14transform_implILb0ES3_S5_N6thrust23THRUST_200600_302600_NS6detail15normal_iteratorINS8_7pointerIfNS8_11hip_rocprim5par_tENS8_11use_defaultESE_EEEENSA_INSB_IlSD_SE_SE_EEEEZNS1_13binary_searchIS3_S5_NSA_INS8_10device_ptrIfEEEESG_SI_NS1_21upper_bound_search_opENS9_16wrapped_functionINS8_6system6detail7generic6detail18binary_search_lessEbEEEE10hipError_tPvRmT1_T2_T3_mmT4_T5_P12ihipStream_tbEUlRKfE_EESV_SZ_S10_mS11_S14_bEUlT_E_NS1_11comp_targetILNS1_3genE0ELNS1_11target_archE4294967295ELNS1_3gpuE0ELNS1_3repE0EEENS1_30default_config_static_selectorELNS0_4arch9wavefront6targetE0EEEvSY_.has_dyn_sized_stack, 0
	.set _ZN7rocprim17ROCPRIM_400000_NS6detail17trampoline_kernelINS0_14default_configENS1_27upper_bound_config_selectorIflEEZNS1_14transform_implILb0ES3_S5_N6thrust23THRUST_200600_302600_NS6detail15normal_iteratorINS8_7pointerIfNS8_11hip_rocprim5par_tENS8_11use_defaultESE_EEEENSA_INSB_IlSD_SE_SE_EEEEZNS1_13binary_searchIS3_S5_NSA_INS8_10device_ptrIfEEEESG_SI_NS1_21upper_bound_search_opENS9_16wrapped_functionINS8_6system6detail7generic6detail18binary_search_lessEbEEEE10hipError_tPvRmT1_T2_T3_mmT4_T5_P12ihipStream_tbEUlRKfE_EESV_SZ_S10_mS11_S14_bEUlT_E_NS1_11comp_targetILNS1_3genE0ELNS1_11target_archE4294967295ELNS1_3gpuE0ELNS1_3repE0EEENS1_30default_config_static_selectorELNS0_4arch9wavefront6targetE0EEEvSY_.has_recursion, 0
	.set _ZN7rocprim17ROCPRIM_400000_NS6detail17trampoline_kernelINS0_14default_configENS1_27upper_bound_config_selectorIflEEZNS1_14transform_implILb0ES3_S5_N6thrust23THRUST_200600_302600_NS6detail15normal_iteratorINS8_7pointerIfNS8_11hip_rocprim5par_tENS8_11use_defaultESE_EEEENSA_INSB_IlSD_SE_SE_EEEEZNS1_13binary_searchIS3_S5_NSA_INS8_10device_ptrIfEEEESG_SI_NS1_21upper_bound_search_opENS9_16wrapped_functionINS8_6system6detail7generic6detail18binary_search_lessEbEEEE10hipError_tPvRmT1_T2_T3_mmT4_T5_P12ihipStream_tbEUlRKfE_EESV_SZ_S10_mS11_S14_bEUlT_E_NS1_11comp_targetILNS1_3genE0ELNS1_11target_archE4294967295ELNS1_3gpuE0ELNS1_3repE0EEENS1_30default_config_static_selectorELNS0_4arch9wavefront6targetE0EEEvSY_.has_indirect_call, 0
	.section	.AMDGPU.csdata,"",@progbits
; Kernel info:
; codeLenInByte = 0
; TotalNumSgprs: 0
; NumVgprs: 0
; ScratchSize: 0
; MemoryBound: 0
; FloatMode: 240
; IeeeMode: 1
; LDSByteSize: 0 bytes/workgroup (compile time only)
; SGPRBlocks: 0
; VGPRBlocks: 0
; NumSGPRsForWavesPerEU: 1
; NumVGPRsForWavesPerEU: 1
; Occupancy: 16
; WaveLimiterHint : 0
; COMPUTE_PGM_RSRC2:SCRATCH_EN: 0
; COMPUTE_PGM_RSRC2:USER_SGPR: 6
; COMPUTE_PGM_RSRC2:TRAP_HANDLER: 0
; COMPUTE_PGM_RSRC2:TGID_X_EN: 1
; COMPUTE_PGM_RSRC2:TGID_Y_EN: 0
; COMPUTE_PGM_RSRC2:TGID_Z_EN: 0
; COMPUTE_PGM_RSRC2:TIDIG_COMP_CNT: 0
	.section	.text._ZN7rocprim17ROCPRIM_400000_NS6detail17trampoline_kernelINS0_14default_configENS1_27upper_bound_config_selectorIflEEZNS1_14transform_implILb0ES3_S5_N6thrust23THRUST_200600_302600_NS6detail15normal_iteratorINS8_7pointerIfNS8_11hip_rocprim5par_tENS8_11use_defaultESE_EEEENSA_INSB_IlSD_SE_SE_EEEEZNS1_13binary_searchIS3_S5_NSA_INS8_10device_ptrIfEEEESG_SI_NS1_21upper_bound_search_opENS9_16wrapped_functionINS8_6system6detail7generic6detail18binary_search_lessEbEEEE10hipError_tPvRmT1_T2_T3_mmT4_T5_P12ihipStream_tbEUlRKfE_EESV_SZ_S10_mS11_S14_bEUlT_E_NS1_11comp_targetILNS1_3genE5ELNS1_11target_archE942ELNS1_3gpuE9ELNS1_3repE0EEENS1_30default_config_static_selectorELNS0_4arch9wavefront6targetE0EEEvSY_,"axG",@progbits,_ZN7rocprim17ROCPRIM_400000_NS6detail17trampoline_kernelINS0_14default_configENS1_27upper_bound_config_selectorIflEEZNS1_14transform_implILb0ES3_S5_N6thrust23THRUST_200600_302600_NS6detail15normal_iteratorINS8_7pointerIfNS8_11hip_rocprim5par_tENS8_11use_defaultESE_EEEENSA_INSB_IlSD_SE_SE_EEEEZNS1_13binary_searchIS3_S5_NSA_INS8_10device_ptrIfEEEESG_SI_NS1_21upper_bound_search_opENS9_16wrapped_functionINS8_6system6detail7generic6detail18binary_search_lessEbEEEE10hipError_tPvRmT1_T2_T3_mmT4_T5_P12ihipStream_tbEUlRKfE_EESV_SZ_S10_mS11_S14_bEUlT_E_NS1_11comp_targetILNS1_3genE5ELNS1_11target_archE942ELNS1_3gpuE9ELNS1_3repE0EEENS1_30default_config_static_selectorELNS0_4arch9wavefront6targetE0EEEvSY_,comdat
	.protected	_ZN7rocprim17ROCPRIM_400000_NS6detail17trampoline_kernelINS0_14default_configENS1_27upper_bound_config_selectorIflEEZNS1_14transform_implILb0ES3_S5_N6thrust23THRUST_200600_302600_NS6detail15normal_iteratorINS8_7pointerIfNS8_11hip_rocprim5par_tENS8_11use_defaultESE_EEEENSA_INSB_IlSD_SE_SE_EEEEZNS1_13binary_searchIS3_S5_NSA_INS8_10device_ptrIfEEEESG_SI_NS1_21upper_bound_search_opENS9_16wrapped_functionINS8_6system6detail7generic6detail18binary_search_lessEbEEEE10hipError_tPvRmT1_T2_T3_mmT4_T5_P12ihipStream_tbEUlRKfE_EESV_SZ_S10_mS11_S14_bEUlT_E_NS1_11comp_targetILNS1_3genE5ELNS1_11target_archE942ELNS1_3gpuE9ELNS1_3repE0EEENS1_30default_config_static_selectorELNS0_4arch9wavefront6targetE0EEEvSY_ ; -- Begin function _ZN7rocprim17ROCPRIM_400000_NS6detail17trampoline_kernelINS0_14default_configENS1_27upper_bound_config_selectorIflEEZNS1_14transform_implILb0ES3_S5_N6thrust23THRUST_200600_302600_NS6detail15normal_iteratorINS8_7pointerIfNS8_11hip_rocprim5par_tENS8_11use_defaultESE_EEEENSA_INSB_IlSD_SE_SE_EEEEZNS1_13binary_searchIS3_S5_NSA_INS8_10device_ptrIfEEEESG_SI_NS1_21upper_bound_search_opENS9_16wrapped_functionINS8_6system6detail7generic6detail18binary_search_lessEbEEEE10hipError_tPvRmT1_T2_T3_mmT4_T5_P12ihipStream_tbEUlRKfE_EESV_SZ_S10_mS11_S14_bEUlT_E_NS1_11comp_targetILNS1_3genE5ELNS1_11target_archE942ELNS1_3gpuE9ELNS1_3repE0EEENS1_30default_config_static_selectorELNS0_4arch9wavefront6targetE0EEEvSY_
	.globl	_ZN7rocprim17ROCPRIM_400000_NS6detail17trampoline_kernelINS0_14default_configENS1_27upper_bound_config_selectorIflEEZNS1_14transform_implILb0ES3_S5_N6thrust23THRUST_200600_302600_NS6detail15normal_iteratorINS8_7pointerIfNS8_11hip_rocprim5par_tENS8_11use_defaultESE_EEEENSA_INSB_IlSD_SE_SE_EEEEZNS1_13binary_searchIS3_S5_NSA_INS8_10device_ptrIfEEEESG_SI_NS1_21upper_bound_search_opENS9_16wrapped_functionINS8_6system6detail7generic6detail18binary_search_lessEbEEEE10hipError_tPvRmT1_T2_T3_mmT4_T5_P12ihipStream_tbEUlRKfE_EESV_SZ_S10_mS11_S14_bEUlT_E_NS1_11comp_targetILNS1_3genE5ELNS1_11target_archE942ELNS1_3gpuE9ELNS1_3repE0EEENS1_30default_config_static_selectorELNS0_4arch9wavefront6targetE0EEEvSY_
	.p2align	8
	.type	_ZN7rocprim17ROCPRIM_400000_NS6detail17trampoline_kernelINS0_14default_configENS1_27upper_bound_config_selectorIflEEZNS1_14transform_implILb0ES3_S5_N6thrust23THRUST_200600_302600_NS6detail15normal_iteratorINS8_7pointerIfNS8_11hip_rocprim5par_tENS8_11use_defaultESE_EEEENSA_INSB_IlSD_SE_SE_EEEEZNS1_13binary_searchIS3_S5_NSA_INS8_10device_ptrIfEEEESG_SI_NS1_21upper_bound_search_opENS9_16wrapped_functionINS8_6system6detail7generic6detail18binary_search_lessEbEEEE10hipError_tPvRmT1_T2_T3_mmT4_T5_P12ihipStream_tbEUlRKfE_EESV_SZ_S10_mS11_S14_bEUlT_E_NS1_11comp_targetILNS1_3genE5ELNS1_11target_archE942ELNS1_3gpuE9ELNS1_3repE0EEENS1_30default_config_static_selectorELNS0_4arch9wavefront6targetE0EEEvSY_,@function
_ZN7rocprim17ROCPRIM_400000_NS6detail17trampoline_kernelINS0_14default_configENS1_27upper_bound_config_selectorIflEEZNS1_14transform_implILb0ES3_S5_N6thrust23THRUST_200600_302600_NS6detail15normal_iteratorINS8_7pointerIfNS8_11hip_rocprim5par_tENS8_11use_defaultESE_EEEENSA_INSB_IlSD_SE_SE_EEEEZNS1_13binary_searchIS3_S5_NSA_INS8_10device_ptrIfEEEESG_SI_NS1_21upper_bound_search_opENS9_16wrapped_functionINS8_6system6detail7generic6detail18binary_search_lessEbEEEE10hipError_tPvRmT1_T2_T3_mmT4_T5_P12ihipStream_tbEUlRKfE_EESV_SZ_S10_mS11_S14_bEUlT_E_NS1_11comp_targetILNS1_3genE5ELNS1_11target_archE942ELNS1_3gpuE9ELNS1_3repE0EEENS1_30default_config_static_selectorELNS0_4arch9wavefront6targetE0EEEvSY_: ; @_ZN7rocprim17ROCPRIM_400000_NS6detail17trampoline_kernelINS0_14default_configENS1_27upper_bound_config_selectorIflEEZNS1_14transform_implILb0ES3_S5_N6thrust23THRUST_200600_302600_NS6detail15normal_iteratorINS8_7pointerIfNS8_11hip_rocprim5par_tENS8_11use_defaultESE_EEEENSA_INSB_IlSD_SE_SE_EEEEZNS1_13binary_searchIS3_S5_NSA_INS8_10device_ptrIfEEEESG_SI_NS1_21upper_bound_search_opENS9_16wrapped_functionINS8_6system6detail7generic6detail18binary_search_lessEbEEEE10hipError_tPvRmT1_T2_T3_mmT4_T5_P12ihipStream_tbEUlRKfE_EESV_SZ_S10_mS11_S14_bEUlT_E_NS1_11comp_targetILNS1_3genE5ELNS1_11target_archE942ELNS1_3gpuE9ELNS1_3repE0EEENS1_30default_config_static_selectorELNS0_4arch9wavefront6targetE0EEEvSY_
; %bb.0:
	.section	.rodata,"a",@progbits
	.p2align	6, 0x0
	.amdhsa_kernel _ZN7rocprim17ROCPRIM_400000_NS6detail17trampoline_kernelINS0_14default_configENS1_27upper_bound_config_selectorIflEEZNS1_14transform_implILb0ES3_S5_N6thrust23THRUST_200600_302600_NS6detail15normal_iteratorINS8_7pointerIfNS8_11hip_rocprim5par_tENS8_11use_defaultESE_EEEENSA_INSB_IlSD_SE_SE_EEEEZNS1_13binary_searchIS3_S5_NSA_INS8_10device_ptrIfEEEESG_SI_NS1_21upper_bound_search_opENS9_16wrapped_functionINS8_6system6detail7generic6detail18binary_search_lessEbEEEE10hipError_tPvRmT1_T2_T3_mmT4_T5_P12ihipStream_tbEUlRKfE_EESV_SZ_S10_mS11_S14_bEUlT_E_NS1_11comp_targetILNS1_3genE5ELNS1_11target_archE942ELNS1_3gpuE9ELNS1_3repE0EEENS1_30default_config_static_selectorELNS0_4arch9wavefront6targetE0EEEvSY_
		.amdhsa_group_segment_fixed_size 0
		.amdhsa_private_segment_fixed_size 0
		.amdhsa_kernarg_size 56
		.amdhsa_user_sgpr_count 6
		.amdhsa_user_sgpr_private_segment_buffer 1
		.amdhsa_user_sgpr_dispatch_ptr 0
		.amdhsa_user_sgpr_queue_ptr 0
		.amdhsa_user_sgpr_kernarg_segment_ptr 1
		.amdhsa_user_sgpr_dispatch_id 0
		.amdhsa_user_sgpr_flat_scratch_init 0
		.amdhsa_user_sgpr_private_segment_size 0
		.amdhsa_wavefront_size32 1
		.amdhsa_uses_dynamic_stack 0
		.amdhsa_system_sgpr_private_segment_wavefront_offset 0
		.amdhsa_system_sgpr_workgroup_id_x 1
		.amdhsa_system_sgpr_workgroup_id_y 0
		.amdhsa_system_sgpr_workgroup_id_z 0
		.amdhsa_system_sgpr_workgroup_info 0
		.amdhsa_system_vgpr_workitem_id 0
		.amdhsa_next_free_vgpr 1
		.amdhsa_next_free_sgpr 1
		.amdhsa_reserve_vcc 0
		.amdhsa_reserve_flat_scratch 0
		.amdhsa_float_round_mode_32 0
		.amdhsa_float_round_mode_16_64 0
		.amdhsa_float_denorm_mode_32 3
		.amdhsa_float_denorm_mode_16_64 3
		.amdhsa_dx10_clamp 1
		.amdhsa_ieee_mode 1
		.amdhsa_fp16_overflow 0
		.amdhsa_workgroup_processor_mode 1
		.amdhsa_memory_ordered 1
		.amdhsa_forward_progress 1
		.amdhsa_shared_vgpr_count 0
		.amdhsa_exception_fp_ieee_invalid_op 0
		.amdhsa_exception_fp_denorm_src 0
		.amdhsa_exception_fp_ieee_div_zero 0
		.amdhsa_exception_fp_ieee_overflow 0
		.amdhsa_exception_fp_ieee_underflow 0
		.amdhsa_exception_fp_ieee_inexact 0
		.amdhsa_exception_int_div_zero 0
	.end_amdhsa_kernel
	.section	.text._ZN7rocprim17ROCPRIM_400000_NS6detail17trampoline_kernelINS0_14default_configENS1_27upper_bound_config_selectorIflEEZNS1_14transform_implILb0ES3_S5_N6thrust23THRUST_200600_302600_NS6detail15normal_iteratorINS8_7pointerIfNS8_11hip_rocprim5par_tENS8_11use_defaultESE_EEEENSA_INSB_IlSD_SE_SE_EEEEZNS1_13binary_searchIS3_S5_NSA_INS8_10device_ptrIfEEEESG_SI_NS1_21upper_bound_search_opENS9_16wrapped_functionINS8_6system6detail7generic6detail18binary_search_lessEbEEEE10hipError_tPvRmT1_T2_T3_mmT4_T5_P12ihipStream_tbEUlRKfE_EESV_SZ_S10_mS11_S14_bEUlT_E_NS1_11comp_targetILNS1_3genE5ELNS1_11target_archE942ELNS1_3gpuE9ELNS1_3repE0EEENS1_30default_config_static_selectorELNS0_4arch9wavefront6targetE0EEEvSY_,"axG",@progbits,_ZN7rocprim17ROCPRIM_400000_NS6detail17trampoline_kernelINS0_14default_configENS1_27upper_bound_config_selectorIflEEZNS1_14transform_implILb0ES3_S5_N6thrust23THRUST_200600_302600_NS6detail15normal_iteratorINS8_7pointerIfNS8_11hip_rocprim5par_tENS8_11use_defaultESE_EEEENSA_INSB_IlSD_SE_SE_EEEEZNS1_13binary_searchIS3_S5_NSA_INS8_10device_ptrIfEEEESG_SI_NS1_21upper_bound_search_opENS9_16wrapped_functionINS8_6system6detail7generic6detail18binary_search_lessEbEEEE10hipError_tPvRmT1_T2_T3_mmT4_T5_P12ihipStream_tbEUlRKfE_EESV_SZ_S10_mS11_S14_bEUlT_E_NS1_11comp_targetILNS1_3genE5ELNS1_11target_archE942ELNS1_3gpuE9ELNS1_3repE0EEENS1_30default_config_static_selectorELNS0_4arch9wavefront6targetE0EEEvSY_,comdat
.Lfunc_end528:
	.size	_ZN7rocprim17ROCPRIM_400000_NS6detail17trampoline_kernelINS0_14default_configENS1_27upper_bound_config_selectorIflEEZNS1_14transform_implILb0ES3_S5_N6thrust23THRUST_200600_302600_NS6detail15normal_iteratorINS8_7pointerIfNS8_11hip_rocprim5par_tENS8_11use_defaultESE_EEEENSA_INSB_IlSD_SE_SE_EEEEZNS1_13binary_searchIS3_S5_NSA_INS8_10device_ptrIfEEEESG_SI_NS1_21upper_bound_search_opENS9_16wrapped_functionINS8_6system6detail7generic6detail18binary_search_lessEbEEEE10hipError_tPvRmT1_T2_T3_mmT4_T5_P12ihipStream_tbEUlRKfE_EESV_SZ_S10_mS11_S14_bEUlT_E_NS1_11comp_targetILNS1_3genE5ELNS1_11target_archE942ELNS1_3gpuE9ELNS1_3repE0EEENS1_30default_config_static_selectorELNS0_4arch9wavefront6targetE0EEEvSY_, .Lfunc_end528-_ZN7rocprim17ROCPRIM_400000_NS6detail17trampoline_kernelINS0_14default_configENS1_27upper_bound_config_selectorIflEEZNS1_14transform_implILb0ES3_S5_N6thrust23THRUST_200600_302600_NS6detail15normal_iteratorINS8_7pointerIfNS8_11hip_rocprim5par_tENS8_11use_defaultESE_EEEENSA_INSB_IlSD_SE_SE_EEEEZNS1_13binary_searchIS3_S5_NSA_INS8_10device_ptrIfEEEESG_SI_NS1_21upper_bound_search_opENS9_16wrapped_functionINS8_6system6detail7generic6detail18binary_search_lessEbEEEE10hipError_tPvRmT1_T2_T3_mmT4_T5_P12ihipStream_tbEUlRKfE_EESV_SZ_S10_mS11_S14_bEUlT_E_NS1_11comp_targetILNS1_3genE5ELNS1_11target_archE942ELNS1_3gpuE9ELNS1_3repE0EEENS1_30default_config_static_selectorELNS0_4arch9wavefront6targetE0EEEvSY_
                                        ; -- End function
	.set _ZN7rocprim17ROCPRIM_400000_NS6detail17trampoline_kernelINS0_14default_configENS1_27upper_bound_config_selectorIflEEZNS1_14transform_implILb0ES3_S5_N6thrust23THRUST_200600_302600_NS6detail15normal_iteratorINS8_7pointerIfNS8_11hip_rocprim5par_tENS8_11use_defaultESE_EEEENSA_INSB_IlSD_SE_SE_EEEEZNS1_13binary_searchIS3_S5_NSA_INS8_10device_ptrIfEEEESG_SI_NS1_21upper_bound_search_opENS9_16wrapped_functionINS8_6system6detail7generic6detail18binary_search_lessEbEEEE10hipError_tPvRmT1_T2_T3_mmT4_T5_P12ihipStream_tbEUlRKfE_EESV_SZ_S10_mS11_S14_bEUlT_E_NS1_11comp_targetILNS1_3genE5ELNS1_11target_archE942ELNS1_3gpuE9ELNS1_3repE0EEENS1_30default_config_static_selectorELNS0_4arch9wavefront6targetE0EEEvSY_.num_vgpr, 0
	.set _ZN7rocprim17ROCPRIM_400000_NS6detail17trampoline_kernelINS0_14default_configENS1_27upper_bound_config_selectorIflEEZNS1_14transform_implILb0ES3_S5_N6thrust23THRUST_200600_302600_NS6detail15normal_iteratorINS8_7pointerIfNS8_11hip_rocprim5par_tENS8_11use_defaultESE_EEEENSA_INSB_IlSD_SE_SE_EEEEZNS1_13binary_searchIS3_S5_NSA_INS8_10device_ptrIfEEEESG_SI_NS1_21upper_bound_search_opENS9_16wrapped_functionINS8_6system6detail7generic6detail18binary_search_lessEbEEEE10hipError_tPvRmT1_T2_T3_mmT4_T5_P12ihipStream_tbEUlRKfE_EESV_SZ_S10_mS11_S14_bEUlT_E_NS1_11comp_targetILNS1_3genE5ELNS1_11target_archE942ELNS1_3gpuE9ELNS1_3repE0EEENS1_30default_config_static_selectorELNS0_4arch9wavefront6targetE0EEEvSY_.num_agpr, 0
	.set _ZN7rocprim17ROCPRIM_400000_NS6detail17trampoline_kernelINS0_14default_configENS1_27upper_bound_config_selectorIflEEZNS1_14transform_implILb0ES3_S5_N6thrust23THRUST_200600_302600_NS6detail15normal_iteratorINS8_7pointerIfNS8_11hip_rocprim5par_tENS8_11use_defaultESE_EEEENSA_INSB_IlSD_SE_SE_EEEEZNS1_13binary_searchIS3_S5_NSA_INS8_10device_ptrIfEEEESG_SI_NS1_21upper_bound_search_opENS9_16wrapped_functionINS8_6system6detail7generic6detail18binary_search_lessEbEEEE10hipError_tPvRmT1_T2_T3_mmT4_T5_P12ihipStream_tbEUlRKfE_EESV_SZ_S10_mS11_S14_bEUlT_E_NS1_11comp_targetILNS1_3genE5ELNS1_11target_archE942ELNS1_3gpuE9ELNS1_3repE0EEENS1_30default_config_static_selectorELNS0_4arch9wavefront6targetE0EEEvSY_.numbered_sgpr, 0
	.set _ZN7rocprim17ROCPRIM_400000_NS6detail17trampoline_kernelINS0_14default_configENS1_27upper_bound_config_selectorIflEEZNS1_14transform_implILb0ES3_S5_N6thrust23THRUST_200600_302600_NS6detail15normal_iteratorINS8_7pointerIfNS8_11hip_rocprim5par_tENS8_11use_defaultESE_EEEENSA_INSB_IlSD_SE_SE_EEEEZNS1_13binary_searchIS3_S5_NSA_INS8_10device_ptrIfEEEESG_SI_NS1_21upper_bound_search_opENS9_16wrapped_functionINS8_6system6detail7generic6detail18binary_search_lessEbEEEE10hipError_tPvRmT1_T2_T3_mmT4_T5_P12ihipStream_tbEUlRKfE_EESV_SZ_S10_mS11_S14_bEUlT_E_NS1_11comp_targetILNS1_3genE5ELNS1_11target_archE942ELNS1_3gpuE9ELNS1_3repE0EEENS1_30default_config_static_selectorELNS0_4arch9wavefront6targetE0EEEvSY_.num_named_barrier, 0
	.set _ZN7rocprim17ROCPRIM_400000_NS6detail17trampoline_kernelINS0_14default_configENS1_27upper_bound_config_selectorIflEEZNS1_14transform_implILb0ES3_S5_N6thrust23THRUST_200600_302600_NS6detail15normal_iteratorINS8_7pointerIfNS8_11hip_rocprim5par_tENS8_11use_defaultESE_EEEENSA_INSB_IlSD_SE_SE_EEEEZNS1_13binary_searchIS3_S5_NSA_INS8_10device_ptrIfEEEESG_SI_NS1_21upper_bound_search_opENS9_16wrapped_functionINS8_6system6detail7generic6detail18binary_search_lessEbEEEE10hipError_tPvRmT1_T2_T3_mmT4_T5_P12ihipStream_tbEUlRKfE_EESV_SZ_S10_mS11_S14_bEUlT_E_NS1_11comp_targetILNS1_3genE5ELNS1_11target_archE942ELNS1_3gpuE9ELNS1_3repE0EEENS1_30default_config_static_selectorELNS0_4arch9wavefront6targetE0EEEvSY_.private_seg_size, 0
	.set _ZN7rocprim17ROCPRIM_400000_NS6detail17trampoline_kernelINS0_14default_configENS1_27upper_bound_config_selectorIflEEZNS1_14transform_implILb0ES3_S5_N6thrust23THRUST_200600_302600_NS6detail15normal_iteratorINS8_7pointerIfNS8_11hip_rocprim5par_tENS8_11use_defaultESE_EEEENSA_INSB_IlSD_SE_SE_EEEEZNS1_13binary_searchIS3_S5_NSA_INS8_10device_ptrIfEEEESG_SI_NS1_21upper_bound_search_opENS9_16wrapped_functionINS8_6system6detail7generic6detail18binary_search_lessEbEEEE10hipError_tPvRmT1_T2_T3_mmT4_T5_P12ihipStream_tbEUlRKfE_EESV_SZ_S10_mS11_S14_bEUlT_E_NS1_11comp_targetILNS1_3genE5ELNS1_11target_archE942ELNS1_3gpuE9ELNS1_3repE0EEENS1_30default_config_static_selectorELNS0_4arch9wavefront6targetE0EEEvSY_.uses_vcc, 0
	.set _ZN7rocprim17ROCPRIM_400000_NS6detail17trampoline_kernelINS0_14default_configENS1_27upper_bound_config_selectorIflEEZNS1_14transform_implILb0ES3_S5_N6thrust23THRUST_200600_302600_NS6detail15normal_iteratorINS8_7pointerIfNS8_11hip_rocprim5par_tENS8_11use_defaultESE_EEEENSA_INSB_IlSD_SE_SE_EEEEZNS1_13binary_searchIS3_S5_NSA_INS8_10device_ptrIfEEEESG_SI_NS1_21upper_bound_search_opENS9_16wrapped_functionINS8_6system6detail7generic6detail18binary_search_lessEbEEEE10hipError_tPvRmT1_T2_T3_mmT4_T5_P12ihipStream_tbEUlRKfE_EESV_SZ_S10_mS11_S14_bEUlT_E_NS1_11comp_targetILNS1_3genE5ELNS1_11target_archE942ELNS1_3gpuE9ELNS1_3repE0EEENS1_30default_config_static_selectorELNS0_4arch9wavefront6targetE0EEEvSY_.uses_flat_scratch, 0
	.set _ZN7rocprim17ROCPRIM_400000_NS6detail17trampoline_kernelINS0_14default_configENS1_27upper_bound_config_selectorIflEEZNS1_14transform_implILb0ES3_S5_N6thrust23THRUST_200600_302600_NS6detail15normal_iteratorINS8_7pointerIfNS8_11hip_rocprim5par_tENS8_11use_defaultESE_EEEENSA_INSB_IlSD_SE_SE_EEEEZNS1_13binary_searchIS3_S5_NSA_INS8_10device_ptrIfEEEESG_SI_NS1_21upper_bound_search_opENS9_16wrapped_functionINS8_6system6detail7generic6detail18binary_search_lessEbEEEE10hipError_tPvRmT1_T2_T3_mmT4_T5_P12ihipStream_tbEUlRKfE_EESV_SZ_S10_mS11_S14_bEUlT_E_NS1_11comp_targetILNS1_3genE5ELNS1_11target_archE942ELNS1_3gpuE9ELNS1_3repE0EEENS1_30default_config_static_selectorELNS0_4arch9wavefront6targetE0EEEvSY_.has_dyn_sized_stack, 0
	.set _ZN7rocprim17ROCPRIM_400000_NS6detail17trampoline_kernelINS0_14default_configENS1_27upper_bound_config_selectorIflEEZNS1_14transform_implILb0ES3_S5_N6thrust23THRUST_200600_302600_NS6detail15normal_iteratorINS8_7pointerIfNS8_11hip_rocprim5par_tENS8_11use_defaultESE_EEEENSA_INSB_IlSD_SE_SE_EEEEZNS1_13binary_searchIS3_S5_NSA_INS8_10device_ptrIfEEEESG_SI_NS1_21upper_bound_search_opENS9_16wrapped_functionINS8_6system6detail7generic6detail18binary_search_lessEbEEEE10hipError_tPvRmT1_T2_T3_mmT4_T5_P12ihipStream_tbEUlRKfE_EESV_SZ_S10_mS11_S14_bEUlT_E_NS1_11comp_targetILNS1_3genE5ELNS1_11target_archE942ELNS1_3gpuE9ELNS1_3repE0EEENS1_30default_config_static_selectorELNS0_4arch9wavefront6targetE0EEEvSY_.has_recursion, 0
	.set _ZN7rocprim17ROCPRIM_400000_NS6detail17trampoline_kernelINS0_14default_configENS1_27upper_bound_config_selectorIflEEZNS1_14transform_implILb0ES3_S5_N6thrust23THRUST_200600_302600_NS6detail15normal_iteratorINS8_7pointerIfNS8_11hip_rocprim5par_tENS8_11use_defaultESE_EEEENSA_INSB_IlSD_SE_SE_EEEEZNS1_13binary_searchIS3_S5_NSA_INS8_10device_ptrIfEEEESG_SI_NS1_21upper_bound_search_opENS9_16wrapped_functionINS8_6system6detail7generic6detail18binary_search_lessEbEEEE10hipError_tPvRmT1_T2_T3_mmT4_T5_P12ihipStream_tbEUlRKfE_EESV_SZ_S10_mS11_S14_bEUlT_E_NS1_11comp_targetILNS1_3genE5ELNS1_11target_archE942ELNS1_3gpuE9ELNS1_3repE0EEENS1_30default_config_static_selectorELNS0_4arch9wavefront6targetE0EEEvSY_.has_indirect_call, 0
	.section	.AMDGPU.csdata,"",@progbits
; Kernel info:
; codeLenInByte = 0
; TotalNumSgprs: 0
; NumVgprs: 0
; ScratchSize: 0
; MemoryBound: 0
; FloatMode: 240
; IeeeMode: 1
; LDSByteSize: 0 bytes/workgroup (compile time only)
; SGPRBlocks: 0
; VGPRBlocks: 0
; NumSGPRsForWavesPerEU: 1
; NumVGPRsForWavesPerEU: 1
; Occupancy: 16
; WaveLimiterHint : 0
; COMPUTE_PGM_RSRC2:SCRATCH_EN: 0
; COMPUTE_PGM_RSRC2:USER_SGPR: 6
; COMPUTE_PGM_RSRC2:TRAP_HANDLER: 0
; COMPUTE_PGM_RSRC2:TGID_X_EN: 1
; COMPUTE_PGM_RSRC2:TGID_Y_EN: 0
; COMPUTE_PGM_RSRC2:TGID_Z_EN: 0
; COMPUTE_PGM_RSRC2:TIDIG_COMP_CNT: 0
	.section	.text._ZN7rocprim17ROCPRIM_400000_NS6detail17trampoline_kernelINS0_14default_configENS1_27upper_bound_config_selectorIflEEZNS1_14transform_implILb0ES3_S5_N6thrust23THRUST_200600_302600_NS6detail15normal_iteratorINS8_7pointerIfNS8_11hip_rocprim5par_tENS8_11use_defaultESE_EEEENSA_INSB_IlSD_SE_SE_EEEEZNS1_13binary_searchIS3_S5_NSA_INS8_10device_ptrIfEEEESG_SI_NS1_21upper_bound_search_opENS9_16wrapped_functionINS8_6system6detail7generic6detail18binary_search_lessEbEEEE10hipError_tPvRmT1_T2_T3_mmT4_T5_P12ihipStream_tbEUlRKfE_EESV_SZ_S10_mS11_S14_bEUlT_E_NS1_11comp_targetILNS1_3genE4ELNS1_11target_archE910ELNS1_3gpuE8ELNS1_3repE0EEENS1_30default_config_static_selectorELNS0_4arch9wavefront6targetE0EEEvSY_,"axG",@progbits,_ZN7rocprim17ROCPRIM_400000_NS6detail17trampoline_kernelINS0_14default_configENS1_27upper_bound_config_selectorIflEEZNS1_14transform_implILb0ES3_S5_N6thrust23THRUST_200600_302600_NS6detail15normal_iteratorINS8_7pointerIfNS8_11hip_rocprim5par_tENS8_11use_defaultESE_EEEENSA_INSB_IlSD_SE_SE_EEEEZNS1_13binary_searchIS3_S5_NSA_INS8_10device_ptrIfEEEESG_SI_NS1_21upper_bound_search_opENS9_16wrapped_functionINS8_6system6detail7generic6detail18binary_search_lessEbEEEE10hipError_tPvRmT1_T2_T3_mmT4_T5_P12ihipStream_tbEUlRKfE_EESV_SZ_S10_mS11_S14_bEUlT_E_NS1_11comp_targetILNS1_3genE4ELNS1_11target_archE910ELNS1_3gpuE8ELNS1_3repE0EEENS1_30default_config_static_selectorELNS0_4arch9wavefront6targetE0EEEvSY_,comdat
	.protected	_ZN7rocprim17ROCPRIM_400000_NS6detail17trampoline_kernelINS0_14default_configENS1_27upper_bound_config_selectorIflEEZNS1_14transform_implILb0ES3_S5_N6thrust23THRUST_200600_302600_NS6detail15normal_iteratorINS8_7pointerIfNS8_11hip_rocprim5par_tENS8_11use_defaultESE_EEEENSA_INSB_IlSD_SE_SE_EEEEZNS1_13binary_searchIS3_S5_NSA_INS8_10device_ptrIfEEEESG_SI_NS1_21upper_bound_search_opENS9_16wrapped_functionINS8_6system6detail7generic6detail18binary_search_lessEbEEEE10hipError_tPvRmT1_T2_T3_mmT4_T5_P12ihipStream_tbEUlRKfE_EESV_SZ_S10_mS11_S14_bEUlT_E_NS1_11comp_targetILNS1_3genE4ELNS1_11target_archE910ELNS1_3gpuE8ELNS1_3repE0EEENS1_30default_config_static_selectorELNS0_4arch9wavefront6targetE0EEEvSY_ ; -- Begin function _ZN7rocprim17ROCPRIM_400000_NS6detail17trampoline_kernelINS0_14default_configENS1_27upper_bound_config_selectorIflEEZNS1_14transform_implILb0ES3_S5_N6thrust23THRUST_200600_302600_NS6detail15normal_iteratorINS8_7pointerIfNS8_11hip_rocprim5par_tENS8_11use_defaultESE_EEEENSA_INSB_IlSD_SE_SE_EEEEZNS1_13binary_searchIS3_S5_NSA_INS8_10device_ptrIfEEEESG_SI_NS1_21upper_bound_search_opENS9_16wrapped_functionINS8_6system6detail7generic6detail18binary_search_lessEbEEEE10hipError_tPvRmT1_T2_T3_mmT4_T5_P12ihipStream_tbEUlRKfE_EESV_SZ_S10_mS11_S14_bEUlT_E_NS1_11comp_targetILNS1_3genE4ELNS1_11target_archE910ELNS1_3gpuE8ELNS1_3repE0EEENS1_30default_config_static_selectorELNS0_4arch9wavefront6targetE0EEEvSY_
	.globl	_ZN7rocprim17ROCPRIM_400000_NS6detail17trampoline_kernelINS0_14default_configENS1_27upper_bound_config_selectorIflEEZNS1_14transform_implILb0ES3_S5_N6thrust23THRUST_200600_302600_NS6detail15normal_iteratorINS8_7pointerIfNS8_11hip_rocprim5par_tENS8_11use_defaultESE_EEEENSA_INSB_IlSD_SE_SE_EEEEZNS1_13binary_searchIS3_S5_NSA_INS8_10device_ptrIfEEEESG_SI_NS1_21upper_bound_search_opENS9_16wrapped_functionINS8_6system6detail7generic6detail18binary_search_lessEbEEEE10hipError_tPvRmT1_T2_T3_mmT4_T5_P12ihipStream_tbEUlRKfE_EESV_SZ_S10_mS11_S14_bEUlT_E_NS1_11comp_targetILNS1_3genE4ELNS1_11target_archE910ELNS1_3gpuE8ELNS1_3repE0EEENS1_30default_config_static_selectorELNS0_4arch9wavefront6targetE0EEEvSY_
	.p2align	8
	.type	_ZN7rocprim17ROCPRIM_400000_NS6detail17trampoline_kernelINS0_14default_configENS1_27upper_bound_config_selectorIflEEZNS1_14transform_implILb0ES3_S5_N6thrust23THRUST_200600_302600_NS6detail15normal_iteratorINS8_7pointerIfNS8_11hip_rocprim5par_tENS8_11use_defaultESE_EEEENSA_INSB_IlSD_SE_SE_EEEEZNS1_13binary_searchIS3_S5_NSA_INS8_10device_ptrIfEEEESG_SI_NS1_21upper_bound_search_opENS9_16wrapped_functionINS8_6system6detail7generic6detail18binary_search_lessEbEEEE10hipError_tPvRmT1_T2_T3_mmT4_T5_P12ihipStream_tbEUlRKfE_EESV_SZ_S10_mS11_S14_bEUlT_E_NS1_11comp_targetILNS1_3genE4ELNS1_11target_archE910ELNS1_3gpuE8ELNS1_3repE0EEENS1_30default_config_static_selectorELNS0_4arch9wavefront6targetE0EEEvSY_,@function
_ZN7rocprim17ROCPRIM_400000_NS6detail17trampoline_kernelINS0_14default_configENS1_27upper_bound_config_selectorIflEEZNS1_14transform_implILb0ES3_S5_N6thrust23THRUST_200600_302600_NS6detail15normal_iteratorINS8_7pointerIfNS8_11hip_rocprim5par_tENS8_11use_defaultESE_EEEENSA_INSB_IlSD_SE_SE_EEEEZNS1_13binary_searchIS3_S5_NSA_INS8_10device_ptrIfEEEESG_SI_NS1_21upper_bound_search_opENS9_16wrapped_functionINS8_6system6detail7generic6detail18binary_search_lessEbEEEE10hipError_tPvRmT1_T2_T3_mmT4_T5_P12ihipStream_tbEUlRKfE_EESV_SZ_S10_mS11_S14_bEUlT_E_NS1_11comp_targetILNS1_3genE4ELNS1_11target_archE910ELNS1_3gpuE8ELNS1_3repE0EEENS1_30default_config_static_selectorELNS0_4arch9wavefront6targetE0EEEvSY_: ; @_ZN7rocprim17ROCPRIM_400000_NS6detail17trampoline_kernelINS0_14default_configENS1_27upper_bound_config_selectorIflEEZNS1_14transform_implILb0ES3_S5_N6thrust23THRUST_200600_302600_NS6detail15normal_iteratorINS8_7pointerIfNS8_11hip_rocprim5par_tENS8_11use_defaultESE_EEEENSA_INSB_IlSD_SE_SE_EEEEZNS1_13binary_searchIS3_S5_NSA_INS8_10device_ptrIfEEEESG_SI_NS1_21upper_bound_search_opENS9_16wrapped_functionINS8_6system6detail7generic6detail18binary_search_lessEbEEEE10hipError_tPvRmT1_T2_T3_mmT4_T5_P12ihipStream_tbEUlRKfE_EESV_SZ_S10_mS11_S14_bEUlT_E_NS1_11comp_targetILNS1_3genE4ELNS1_11target_archE910ELNS1_3gpuE8ELNS1_3repE0EEENS1_30default_config_static_selectorELNS0_4arch9wavefront6targetE0EEEvSY_
; %bb.0:
	.section	.rodata,"a",@progbits
	.p2align	6, 0x0
	.amdhsa_kernel _ZN7rocprim17ROCPRIM_400000_NS6detail17trampoline_kernelINS0_14default_configENS1_27upper_bound_config_selectorIflEEZNS1_14transform_implILb0ES3_S5_N6thrust23THRUST_200600_302600_NS6detail15normal_iteratorINS8_7pointerIfNS8_11hip_rocprim5par_tENS8_11use_defaultESE_EEEENSA_INSB_IlSD_SE_SE_EEEEZNS1_13binary_searchIS3_S5_NSA_INS8_10device_ptrIfEEEESG_SI_NS1_21upper_bound_search_opENS9_16wrapped_functionINS8_6system6detail7generic6detail18binary_search_lessEbEEEE10hipError_tPvRmT1_T2_T3_mmT4_T5_P12ihipStream_tbEUlRKfE_EESV_SZ_S10_mS11_S14_bEUlT_E_NS1_11comp_targetILNS1_3genE4ELNS1_11target_archE910ELNS1_3gpuE8ELNS1_3repE0EEENS1_30default_config_static_selectorELNS0_4arch9wavefront6targetE0EEEvSY_
		.amdhsa_group_segment_fixed_size 0
		.amdhsa_private_segment_fixed_size 0
		.amdhsa_kernarg_size 56
		.amdhsa_user_sgpr_count 6
		.amdhsa_user_sgpr_private_segment_buffer 1
		.amdhsa_user_sgpr_dispatch_ptr 0
		.amdhsa_user_sgpr_queue_ptr 0
		.amdhsa_user_sgpr_kernarg_segment_ptr 1
		.amdhsa_user_sgpr_dispatch_id 0
		.amdhsa_user_sgpr_flat_scratch_init 0
		.amdhsa_user_sgpr_private_segment_size 0
		.amdhsa_wavefront_size32 1
		.amdhsa_uses_dynamic_stack 0
		.amdhsa_system_sgpr_private_segment_wavefront_offset 0
		.amdhsa_system_sgpr_workgroup_id_x 1
		.amdhsa_system_sgpr_workgroup_id_y 0
		.amdhsa_system_sgpr_workgroup_id_z 0
		.amdhsa_system_sgpr_workgroup_info 0
		.amdhsa_system_vgpr_workitem_id 0
		.amdhsa_next_free_vgpr 1
		.amdhsa_next_free_sgpr 1
		.amdhsa_reserve_vcc 0
		.amdhsa_reserve_flat_scratch 0
		.amdhsa_float_round_mode_32 0
		.amdhsa_float_round_mode_16_64 0
		.amdhsa_float_denorm_mode_32 3
		.amdhsa_float_denorm_mode_16_64 3
		.amdhsa_dx10_clamp 1
		.amdhsa_ieee_mode 1
		.amdhsa_fp16_overflow 0
		.amdhsa_workgroup_processor_mode 1
		.amdhsa_memory_ordered 1
		.amdhsa_forward_progress 1
		.amdhsa_shared_vgpr_count 0
		.amdhsa_exception_fp_ieee_invalid_op 0
		.amdhsa_exception_fp_denorm_src 0
		.amdhsa_exception_fp_ieee_div_zero 0
		.amdhsa_exception_fp_ieee_overflow 0
		.amdhsa_exception_fp_ieee_underflow 0
		.amdhsa_exception_fp_ieee_inexact 0
		.amdhsa_exception_int_div_zero 0
	.end_amdhsa_kernel
	.section	.text._ZN7rocprim17ROCPRIM_400000_NS6detail17trampoline_kernelINS0_14default_configENS1_27upper_bound_config_selectorIflEEZNS1_14transform_implILb0ES3_S5_N6thrust23THRUST_200600_302600_NS6detail15normal_iteratorINS8_7pointerIfNS8_11hip_rocprim5par_tENS8_11use_defaultESE_EEEENSA_INSB_IlSD_SE_SE_EEEEZNS1_13binary_searchIS3_S5_NSA_INS8_10device_ptrIfEEEESG_SI_NS1_21upper_bound_search_opENS9_16wrapped_functionINS8_6system6detail7generic6detail18binary_search_lessEbEEEE10hipError_tPvRmT1_T2_T3_mmT4_T5_P12ihipStream_tbEUlRKfE_EESV_SZ_S10_mS11_S14_bEUlT_E_NS1_11comp_targetILNS1_3genE4ELNS1_11target_archE910ELNS1_3gpuE8ELNS1_3repE0EEENS1_30default_config_static_selectorELNS0_4arch9wavefront6targetE0EEEvSY_,"axG",@progbits,_ZN7rocprim17ROCPRIM_400000_NS6detail17trampoline_kernelINS0_14default_configENS1_27upper_bound_config_selectorIflEEZNS1_14transform_implILb0ES3_S5_N6thrust23THRUST_200600_302600_NS6detail15normal_iteratorINS8_7pointerIfNS8_11hip_rocprim5par_tENS8_11use_defaultESE_EEEENSA_INSB_IlSD_SE_SE_EEEEZNS1_13binary_searchIS3_S5_NSA_INS8_10device_ptrIfEEEESG_SI_NS1_21upper_bound_search_opENS9_16wrapped_functionINS8_6system6detail7generic6detail18binary_search_lessEbEEEE10hipError_tPvRmT1_T2_T3_mmT4_T5_P12ihipStream_tbEUlRKfE_EESV_SZ_S10_mS11_S14_bEUlT_E_NS1_11comp_targetILNS1_3genE4ELNS1_11target_archE910ELNS1_3gpuE8ELNS1_3repE0EEENS1_30default_config_static_selectorELNS0_4arch9wavefront6targetE0EEEvSY_,comdat
.Lfunc_end529:
	.size	_ZN7rocprim17ROCPRIM_400000_NS6detail17trampoline_kernelINS0_14default_configENS1_27upper_bound_config_selectorIflEEZNS1_14transform_implILb0ES3_S5_N6thrust23THRUST_200600_302600_NS6detail15normal_iteratorINS8_7pointerIfNS8_11hip_rocprim5par_tENS8_11use_defaultESE_EEEENSA_INSB_IlSD_SE_SE_EEEEZNS1_13binary_searchIS3_S5_NSA_INS8_10device_ptrIfEEEESG_SI_NS1_21upper_bound_search_opENS9_16wrapped_functionINS8_6system6detail7generic6detail18binary_search_lessEbEEEE10hipError_tPvRmT1_T2_T3_mmT4_T5_P12ihipStream_tbEUlRKfE_EESV_SZ_S10_mS11_S14_bEUlT_E_NS1_11comp_targetILNS1_3genE4ELNS1_11target_archE910ELNS1_3gpuE8ELNS1_3repE0EEENS1_30default_config_static_selectorELNS0_4arch9wavefront6targetE0EEEvSY_, .Lfunc_end529-_ZN7rocprim17ROCPRIM_400000_NS6detail17trampoline_kernelINS0_14default_configENS1_27upper_bound_config_selectorIflEEZNS1_14transform_implILb0ES3_S5_N6thrust23THRUST_200600_302600_NS6detail15normal_iteratorINS8_7pointerIfNS8_11hip_rocprim5par_tENS8_11use_defaultESE_EEEENSA_INSB_IlSD_SE_SE_EEEEZNS1_13binary_searchIS3_S5_NSA_INS8_10device_ptrIfEEEESG_SI_NS1_21upper_bound_search_opENS9_16wrapped_functionINS8_6system6detail7generic6detail18binary_search_lessEbEEEE10hipError_tPvRmT1_T2_T3_mmT4_T5_P12ihipStream_tbEUlRKfE_EESV_SZ_S10_mS11_S14_bEUlT_E_NS1_11comp_targetILNS1_3genE4ELNS1_11target_archE910ELNS1_3gpuE8ELNS1_3repE0EEENS1_30default_config_static_selectorELNS0_4arch9wavefront6targetE0EEEvSY_
                                        ; -- End function
	.set _ZN7rocprim17ROCPRIM_400000_NS6detail17trampoline_kernelINS0_14default_configENS1_27upper_bound_config_selectorIflEEZNS1_14transform_implILb0ES3_S5_N6thrust23THRUST_200600_302600_NS6detail15normal_iteratorINS8_7pointerIfNS8_11hip_rocprim5par_tENS8_11use_defaultESE_EEEENSA_INSB_IlSD_SE_SE_EEEEZNS1_13binary_searchIS3_S5_NSA_INS8_10device_ptrIfEEEESG_SI_NS1_21upper_bound_search_opENS9_16wrapped_functionINS8_6system6detail7generic6detail18binary_search_lessEbEEEE10hipError_tPvRmT1_T2_T3_mmT4_T5_P12ihipStream_tbEUlRKfE_EESV_SZ_S10_mS11_S14_bEUlT_E_NS1_11comp_targetILNS1_3genE4ELNS1_11target_archE910ELNS1_3gpuE8ELNS1_3repE0EEENS1_30default_config_static_selectorELNS0_4arch9wavefront6targetE0EEEvSY_.num_vgpr, 0
	.set _ZN7rocprim17ROCPRIM_400000_NS6detail17trampoline_kernelINS0_14default_configENS1_27upper_bound_config_selectorIflEEZNS1_14transform_implILb0ES3_S5_N6thrust23THRUST_200600_302600_NS6detail15normal_iteratorINS8_7pointerIfNS8_11hip_rocprim5par_tENS8_11use_defaultESE_EEEENSA_INSB_IlSD_SE_SE_EEEEZNS1_13binary_searchIS3_S5_NSA_INS8_10device_ptrIfEEEESG_SI_NS1_21upper_bound_search_opENS9_16wrapped_functionINS8_6system6detail7generic6detail18binary_search_lessEbEEEE10hipError_tPvRmT1_T2_T3_mmT4_T5_P12ihipStream_tbEUlRKfE_EESV_SZ_S10_mS11_S14_bEUlT_E_NS1_11comp_targetILNS1_3genE4ELNS1_11target_archE910ELNS1_3gpuE8ELNS1_3repE0EEENS1_30default_config_static_selectorELNS0_4arch9wavefront6targetE0EEEvSY_.num_agpr, 0
	.set _ZN7rocprim17ROCPRIM_400000_NS6detail17trampoline_kernelINS0_14default_configENS1_27upper_bound_config_selectorIflEEZNS1_14transform_implILb0ES3_S5_N6thrust23THRUST_200600_302600_NS6detail15normal_iteratorINS8_7pointerIfNS8_11hip_rocprim5par_tENS8_11use_defaultESE_EEEENSA_INSB_IlSD_SE_SE_EEEEZNS1_13binary_searchIS3_S5_NSA_INS8_10device_ptrIfEEEESG_SI_NS1_21upper_bound_search_opENS9_16wrapped_functionINS8_6system6detail7generic6detail18binary_search_lessEbEEEE10hipError_tPvRmT1_T2_T3_mmT4_T5_P12ihipStream_tbEUlRKfE_EESV_SZ_S10_mS11_S14_bEUlT_E_NS1_11comp_targetILNS1_3genE4ELNS1_11target_archE910ELNS1_3gpuE8ELNS1_3repE0EEENS1_30default_config_static_selectorELNS0_4arch9wavefront6targetE0EEEvSY_.numbered_sgpr, 0
	.set _ZN7rocprim17ROCPRIM_400000_NS6detail17trampoline_kernelINS0_14default_configENS1_27upper_bound_config_selectorIflEEZNS1_14transform_implILb0ES3_S5_N6thrust23THRUST_200600_302600_NS6detail15normal_iteratorINS8_7pointerIfNS8_11hip_rocprim5par_tENS8_11use_defaultESE_EEEENSA_INSB_IlSD_SE_SE_EEEEZNS1_13binary_searchIS3_S5_NSA_INS8_10device_ptrIfEEEESG_SI_NS1_21upper_bound_search_opENS9_16wrapped_functionINS8_6system6detail7generic6detail18binary_search_lessEbEEEE10hipError_tPvRmT1_T2_T3_mmT4_T5_P12ihipStream_tbEUlRKfE_EESV_SZ_S10_mS11_S14_bEUlT_E_NS1_11comp_targetILNS1_3genE4ELNS1_11target_archE910ELNS1_3gpuE8ELNS1_3repE0EEENS1_30default_config_static_selectorELNS0_4arch9wavefront6targetE0EEEvSY_.num_named_barrier, 0
	.set _ZN7rocprim17ROCPRIM_400000_NS6detail17trampoline_kernelINS0_14default_configENS1_27upper_bound_config_selectorIflEEZNS1_14transform_implILb0ES3_S5_N6thrust23THRUST_200600_302600_NS6detail15normal_iteratorINS8_7pointerIfNS8_11hip_rocprim5par_tENS8_11use_defaultESE_EEEENSA_INSB_IlSD_SE_SE_EEEEZNS1_13binary_searchIS3_S5_NSA_INS8_10device_ptrIfEEEESG_SI_NS1_21upper_bound_search_opENS9_16wrapped_functionINS8_6system6detail7generic6detail18binary_search_lessEbEEEE10hipError_tPvRmT1_T2_T3_mmT4_T5_P12ihipStream_tbEUlRKfE_EESV_SZ_S10_mS11_S14_bEUlT_E_NS1_11comp_targetILNS1_3genE4ELNS1_11target_archE910ELNS1_3gpuE8ELNS1_3repE0EEENS1_30default_config_static_selectorELNS0_4arch9wavefront6targetE0EEEvSY_.private_seg_size, 0
	.set _ZN7rocprim17ROCPRIM_400000_NS6detail17trampoline_kernelINS0_14default_configENS1_27upper_bound_config_selectorIflEEZNS1_14transform_implILb0ES3_S5_N6thrust23THRUST_200600_302600_NS6detail15normal_iteratorINS8_7pointerIfNS8_11hip_rocprim5par_tENS8_11use_defaultESE_EEEENSA_INSB_IlSD_SE_SE_EEEEZNS1_13binary_searchIS3_S5_NSA_INS8_10device_ptrIfEEEESG_SI_NS1_21upper_bound_search_opENS9_16wrapped_functionINS8_6system6detail7generic6detail18binary_search_lessEbEEEE10hipError_tPvRmT1_T2_T3_mmT4_T5_P12ihipStream_tbEUlRKfE_EESV_SZ_S10_mS11_S14_bEUlT_E_NS1_11comp_targetILNS1_3genE4ELNS1_11target_archE910ELNS1_3gpuE8ELNS1_3repE0EEENS1_30default_config_static_selectorELNS0_4arch9wavefront6targetE0EEEvSY_.uses_vcc, 0
	.set _ZN7rocprim17ROCPRIM_400000_NS6detail17trampoline_kernelINS0_14default_configENS1_27upper_bound_config_selectorIflEEZNS1_14transform_implILb0ES3_S5_N6thrust23THRUST_200600_302600_NS6detail15normal_iteratorINS8_7pointerIfNS8_11hip_rocprim5par_tENS8_11use_defaultESE_EEEENSA_INSB_IlSD_SE_SE_EEEEZNS1_13binary_searchIS3_S5_NSA_INS8_10device_ptrIfEEEESG_SI_NS1_21upper_bound_search_opENS9_16wrapped_functionINS8_6system6detail7generic6detail18binary_search_lessEbEEEE10hipError_tPvRmT1_T2_T3_mmT4_T5_P12ihipStream_tbEUlRKfE_EESV_SZ_S10_mS11_S14_bEUlT_E_NS1_11comp_targetILNS1_3genE4ELNS1_11target_archE910ELNS1_3gpuE8ELNS1_3repE0EEENS1_30default_config_static_selectorELNS0_4arch9wavefront6targetE0EEEvSY_.uses_flat_scratch, 0
	.set _ZN7rocprim17ROCPRIM_400000_NS6detail17trampoline_kernelINS0_14default_configENS1_27upper_bound_config_selectorIflEEZNS1_14transform_implILb0ES3_S5_N6thrust23THRUST_200600_302600_NS6detail15normal_iteratorINS8_7pointerIfNS8_11hip_rocprim5par_tENS8_11use_defaultESE_EEEENSA_INSB_IlSD_SE_SE_EEEEZNS1_13binary_searchIS3_S5_NSA_INS8_10device_ptrIfEEEESG_SI_NS1_21upper_bound_search_opENS9_16wrapped_functionINS8_6system6detail7generic6detail18binary_search_lessEbEEEE10hipError_tPvRmT1_T2_T3_mmT4_T5_P12ihipStream_tbEUlRKfE_EESV_SZ_S10_mS11_S14_bEUlT_E_NS1_11comp_targetILNS1_3genE4ELNS1_11target_archE910ELNS1_3gpuE8ELNS1_3repE0EEENS1_30default_config_static_selectorELNS0_4arch9wavefront6targetE0EEEvSY_.has_dyn_sized_stack, 0
	.set _ZN7rocprim17ROCPRIM_400000_NS6detail17trampoline_kernelINS0_14default_configENS1_27upper_bound_config_selectorIflEEZNS1_14transform_implILb0ES3_S5_N6thrust23THRUST_200600_302600_NS6detail15normal_iteratorINS8_7pointerIfNS8_11hip_rocprim5par_tENS8_11use_defaultESE_EEEENSA_INSB_IlSD_SE_SE_EEEEZNS1_13binary_searchIS3_S5_NSA_INS8_10device_ptrIfEEEESG_SI_NS1_21upper_bound_search_opENS9_16wrapped_functionINS8_6system6detail7generic6detail18binary_search_lessEbEEEE10hipError_tPvRmT1_T2_T3_mmT4_T5_P12ihipStream_tbEUlRKfE_EESV_SZ_S10_mS11_S14_bEUlT_E_NS1_11comp_targetILNS1_3genE4ELNS1_11target_archE910ELNS1_3gpuE8ELNS1_3repE0EEENS1_30default_config_static_selectorELNS0_4arch9wavefront6targetE0EEEvSY_.has_recursion, 0
	.set _ZN7rocprim17ROCPRIM_400000_NS6detail17trampoline_kernelINS0_14default_configENS1_27upper_bound_config_selectorIflEEZNS1_14transform_implILb0ES3_S5_N6thrust23THRUST_200600_302600_NS6detail15normal_iteratorINS8_7pointerIfNS8_11hip_rocprim5par_tENS8_11use_defaultESE_EEEENSA_INSB_IlSD_SE_SE_EEEEZNS1_13binary_searchIS3_S5_NSA_INS8_10device_ptrIfEEEESG_SI_NS1_21upper_bound_search_opENS9_16wrapped_functionINS8_6system6detail7generic6detail18binary_search_lessEbEEEE10hipError_tPvRmT1_T2_T3_mmT4_T5_P12ihipStream_tbEUlRKfE_EESV_SZ_S10_mS11_S14_bEUlT_E_NS1_11comp_targetILNS1_3genE4ELNS1_11target_archE910ELNS1_3gpuE8ELNS1_3repE0EEENS1_30default_config_static_selectorELNS0_4arch9wavefront6targetE0EEEvSY_.has_indirect_call, 0
	.section	.AMDGPU.csdata,"",@progbits
; Kernel info:
; codeLenInByte = 0
; TotalNumSgprs: 0
; NumVgprs: 0
; ScratchSize: 0
; MemoryBound: 0
; FloatMode: 240
; IeeeMode: 1
; LDSByteSize: 0 bytes/workgroup (compile time only)
; SGPRBlocks: 0
; VGPRBlocks: 0
; NumSGPRsForWavesPerEU: 1
; NumVGPRsForWavesPerEU: 1
; Occupancy: 16
; WaveLimiterHint : 0
; COMPUTE_PGM_RSRC2:SCRATCH_EN: 0
; COMPUTE_PGM_RSRC2:USER_SGPR: 6
; COMPUTE_PGM_RSRC2:TRAP_HANDLER: 0
; COMPUTE_PGM_RSRC2:TGID_X_EN: 1
; COMPUTE_PGM_RSRC2:TGID_Y_EN: 0
; COMPUTE_PGM_RSRC2:TGID_Z_EN: 0
; COMPUTE_PGM_RSRC2:TIDIG_COMP_CNT: 0
	.section	.text._ZN7rocprim17ROCPRIM_400000_NS6detail17trampoline_kernelINS0_14default_configENS1_27upper_bound_config_selectorIflEEZNS1_14transform_implILb0ES3_S5_N6thrust23THRUST_200600_302600_NS6detail15normal_iteratorINS8_7pointerIfNS8_11hip_rocprim5par_tENS8_11use_defaultESE_EEEENSA_INSB_IlSD_SE_SE_EEEEZNS1_13binary_searchIS3_S5_NSA_INS8_10device_ptrIfEEEESG_SI_NS1_21upper_bound_search_opENS9_16wrapped_functionINS8_6system6detail7generic6detail18binary_search_lessEbEEEE10hipError_tPvRmT1_T2_T3_mmT4_T5_P12ihipStream_tbEUlRKfE_EESV_SZ_S10_mS11_S14_bEUlT_E_NS1_11comp_targetILNS1_3genE3ELNS1_11target_archE908ELNS1_3gpuE7ELNS1_3repE0EEENS1_30default_config_static_selectorELNS0_4arch9wavefront6targetE0EEEvSY_,"axG",@progbits,_ZN7rocprim17ROCPRIM_400000_NS6detail17trampoline_kernelINS0_14default_configENS1_27upper_bound_config_selectorIflEEZNS1_14transform_implILb0ES3_S5_N6thrust23THRUST_200600_302600_NS6detail15normal_iteratorINS8_7pointerIfNS8_11hip_rocprim5par_tENS8_11use_defaultESE_EEEENSA_INSB_IlSD_SE_SE_EEEEZNS1_13binary_searchIS3_S5_NSA_INS8_10device_ptrIfEEEESG_SI_NS1_21upper_bound_search_opENS9_16wrapped_functionINS8_6system6detail7generic6detail18binary_search_lessEbEEEE10hipError_tPvRmT1_T2_T3_mmT4_T5_P12ihipStream_tbEUlRKfE_EESV_SZ_S10_mS11_S14_bEUlT_E_NS1_11comp_targetILNS1_3genE3ELNS1_11target_archE908ELNS1_3gpuE7ELNS1_3repE0EEENS1_30default_config_static_selectorELNS0_4arch9wavefront6targetE0EEEvSY_,comdat
	.protected	_ZN7rocprim17ROCPRIM_400000_NS6detail17trampoline_kernelINS0_14default_configENS1_27upper_bound_config_selectorIflEEZNS1_14transform_implILb0ES3_S5_N6thrust23THRUST_200600_302600_NS6detail15normal_iteratorINS8_7pointerIfNS8_11hip_rocprim5par_tENS8_11use_defaultESE_EEEENSA_INSB_IlSD_SE_SE_EEEEZNS1_13binary_searchIS3_S5_NSA_INS8_10device_ptrIfEEEESG_SI_NS1_21upper_bound_search_opENS9_16wrapped_functionINS8_6system6detail7generic6detail18binary_search_lessEbEEEE10hipError_tPvRmT1_T2_T3_mmT4_T5_P12ihipStream_tbEUlRKfE_EESV_SZ_S10_mS11_S14_bEUlT_E_NS1_11comp_targetILNS1_3genE3ELNS1_11target_archE908ELNS1_3gpuE7ELNS1_3repE0EEENS1_30default_config_static_selectorELNS0_4arch9wavefront6targetE0EEEvSY_ ; -- Begin function _ZN7rocprim17ROCPRIM_400000_NS6detail17trampoline_kernelINS0_14default_configENS1_27upper_bound_config_selectorIflEEZNS1_14transform_implILb0ES3_S5_N6thrust23THRUST_200600_302600_NS6detail15normal_iteratorINS8_7pointerIfNS8_11hip_rocprim5par_tENS8_11use_defaultESE_EEEENSA_INSB_IlSD_SE_SE_EEEEZNS1_13binary_searchIS3_S5_NSA_INS8_10device_ptrIfEEEESG_SI_NS1_21upper_bound_search_opENS9_16wrapped_functionINS8_6system6detail7generic6detail18binary_search_lessEbEEEE10hipError_tPvRmT1_T2_T3_mmT4_T5_P12ihipStream_tbEUlRKfE_EESV_SZ_S10_mS11_S14_bEUlT_E_NS1_11comp_targetILNS1_3genE3ELNS1_11target_archE908ELNS1_3gpuE7ELNS1_3repE0EEENS1_30default_config_static_selectorELNS0_4arch9wavefront6targetE0EEEvSY_
	.globl	_ZN7rocprim17ROCPRIM_400000_NS6detail17trampoline_kernelINS0_14default_configENS1_27upper_bound_config_selectorIflEEZNS1_14transform_implILb0ES3_S5_N6thrust23THRUST_200600_302600_NS6detail15normal_iteratorINS8_7pointerIfNS8_11hip_rocprim5par_tENS8_11use_defaultESE_EEEENSA_INSB_IlSD_SE_SE_EEEEZNS1_13binary_searchIS3_S5_NSA_INS8_10device_ptrIfEEEESG_SI_NS1_21upper_bound_search_opENS9_16wrapped_functionINS8_6system6detail7generic6detail18binary_search_lessEbEEEE10hipError_tPvRmT1_T2_T3_mmT4_T5_P12ihipStream_tbEUlRKfE_EESV_SZ_S10_mS11_S14_bEUlT_E_NS1_11comp_targetILNS1_3genE3ELNS1_11target_archE908ELNS1_3gpuE7ELNS1_3repE0EEENS1_30default_config_static_selectorELNS0_4arch9wavefront6targetE0EEEvSY_
	.p2align	8
	.type	_ZN7rocprim17ROCPRIM_400000_NS6detail17trampoline_kernelINS0_14default_configENS1_27upper_bound_config_selectorIflEEZNS1_14transform_implILb0ES3_S5_N6thrust23THRUST_200600_302600_NS6detail15normal_iteratorINS8_7pointerIfNS8_11hip_rocprim5par_tENS8_11use_defaultESE_EEEENSA_INSB_IlSD_SE_SE_EEEEZNS1_13binary_searchIS3_S5_NSA_INS8_10device_ptrIfEEEESG_SI_NS1_21upper_bound_search_opENS9_16wrapped_functionINS8_6system6detail7generic6detail18binary_search_lessEbEEEE10hipError_tPvRmT1_T2_T3_mmT4_T5_P12ihipStream_tbEUlRKfE_EESV_SZ_S10_mS11_S14_bEUlT_E_NS1_11comp_targetILNS1_3genE3ELNS1_11target_archE908ELNS1_3gpuE7ELNS1_3repE0EEENS1_30default_config_static_selectorELNS0_4arch9wavefront6targetE0EEEvSY_,@function
_ZN7rocprim17ROCPRIM_400000_NS6detail17trampoline_kernelINS0_14default_configENS1_27upper_bound_config_selectorIflEEZNS1_14transform_implILb0ES3_S5_N6thrust23THRUST_200600_302600_NS6detail15normal_iteratorINS8_7pointerIfNS8_11hip_rocprim5par_tENS8_11use_defaultESE_EEEENSA_INSB_IlSD_SE_SE_EEEEZNS1_13binary_searchIS3_S5_NSA_INS8_10device_ptrIfEEEESG_SI_NS1_21upper_bound_search_opENS9_16wrapped_functionINS8_6system6detail7generic6detail18binary_search_lessEbEEEE10hipError_tPvRmT1_T2_T3_mmT4_T5_P12ihipStream_tbEUlRKfE_EESV_SZ_S10_mS11_S14_bEUlT_E_NS1_11comp_targetILNS1_3genE3ELNS1_11target_archE908ELNS1_3gpuE7ELNS1_3repE0EEENS1_30default_config_static_selectorELNS0_4arch9wavefront6targetE0EEEvSY_: ; @_ZN7rocprim17ROCPRIM_400000_NS6detail17trampoline_kernelINS0_14default_configENS1_27upper_bound_config_selectorIflEEZNS1_14transform_implILb0ES3_S5_N6thrust23THRUST_200600_302600_NS6detail15normal_iteratorINS8_7pointerIfNS8_11hip_rocprim5par_tENS8_11use_defaultESE_EEEENSA_INSB_IlSD_SE_SE_EEEEZNS1_13binary_searchIS3_S5_NSA_INS8_10device_ptrIfEEEESG_SI_NS1_21upper_bound_search_opENS9_16wrapped_functionINS8_6system6detail7generic6detail18binary_search_lessEbEEEE10hipError_tPvRmT1_T2_T3_mmT4_T5_P12ihipStream_tbEUlRKfE_EESV_SZ_S10_mS11_S14_bEUlT_E_NS1_11comp_targetILNS1_3genE3ELNS1_11target_archE908ELNS1_3gpuE7ELNS1_3repE0EEENS1_30default_config_static_selectorELNS0_4arch9wavefront6targetE0EEEvSY_
; %bb.0:
	.section	.rodata,"a",@progbits
	.p2align	6, 0x0
	.amdhsa_kernel _ZN7rocprim17ROCPRIM_400000_NS6detail17trampoline_kernelINS0_14default_configENS1_27upper_bound_config_selectorIflEEZNS1_14transform_implILb0ES3_S5_N6thrust23THRUST_200600_302600_NS6detail15normal_iteratorINS8_7pointerIfNS8_11hip_rocprim5par_tENS8_11use_defaultESE_EEEENSA_INSB_IlSD_SE_SE_EEEEZNS1_13binary_searchIS3_S5_NSA_INS8_10device_ptrIfEEEESG_SI_NS1_21upper_bound_search_opENS9_16wrapped_functionINS8_6system6detail7generic6detail18binary_search_lessEbEEEE10hipError_tPvRmT1_T2_T3_mmT4_T5_P12ihipStream_tbEUlRKfE_EESV_SZ_S10_mS11_S14_bEUlT_E_NS1_11comp_targetILNS1_3genE3ELNS1_11target_archE908ELNS1_3gpuE7ELNS1_3repE0EEENS1_30default_config_static_selectorELNS0_4arch9wavefront6targetE0EEEvSY_
		.amdhsa_group_segment_fixed_size 0
		.amdhsa_private_segment_fixed_size 0
		.amdhsa_kernarg_size 56
		.amdhsa_user_sgpr_count 6
		.amdhsa_user_sgpr_private_segment_buffer 1
		.amdhsa_user_sgpr_dispatch_ptr 0
		.amdhsa_user_sgpr_queue_ptr 0
		.amdhsa_user_sgpr_kernarg_segment_ptr 1
		.amdhsa_user_sgpr_dispatch_id 0
		.amdhsa_user_sgpr_flat_scratch_init 0
		.amdhsa_user_sgpr_private_segment_size 0
		.amdhsa_wavefront_size32 1
		.amdhsa_uses_dynamic_stack 0
		.amdhsa_system_sgpr_private_segment_wavefront_offset 0
		.amdhsa_system_sgpr_workgroup_id_x 1
		.amdhsa_system_sgpr_workgroup_id_y 0
		.amdhsa_system_sgpr_workgroup_id_z 0
		.amdhsa_system_sgpr_workgroup_info 0
		.amdhsa_system_vgpr_workitem_id 0
		.amdhsa_next_free_vgpr 1
		.amdhsa_next_free_sgpr 1
		.amdhsa_reserve_vcc 0
		.amdhsa_reserve_flat_scratch 0
		.amdhsa_float_round_mode_32 0
		.amdhsa_float_round_mode_16_64 0
		.amdhsa_float_denorm_mode_32 3
		.amdhsa_float_denorm_mode_16_64 3
		.amdhsa_dx10_clamp 1
		.amdhsa_ieee_mode 1
		.amdhsa_fp16_overflow 0
		.amdhsa_workgroup_processor_mode 1
		.amdhsa_memory_ordered 1
		.amdhsa_forward_progress 1
		.amdhsa_shared_vgpr_count 0
		.amdhsa_exception_fp_ieee_invalid_op 0
		.amdhsa_exception_fp_denorm_src 0
		.amdhsa_exception_fp_ieee_div_zero 0
		.amdhsa_exception_fp_ieee_overflow 0
		.amdhsa_exception_fp_ieee_underflow 0
		.amdhsa_exception_fp_ieee_inexact 0
		.amdhsa_exception_int_div_zero 0
	.end_amdhsa_kernel
	.section	.text._ZN7rocprim17ROCPRIM_400000_NS6detail17trampoline_kernelINS0_14default_configENS1_27upper_bound_config_selectorIflEEZNS1_14transform_implILb0ES3_S5_N6thrust23THRUST_200600_302600_NS6detail15normal_iteratorINS8_7pointerIfNS8_11hip_rocprim5par_tENS8_11use_defaultESE_EEEENSA_INSB_IlSD_SE_SE_EEEEZNS1_13binary_searchIS3_S5_NSA_INS8_10device_ptrIfEEEESG_SI_NS1_21upper_bound_search_opENS9_16wrapped_functionINS8_6system6detail7generic6detail18binary_search_lessEbEEEE10hipError_tPvRmT1_T2_T3_mmT4_T5_P12ihipStream_tbEUlRKfE_EESV_SZ_S10_mS11_S14_bEUlT_E_NS1_11comp_targetILNS1_3genE3ELNS1_11target_archE908ELNS1_3gpuE7ELNS1_3repE0EEENS1_30default_config_static_selectorELNS0_4arch9wavefront6targetE0EEEvSY_,"axG",@progbits,_ZN7rocprim17ROCPRIM_400000_NS6detail17trampoline_kernelINS0_14default_configENS1_27upper_bound_config_selectorIflEEZNS1_14transform_implILb0ES3_S5_N6thrust23THRUST_200600_302600_NS6detail15normal_iteratorINS8_7pointerIfNS8_11hip_rocprim5par_tENS8_11use_defaultESE_EEEENSA_INSB_IlSD_SE_SE_EEEEZNS1_13binary_searchIS3_S5_NSA_INS8_10device_ptrIfEEEESG_SI_NS1_21upper_bound_search_opENS9_16wrapped_functionINS8_6system6detail7generic6detail18binary_search_lessEbEEEE10hipError_tPvRmT1_T2_T3_mmT4_T5_P12ihipStream_tbEUlRKfE_EESV_SZ_S10_mS11_S14_bEUlT_E_NS1_11comp_targetILNS1_3genE3ELNS1_11target_archE908ELNS1_3gpuE7ELNS1_3repE0EEENS1_30default_config_static_selectorELNS0_4arch9wavefront6targetE0EEEvSY_,comdat
.Lfunc_end530:
	.size	_ZN7rocprim17ROCPRIM_400000_NS6detail17trampoline_kernelINS0_14default_configENS1_27upper_bound_config_selectorIflEEZNS1_14transform_implILb0ES3_S5_N6thrust23THRUST_200600_302600_NS6detail15normal_iteratorINS8_7pointerIfNS8_11hip_rocprim5par_tENS8_11use_defaultESE_EEEENSA_INSB_IlSD_SE_SE_EEEEZNS1_13binary_searchIS3_S5_NSA_INS8_10device_ptrIfEEEESG_SI_NS1_21upper_bound_search_opENS9_16wrapped_functionINS8_6system6detail7generic6detail18binary_search_lessEbEEEE10hipError_tPvRmT1_T2_T3_mmT4_T5_P12ihipStream_tbEUlRKfE_EESV_SZ_S10_mS11_S14_bEUlT_E_NS1_11comp_targetILNS1_3genE3ELNS1_11target_archE908ELNS1_3gpuE7ELNS1_3repE0EEENS1_30default_config_static_selectorELNS0_4arch9wavefront6targetE0EEEvSY_, .Lfunc_end530-_ZN7rocprim17ROCPRIM_400000_NS6detail17trampoline_kernelINS0_14default_configENS1_27upper_bound_config_selectorIflEEZNS1_14transform_implILb0ES3_S5_N6thrust23THRUST_200600_302600_NS6detail15normal_iteratorINS8_7pointerIfNS8_11hip_rocprim5par_tENS8_11use_defaultESE_EEEENSA_INSB_IlSD_SE_SE_EEEEZNS1_13binary_searchIS3_S5_NSA_INS8_10device_ptrIfEEEESG_SI_NS1_21upper_bound_search_opENS9_16wrapped_functionINS8_6system6detail7generic6detail18binary_search_lessEbEEEE10hipError_tPvRmT1_T2_T3_mmT4_T5_P12ihipStream_tbEUlRKfE_EESV_SZ_S10_mS11_S14_bEUlT_E_NS1_11comp_targetILNS1_3genE3ELNS1_11target_archE908ELNS1_3gpuE7ELNS1_3repE0EEENS1_30default_config_static_selectorELNS0_4arch9wavefront6targetE0EEEvSY_
                                        ; -- End function
	.set _ZN7rocprim17ROCPRIM_400000_NS6detail17trampoline_kernelINS0_14default_configENS1_27upper_bound_config_selectorIflEEZNS1_14transform_implILb0ES3_S5_N6thrust23THRUST_200600_302600_NS6detail15normal_iteratorINS8_7pointerIfNS8_11hip_rocprim5par_tENS8_11use_defaultESE_EEEENSA_INSB_IlSD_SE_SE_EEEEZNS1_13binary_searchIS3_S5_NSA_INS8_10device_ptrIfEEEESG_SI_NS1_21upper_bound_search_opENS9_16wrapped_functionINS8_6system6detail7generic6detail18binary_search_lessEbEEEE10hipError_tPvRmT1_T2_T3_mmT4_T5_P12ihipStream_tbEUlRKfE_EESV_SZ_S10_mS11_S14_bEUlT_E_NS1_11comp_targetILNS1_3genE3ELNS1_11target_archE908ELNS1_3gpuE7ELNS1_3repE0EEENS1_30default_config_static_selectorELNS0_4arch9wavefront6targetE0EEEvSY_.num_vgpr, 0
	.set _ZN7rocprim17ROCPRIM_400000_NS6detail17trampoline_kernelINS0_14default_configENS1_27upper_bound_config_selectorIflEEZNS1_14transform_implILb0ES3_S5_N6thrust23THRUST_200600_302600_NS6detail15normal_iteratorINS8_7pointerIfNS8_11hip_rocprim5par_tENS8_11use_defaultESE_EEEENSA_INSB_IlSD_SE_SE_EEEEZNS1_13binary_searchIS3_S5_NSA_INS8_10device_ptrIfEEEESG_SI_NS1_21upper_bound_search_opENS9_16wrapped_functionINS8_6system6detail7generic6detail18binary_search_lessEbEEEE10hipError_tPvRmT1_T2_T3_mmT4_T5_P12ihipStream_tbEUlRKfE_EESV_SZ_S10_mS11_S14_bEUlT_E_NS1_11comp_targetILNS1_3genE3ELNS1_11target_archE908ELNS1_3gpuE7ELNS1_3repE0EEENS1_30default_config_static_selectorELNS0_4arch9wavefront6targetE0EEEvSY_.num_agpr, 0
	.set _ZN7rocprim17ROCPRIM_400000_NS6detail17trampoline_kernelINS0_14default_configENS1_27upper_bound_config_selectorIflEEZNS1_14transform_implILb0ES3_S5_N6thrust23THRUST_200600_302600_NS6detail15normal_iteratorINS8_7pointerIfNS8_11hip_rocprim5par_tENS8_11use_defaultESE_EEEENSA_INSB_IlSD_SE_SE_EEEEZNS1_13binary_searchIS3_S5_NSA_INS8_10device_ptrIfEEEESG_SI_NS1_21upper_bound_search_opENS9_16wrapped_functionINS8_6system6detail7generic6detail18binary_search_lessEbEEEE10hipError_tPvRmT1_T2_T3_mmT4_T5_P12ihipStream_tbEUlRKfE_EESV_SZ_S10_mS11_S14_bEUlT_E_NS1_11comp_targetILNS1_3genE3ELNS1_11target_archE908ELNS1_3gpuE7ELNS1_3repE0EEENS1_30default_config_static_selectorELNS0_4arch9wavefront6targetE0EEEvSY_.numbered_sgpr, 0
	.set _ZN7rocprim17ROCPRIM_400000_NS6detail17trampoline_kernelINS0_14default_configENS1_27upper_bound_config_selectorIflEEZNS1_14transform_implILb0ES3_S5_N6thrust23THRUST_200600_302600_NS6detail15normal_iteratorINS8_7pointerIfNS8_11hip_rocprim5par_tENS8_11use_defaultESE_EEEENSA_INSB_IlSD_SE_SE_EEEEZNS1_13binary_searchIS3_S5_NSA_INS8_10device_ptrIfEEEESG_SI_NS1_21upper_bound_search_opENS9_16wrapped_functionINS8_6system6detail7generic6detail18binary_search_lessEbEEEE10hipError_tPvRmT1_T2_T3_mmT4_T5_P12ihipStream_tbEUlRKfE_EESV_SZ_S10_mS11_S14_bEUlT_E_NS1_11comp_targetILNS1_3genE3ELNS1_11target_archE908ELNS1_3gpuE7ELNS1_3repE0EEENS1_30default_config_static_selectorELNS0_4arch9wavefront6targetE0EEEvSY_.num_named_barrier, 0
	.set _ZN7rocprim17ROCPRIM_400000_NS6detail17trampoline_kernelINS0_14default_configENS1_27upper_bound_config_selectorIflEEZNS1_14transform_implILb0ES3_S5_N6thrust23THRUST_200600_302600_NS6detail15normal_iteratorINS8_7pointerIfNS8_11hip_rocprim5par_tENS8_11use_defaultESE_EEEENSA_INSB_IlSD_SE_SE_EEEEZNS1_13binary_searchIS3_S5_NSA_INS8_10device_ptrIfEEEESG_SI_NS1_21upper_bound_search_opENS9_16wrapped_functionINS8_6system6detail7generic6detail18binary_search_lessEbEEEE10hipError_tPvRmT1_T2_T3_mmT4_T5_P12ihipStream_tbEUlRKfE_EESV_SZ_S10_mS11_S14_bEUlT_E_NS1_11comp_targetILNS1_3genE3ELNS1_11target_archE908ELNS1_3gpuE7ELNS1_3repE0EEENS1_30default_config_static_selectorELNS0_4arch9wavefront6targetE0EEEvSY_.private_seg_size, 0
	.set _ZN7rocprim17ROCPRIM_400000_NS6detail17trampoline_kernelINS0_14default_configENS1_27upper_bound_config_selectorIflEEZNS1_14transform_implILb0ES3_S5_N6thrust23THRUST_200600_302600_NS6detail15normal_iteratorINS8_7pointerIfNS8_11hip_rocprim5par_tENS8_11use_defaultESE_EEEENSA_INSB_IlSD_SE_SE_EEEEZNS1_13binary_searchIS3_S5_NSA_INS8_10device_ptrIfEEEESG_SI_NS1_21upper_bound_search_opENS9_16wrapped_functionINS8_6system6detail7generic6detail18binary_search_lessEbEEEE10hipError_tPvRmT1_T2_T3_mmT4_T5_P12ihipStream_tbEUlRKfE_EESV_SZ_S10_mS11_S14_bEUlT_E_NS1_11comp_targetILNS1_3genE3ELNS1_11target_archE908ELNS1_3gpuE7ELNS1_3repE0EEENS1_30default_config_static_selectorELNS0_4arch9wavefront6targetE0EEEvSY_.uses_vcc, 0
	.set _ZN7rocprim17ROCPRIM_400000_NS6detail17trampoline_kernelINS0_14default_configENS1_27upper_bound_config_selectorIflEEZNS1_14transform_implILb0ES3_S5_N6thrust23THRUST_200600_302600_NS6detail15normal_iteratorINS8_7pointerIfNS8_11hip_rocprim5par_tENS8_11use_defaultESE_EEEENSA_INSB_IlSD_SE_SE_EEEEZNS1_13binary_searchIS3_S5_NSA_INS8_10device_ptrIfEEEESG_SI_NS1_21upper_bound_search_opENS9_16wrapped_functionINS8_6system6detail7generic6detail18binary_search_lessEbEEEE10hipError_tPvRmT1_T2_T3_mmT4_T5_P12ihipStream_tbEUlRKfE_EESV_SZ_S10_mS11_S14_bEUlT_E_NS1_11comp_targetILNS1_3genE3ELNS1_11target_archE908ELNS1_3gpuE7ELNS1_3repE0EEENS1_30default_config_static_selectorELNS0_4arch9wavefront6targetE0EEEvSY_.uses_flat_scratch, 0
	.set _ZN7rocprim17ROCPRIM_400000_NS6detail17trampoline_kernelINS0_14default_configENS1_27upper_bound_config_selectorIflEEZNS1_14transform_implILb0ES3_S5_N6thrust23THRUST_200600_302600_NS6detail15normal_iteratorINS8_7pointerIfNS8_11hip_rocprim5par_tENS8_11use_defaultESE_EEEENSA_INSB_IlSD_SE_SE_EEEEZNS1_13binary_searchIS3_S5_NSA_INS8_10device_ptrIfEEEESG_SI_NS1_21upper_bound_search_opENS9_16wrapped_functionINS8_6system6detail7generic6detail18binary_search_lessEbEEEE10hipError_tPvRmT1_T2_T3_mmT4_T5_P12ihipStream_tbEUlRKfE_EESV_SZ_S10_mS11_S14_bEUlT_E_NS1_11comp_targetILNS1_3genE3ELNS1_11target_archE908ELNS1_3gpuE7ELNS1_3repE0EEENS1_30default_config_static_selectorELNS0_4arch9wavefront6targetE0EEEvSY_.has_dyn_sized_stack, 0
	.set _ZN7rocprim17ROCPRIM_400000_NS6detail17trampoline_kernelINS0_14default_configENS1_27upper_bound_config_selectorIflEEZNS1_14transform_implILb0ES3_S5_N6thrust23THRUST_200600_302600_NS6detail15normal_iteratorINS8_7pointerIfNS8_11hip_rocprim5par_tENS8_11use_defaultESE_EEEENSA_INSB_IlSD_SE_SE_EEEEZNS1_13binary_searchIS3_S5_NSA_INS8_10device_ptrIfEEEESG_SI_NS1_21upper_bound_search_opENS9_16wrapped_functionINS8_6system6detail7generic6detail18binary_search_lessEbEEEE10hipError_tPvRmT1_T2_T3_mmT4_T5_P12ihipStream_tbEUlRKfE_EESV_SZ_S10_mS11_S14_bEUlT_E_NS1_11comp_targetILNS1_3genE3ELNS1_11target_archE908ELNS1_3gpuE7ELNS1_3repE0EEENS1_30default_config_static_selectorELNS0_4arch9wavefront6targetE0EEEvSY_.has_recursion, 0
	.set _ZN7rocprim17ROCPRIM_400000_NS6detail17trampoline_kernelINS0_14default_configENS1_27upper_bound_config_selectorIflEEZNS1_14transform_implILb0ES3_S5_N6thrust23THRUST_200600_302600_NS6detail15normal_iteratorINS8_7pointerIfNS8_11hip_rocprim5par_tENS8_11use_defaultESE_EEEENSA_INSB_IlSD_SE_SE_EEEEZNS1_13binary_searchIS3_S5_NSA_INS8_10device_ptrIfEEEESG_SI_NS1_21upper_bound_search_opENS9_16wrapped_functionINS8_6system6detail7generic6detail18binary_search_lessEbEEEE10hipError_tPvRmT1_T2_T3_mmT4_T5_P12ihipStream_tbEUlRKfE_EESV_SZ_S10_mS11_S14_bEUlT_E_NS1_11comp_targetILNS1_3genE3ELNS1_11target_archE908ELNS1_3gpuE7ELNS1_3repE0EEENS1_30default_config_static_selectorELNS0_4arch9wavefront6targetE0EEEvSY_.has_indirect_call, 0
	.section	.AMDGPU.csdata,"",@progbits
; Kernel info:
; codeLenInByte = 0
; TotalNumSgprs: 0
; NumVgprs: 0
; ScratchSize: 0
; MemoryBound: 0
; FloatMode: 240
; IeeeMode: 1
; LDSByteSize: 0 bytes/workgroup (compile time only)
; SGPRBlocks: 0
; VGPRBlocks: 0
; NumSGPRsForWavesPerEU: 1
; NumVGPRsForWavesPerEU: 1
; Occupancy: 16
; WaveLimiterHint : 0
; COMPUTE_PGM_RSRC2:SCRATCH_EN: 0
; COMPUTE_PGM_RSRC2:USER_SGPR: 6
; COMPUTE_PGM_RSRC2:TRAP_HANDLER: 0
; COMPUTE_PGM_RSRC2:TGID_X_EN: 1
; COMPUTE_PGM_RSRC2:TGID_Y_EN: 0
; COMPUTE_PGM_RSRC2:TGID_Z_EN: 0
; COMPUTE_PGM_RSRC2:TIDIG_COMP_CNT: 0
	.section	.text._ZN7rocprim17ROCPRIM_400000_NS6detail17trampoline_kernelINS0_14default_configENS1_27upper_bound_config_selectorIflEEZNS1_14transform_implILb0ES3_S5_N6thrust23THRUST_200600_302600_NS6detail15normal_iteratorINS8_7pointerIfNS8_11hip_rocprim5par_tENS8_11use_defaultESE_EEEENSA_INSB_IlSD_SE_SE_EEEEZNS1_13binary_searchIS3_S5_NSA_INS8_10device_ptrIfEEEESG_SI_NS1_21upper_bound_search_opENS9_16wrapped_functionINS8_6system6detail7generic6detail18binary_search_lessEbEEEE10hipError_tPvRmT1_T2_T3_mmT4_T5_P12ihipStream_tbEUlRKfE_EESV_SZ_S10_mS11_S14_bEUlT_E_NS1_11comp_targetILNS1_3genE2ELNS1_11target_archE906ELNS1_3gpuE6ELNS1_3repE0EEENS1_30default_config_static_selectorELNS0_4arch9wavefront6targetE0EEEvSY_,"axG",@progbits,_ZN7rocprim17ROCPRIM_400000_NS6detail17trampoline_kernelINS0_14default_configENS1_27upper_bound_config_selectorIflEEZNS1_14transform_implILb0ES3_S5_N6thrust23THRUST_200600_302600_NS6detail15normal_iteratorINS8_7pointerIfNS8_11hip_rocprim5par_tENS8_11use_defaultESE_EEEENSA_INSB_IlSD_SE_SE_EEEEZNS1_13binary_searchIS3_S5_NSA_INS8_10device_ptrIfEEEESG_SI_NS1_21upper_bound_search_opENS9_16wrapped_functionINS8_6system6detail7generic6detail18binary_search_lessEbEEEE10hipError_tPvRmT1_T2_T3_mmT4_T5_P12ihipStream_tbEUlRKfE_EESV_SZ_S10_mS11_S14_bEUlT_E_NS1_11comp_targetILNS1_3genE2ELNS1_11target_archE906ELNS1_3gpuE6ELNS1_3repE0EEENS1_30default_config_static_selectorELNS0_4arch9wavefront6targetE0EEEvSY_,comdat
	.protected	_ZN7rocprim17ROCPRIM_400000_NS6detail17trampoline_kernelINS0_14default_configENS1_27upper_bound_config_selectorIflEEZNS1_14transform_implILb0ES3_S5_N6thrust23THRUST_200600_302600_NS6detail15normal_iteratorINS8_7pointerIfNS8_11hip_rocprim5par_tENS8_11use_defaultESE_EEEENSA_INSB_IlSD_SE_SE_EEEEZNS1_13binary_searchIS3_S5_NSA_INS8_10device_ptrIfEEEESG_SI_NS1_21upper_bound_search_opENS9_16wrapped_functionINS8_6system6detail7generic6detail18binary_search_lessEbEEEE10hipError_tPvRmT1_T2_T3_mmT4_T5_P12ihipStream_tbEUlRKfE_EESV_SZ_S10_mS11_S14_bEUlT_E_NS1_11comp_targetILNS1_3genE2ELNS1_11target_archE906ELNS1_3gpuE6ELNS1_3repE0EEENS1_30default_config_static_selectorELNS0_4arch9wavefront6targetE0EEEvSY_ ; -- Begin function _ZN7rocprim17ROCPRIM_400000_NS6detail17trampoline_kernelINS0_14default_configENS1_27upper_bound_config_selectorIflEEZNS1_14transform_implILb0ES3_S5_N6thrust23THRUST_200600_302600_NS6detail15normal_iteratorINS8_7pointerIfNS8_11hip_rocprim5par_tENS8_11use_defaultESE_EEEENSA_INSB_IlSD_SE_SE_EEEEZNS1_13binary_searchIS3_S5_NSA_INS8_10device_ptrIfEEEESG_SI_NS1_21upper_bound_search_opENS9_16wrapped_functionINS8_6system6detail7generic6detail18binary_search_lessEbEEEE10hipError_tPvRmT1_T2_T3_mmT4_T5_P12ihipStream_tbEUlRKfE_EESV_SZ_S10_mS11_S14_bEUlT_E_NS1_11comp_targetILNS1_3genE2ELNS1_11target_archE906ELNS1_3gpuE6ELNS1_3repE0EEENS1_30default_config_static_selectorELNS0_4arch9wavefront6targetE0EEEvSY_
	.globl	_ZN7rocprim17ROCPRIM_400000_NS6detail17trampoline_kernelINS0_14default_configENS1_27upper_bound_config_selectorIflEEZNS1_14transform_implILb0ES3_S5_N6thrust23THRUST_200600_302600_NS6detail15normal_iteratorINS8_7pointerIfNS8_11hip_rocprim5par_tENS8_11use_defaultESE_EEEENSA_INSB_IlSD_SE_SE_EEEEZNS1_13binary_searchIS3_S5_NSA_INS8_10device_ptrIfEEEESG_SI_NS1_21upper_bound_search_opENS9_16wrapped_functionINS8_6system6detail7generic6detail18binary_search_lessEbEEEE10hipError_tPvRmT1_T2_T3_mmT4_T5_P12ihipStream_tbEUlRKfE_EESV_SZ_S10_mS11_S14_bEUlT_E_NS1_11comp_targetILNS1_3genE2ELNS1_11target_archE906ELNS1_3gpuE6ELNS1_3repE0EEENS1_30default_config_static_selectorELNS0_4arch9wavefront6targetE0EEEvSY_
	.p2align	8
	.type	_ZN7rocprim17ROCPRIM_400000_NS6detail17trampoline_kernelINS0_14default_configENS1_27upper_bound_config_selectorIflEEZNS1_14transform_implILb0ES3_S5_N6thrust23THRUST_200600_302600_NS6detail15normal_iteratorINS8_7pointerIfNS8_11hip_rocprim5par_tENS8_11use_defaultESE_EEEENSA_INSB_IlSD_SE_SE_EEEEZNS1_13binary_searchIS3_S5_NSA_INS8_10device_ptrIfEEEESG_SI_NS1_21upper_bound_search_opENS9_16wrapped_functionINS8_6system6detail7generic6detail18binary_search_lessEbEEEE10hipError_tPvRmT1_T2_T3_mmT4_T5_P12ihipStream_tbEUlRKfE_EESV_SZ_S10_mS11_S14_bEUlT_E_NS1_11comp_targetILNS1_3genE2ELNS1_11target_archE906ELNS1_3gpuE6ELNS1_3repE0EEENS1_30default_config_static_selectorELNS0_4arch9wavefront6targetE0EEEvSY_,@function
_ZN7rocprim17ROCPRIM_400000_NS6detail17trampoline_kernelINS0_14default_configENS1_27upper_bound_config_selectorIflEEZNS1_14transform_implILb0ES3_S5_N6thrust23THRUST_200600_302600_NS6detail15normal_iteratorINS8_7pointerIfNS8_11hip_rocprim5par_tENS8_11use_defaultESE_EEEENSA_INSB_IlSD_SE_SE_EEEEZNS1_13binary_searchIS3_S5_NSA_INS8_10device_ptrIfEEEESG_SI_NS1_21upper_bound_search_opENS9_16wrapped_functionINS8_6system6detail7generic6detail18binary_search_lessEbEEEE10hipError_tPvRmT1_T2_T3_mmT4_T5_P12ihipStream_tbEUlRKfE_EESV_SZ_S10_mS11_S14_bEUlT_E_NS1_11comp_targetILNS1_3genE2ELNS1_11target_archE906ELNS1_3gpuE6ELNS1_3repE0EEENS1_30default_config_static_selectorELNS0_4arch9wavefront6targetE0EEEvSY_: ; @_ZN7rocprim17ROCPRIM_400000_NS6detail17trampoline_kernelINS0_14default_configENS1_27upper_bound_config_selectorIflEEZNS1_14transform_implILb0ES3_S5_N6thrust23THRUST_200600_302600_NS6detail15normal_iteratorINS8_7pointerIfNS8_11hip_rocprim5par_tENS8_11use_defaultESE_EEEENSA_INSB_IlSD_SE_SE_EEEEZNS1_13binary_searchIS3_S5_NSA_INS8_10device_ptrIfEEEESG_SI_NS1_21upper_bound_search_opENS9_16wrapped_functionINS8_6system6detail7generic6detail18binary_search_lessEbEEEE10hipError_tPvRmT1_T2_T3_mmT4_T5_P12ihipStream_tbEUlRKfE_EESV_SZ_S10_mS11_S14_bEUlT_E_NS1_11comp_targetILNS1_3genE2ELNS1_11target_archE906ELNS1_3gpuE6ELNS1_3repE0EEENS1_30default_config_static_selectorELNS0_4arch9wavefront6targetE0EEEvSY_
; %bb.0:
	.section	.rodata,"a",@progbits
	.p2align	6, 0x0
	.amdhsa_kernel _ZN7rocprim17ROCPRIM_400000_NS6detail17trampoline_kernelINS0_14default_configENS1_27upper_bound_config_selectorIflEEZNS1_14transform_implILb0ES3_S5_N6thrust23THRUST_200600_302600_NS6detail15normal_iteratorINS8_7pointerIfNS8_11hip_rocprim5par_tENS8_11use_defaultESE_EEEENSA_INSB_IlSD_SE_SE_EEEEZNS1_13binary_searchIS3_S5_NSA_INS8_10device_ptrIfEEEESG_SI_NS1_21upper_bound_search_opENS9_16wrapped_functionINS8_6system6detail7generic6detail18binary_search_lessEbEEEE10hipError_tPvRmT1_T2_T3_mmT4_T5_P12ihipStream_tbEUlRKfE_EESV_SZ_S10_mS11_S14_bEUlT_E_NS1_11comp_targetILNS1_3genE2ELNS1_11target_archE906ELNS1_3gpuE6ELNS1_3repE0EEENS1_30default_config_static_selectorELNS0_4arch9wavefront6targetE0EEEvSY_
		.amdhsa_group_segment_fixed_size 0
		.amdhsa_private_segment_fixed_size 0
		.amdhsa_kernarg_size 56
		.amdhsa_user_sgpr_count 6
		.amdhsa_user_sgpr_private_segment_buffer 1
		.amdhsa_user_sgpr_dispatch_ptr 0
		.amdhsa_user_sgpr_queue_ptr 0
		.amdhsa_user_sgpr_kernarg_segment_ptr 1
		.amdhsa_user_sgpr_dispatch_id 0
		.amdhsa_user_sgpr_flat_scratch_init 0
		.amdhsa_user_sgpr_private_segment_size 0
		.amdhsa_wavefront_size32 1
		.amdhsa_uses_dynamic_stack 0
		.amdhsa_system_sgpr_private_segment_wavefront_offset 0
		.amdhsa_system_sgpr_workgroup_id_x 1
		.amdhsa_system_sgpr_workgroup_id_y 0
		.amdhsa_system_sgpr_workgroup_id_z 0
		.amdhsa_system_sgpr_workgroup_info 0
		.amdhsa_system_vgpr_workitem_id 0
		.amdhsa_next_free_vgpr 1
		.amdhsa_next_free_sgpr 1
		.amdhsa_reserve_vcc 0
		.amdhsa_reserve_flat_scratch 0
		.amdhsa_float_round_mode_32 0
		.amdhsa_float_round_mode_16_64 0
		.amdhsa_float_denorm_mode_32 3
		.amdhsa_float_denorm_mode_16_64 3
		.amdhsa_dx10_clamp 1
		.amdhsa_ieee_mode 1
		.amdhsa_fp16_overflow 0
		.amdhsa_workgroup_processor_mode 1
		.amdhsa_memory_ordered 1
		.amdhsa_forward_progress 1
		.amdhsa_shared_vgpr_count 0
		.amdhsa_exception_fp_ieee_invalid_op 0
		.amdhsa_exception_fp_denorm_src 0
		.amdhsa_exception_fp_ieee_div_zero 0
		.amdhsa_exception_fp_ieee_overflow 0
		.amdhsa_exception_fp_ieee_underflow 0
		.amdhsa_exception_fp_ieee_inexact 0
		.amdhsa_exception_int_div_zero 0
	.end_amdhsa_kernel
	.section	.text._ZN7rocprim17ROCPRIM_400000_NS6detail17trampoline_kernelINS0_14default_configENS1_27upper_bound_config_selectorIflEEZNS1_14transform_implILb0ES3_S5_N6thrust23THRUST_200600_302600_NS6detail15normal_iteratorINS8_7pointerIfNS8_11hip_rocprim5par_tENS8_11use_defaultESE_EEEENSA_INSB_IlSD_SE_SE_EEEEZNS1_13binary_searchIS3_S5_NSA_INS8_10device_ptrIfEEEESG_SI_NS1_21upper_bound_search_opENS9_16wrapped_functionINS8_6system6detail7generic6detail18binary_search_lessEbEEEE10hipError_tPvRmT1_T2_T3_mmT4_T5_P12ihipStream_tbEUlRKfE_EESV_SZ_S10_mS11_S14_bEUlT_E_NS1_11comp_targetILNS1_3genE2ELNS1_11target_archE906ELNS1_3gpuE6ELNS1_3repE0EEENS1_30default_config_static_selectorELNS0_4arch9wavefront6targetE0EEEvSY_,"axG",@progbits,_ZN7rocprim17ROCPRIM_400000_NS6detail17trampoline_kernelINS0_14default_configENS1_27upper_bound_config_selectorIflEEZNS1_14transform_implILb0ES3_S5_N6thrust23THRUST_200600_302600_NS6detail15normal_iteratorINS8_7pointerIfNS8_11hip_rocprim5par_tENS8_11use_defaultESE_EEEENSA_INSB_IlSD_SE_SE_EEEEZNS1_13binary_searchIS3_S5_NSA_INS8_10device_ptrIfEEEESG_SI_NS1_21upper_bound_search_opENS9_16wrapped_functionINS8_6system6detail7generic6detail18binary_search_lessEbEEEE10hipError_tPvRmT1_T2_T3_mmT4_T5_P12ihipStream_tbEUlRKfE_EESV_SZ_S10_mS11_S14_bEUlT_E_NS1_11comp_targetILNS1_3genE2ELNS1_11target_archE906ELNS1_3gpuE6ELNS1_3repE0EEENS1_30default_config_static_selectorELNS0_4arch9wavefront6targetE0EEEvSY_,comdat
.Lfunc_end531:
	.size	_ZN7rocprim17ROCPRIM_400000_NS6detail17trampoline_kernelINS0_14default_configENS1_27upper_bound_config_selectorIflEEZNS1_14transform_implILb0ES3_S5_N6thrust23THRUST_200600_302600_NS6detail15normal_iteratorINS8_7pointerIfNS8_11hip_rocprim5par_tENS8_11use_defaultESE_EEEENSA_INSB_IlSD_SE_SE_EEEEZNS1_13binary_searchIS3_S5_NSA_INS8_10device_ptrIfEEEESG_SI_NS1_21upper_bound_search_opENS9_16wrapped_functionINS8_6system6detail7generic6detail18binary_search_lessEbEEEE10hipError_tPvRmT1_T2_T3_mmT4_T5_P12ihipStream_tbEUlRKfE_EESV_SZ_S10_mS11_S14_bEUlT_E_NS1_11comp_targetILNS1_3genE2ELNS1_11target_archE906ELNS1_3gpuE6ELNS1_3repE0EEENS1_30default_config_static_selectorELNS0_4arch9wavefront6targetE0EEEvSY_, .Lfunc_end531-_ZN7rocprim17ROCPRIM_400000_NS6detail17trampoline_kernelINS0_14default_configENS1_27upper_bound_config_selectorIflEEZNS1_14transform_implILb0ES3_S5_N6thrust23THRUST_200600_302600_NS6detail15normal_iteratorINS8_7pointerIfNS8_11hip_rocprim5par_tENS8_11use_defaultESE_EEEENSA_INSB_IlSD_SE_SE_EEEEZNS1_13binary_searchIS3_S5_NSA_INS8_10device_ptrIfEEEESG_SI_NS1_21upper_bound_search_opENS9_16wrapped_functionINS8_6system6detail7generic6detail18binary_search_lessEbEEEE10hipError_tPvRmT1_T2_T3_mmT4_T5_P12ihipStream_tbEUlRKfE_EESV_SZ_S10_mS11_S14_bEUlT_E_NS1_11comp_targetILNS1_3genE2ELNS1_11target_archE906ELNS1_3gpuE6ELNS1_3repE0EEENS1_30default_config_static_selectorELNS0_4arch9wavefront6targetE0EEEvSY_
                                        ; -- End function
	.set _ZN7rocprim17ROCPRIM_400000_NS6detail17trampoline_kernelINS0_14default_configENS1_27upper_bound_config_selectorIflEEZNS1_14transform_implILb0ES3_S5_N6thrust23THRUST_200600_302600_NS6detail15normal_iteratorINS8_7pointerIfNS8_11hip_rocprim5par_tENS8_11use_defaultESE_EEEENSA_INSB_IlSD_SE_SE_EEEEZNS1_13binary_searchIS3_S5_NSA_INS8_10device_ptrIfEEEESG_SI_NS1_21upper_bound_search_opENS9_16wrapped_functionINS8_6system6detail7generic6detail18binary_search_lessEbEEEE10hipError_tPvRmT1_T2_T3_mmT4_T5_P12ihipStream_tbEUlRKfE_EESV_SZ_S10_mS11_S14_bEUlT_E_NS1_11comp_targetILNS1_3genE2ELNS1_11target_archE906ELNS1_3gpuE6ELNS1_3repE0EEENS1_30default_config_static_selectorELNS0_4arch9wavefront6targetE0EEEvSY_.num_vgpr, 0
	.set _ZN7rocprim17ROCPRIM_400000_NS6detail17trampoline_kernelINS0_14default_configENS1_27upper_bound_config_selectorIflEEZNS1_14transform_implILb0ES3_S5_N6thrust23THRUST_200600_302600_NS6detail15normal_iteratorINS8_7pointerIfNS8_11hip_rocprim5par_tENS8_11use_defaultESE_EEEENSA_INSB_IlSD_SE_SE_EEEEZNS1_13binary_searchIS3_S5_NSA_INS8_10device_ptrIfEEEESG_SI_NS1_21upper_bound_search_opENS9_16wrapped_functionINS8_6system6detail7generic6detail18binary_search_lessEbEEEE10hipError_tPvRmT1_T2_T3_mmT4_T5_P12ihipStream_tbEUlRKfE_EESV_SZ_S10_mS11_S14_bEUlT_E_NS1_11comp_targetILNS1_3genE2ELNS1_11target_archE906ELNS1_3gpuE6ELNS1_3repE0EEENS1_30default_config_static_selectorELNS0_4arch9wavefront6targetE0EEEvSY_.num_agpr, 0
	.set _ZN7rocprim17ROCPRIM_400000_NS6detail17trampoline_kernelINS0_14default_configENS1_27upper_bound_config_selectorIflEEZNS1_14transform_implILb0ES3_S5_N6thrust23THRUST_200600_302600_NS6detail15normal_iteratorINS8_7pointerIfNS8_11hip_rocprim5par_tENS8_11use_defaultESE_EEEENSA_INSB_IlSD_SE_SE_EEEEZNS1_13binary_searchIS3_S5_NSA_INS8_10device_ptrIfEEEESG_SI_NS1_21upper_bound_search_opENS9_16wrapped_functionINS8_6system6detail7generic6detail18binary_search_lessEbEEEE10hipError_tPvRmT1_T2_T3_mmT4_T5_P12ihipStream_tbEUlRKfE_EESV_SZ_S10_mS11_S14_bEUlT_E_NS1_11comp_targetILNS1_3genE2ELNS1_11target_archE906ELNS1_3gpuE6ELNS1_3repE0EEENS1_30default_config_static_selectorELNS0_4arch9wavefront6targetE0EEEvSY_.numbered_sgpr, 0
	.set _ZN7rocprim17ROCPRIM_400000_NS6detail17trampoline_kernelINS0_14default_configENS1_27upper_bound_config_selectorIflEEZNS1_14transform_implILb0ES3_S5_N6thrust23THRUST_200600_302600_NS6detail15normal_iteratorINS8_7pointerIfNS8_11hip_rocprim5par_tENS8_11use_defaultESE_EEEENSA_INSB_IlSD_SE_SE_EEEEZNS1_13binary_searchIS3_S5_NSA_INS8_10device_ptrIfEEEESG_SI_NS1_21upper_bound_search_opENS9_16wrapped_functionINS8_6system6detail7generic6detail18binary_search_lessEbEEEE10hipError_tPvRmT1_T2_T3_mmT4_T5_P12ihipStream_tbEUlRKfE_EESV_SZ_S10_mS11_S14_bEUlT_E_NS1_11comp_targetILNS1_3genE2ELNS1_11target_archE906ELNS1_3gpuE6ELNS1_3repE0EEENS1_30default_config_static_selectorELNS0_4arch9wavefront6targetE0EEEvSY_.num_named_barrier, 0
	.set _ZN7rocprim17ROCPRIM_400000_NS6detail17trampoline_kernelINS0_14default_configENS1_27upper_bound_config_selectorIflEEZNS1_14transform_implILb0ES3_S5_N6thrust23THRUST_200600_302600_NS6detail15normal_iteratorINS8_7pointerIfNS8_11hip_rocprim5par_tENS8_11use_defaultESE_EEEENSA_INSB_IlSD_SE_SE_EEEEZNS1_13binary_searchIS3_S5_NSA_INS8_10device_ptrIfEEEESG_SI_NS1_21upper_bound_search_opENS9_16wrapped_functionINS8_6system6detail7generic6detail18binary_search_lessEbEEEE10hipError_tPvRmT1_T2_T3_mmT4_T5_P12ihipStream_tbEUlRKfE_EESV_SZ_S10_mS11_S14_bEUlT_E_NS1_11comp_targetILNS1_3genE2ELNS1_11target_archE906ELNS1_3gpuE6ELNS1_3repE0EEENS1_30default_config_static_selectorELNS0_4arch9wavefront6targetE0EEEvSY_.private_seg_size, 0
	.set _ZN7rocprim17ROCPRIM_400000_NS6detail17trampoline_kernelINS0_14default_configENS1_27upper_bound_config_selectorIflEEZNS1_14transform_implILb0ES3_S5_N6thrust23THRUST_200600_302600_NS6detail15normal_iteratorINS8_7pointerIfNS8_11hip_rocprim5par_tENS8_11use_defaultESE_EEEENSA_INSB_IlSD_SE_SE_EEEEZNS1_13binary_searchIS3_S5_NSA_INS8_10device_ptrIfEEEESG_SI_NS1_21upper_bound_search_opENS9_16wrapped_functionINS8_6system6detail7generic6detail18binary_search_lessEbEEEE10hipError_tPvRmT1_T2_T3_mmT4_T5_P12ihipStream_tbEUlRKfE_EESV_SZ_S10_mS11_S14_bEUlT_E_NS1_11comp_targetILNS1_3genE2ELNS1_11target_archE906ELNS1_3gpuE6ELNS1_3repE0EEENS1_30default_config_static_selectorELNS0_4arch9wavefront6targetE0EEEvSY_.uses_vcc, 0
	.set _ZN7rocprim17ROCPRIM_400000_NS6detail17trampoline_kernelINS0_14default_configENS1_27upper_bound_config_selectorIflEEZNS1_14transform_implILb0ES3_S5_N6thrust23THRUST_200600_302600_NS6detail15normal_iteratorINS8_7pointerIfNS8_11hip_rocprim5par_tENS8_11use_defaultESE_EEEENSA_INSB_IlSD_SE_SE_EEEEZNS1_13binary_searchIS3_S5_NSA_INS8_10device_ptrIfEEEESG_SI_NS1_21upper_bound_search_opENS9_16wrapped_functionINS8_6system6detail7generic6detail18binary_search_lessEbEEEE10hipError_tPvRmT1_T2_T3_mmT4_T5_P12ihipStream_tbEUlRKfE_EESV_SZ_S10_mS11_S14_bEUlT_E_NS1_11comp_targetILNS1_3genE2ELNS1_11target_archE906ELNS1_3gpuE6ELNS1_3repE0EEENS1_30default_config_static_selectorELNS0_4arch9wavefront6targetE0EEEvSY_.uses_flat_scratch, 0
	.set _ZN7rocprim17ROCPRIM_400000_NS6detail17trampoline_kernelINS0_14default_configENS1_27upper_bound_config_selectorIflEEZNS1_14transform_implILb0ES3_S5_N6thrust23THRUST_200600_302600_NS6detail15normal_iteratorINS8_7pointerIfNS8_11hip_rocprim5par_tENS8_11use_defaultESE_EEEENSA_INSB_IlSD_SE_SE_EEEEZNS1_13binary_searchIS3_S5_NSA_INS8_10device_ptrIfEEEESG_SI_NS1_21upper_bound_search_opENS9_16wrapped_functionINS8_6system6detail7generic6detail18binary_search_lessEbEEEE10hipError_tPvRmT1_T2_T3_mmT4_T5_P12ihipStream_tbEUlRKfE_EESV_SZ_S10_mS11_S14_bEUlT_E_NS1_11comp_targetILNS1_3genE2ELNS1_11target_archE906ELNS1_3gpuE6ELNS1_3repE0EEENS1_30default_config_static_selectorELNS0_4arch9wavefront6targetE0EEEvSY_.has_dyn_sized_stack, 0
	.set _ZN7rocprim17ROCPRIM_400000_NS6detail17trampoline_kernelINS0_14default_configENS1_27upper_bound_config_selectorIflEEZNS1_14transform_implILb0ES3_S5_N6thrust23THRUST_200600_302600_NS6detail15normal_iteratorINS8_7pointerIfNS8_11hip_rocprim5par_tENS8_11use_defaultESE_EEEENSA_INSB_IlSD_SE_SE_EEEEZNS1_13binary_searchIS3_S5_NSA_INS8_10device_ptrIfEEEESG_SI_NS1_21upper_bound_search_opENS9_16wrapped_functionINS8_6system6detail7generic6detail18binary_search_lessEbEEEE10hipError_tPvRmT1_T2_T3_mmT4_T5_P12ihipStream_tbEUlRKfE_EESV_SZ_S10_mS11_S14_bEUlT_E_NS1_11comp_targetILNS1_3genE2ELNS1_11target_archE906ELNS1_3gpuE6ELNS1_3repE0EEENS1_30default_config_static_selectorELNS0_4arch9wavefront6targetE0EEEvSY_.has_recursion, 0
	.set _ZN7rocprim17ROCPRIM_400000_NS6detail17trampoline_kernelINS0_14default_configENS1_27upper_bound_config_selectorIflEEZNS1_14transform_implILb0ES3_S5_N6thrust23THRUST_200600_302600_NS6detail15normal_iteratorINS8_7pointerIfNS8_11hip_rocprim5par_tENS8_11use_defaultESE_EEEENSA_INSB_IlSD_SE_SE_EEEEZNS1_13binary_searchIS3_S5_NSA_INS8_10device_ptrIfEEEESG_SI_NS1_21upper_bound_search_opENS9_16wrapped_functionINS8_6system6detail7generic6detail18binary_search_lessEbEEEE10hipError_tPvRmT1_T2_T3_mmT4_T5_P12ihipStream_tbEUlRKfE_EESV_SZ_S10_mS11_S14_bEUlT_E_NS1_11comp_targetILNS1_3genE2ELNS1_11target_archE906ELNS1_3gpuE6ELNS1_3repE0EEENS1_30default_config_static_selectorELNS0_4arch9wavefront6targetE0EEEvSY_.has_indirect_call, 0
	.section	.AMDGPU.csdata,"",@progbits
; Kernel info:
; codeLenInByte = 0
; TotalNumSgprs: 0
; NumVgprs: 0
; ScratchSize: 0
; MemoryBound: 0
; FloatMode: 240
; IeeeMode: 1
; LDSByteSize: 0 bytes/workgroup (compile time only)
; SGPRBlocks: 0
; VGPRBlocks: 0
; NumSGPRsForWavesPerEU: 1
; NumVGPRsForWavesPerEU: 1
; Occupancy: 16
; WaveLimiterHint : 0
; COMPUTE_PGM_RSRC2:SCRATCH_EN: 0
; COMPUTE_PGM_RSRC2:USER_SGPR: 6
; COMPUTE_PGM_RSRC2:TRAP_HANDLER: 0
; COMPUTE_PGM_RSRC2:TGID_X_EN: 1
; COMPUTE_PGM_RSRC2:TGID_Y_EN: 0
; COMPUTE_PGM_RSRC2:TGID_Z_EN: 0
; COMPUTE_PGM_RSRC2:TIDIG_COMP_CNT: 0
	.section	.text._ZN7rocprim17ROCPRIM_400000_NS6detail17trampoline_kernelINS0_14default_configENS1_27upper_bound_config_selectorIflEEZNS1_14transform_implILb0ES3_S5_N6thrust23THRUST_200600_302600_NS6detail15normal_iteratorINS8_7pointerIfNS8_11hip_rocprim5par_tENS8_11use_defaultESE_EEEENSA_INSB_IlSD_SE_SE_EEEEZNS1_13binary_searchIS3_S5_NSA_INS8_10device_ptrIfEEEESG_SI_NS1_21upper_bound_search_opENS9_16wrapped_functionINS8_6system6detail7generic6detail18binary_search_lessEbEEEE10hipError_tPvRmT1_T2_T3_mmT4_T5_P12ihipStream_tbEUlRKfE_EESV_SZ_S10_mS11_S14_bEUlT_E_NS1_11comp_targetILNS1_3genE10ELNS1_11target_archE1201ELNS1_3gpuE5ELNS1_3repE0EEENS1_30default_config_static_selectorELNS0_4arch9wavefront6targetE0EEEvSY_,"axG",@progbits,_ZN7rocprim17ROCPRIM_400000_NS6detail17trampoline_kernelINS0_14default_configENS1_27upper_bound_config_selectorIflEEZNS1_14transform_implILb0ES3_S5_N6thrust23THRUST_200600_302600_NS6detail15normal_iteratorINS8_7pointerIfNS8_11hip_rocprim5par_tENS8_11use_defaultESE_EEEENSA_INSB_IlSD_SE_SE_EEEEZNS1_13binary_searchIS3_S5_NSA_INS8_10device_ptrIfEEEESG_SI_NS1_21upper_bound_search_opENS9_16wrapped_functionINS8_6system6detail7generic6detail18binary_search_lessEbEEEE10hipError_tPvRmT1_T2_T3_mmT4_T5_P12ihipStream_tbEUlRKfE_EESV_SZ_S10_mS11_S14_bEUlT_E_NS1_11comp_targetILNS1_3genE10ELNS1_11target_archE1201ELNS1_3gpuE5ELNS1_3repE0EEENS1_30default_config_static_selectorELNS0_4arch9wavefront6targetE0EEEvSY_,comdat
	.protected	_ZN7rocprim17ROCPRIM_400000_NS6detail17trampoline_kernelINS0_14default_configENS1_27upper_bound_config_selectorIflEEZNS1_14transform_implILb0ES3_S5_N6thrust23THRUST_200600_302600_NS6detail15normal_iteratorINS8_7pointerIfNS8_11hip_rocprim5par_tENS8_11use_defaultESE_EEEENSA_INSB_IlSD_SE_SE_EEEEZNS1_13binary_searchIS3_S5_NSA_INS8_10device_ptrIfEEEESG_SI_NS1_21upper_bound_search_opENS9_16wrapped_functionINS8_6system6detail7generic6detail18binary_search_lessEbEEEE10hipError_tPvRmT1_T2_T3_mmT4_T5_P12ihipStream_tbEUlRKfE_EESV_SZ_S10_mS11_S14_bEUlT_E_NS1_11comp_targetILNS1_3genE10ELNS1_11target_archE1201ELNS1_3gpuE5ELNS1_3repE0EEENS1_30default_config_static_selectorELNS0_4arch9wavefront6targetE0EEEvSY_ ; -- Begin function _ZN7rocprim17ROCPRIM_400000_NS6detail17trampoline_kernelINS0_14default_configENS1_27upper_bound_config_selectorIflEEZNS1_14transform_implILb0ES3_S5_N6thrust23THRUST_200600_302600_NS6detail15normal_iteratorINS8_7pointerIfNS8_11hip_rocprim5par_tENS8_11use_defaultESE_EEEENSA_INSB_IlSD_SE_SE_EEEEZNS1_13binary_searchIS3_S5_NSA_INS8_10device_ptrIfEEEESG_SI_NS1_21upper_bound_search_opENS9_16wrapped_functionINS8_6system6detail7generic6detail18binary_search_lessEbEEEE10hipError_tPvRmT1_T2_T3_mmT4_T5_P12ihipStream_tbEUlRKfE_EESV_SZ_S10_mS11_S14_bEUlT_E_NS1_11comp_targetILNS1_3genE10ELNS1_11target_archE1201ELNS1_3gpuE5ELNS1_3repE0EEENS1_30default_config_static_selectorELNS0_4arch9wavefront6targetE0EEEvSY_
	.globl	_ZN7rocprim17ROCPRIM_400000_NS6detail17trampoline_kernelINS0_14default_configENS1_27upper_bound_config_selectorIflEEZNS1_14transform_implILb0ES3_S5_N6thrust23THRUST_200600_302600_NS6detail15normal_iteratorINS8_7pointerIfNS8_11hip_rocprim5par_tENS8_11use_defaultESE_EEEENSA_INSB_IlSD_SE_SE_EEEEZNS1_13binary_searchIS3_S5_NSA_INS8_10device_ptrIfEEEESG_SI_NS1_21upper_bound_search_opENS9_16wrapped_functionINS8_6system6detail7generic6detail18binary_search_lessEbEEEE10hipError_tPvRmT1_T2_T3_mmT4_T5_P12ihipStream_tbEUlRKfE_EESV_SZ_S10_mS11_S14_bEUlT_E_NS1_11comp_targetILNS1_3genE10ELNS1_11target_archE1201ELNS1_3gpuE5ELNS1_3repE0EEENS1_30default_config_static_selectorELNS0_4arch9wavefront6targetE0EEEvSY_
	.p2align	8
	.type	_ZN7rocprim17ROCPRIM_400000_NS6detail17trampoline_kernelINS0_14default_configENS1_27upper_bound_config_selectorIflEEZNS1_14transform_implILb0ES3_S5_N6thrust23THRUST_200600_302600_NS6detail15normal_iteratorINS8_7pointerIfNS8_11hip_rocprim5par_tENS8_11use_defaultESE_EEEENSA_INSB_IlSD_SE_SE_EEEEZNS1_13binary_searchIS3_S5_NSA_INS8_10device_ptrIfEEEESG_SI_NS1_21upper_bound_search_opENS9_16wrapped_functionINS8_6system6detail7generic6detail18binary_search_lessEbEEEE10hipError_tPvRmT1_T2_T3_mmT4_T5_P12ihipStream_tbEUlRKfE_EESV_SZ_S10_mS11_S14_bEUlT_E_NS1_11comp_targetILNS1_3genE10ELNS1_11target_archE1201ELNS1_3gpuE5ELNS1_3repE0EEENS1_30default_config_static_selectorELNS0_4arch9wavefront6targetE0EEEvSY_,@function
_ZN7rocprim17ROCPRIM_400000_NS6detail17trampoline_kernelINS0_14default_configENS1_27upper_bound_config_selectorIflEEZNS1_14transform_implILb0ES3_S5_N6thrust23THRUST_200600_302600_NS6detail15normal_iteratorINS8_7pointerIfNS8_11hip_rocprim5par_tENS8_11use_defaultESE_EEEENSA_INSB_IlSD_SE_SE_EEEEZNS1_13binary_searchIS3_S5_NSA_INS8_10device_ptrIfEEEESG_SI_NS1_21upper_bound_search_opENS9_16wrapped_functionINS8_6system6detail7generic6detail18binary_search_lessEbEEEE10hipError_tPvRmT1_T2_T3_mmT4_T5_P12ihipStream_tbEUlRKfE_EESV_SZ_S10_mS11_S14_bEUlT_E_NS1_11comp_targetILNS1_3genE10ELNS1_11target_archE1201ELNS1_3gpuE5ELNS1_3repE0EEENS1_30default_config_static_selectorELNS0_4arch9wavefront6targetE0EEEvSY_: ; @_ZN7rocprim17ROCPRIM_400000_NS6detail17trampoline_kernelINS0_14default_configENS1_27upper_bound_config_selectorIflEEZNS1_14transform_implILb0ES3_S5_N6thrust23THRUST_200600_302600_NS6detail15normal_iteratorINS8_7pointerIfNS8_11hip_rocprim5par_tENS8_11use_defaultESE_EEEENSA_INSB_IlSD_SE_SE_EEEEZNS1_13binary_searchIS3_S5_NSA_INS8_10device_ptrIfEEEESG_SI_NS1_21upper_bound_search_opENS9_16wrapped_functionINS8_6system6detail7generic6detail18binary_search_lessEbEEEE10hipError_tPvRmT1_T2_T3_mmT4_T5_P12ihipStream_tbEUlRKfE_EESV_SZ_S10_mS11_S14_bEUlT_E_NS1_11comp_targetILNS1_3genE10ELNS1_11target_archE1201ELNS1_3gpuE5ELNS1_3repE0EEENS1_30default_config_static_selectorELNS0_4arch9wavefront6targetE0EEEvSY_
; %bb.0:
	.section	.rodata,"a",@progbits
	.p2align	6, 0x0
	.amdhsa_kernel _ZN7rocprim17ROCPRIM_400000_NS6detail17trampoline_kernelINS0_14default_configENS1_27upper_bound_config_selectorIflEEZNS1_14transform_implILb0ES3_S5_N6thrust23THRUST_200600_302600_NS6detail15normal_iteratorINS8_7pointerIfNS8_11hip_rocprim5par_tENS8_11use_defaultESE_EEEENSA_INSB_IlSD_SE_SE_EEEEZNS1_13binary_searchIS3_S5_NSA_INS8_10device_ptrIfEEEESG_SI_NS1_21upper_bound_search_opENS9_16wrapped_functionINS8_6system6detail7generic6detail18binary_search_lessEbEEEE10hipError_tPvRmT1_T2_T3_mmT4_T5_P12ihipStream_tbEUlRKfE_EESV_SZ_S10_mS11_S14_bEUlT_E_NS1_11comp_targetILNS1_3genE10ELNS1_11target_archE1201ELNS1_3gpuE5ELNS1_3repE0EEENS1_30default_config_static_selectorELNS0_4arch9wavefront6targetE0EEEvSY_
		.amdhsa_group_segment_fixed_size 0
		.amdhsa_private_segment_fixed_size 0
		.amdhsa_kernarg_size 56
		.amdhsa_user_sgpr_count 6
		.amdhsa_user_sgpr_private_segment_buffer 1
		.amdhsa_user_sgpr_dispatch_ptr 0
		.amdhsa_user_sgpr_queue_ptr 0
		.amdhsa_user_sgpr_kernarg_segment_ptr 1
		.amdhsa_user_sgpr_dispatch_id 0
		.amdhsa_user_sgpr_flat_scratch_init 0
		.amdhsa_user_sgpr_private_segment_size 0
		.amdhsa_wavefront_size32 1
		.amdhsa_uses_dynamic_stack 0
		.amdhsa_system_sgpr_private_segment_wavefront_offset 0
		.amdhsa_system_sgpr_workgroup_id_x 1
		.amdhsa_system_sgpr_workgroup_id_y 0
		.amdhsa_system_sgpr_workgroup_id_z 0
		.amdhsa_system_sgpr_workgroup_info 0
		.amdhsa_system_vgpr_workitem_id 0
		.amdhsa_next_free_vgpr 1
		.amdhsa_next_free_sgpr 1
		.amdhsa_reserve_vcc 0
		.amdhsa_reserve_flat_scratch 0
		.amdhsa_float_round_mode_32 0
		.amdhsa_float_round_mode_16_64 0
		.amdhsa_float_denorm_mode_32 3
		.amdhsa_float_denorm_mode_16_64 3
		.amdhsa_dx10_clamp 1
		.amdhsa_ieee_mode 1
		.amdhsa_fp16_overflow 0
		.amdhsa_workgroup_processor_mode 1
		.amdhsa_memory_ordered 1
		.amdhsa_forward_progress 1
		.amdhsa_shared_vgpr_count 0
		.amdhsa_exception_fp_ieee_invalid_op 0
		.amdhsa_exception_fp_denorm_src 0
		.amdhsa_exception_fp_ieee_div_zero 0
		.amdhsa_exception_fp_ieee_overflow 0
		.amdhsa_exception_fp_ieee_underflow 0
		.amdhsa_exception_fp_ieee_inexact 0
		.amdhsa_exception_int_div_zero 0
	.end_amdhsa_kernel
	.section	.text._ZN7rocprim17ROCPRIM_400000_NS6detail17trampoline_kernelINS0_14default_configENS1_27upper_bound_config_selectorIflEEZNS1_14transform_implILb0ES3_S5_N6thrust23THRUST_200600_302600_NS6detail15normal_iteratorINS8_7pointerIfNS8_11hip_rocprim5par_tENS8_11use_defaultESE_EEEENSA_INSB_IlSD_SE_SE_EEEEZNS1_13binary_searchIS3_S5_NSA_INS8_10device_ptrIfEEEESG_SI_NS1_21upper_bound_search_opENS9_16wrapped_functionINS8_6system6detail7generic6detail18binary_search_lessEbEEEE10hipError_tPvRmT1_T2_T3_mmT4_T5_P12ihipStream_tbEUlRKfE_EESV_SZ_S10_mS11_S14_bEUlT_E_NS1_11comp_targetILNS1_3genE10ELNS1_11target_archE1201ELNS1_3gpuE5ELNS1_3repE0EEENS1_30default_config_static_selectorELNS0_4arch9wavefront6targetE0EEEvSY_,"axG",@progbits,_ZN7rocprim17ROCPRIM_400000_NS6detail17trampoline_kernelINS0_14default_configENS1_27upper_bound_config_selectorIflEEZNS1_14transform_implILb0ES3_S5_N6thrust23THRUST_200600_302600_NS6detail15normal_iteratorINS8_7pointerIfNS8_11hip_rocprim5par_tENS8_11use_defaultESE_EEEENSA_INSB_IlSD_SE_SE_EEEEZNS1_13binary_searchIS3_S5_NSA_INS8_10device_ptrIfEEEESG_SI_NS1_21upper_bound_search_opENS9_16wrapped_functionINS8_6system6detail7generic6detail18binary_search_lessEbEEEE10hipError_tPvRmT1_T2_T3_mmT4_T5_P12ihipStream_tbEUlRKfE_EESV_SZ_S10_mS11_S14_bEUlT_E_NS1_11comp_targetILNS1_3genE10ELNS1_11target_archE1201ELNS1_3gpuE5ELNS1_3repE0EEENS1_30default_config_static_selectorELNS0_4arch9wavefront6targetE0EEEvSY_,comdat
.Lfunc_end532:
	.size	_ZN7rocprim17ROCPRIM_400000_NS6detail17trampoline_kernelINS0_14default_configENS1_27upper_bound_config_selectorIflEEZNS1_14transform_implILb0ES3_S5_N6thrust23THRUST_200600_302600_NS6detail15normal_iteratorINS8_7pointerIfNS8_11hip_rocprim5par_tENS8_11use_defaultESE_EEEENSA_INSB_IlSD_SE_SE_EEEEZNS1_13binary_searchIS3_S5_NSA_INS8_10device_ptrIfEEEESG_SI_NS1_21upper_bound_search_opENS9_16wrapped_functionINS8_6system6detail7generic6detail18binary_search_lessEbEEEE10hipError_tPvRmT1_T2_T3_mmT4_T5_P12ihipStream_tbEUlRKfE_EESV_SZ_S10_mS11_S14_bEUlT_E_NS1_11comp_targetILNS1_3genE10ELNS1_11target_archE1201ELNS1_3gpuE5ELNS1_3repE0EEENS1_30default_config_static_selectorELNS0_4arch9wavefront6targetE0EEEvSY_, .Lfunc_end532-_ZN7rocprim17ROCPRIM_400000_NS6detail17trampoline_kernelINS0_14default_configENS1_27upper_bound_config_selectorIflEEZNS1_14transform_implILb0ES3_S5_N6thrust23THRUST_200600_302600_NS6detail15normal_iteratorINS8_7pointerIfNS8_11hip_rocprim5par_tENS8_11use_defaultESE_EEEENSA_INSB_IlSD_SE_SE_EEEEZNS1_13binary_searchIS3_S5_NSA_INS8_10device_ptrIfEEEESG_SI_NS1_21upper_bound_search_opENS9_16wrapped_functionINS8_6system6detail7generic6detail18binary_search_lessEbEEEE10hipError_tPvRmT1_T2_T3_mmT4_T5_P12ihipStream_tbEUlRKfE_EESV_SZ_S10_mS11_S14_bEUlT_E_NS1_11comp_targetILNS1_3genE10ELNS1_11target_archE1201ELNS1_3gpuE5ELNS1_3repE0EEENS1_30default_config_static_selectorELNS0_4arch9wavefront6targetE0EEEvSY_
                                        ; -- End function
	.set _ZN7rocprim17ROCPRIM_400000_NS6detail17trampoline_kernelINS0_14default_configENS1_27upper_bound_config_selectorIflEEZNS1_14transform_implILb0ES3_S5_N6thrust23THRUST_200600_302600_NS6detail15normal_iteratorINS8_7pointerIfNS8_11hip_rocprim5par_tENS8_11use_defaultESE_EEEENSA_INSB_IlSD_SE_SE_EEEEZNS1_13binary_searchIS3_S5_NSA_INS8_10device_ptrIfEEEESG_SI_NS1_21upper_bound_search_opENS9_16wrapped_functionINS8_6system6detail7generic6detail18binary_search_lessEbEEEE10hipError_tPvRmT1_T2_T3_mmT4_T5_P12ihipStream_tbEUlRKfE_EESV_SZ_S10_mS11_S14_bEUlT_E_NS1_11comp_targetILNS1_3genE10ELNS1_11target_archE1201ELNS1_3gpuE5ELNS1_3repE0EEENS1_30default_config_static_selectorELNS0_4arch9wavefront6targetE0EEEvSY_.num_vgpr, 0
	.set _ZN7rocprim17ROCPRIM_400000_NS6detail17trampoline_kernelINS0_14default_configENS1_27upper_bound_config_selectorIflEEZNS1_14transform_implILb0ES3_S5_N6thrust23THRUST_200600_302600_NS6detail15normal_iteratorINS8_7pointerIfNS8_11hip_rocprim5par_tENS8_11use_defaultESE_EEEENSA_INSB_IlSD_SE_SE_EEEEZNS1_13binary_searchIS3_S5_NSA_INS8_10device_ptrIfEEEESG_SI_NS1_21upper_bound_search_opENS9_16wrapped_functionINS8_6system6detail7generic6detail18binary_search_lessEbEEEE10hipError_tPvRmT1_T2_T3_mmT4_T5_P12ihipStream_tbEUlRKfE_EESV_SZ_S10_mS11_S14_bEUlT_E_NS1_11comp_targetILNS1_3genE10ELNS1_11target_archE1201ELNS1_3gpuE5ELNS1_3repE0EEENS1_30default_config_static_selectorELNS0_4arch9wavefront6targetE0EEEvSY_.num_agpr, 0
	.set _ZN7rocprim17ROCPRIM_400000_NS6detail17trampoline_kernelINS0_14default_configENS1_27upper_bound_config_selectorIflEEZNS1_14transform_implILb0ES3_S5_N6thrust23THRUST_200600_302600_NS6detail15normal_iteratorINS8_7pointerIfNS8_11hip_rocprim5par_tENS8_11use_defaultESE_EEEENSA_INSB_IlSD_SE_SE_EEEEZNS1_13binary_searchIS3_S5_NSA_INS8_10device_ptrIfEEEESG_SI_NS1_21upper_bound_search_opENS9_16wrapped_functionINS8_6system6detail7generic6detail18binary_search_lessEbEEEE10hipError_tPvRmT1_T2_T3_mmT4_T5_P12ihipStream_tbEUlRKfE_EESV_SZ_S10_mS11_S14_bEUlT_E_NS1_11comp_targetILNS1_3genE10ELNS1_11target_archE1201ELNS1_3gpuE5ELNS1_3repE0EEENS1_30default_config_static_selectorELNS0_4arch9wavefront6targetE0EEEvSY_.numbered_sgpr, 0
	.set _ZN7rocprim17ROCPRIM_400000_NS6detail17trampoline_kernelINS0_14default_configENS1_27upper_bound_config_selectorIflEEZNS1_14transform_implILb0ES3_S5_N6thrust23THRUST_200600_302600_NS6detail15normal_iteratorINS8_7pointerIfNS8_11hip_rocprim5par_tENS8_11use_defaultESE_EEEENSA_INSB_IlSD_SE_SE_EEEEZNS1_13binary_searchIS3_S5_NSA_INS8_10device_ptrIfEEEESG_SI_NS1_21upper_bound_search_opENS9_16wrapped_functionINS8_6system6detail7generic6detail18binary_search_lessEbEEEE10hipError_tPvRmT1_T2_T3_mmT4_T5_P12ihipStream_tbEUlRKfE_EESV_SZ_S10_mS11_S14_bEUlT_E_NS1_11comp_targetILNS1_3genE10ELNS1_11target_archE1201ELNS1_3gpuE5ELNS1_3repE0EEENS1_30default_config_static_selectorELNS0_4arch9wavefront6targetE0EEEvSY_.num_named_barrier, 0
	.set _ZN7rocprim17ROCPRIM_400000_NS6detail17trampoline_kernelINS0_14default_configENS1_27upper_bound_config_selectorIflEEZNS1_14transform_implILb0ES3_S5_N6thrust23THRUST_200600_302600_NS6detail15normal_iteratorINS8_7pointerIfNS8_11hip_rocprim5par_tENS8_11use_defaultESE_EEEENSA_INSB_IlSD_SE_SE_EEEEZNS1_13binary_searchIS3_S5_NSA_INS8_10device_ptrIfEEEESG_SI_NS1_21upper_bound_search_opENS9_16wrapped_functionINS8_6system6detail7generic6detail18binary_search_lessEbEEEE10hipError_tPvRmT1_T2_T3_mmT4_T5_P12ihipStream_tbEUlRKfE_EESV_SZ_S10_mS11_S14_bEUlT_E_NS1_11comp_targetILNS1_3genE10ELNS1_11target_archE1201ELNS1_3gpuE5ELNS1_3repE0EEENS1_30default_config_static_selectorELNS0_4arch9wavefront6targetE0EEEvSY_.private_seg_size, 0
	.set _ZN7rocprim17ROCPRIM_400000_NS6detail17trampoline_kernelINS0_14default_configENS1_27upper_bound_config_selectorIflEEZNS1_14transform_implILb0ES3_S5_N6thrust23THRUST_200600_302600_NS6detail15normal_iteratorINS8_7pointerIfNS8_11hip_rocprim5par_tENS8_11use_defaultESE_EEEENSA_INSB_IlSD_SE_SE_EEEEZNS1_13binary_searchIS3_S5_NSA_INS8_10device_ptrIfEEEESG_SI_NS1_21upper_bound_search_opENS9_16wrapped_functionINS8_6system6detail7generic6detail18binary_search_lessEbEEEE10hipError_tPvRmT1_T2_T3_mmT4_T5_P12ihipStream_tbEUlRKfE_EESV_SZ_S10_mS11_S14_bEUlT_E_NS1_11comp_targetILNS1_3genE10ELNS1_11target_archE1201ELNS1_3gpuE5ELNS1_3repE0EEENS1_30default_config_static_selectorELNS0_4arch9wavefront6targetE0EEEvSY_.uses_vcc, 0
	.set _ZN7rocprim17ROCPRIM_400000_NS6detail17trampoline_kernelINS0_14default_configENS1_27upper_bound_config_selectorIflEEZNS1_14transform_implILb0ES3_S5_N6thrust23THRUST_200600_302600_NS6detail15normal_iteratorINS8_7pointerIfNS8_11hip_rocprim5par_tENS8_11use_defaultESE_EEEENSA_INSB_IlSD_SE_SE_EEEEZNS1_13binary_searchIS3_S5_NSA_INS8_10device_ptrIfEEEESG_SI_NS1_21upper_bound_search_opENS9_16wrapped_functionINS8_6system6detail7generic6detail18binary_search_lessEbEEEE10hipError_tPvRmT1_T2_T3_mmT4_T5_P12ihipStream_tbEUlRKfE_EESV_SZ_S10_mS11_S14_bEUlT_E_NS1_11comp_targetILNS1_3genE10ELNS1_11target_archE1201ELNS1_3gpuE5ELNS1_3repE0EEENS1_30default_config_static_selectorELNS0_4arch9wavefront6targetE0EEEvSY_.uses_flat_scratch, 0
	.set _ZN7rocprim17ROCPRIM_400000_NS6detail17trampoline_kernelINS0_14default_configENS1_27upper_bound_config_selectorIflEEZNS1_14transform_implILb0ES3_S5_N6thrust23THRUST_200600_302600_NS6detail15normal_iteratorINS8_7pointerIfNS8_11hip_rocprim5par_tENS8_11use_defaultESE_EEEENSA_INSB_IlSD_SE_SE_EEEEZNS1_13binary_searchIS3_S5_NSA_INS8_10device_ptrIfEEEESG_SI_NS1_21upper_bound_search_opENS9_16wrapped_functionINS8_6system6detail7generic6detail18binary_search_lessEbEEEE10hipError_tPvRmT1_T2_T3_mmT4_T5_P12ihipStream_tbEUlRKfE_EESV_SZ_S10_mS11_S14_bEUlT_E_NS1_11comp_targetILNS1_3genE10ELNS1_11target_archE1201ELNS1_3gpuE5ELNS1_3repE0EEENS1_30default_config_static_selectorELNS0_4arch9wavefront6targetE0EEEvSY_.has_dyn_sized_stack, 0
	.set _ZN7rocprim17ROCPRIM_400000_NS6detail17trampoline_kernelINS0_14default_configENS1_27upper_bound_config_selectorIflEEZNS1_14transform_implILb0ES3_S5_N6thrust23THRUST_200600_302600_NS6detail15normal_iteratorINS8_7pointerIfNS8_11hip_rocprim5par_tENS8_11use_defaultESE_EEEENSA_INSB_IlSD_SE_SE_EEEEZNS1_13binary_searchIS3_S5_NSA_INS8_10device_ptrIfEEEESG_SI_NS1_21upper_bound_search_opENS9_16wrapped_functionINS8_6system6detail7generic6detail18binary_search_lessEbEEEE10hipError_tPvRmT1_T2_T3_mmT4_T5_P12ihipStream_tbEUlRKfE_EESV_SZ_S10_mS11_S14_bEUlT_E_NS1_11comp_targetILNS1_3genE10ELNS1_11target_archE1201ELNS1_3gpuE5ELNS1_3repE0EEENS1_30default_config_static_selectorELNS0_4arch9wavefront6targetE0EEEvSY_.has_recursion, 0
	.set _ZN7rocprim17ROCPRIM_400000_NS6detail17trampoline_kernelINS0_14default_configENS1_27upper_bound_config_selectorIflEEZNS1_14transform_implILb0ES3_S5_N6thrust23THRUST_200600_302600_NS6detail15normal_iteratorINS8_7pointerIfNS8_11hip_rocprim5par_tENS8_11use_defaultESE_EEEENSA_INSB_IlSD_SE_SE_EEEEZNS1_13binary_searchIS3_S5_NSA_INS8_10device_ptrIfEEEESG_SI_NS1_21upper_bound_search_opENS9_16wrapped_functionINS8_6system6detail7generic6detail18binary_search_lessEbEEEE10hipError_tPvRmT1_T2_T3_mmT4_T5_P12ihipStream_tbEUlRKfE_EESV_SZ_S10_mS11_S14_bEUlT_E_NS1_11comp_targetILNS1_3genE10ELNS1_11target_archE1201ELNS1_3gpuE5ELNS1_3repE0EEENS1_30default_config_static_selectorELNS0_4arch9wavefront6targetE0EEEvSY_.has_indirect_call, 0
	.section	.AMDGPU.csdata,"",@progbits
; Kernel info:
; codeLenInByte = 0
; TotalNumSgprs: 0
; NumVgprs: 0
; ScratchSize: 0
; MemoryBound: 0
; FloatMode: 240
; IeeeMode: 1
; LDSByteSize: 0 bytes/workgroup (compile time only)
; SGPRBlocks: 0
; VGPRBlocks: 0
; NumSGPRsForWavesPerEU: 1
; NumVGPRsForWavesPerEU: 1
; Occupancy: 16
; WaveLimiterHint : 0
; COMPUTE_PGM_RSRC2:SCRATCH_EN: 0
; COMPUTE_PGM_RSRC2:USER_SGPR: 6
; COMPUTE_PGM_RSRC2:TRAP_HANDLER: 0
; COMPUTE_PGM_RSRC2:TGID_X_EN: 1
; COMPUTE_PGM_RSRC2:TGID_Y_EN: 0
; COMPUTE_PGM_RSRC2:TGID_Z_EN: 0
; COMPUTE_PGM_RSRC2:TIDIG_COMP_CNT: 0
	.section	.text._ZN7rocprim17ROCPRIM_400000_NS6detail17trampoline_kernelINS0_14default_configENS1_27upper_bound_config_selectorIflEEZNS1_14transform_implILb0ES3_S5_N6thrust23THRUST_200600_302600_NS6detail15normal_iteratorINS8_7pointerIfNS8_11hip_rocprim5par_tENS8_11use_defaultESE_EEEENSA_INSB_IlSD_SE_SE_EEEEZNS1_13binary_searchIS3_S5_NSA_INS8_10device_ptrIfEEEESG_SI_NS1_21upper_bound_search_opENS9_16wrapped_functionINS8_6system6detail7generic6detail18binary_search_lessEbEEEE10hipError_tPvRmT1_T2_T3_mmT4_T5_P12ihipStream_tbEUlRKfE_EESV_SZ_S10_mS11_S14_bEUlT_E_NS1_11comp_targetILNS1_3genE10ELNS1_11target_archE1200ELNS1_3gpuE4ELNS1_3repE0EEENS1_30default_config_static_selectorELNS0_4arch9wavefront6targetE0EEEvSY_,"axG",@progbits,_ZN7rocprim17ROCPRIM_400000_NS6detail17trampoline_kernelINS0_14default_configENS1_27upper_bound_config_selectorIflEEZNS1_14transform_implILb0ES3_S5_N6thrust23THRUST_200600_302600_NS6detail15normal_iteratorINS8_7pointerIfNS8_11hip_rocprim5par_tENS8_11use_defaultESE_EEEENSA_INSB_IlSD_SE_SE_EEEEZNS1_13binary_searchIS3_S5_NSA_INS8_10device_ptrIfEEEESG_SI_NS1_21upper_bound_search_opENS9_16wrapped_functionINS8_6system6detail7generic6detail18binary_search_lessEbEEEE10hipError_tPvRmT1_T2_T3_mmT4_T5_P12ihipStream_tbEUlRKfE_EESV_SZ_S10_mS11_S14_bEUlT_E_NS1_11comp_targetILNS1_3genE10ELNS1_11target_archE1200ELNS1_3gpuE4ELNS1_3repE0EEENS1_30default_config_static_selectorELNS0_4arch9wavefront6targetE0EEEvSY_,comdat
	.protected	_ZN7rocprim17ROCPRIM_400000_NS6detail17trampoline_kernelINS0_14default_configENS1_27upper_bound_config_selectorIflEEZNS1_14transform_implILb0ES3_S5_N6thrust23THRUST_200600_302600_NS6detail15normal_iteratorINS8_7pointerIfNS8_11hip_rocprim5par_tENS8_11use_defaultESE_EEEENSA_INSB_IlSD_SE_SE_EEEEZNS1_13binary_searchIS3_S5_NSA_INS8_10device_ptrIfEEEESG_SI_NS1_21upper_bound_search_opENS9_16wrapped_functionINS8_6system6detail7generic6detail18binary_search_lessEbEEEE10hipError_tPvRmT1_T2_T3_mmT4_T5_P12ihipStream_tbEUlRKfE_EESV_SZ_S10_mS11_S14_bEUlT_E_NS1_11comp_targetILNS1_3genE10ELNS1_11target_archE1200ELNS1_3gpuE4ELNS1_3repE0EEENS1_30default_config_static_selectorELNS0_4arch9wavefront6targetE0EEEvSY_ ; -- Begin function _ZN7rocprim17ROCPRIM_400000_NS6detail17trampoline_kernelINS0_14default_configENS1_27upper_bound_config_selectorIflEEZNS1_14transform_implILb0ES3_S5_N6thrust23THRUST_200600_302600_NS6detail15normal_iteratorINS8_7pointerIfNS8_11hip_rocprim5par_tENS8_11use_defaultESE_EEEENSA_INSB_IlSD_SE_SE_EEEEZNS1_13binary_searchIS3_S5_NSA_INS8_10device_ptrIfEEEESG_SI_NS1_21upper_bound_search_opENS9_16wrapped_functionINS8_6system6detail7generic6detail18binary_search_lessEbEEEE10hipError_tPvRmT1_T2_T3_mmT4_T5_P12ihipStream_tbEUlRKfE_EESV_SZ_S10_mS11_S14_bEUlT_E_NS1_11comp_targetILNS1_3genE10ELNS1_11target_archE1200ELNS1_3gpuE4ELNS1_3repE0EEENS1_30default_config_static_selectorELNS0_4arch9wavefront6targetE0EEEvSY_
	.globl	_ZN7rocprim17ROCPRIM_400000_NS6detail17trampoline_kernelINS0_14default_configENS1_27upper_bound_config_selectorIflEEZNS1_14transform_implILb0ES3_S5_N6thrust23THRUST_200600_302600_NS6detail15normal_iteratorINS8_7pointerIfNS8_11hip_rocprim5par_tENS8_11use_defaultESE_EEEENSA_INSB_IlSD_SE_SE_EEEEZNS1_13binary_searchIS3_S5_NSA_INS8_10device_ptrIfEEEESG_SI_NS1_21upper_bound_search_opENS9_16wrapped_functionINS8_6system6detail7generic6detail18binary_search_lessEbEEEE10hipError_tPvRmT1_T2_T3_mmT4_T5_P12ihipStream_tbEUlRKfE_EESV_SZ_S10_mS11_S14_bEUlT_E_NS1_11comp_targetILNS1_3genE10ELNS1_11target_archE1200ELNS1_3gpuE4ELNS1_3repE0EEENS1_30default_config_static_selectorELNS0_4arch9wavefront6targetE0EEEvSY_
	.p2align	8
	.type	_ZN7rocprim17ROCPRIM_400000_NS6detail17trampoline_kernelINS0_14default_configENS1_27upper_bound_config_selectorIflEEZNS1_14transform_implILb0ES3_S5_N6thrust23THRUST_200600_302600_NS6detail15normal_iteratorINS8_7pointerIfNS8_11hip_rocprim5par_tENS8_11use_defaultESE_EEEENSA_INSB_IlSD_SE_SE_EEEEZNS1_13binary_searchIS3_S5_NSA_INS8_10device_ptrIfEEEESG_SI_NS1_21upper_bound_search_opENS9_16wrapped_functionINS8_6system6detail7generic6detail18binary_search_lessEbEEEE10hipError_tPvRmT1_T2_T3_mmT4_T5_P12ihipStream_tbEUlRKfE_EESV_SZ_S10_mS11_S14_bEUlT_E_NS1_11comp_targetILNS1_3genE10ELNS1_11target_archE1200ELNS1_3gpuE4ELNS1_3repE0EEENS1_30default_config_static_selectorELNS0_4arch9wavefront6targetE0EEEvSY_,@function
_ZN7rocprim17ROCPRIM_400000_NS6detail17trampoline_kernelINS0_14default_configENS1_27upper_bound_config_selectorIflEEZNS1_14transform_implILb0ES3_S5_N6thrust23THRUST_200600_302600_NS6detail15normal_iteratorINS8_7pointerIfNS8_11hip_rocprim5par_tENS8_11use_defaultESE_EEEENSA_INSB_IlSD_SE_SE_EEEEZNS1_13binary_searchIS3_S5_NSA_INS8_10device_ptrIfEEEESG_SI_NS1_21upper_bound_search_opENS9_16wrapped_functionINS8_6system6detail7generic6detail18binary_search_lessEbEEEE10hipError_tPvRmT1_T2_T3_mmT4_T5_P12ihipStream_tbEUlRKfE_EESV_SZ_S10_mS11_S14_bEUlT_E_NS1_11comp_targetILNS1_3genE10ELNS1_11target_archE1200ELNS1_3gpuE4ELNS1_3repE0EEENS1_30default_config_static_selectorELNS0_4arch9wavefront6targetE0EEEvSY_: ; @_ZN7rocprim17ROCPRIM_400000_NS6detail17trampoline_kernelINS0_14default_configENS1_27upper_bound_config_selectorIflEEZNS1_14transform_implILb0ES3_S5_N6thrust23THRUST_200600_302600_NS6detail15normal_iteratorINS8_7pointerIfNS8_11hip_rocprim5par_tENS8_11use_defaultESE_EEEENSA_INSB_IlSD_SE_SE_EEEEZNS1_13binary_searchIS3_S5_NSA_INS8_10device_ptrIfEEEESG_SI_NS1_21upper_bound_search_opENS9_16wrapped_functionINS8_6system6detail7generic6detail18binary_search_lessEbEEEE10hipError_tPvRmT1_T2_T3_mmT4_T5_P12ihipStream_tbEUlRKfE_EESV_SZ_S10_mS11_S14_bEUlT_E_NS1_11comp_targetILNS1_3genE10ELNS1_11target_archE1200ELNS1_3gpuE4ELNS1_3repE0EEENS1_30default_config_static_selectorELNS0_4arch9wavefront6targetE0EEEvSY_
; %bb.0:
	.section	.rodata,"a",@progbits
	.p2align	6, 0x0
	.amdhsa_kernel _ZN7rocprim17ROCPRIM_400000_NS6detail17trampoline_kernelINS0_14default_configENS1_27upper_bound_config_selectorIflEEZNS1_14transform_implILb0ES3_S5_N6thrust23THRUST_200600_302600_NS6detail15normal_iteratorINS8_7pointerIfNS8_11hip_rocprim5par_tENS8_11use_defaultESE_EEEENSA_INSB_IlSD_SE_SE_EEEEZNS1_13binary_searchIS3_S5_NSA_INS8_10device_ptrIfEEEESG_SI_NS1_21upper_bound_search_opENS9_16wrapped_functionINS8_6system6detail7generic6detail18binary_search_lessEbEEEE10hipError_tPvRmT1_T2_T3_mmT4_T5_P12ihipStream_tbEUlRKfE_EESV_SZ_S10_mS11_S14_bEUlT_E_NS1_11comp_targetILNS1_3genE10ELNS1_11target_archE1200ELNS1_3gpuE4ELNS1_3repE0EEENS1_30default_config_static_selectorELNS0_4arch9wavefront6targetE0EEEvSY_
		.amdhsa_group_segment_fixed_size 0
		.amdhsa_private_segment_fixed_size 0
		.amdhsa_kernarg_size 56
		.amdhsa_user_sgpr_count 6
		.amdhsa_user_sgpr_private_segment_buffer 1
		.amdhsa_user_sgpr_dispatch_ptr 0
		.amdhsa_user_sgpr_queue_ptr 0
		.amdhsa_user_sgpr_kernarg_segment_ptr 1
		.amdhsa_user_sgpr_dispatch_id 0
		.amdhsa_user_sgpr_flat_scratch_init 0
		.amdhsa_user_sgpr_private_segment_size 0
		.amdhsa_wavefront_size32 1
		.amdhsa_uses_dynamic_stack 0
		.amdhsa_system_sgpr_private_segment_wavefront_offset 0
		.amdhsa_system_sgpr_workgroup_id_x 1
		.amdhsa_system_sgpr_workgroup_id_y 0
		.amdhsa_system_sgpr_workgroup_id_z 0
		.amdhsa_system_sgpr_workgroup_info 0
		.amdhsa_system_vgpr_workitem_id 0
		.amdhsa_next_free_vgpr 1
		.amdhsa_next_free_sgpr 1
		.amdhsa_reserve_vcc 0
		.amdhsa_reserve_flat_scratch 0
		.amdhsa_float_round_mode_32 0
		.amdhsa_float_round_mode_16_64 0
		.amdhsa_float_denorm_mode_32 3
		.amdhsa_float_denorm_mode_16_64 3
		.amdhsa_dx10_clamp 1
		.amdhsa_ieee_mode 1
		.amdhsa_fp16_overflow 0
		.amdhsa_workgroup_processor_mode 1
		.amdhsa_memory_ordered 1
		.amdhsa_forward_progress 1
		.amdhsa_shared_vgpr_count 0
		.amdhsa_exception_fp_ieee_invalid_op 0
		.amdhsa_exception_fp_denorm_src 0
		.amdhsa_exception_fp_ieee_div_zero 0
		.amdhsa_exception_fp_ieee_overflow 0
		.amdhsa_exception_fp_ieee_underflow 0
		.amdhsa_exception_fp_ieee_inexact 0
		.amdhsa_exception_int_div_zero 0
	.end_amdhsa_kernel
	.section	.text._ZN7rocprim17ROCPRIM_400000_NS6detail17trampoline_kernelINS0_14default_configENS1_27upper_bound_config_selectorIflEEZNS1_14transform_implILb0ES3_S5_N6thrust23THRUST_200600_302600_NS6detail15normal_iteratorINS8_7pointerIfNS8_11hip_rocprim5par_tENS8_11use_defaultESE_EEEENSA_INSB_IlSD_SE_SE_EEEEZNS1_13binary_searchIS3_S5_NSA_INS8_10device_ptrIfEEEESG_SI_NS1_21upper_bound_search_opENS9_16wrapped_functionINS8_6system6detail7generic6detail18binary_search_lessEbEEEE10hipError_tPvRmT1_T2_T3_mmT4_T5_P12ihipStream_tbEUlRKfE_EESV_SZ_S10_mS11_S14_bEUlT_E_NS1_11comp_targetILNS1_3genE10ELNS1_11target_archE1200ELNS1_3gpuE4ELNS1_3repE0EEENS1_30default_config_static_selectorELNS0_4arch9wavefront6targetE0EEEvSY_,"axG",@progbits,_ZN7rocprim17ROCPRIM_400000_NS6detail17trampoline_kernelINS0_14default_configENS1_27upper_bound_config_selectorIflEEZNS1_14transform_implILb0ES3_S5_N6thrust23THRUST_200600_302600_NS6detail15normal_iteratorINS8_7pointerIfNS8_11hip_rocprim5par_tENS8_11use_defaultESE_EEEENSA_INSB_IlSD_SE_SE_EEEEZNS1_13binary_searchIS3_S5_NSA_INS8_10device_ptrIfEEEESG_SI_NS1_21upper_bound_search_opENS9_16wrapped_functionINS8_6system6detail7generic6detail18binary_search_lessEbEEEE10hipError_tPvRmT1_T2_T3_mmT4_T5_P12ihipStream_tbEUlRKfE_EESV_SZ_S10_mS11_S14_bEUlT_E_NS1_11comp_targetILNS1_3genE10ELNS1_11target_archE1200ELNS1_3gpuE4ELNS1_3repE0EEENS1_30default_config_static_selectorELNS0_4arch9wavefront6targetE0EEEvSY_,comdat
.Lfunc_end533:
	.size	_ZN7rocprim17ROCPRIM_400000_NS6detail17trampoline_kernelINS0_14default_configENS1_27upper_bound_config_selectorIflEEZNS1_14transform_implILb0ES3_S5_N6thrust23THRUST_200600_302600_NS6detail15normal_iteratorINS8_7pointerIfNS8_11hip_rocprim5par_tENS8_11use_defaultESE_EEEENSA_INSB_IlSD_SE_SE_EEEEZNS1_13binary_searchIS3_S5_NSA_INS8_10device_ptrIfEEEESG_SI_NS1_21upper_bound_search_opENS9_16wrapped_functionINS8_6system6detail7generic6detail18binary_search_lessEbEEEE10hipError_tPvRmT1_T2_T3_mmT4_T5_P12ihipStream_tbEUlRKfE_EESV_SZ_S10_mS11_S14_bEUlT_E_NS1_11comp_targetILNS1_3genE10ELNS1_11target_archE1200ELNS1_3gpuE4ELNS1_3repE0EEENS1_30default_config_static_selectorELNS0_4arch9wavefront6targetE0EEEvSY_, .Lfunc_end533-_ZN7rocprim17ROCPRIM_400000_NS6detail17trampoline_kernelINS0_14default_configENS1_27upper_bound_config_selectorIflEEZNS1_14transform_implILb0ES3_S5_N6thrust23THRUST_200600_302600_NS6detail15normal_iteratorINS8_7pointerIfNS8_11hip_rocprim5par_tENS8_11use_defaultESE_EEEENSA_INSB_IlSD_SE_SE_EEEEZNS1_13binary_searchIS3_S5_NSA_INS8_10device_ptrIfEEEESG_SI_NS1_21upper_bound_search_opENS9_16wrapped_functionINS8_6system6detail7generic6detail18binary_search_lessEbEEEE10hipError_tPvRmT1_T2_T3_mmT4_T5_P12ihipStream_tbEUlRKfE_EESV_SZ_S10_mS11_S14_bEUlT_E_NS1_11comp_targetILNS1_3genE10ELNS1_11target_archE1200ELNS1_3gpuE4ELNS1_3repE0EEENS1_30default_config_static_selectorELNS0_4arch9wavefront6targetE0EEEvSY_
                                        ; -- End function
	.set _ZN7rocprim17ROCPRIM_400000_NS6detail17trampoline_kernelINS0_14default_configENS1_27upper_bound_config_selectorIflEEZNS1_14transform_implILb0ES3_S5_N6thrust23THRUST_200600_302600_NS6detail15normal_iteratorINS8_7pointerIfNS8_11hip_rocprim5par_tENS8_11use_defaultESE_EEEENSA_INSB_IlSD_SE_SE_EEEEZNS1_13binary_searchIS3_S5_NSA_INS8_10device_ptrIfEEEESG_SI_NS1_21upper_bound_search_opENS9_16wrapped_functionINS8_6system6detail7generic6detail18binary_search_lessEbEEEE10hipError_tPvRmT1_T2_T3_mmT4_T5_P12ihipStream_tbEUlRKfE_EESV_SZ_S10_mS11_S14_bEUlT_E_NS1_11comp_targetILNS1_3genE10ELNS1_11target_archE1200ELNS1_3gpuE4ELNS1_3repE0EEENS1_30default_config_static_selectorELNS0_4arch9wavefront6targetE0EEEvSY_.num_vgpr, 0
	.set _ZN7rocprim17ROCPRIM_400000_NS6detail17trampoline_kernelINS0_14default_configENS1_27upper_bound_config_selectorIflEEZNS1_14transform_implILb0ES3_S5_N6thrust23THRUST_200600_302600_NS6detail15normal_iteratorINS8_7pointerIfNS8_11hip_rocprim5par_tENS8_11use_defaultESE_EEEENSA_INSB_IlSD_SE_SE_EEEEZNS1_13binary_searchIS3_S5_NSA_INS8_10device_ptrIfEEEESG_SI_NS1_21upper_bound_search_opENS9_16wrapped_functionINS8_6system6detail7generic6detail18binary_search_lessEbEEEE10hipError_tPvRmT1_T2_T3_mmT4_T5_P12ihipStream_tbEUlRKfE_EESV_SZ_S10_mS11_S14_bEUlT_E_NS1_11comp_targetILNS1_3genE10ELNS1_11target_archE1200ELNS1_3gpuE4ELNS1_3repE0EEENS1_30default_config_static_selectorELNS0_4arch9wavefront6targetE0EEEvSY_.num_agpr, 0
	.set _ZN7rocprim17ROCPRIM_400000_NS6detail17trampoline_kernelINS0_14default_configENS1_27upper_bound_config_selectorIflEEZNS1_14transform_implILb0ES3_S5_N6thrust23THRUST_200600_302600_NS6detail15normal_iteratorINS8_7pointerIfNS8_11hip_rocprim5par_tENS8_11use_defaultESE_EEEENSA_INSB_IlSD_SE_SE_EEEEZNS1_13binary_searchIS3_S5_NSA_INS8_10device_ptrIfEEEESG_SI_NS1_21upper_bound_search_opENS9_16wrapped_functionINS8_6system6detail7generic6detail18binary_search_lessEbEEEE10hipError_tPvRmT1_T2_T3_mmT4_T5_P12ihipStream_tbEUlRKfE_EESV_SZ_S10_mS11_S14_bEUlT_E_NS1_11comp_targetILNS1_3genE10ELNS1_11target_archE1200ELNS1_3gpuE4ELNS1_3repE0EEENS1_30default_config_static_selectorELNS0_4arch9wavefront6targetE0EEEvSY_.numbered_sgpr, 0
	.set _ZN7rocprim17ROCPRIM_400000_NS6detail17trampoline_kernelINS0_14default_configENS1_27upper_bound_config_selectorIflEEZNS1_14transform_implILb0ES3_S5_N6thrust23THRUST_200600_302600_NS6detail15normal_iteratorINS8_7pointerIfNS8_11hip_rocprim5par_tENS8_11use_defaultESE_EEEENSA_INSB_IlSD_SE_SE_EEEEZNS1_13binary_searchIS3_S5_NSA_INS8_10device_ptrIfEEEESG_SI_NS1_21upper_bound_search_opENS9_16wrapped_functionINS8_6system6detail7generic6detail18binary_search_lessEbEEEE10hipError_tPvRmT1_T2_T3_mmT4_T5_P12ihipStream_tbEUlRKfE_EESV_SZ_S10_mS11_S14_bEUlT_E_NS1_11comp_targetILNS1_3genE10ELNS1_11target_archE1200ELNS1_3gpuE4ELNS1_3repE0EEENS1_30default_config_static_selectorELNS0_4arch9wavefront6targetE0EEEvSY_.num_named_barrier, 0
	.set _ZN7rocprim17ROCPRIM_400000_NS6detail17trampoline_kernelINS0_14default_configENS1_27upper_bound_config_selectorIflEEZNS1_14transform_implILb0ES3_S5_N6thrust23THRUST_200600_302600_NS6detail15normal_iteratorINS8_7pointerIfNS8_11hip_rocprim5par_tENS8_11use_defaultESE_EEEENSA_INSB_IlSD_SE_SE_EEEEZNS1_13binary_searchIS3_S5_NSA_INS8_10device_ptrIfEEEESG_SI_NS1_21upper_bound_search_opENS9_16wrapped_functionINS8_6system6detail7generic6detail18binary_search_lessEbEEEE10hipError_tPvRmT1_T2_T3_mmT4_T5_P12ihipStream_tbEUlRKfE_EESV_SZ_S10_mS11_S14_bEUlT_E_NS1_11comp_targetILNS1_3genE10ELNS1_11target_archE1200ELNS1_3gpuE4ELNS1_3repE0EEENS1_30default_config_static_selectorELNS0_4arch9wavefront6targetE0EEEvSY_.private_seg_size, 0
	.set _ZN7rocprim17ROCPRIM_400000_NS6detail17trampoline_kernelINS0_14default_configENS1_27upper_bound_config_selectorIflEEZNS1_14transform_implILb0ES3_S5_N6thrust23THRUST_200600_302600_NS6detail15normal_iteratorINS8_7pointerIfNS8_11hip_rocprim5par_tENS8_11use_defaultESE_EEEENSA_INSB_IlSD_SE_SE_EEEEZNS1_13binary_searchIS3_S5_NSA_INS8_10device_ptrIfEEEESG_SI_NS1_21upper_bound_search_opENS9_16wrapped_functionINS8_6system6detail7generic6detail18binary_search_lessEbEEEE10hipError_tPvRmT1_T2_T3_mmT4_T5_P12ihipStream_tbEUlRKfE_EESV_SZ_S10_mS11_S14_bEUlT_E_NS1_11comp_targetILNS1_3genE10ELNS1_11target_archE1200ELNS1_3gpuE4ELNS1_3repE0EEENS1_30default_config_static_selectorELNS0_4arch9wavefront6targetE0EEEvSY_.uses_vcc, 0
	.set _ZN7rocprim17ROCPRIM_400000_NS6detail17trampoline_kernelINS0_14default_configENS1_27upper_bound_config_selectorIflEEZNS1_14transform_implILb0ES3_S5_N6thrust23THRUST_200600_302600_NS6detail15normal_iteratorINS8_7pointerIfNS8_11hip_rocprim5par_tENS8_11use_defaultESE_EEEENSA_INSB_IlSD_SE_SE_EEEEZNS1_13binary_searchIS3_S5_NSA_INS8_10device_ptrIfEEEESG_SI_NS1_21upper_bound_search_opENS9_16wrapped_functionINS8_6system6detail7generic6detail18binary_search_lessEbEEEE10hipError_tPvRmT1_T2_T3_mmT4_T5_P12ihipStream_tbEUlRKfE_EESV_SZ_S10_mS11_S14_bEUlT_E_NS1_11comp_targetILNS1_3genE10ELNS1_11target_archE1200ELNS1_3gpuE4ELNS1_3repE0EEENS1_30default_config_static_selectorELNS0_4arch9wavefront6targetE0EEEvSY_.uses_flat_scratch, 0
	.set _ZN7rocprim17ROCPRIM_400000_NS6detail17trampoline_kernelINS0_14default_configENS1_27upper_bound_config_selectorIflEEZNS1_14transform_implILb0ES3_S5_N6thrust23THRUST_200600_302600_NS6detail15normal_iteratorINS8_7pointerIfNS8_11hip_rocprim5par_tENS8_11use_defaultESE_EEEENSA_INSB_IlSD_SE_SE_EEEEZNS1_13binary_searchIS3_S5_NSA_INS8_10device_ptrIfEEEESG_SI_NS1_21upper_bound_search_opENS9_16wrapped_functionINS8_6system6detail7generic6detail18binary_search_lessEbEEEE10hipError_tPvRmT1_T2_T3_mmT4_T5_P12ihipStream_tbEUlRKfE_EESV_SZ_S10_mS11_S14_bEUlT_E_NS1_11comp_targetILNS1_3genE10ELNS1_11target_archE1200ELNS1_3gpuE4ELNS1_3repE0EEENS1_30default_config_static_selectorELNS0_4arch9wavefront6targetE0EEEvSY_.has_dyn_sized_stack, 0
	.set _ZN7rocprim17ROCPRIM_400000_NS6detail17trampoline_kernelINS0_14default_configENS1_27upper_bound_config_selectorIflEEZNS1_14transform_implILb0ES3_S5_N6thrust23THRUST_200600_302600_NS6detail15normal_iteratorINS8_7pointerIfNS8_11hip_rocprim5par_tENS8_11use_defaultESE_EEEENSA_INSB_IlSD_SE_SE_EEEEZNS1_13binary_searchIS3_S5_NSA_INS8_10device_ptrIfEEEESG_SI_NS1_21upper_bound_search_opENS9_16wrapped_functionINS8_6system6detail7generic6detail18binary_search_lessEbEEEE10hipError_tPvRmT1_T2_T3_mmT4_T5_P12ihipStream_tbEUlRKfE_EESV_SZ_S10_mS11_S14_bEUlT_E_NS1_11comp_targetILNS1_3genE10ELNS1_11target_archE1200ELNS1_3gpuE4ELNS1_3repE0EEENS1_30default_config_static_selectorELNS0_4arch9wavefront6targetE0EEEvSY_.has_recursion, 0
	.set _ZN7rocprim17ROCPRIM_400000_NS6detail17trampoline_kernelINS0_14default_configENS1_27upper_bound_config_selectorIflEEZNS1_14transform_implILb0ES3_S5_N6thrust23THRUST_200600_302600_NS6detail15normal_iteratorINS8_7pointerIfNS8_11hip_rocprim5par_tENS8_11use_defaultESE_EEEENSA_INSB_IlSD_SE_SE_EEEEZNS1_13binary_searchIS3_S5_NSA_INS8_10device_ptrIfEEEESG_SI_NS1_21upper_bound_search_opENS9_16wrapped_functionINS8_6system6detail7generic6detail18binary_search_lessEbEEEE10hipError_tPvRmT1_T2_T3_mmT4_T5_P12ihipStream_tbEUlRKfE_EESV_SZ_S10_mS11_S14_bEUlT_E_NS1_11comp_targetILNS1_3genE10ELNS1_11target_archE1200ELNS1_3gpuE4ELNS1_3repE0EEENS1_30default_config_static_selectorELNS0_4arch9wavefront6targetE0EEEvSY_.has_indirect_call, 0
	.section	.AMDGPU.csdata,"",@progbits
; Kernel info:
; codeLenInByte = 0
; TotalNumSgprs: 0
; NumVgprs: 0
; ScratchSize: 0
; MemoryBound: 0
; FloatMode: 240
; IeeeMode: 1
; LDSByteSize: 0 bytes/workgroup (compile time only)
; SGPRBlocks: 0
; VGPRBlocks: 0
; NumSGPRsForWavesPerEU: 1
; NumVGPRsForWavesPerEU: 1
; Occupancy: 16
; WaveLimiterHint : 0
; COMPUTE_PGM_RSRC2:SCRATCH_EN: 0
; COMPUTE_PGM_RSRC2:USER_SGPR: 6
; COMPUTE_PGM_RSRC2:TRAP_HANDLER: 0
; COMPUTE_PGM_RSRC2:TGID_X_EN: 1
; COMPUTE_PGM_RSRC2:TGID_Y_EN: 0
; COMPUTE_PGM_RSRC2:TGID_Z_EN: 0
; COMPUTE_PGM_RSRC2:TIDIG_COMP_CNT: 0
	.section	.text._ZN7rocprim17ROCPRIM_400000_NS6detail17trampoline_kernelINS0_14default_configENS1_27upper_bound_config_selectorIflEEZNS1_14transform_implILb0ES3_S5_N6thrust23THRUST_200600_302600_NS6detail15normal_iteratorINS8_7pointerIfNS8_11hip_rocprim5par_tENS8_11use_defaultESE_EEEENSA_INSB_IlSD_SE_SE_EEEEZNS1_13binary_searchIS3_S5_NSA_INS8_10device_ptrIfEEEESG_SI_NS1_21upper_bound_search_opENS9_16wrapped_functionINS8_6system6detail7generic6detail18binary_search_lessEbEEEE10hipError_tPvRmT1_T2_T3_mmT4_T5_P12ihipStream_tbEUlRKfE_EESV_SZ_S10_mS11_S14_bEUlT_E_NS1_11comp_targetILNS1_3genE9ELNS1_11target_archE1100ELNS1_3gpuE3ELNS1_3repE0EEENS1_30default_config_static_selectorELNS0_4arch9wavefront6targetE0EEEvSY_,"axG",@progbits,_ZN7rocprim17ROCPRIM_400000_NS6detail17trampoline_kernelINS0_14default_configENS1_27upper_bound_config_selectorIflEEZNS1_14transform_implILb0ES3_S5_N6thrust23THRUST_200600_302600_NS6detail15normal_iteratorINS8_7pointerIfNS8_11hip_rocprim5par_tENS8_11use_defaultESE_EEEENSA_INSB_IlSD_SE_SE_EEEEZNS1_13binary_searchIS3_S5_NSA_INS8_10device_ptrIfEEEESG_SI_NS1_21upper_bound_search_opENS9_16wrapped_functionINS8_6system6detail7generic6detail18binary_search_lessEbEEEE10hipError_tPvRmT1_T2_T3_mmT4_T5_P12ihipStream_tbEUlRKfE_EESV_SZ_S10_mS11_S14_bEUlT_E_NS1_11comp_targetILNS1_3genE9ELNS1_11target_archE1100ELNS1_3gpuE3ELNS1_3repE0EEENS1_30default_config_static_selectorELNS0_4arch9wavefront6targetE0EEEvSY_,comdat
	.protected	_ZN7rocprim17ROCPRIM_400000_NS6detail17trampoline_kernelINS0_14default_configENS1_27upper_bound_config_selectorIflEEZNS1_14transform_implILb0ES3_S5_N6thrust23THRUST_200600_302600_NS6detail15normal_iteratorINS8_7pointerIfNS8_11hip_rocprim5par_tENS8_11use_defaultESE_EEEENSA_INSB_IlSD_SE_SE_EEEEZNS1_13binary_searchIS3_S5_NSA_INS8_10device_ptrIfEEEESG_SI_NS1_21upper_bound_search_opENS9_16wrapped_functionINS8_6system6detail7generic6detail18binary_search_lessEbEEEE10hipError_tPvRmT1_T2_T3_mmT4_T5_P12ihipStream_tbEUlRKfE_EESV_SZ_S10_mS11_S14_bEUlT_E_NS1_11comp_targetILNS1_3genE9ELNS1_11target_archE1100ELNS1_3gpuE3ELNS1_3repE0EEENS1_30default_config_static_selectorELNS0_4arch9wavefront6targetE0EEEvSY_ ; -- Begin function _ZN7rocprim17ROCPRIM_400000_NS6detail17trampoline_kernelINS0_14default_configENS1_27upper_bound_config_selectorIflEEZNS1_14transform_implILb0ES3_S5_N6thrust23THRUST_200600_302600_NS6detail15normal_iteratorINS8_7pointerIfNS8_11hip_rocprim5par_tENS8_11use_defaultESE_EEEENSA_INSB_IlSD_SE_SE_EEEEZNS1_13binary_searchIS3_S5_NSA_INS8_10device_ptrIfEEEESG_SI_NS1_21upper_bound_search_opENS9_16wrapped_functionINS8_6system6detail7generic6detail18binary_search_lessEbEEEE10hipError_tPvRmT1_T2_T3_mmT4_T5_P12ihipStream_tbEUlRKfE_EESV_SZ_S10_mS11_S14_bEUlT_E_NS1_11comp_targetILNS1_3genE9ELNS1_11target_archE1100ELNS1_3gpuE3ELNS1_3repE0EEENS1_30default_config_static_selectorELNS0_4arch9wavefront6targetE0EEEvSY_
	.globl	_ZN7rocprim17ROCPRIM_400000_NS6detail17trampoline_kernelINS0_14default_configENS1_27upper_bound_config_selectorIflEEZNS1_14transform_implILb0ES3_S5_N6thrust23THRUST_200600_302600_NS6detail15normal_iteratorINS8_7pointerIfNS8_11hip_rocprim5par_tENS8_11use_defaultESE_EEEENSA_INSB_IlSD_SE_SE_EEEEZNS1_13binary_searchIS3_S5_NSA_INS8_10device_ptrIfEEEESG_SI_NS1_21upper_bound_search_opENS9_16wrapped_functionINS8_6system6detail7generic6detail18binary_search_lessEbEEEE10hipError_tPvRmT1_T2_T3_mmT4_T5_P12ihipStream_tbEUlRKfE_EESV_SZ_S10_mS11_S14_bEUlT_E_NS1_11comp_targetILNS1_3genE9ELNS1_11target_archE1100ELNS1_3gpuE3ELNS1_3repE0EEENS1_30default_config_static_selectorELNS0_4arch9wavefront6targetE0EEEvSY_
	.p2align	8
	.type	_ZN7rocprim17ROCPRIM_400000_NS6detail17trampoline_kernelINS0_14default_configENS1_27upper_bound_config_selectorIflEEZNS1_14transform_implILb0ES3_S5_N6thrust23THRUST_200600_302600_NS6detail15normal_iteratorINS8_7pointerIfNS8_11hip_rocprim5par_tENS8_11use_defaultESE_EEEENSA_INSB_IlSD_SE_SE_EEEEZNS1_13binary_searchIS3_S5_NSA_INS8_10device_ptrIfEEEESG_SI_NS1_21upper_bound_search_opENS9_16wrapped_functionINS8_6system6detail7generic6detail18binary_search_lessEbEEEE10hipError_tPvRmT1_T2_T3_mmT4_T5_P12ihipStream_tbEUlRKfE_EESV_SZ_S10_mS11_S14_bEUlT_E_NS1_11comp_targetILNS1_3genE9ELNS1_11target_archE1100ELNS1_3gpuE3ELNS1_3repE0EEENS1_30default_config_static_selectorELNS0_4arch9wavefront6targetE0EEEvSY_,@function
_ZN7rocprim17ROCPRIM_400000_NS6detail17trampoline_kernelINS0_14default_configENS1_27upper_bound_config_selectorIflEEZNS1_14transform_implILb0ES3_S5_N6thrust23THRUST_200600_302600_NS6detail15normal_iteratorINS8_7pointerIfNS8_11hip_rocprim5par_tENS8_11use_defaultESE_EEEENSA_INSB_IlSD_SE_SE_EEEEZNS1_13binary_searchIS3_S5_NSA_INS8_10device_ptrIfEEEESG_SI_NS1_21upper_bound_search_opENS9_16wrapped_functionINS8_6system6detail7generic6detail18binary_search_lessEbEEEE10hipError_tPvRmT1_T2_T3_mmT4_T5_P12ihipStream_tbEUlRKfE_EESV_SZ_S10_mS11_S14_bEUlT_E_NS1_11comp_targetILNS1_3genE9ELNS1_11target_archE1100ELNS1_3gpuE3ELNS1_3repE0EEENS1_30default_config_static_selectorELNS0_4arch9wavefront6targetE0EEEvSY_: ; @_ZN7rocprim17ROCPRIM_400000_NS6detail17trampoline_kernelINS0_14default_configENS1_27upper_bound_config_selectorIflEEZNS1_14transform_implILb0ES3_S5_N6thrust23THRUST_200600_302600_NS6detail15normal_iteratorINS8_7pointerIfNS8_11hip_rocprim5par_tENS8_11use_defaultESE_EEEENSA_INSB_IlSD_SE_SE_EEEEZNS1_13binary_searchIS3_S5_NSA_INS8_10device_ptrIfEEEESG_SI_NS1_21upper_bound_search_opENS9_16wrapped_functionINS8_6system6detail7generic6detail18binary_search_lessEbEEEE10hipError_tPvRmT1_T2_T3_mmT4_T5_P12ihipStream_tbEUlRKfE_EESV_SZ_S10_mS11_S14_bEUlT_E_NS1_11comp_targetILNS1_3genE9ELNS1_11target_archE1100ELNS1_3gpuE3ELNS1_3repE0EEENS1_30default_config_static_selectorELNS0_4arch9wavefront6targetE0EEEvSY_
; %bb.0:
	.section	.rodata,"a",@progbits
	.p2align	6, 0x0
	.amdhsa_kernel _ZN7rocprim17ROCPRIM_400000_NS6detail17trampoline_kernelINS0_14default_configENS1_27upper_bound_config_selectorIflEEZNS1_14transform_implILb0ES3_S5_N6thrust23THRUST_200600_302600_NS6detail15normal_iteratorINS8_7pointerIfNS8_11hip_rocprim5par_tENS8_11use_defaultESE_EEEENSA_INSB_IlSD_SE_SE_EEEEZNS1_13binary_searchIS3_S5_NSA_INS8_10device_ptrIfEEEESG_SI_NS1_21upper_bound_search_opENS9_16wrapped_functionINS8_6system6detail7generic6detail18binary_search_lessEbEEEE10hipError_tPvRmT1_T2_T3_mmT4_T5_P12ihipStream_tbEUlRKfE_EESV_SZ_S10_mS11_S14_bEUlT_E_NS1_11comp_targetILNS1_3genE9ELNS1_11target_archE1100ELNS1_3gpuE3ELNS1_3repE0EEENS1_30default_config_static_selectorELNS0_4arch9wavefront6targetE0EEEvSY_
		.amdhsa_group_segment_fixed_size 0
		.amdhsa_private_segment_fixed_size 0
		.amdhsa_kernarg_size 56
		.amdhsa_user_sgpr_count 6
		.amdhsa_user_sgpr_private_segment_buffer 1
		.amdhsa_user_sgpr_dispatch_ptr 0
		.amdhsa_user_sgpr_queue_ptr 0
		.amdhsa_user_sgpr_kernarg_segment_ptr 1
		.amdhsa_user_sgpr_dispatch_id 0
		.amdhsa_user_sgpr_flat_scratch_init 0
		.amdhsa_user_sgpr_private_segment_size 0
		.amdhsa_wavefront_size32 1
		.amdhsa_uses_dynamic_stack 0
		.amdhsa_system_sgpr_private_segment_wavefront_offset 0
		.amdhsa_system_sgpr_workgroup_id_x 1
		.amdhsa_system_sgpr_workgroup_id_y 0
		.amdhsa_system_sgpr_workgroup_id_z 0
		.amdhsa_system_sgpr_workgroup_info 0
		.amdhsa_system_vgpr_workitem_id 0
		.amdhsa_next_free_vgpr 1
		.amdhsa_next_free_sgpr 1
		.amdhsa_reserve_vcc 0
		.amdhsa_reserve_flat_scratch 0
		.amdhsa_float_round_mode_32 0
		.amdhsa_float_round_mode_16_64 0
		.amdhsa_float_denorm_mode_32 3
		.amdhsa_float_denorm_mode_16_64 3
		.amdhsa_dx10_clamp 1
		.amdhsa_ieee_mode 1
		.amdhsa_fp16_overflow 0
		.amdhsa_workgroup_processor_mode 1
		.amdhsa_memory_ordered 1
		.amdhsa_forward_progress 1
		.amdhsa_shared_vgpr_count 0
		.amdhsa_exception_fp_ieee_invalid_op 0
		.amdhsa_exception_fp_denorm_src 0
		.amdhsa_exception_fp_ieee_div_zero 0
		.amdhsa_exception_fp_ieee_overflow 0
		.amdhsa_exception_fp_ieee_underflow 0
		.amdhsa_exception_fp_ieee_inexact 0
		.amdhsa_exception_int_div_zero 0
	.end_amdhsa_kernel
	.section	.text._ZN7rocprim17ROCPRIM_400000_NS6detail17trampoline_kernelINS0_14default_configENS1_27upper_bound_config_selectorIflEEZNS1_14transform_implILb0ES3_S5_N6thrust23THRUST_200600_302600_NS6detail15normal_iteratorINS8_7pointerIfNS8_11hip_rocprim5par_tENS8_11use_defaultESE_EEEENSA_INSB_IlSD_SE_SE_EEEEZNS1_13binary_searchIS3_S5_NSA_INS8_10device_ptrIfEEEESG_SI_NS1_21upper_bound_search_opENS9_16wrapped_functionINS8_6system6detail7generic6detail18binary_search_lessEbEEEE10hipError_tPvRmT1_T2_T3_mmT4_T5_P12ihipStream_tbEUlRKfE_EESV_SZ_S10_mS11_S14_bEUlT_E_NS1_11comp_targetILNS1_3genE9ELNS1_11target_archE1100ELNS1_3gpuE3ELNS1_3repE0EEENS1_30default_config_static_selectorELNS0_4arch9wavefront6targetE0EEEvSY_,"axG",@progbits,_ZN7rocprim17ROCPRIM_400000_NS6detail17trampoline_kernelINS0_14default_configENS1_27upper_bound_config_selectorIflEEZNS1_14transform_implILb0ES3_S5_N6thrust23THRUST_200600_302600_NS6detail15normal_iteratorINS8_7pointerIfNS8_11hip_rocprim5par_tENS8_11use_defaultESE_EEEENSA_INSB_IlSD_SE_SE_EEEEZNS1_13binary_searchIS3_S5_NSA_INS8_10device_ptrIfEEEESG_SI_NS1_21upper_bound_search_opENS9_16wrapped_functionINS8_6system6detail7generic6detail18binary_search_lessEbEEEE10hipError_tPvRmT1_T2_T3_mmT4_T5_P12ihipStream_tbEUlRKfE_EESV_SZ_S10_mS11_S14_bEUlT_E_NS1_11comp_targetILNS1_3genE9ELNS1_11target_archE1100ELNS1_3gpuE3ELNS1_3repE0EEENS1_30default_config_static_selectorELNS0_4arch9wavefront6targetE0EEEvSY_,comdat
.Lfunc_end534:
	.size	_ZN7rocprim17ROCPRIM_400000_NS6detail17trampoline_kernelINS0_14default_configENS1_27upper_bound_config_selectorIflEEZNS1_14transform_implILb0ES3_S5_N6thrust23THRUST_200600_302600_NS6detail15normal_iteratorINS8_7pointerIfNS8_11hip_rocprim5par_tENS8_11use_defaultESE_EEEENSA_INSB_IlSD_SE_SE_EEEEZNS1_13binary_searchIS3_S5_NSA_INS8_10device_ptrIfEEEESG_SI_NS1_21upper_bound_search_opENS9_16wrapped_functionINS8_6system6detail7generic6detail18binary_search_lessEbEEEE10hipError_tPvRmT1_T2_T3_mmT4_T5_P12ihipStream_tbEUlRKfE_EESV_SZ_S10_mS11_S14_bEUlT_E_NS1_11comp_targetILNS1_3genE9ELNS1_11target_archE1100ELNS1_3gpuE3ELNS1_3repE0EEENS1_30default_config_static_selectorELNS0_4arch9wavefront6targetE0EEEvSY_, .Lfunc_end534-_ZN7rocprim17ROCPRIM_400000_NS6detail17trampoline_kernelINS0_14default_configENS1_27upper_bound_config_selectorIflEEZNS1_14transform_implILb0ES3_S5_N6thrust23THRUST_200600_302600_NS6detail15normal_iteratorINS8_7pointerIfNS8_11hip_rocprim5par_tENS8_11use_defaultESE_EEEENSA_INSB_IlSD_SE_SE_EEEEZNS1_13binary_searchIS3_S5_NSA_INS8_10device_ptrIfEEEESG_SI_NS1_21upper_bound_search_opENS9_16wrapped_functionINS8_6system6detail7generic6detail18binary_search_lessEbEEEE10hipError_tPvRmT1_T2_T3_mmT4_T5_P12ihipStream_tbEUlRKfE_EESV_SZ_S10_mS11_S14_bEUlT_E_NS1_11comp_targetILNS1_3genE9ELNS1_11target_archE1100ELNS1_3gpuE3ELNS1_3repE0EEENS1_30default_config_static_selectorELNS0_4arch9wavefront6targetE0EEEvSY_
                                        ; -- End function
	.set _ZN7rocprim17ROCPRIM_400000_NS6detail17trampoline_kernelINS0_14default_configENS1_27upper_bound_config_selectorIflEEZNS1_14transform_implILb0ES3_S5_N6thrust23THRUST_200600_302600_NS6detail15normal_iteratorINS8_7pointerIfNS8_11hip_rocprim5par_tENS8_11use_defaultESE_EEEENSA_INSB_IlSD_SE_SE_EEEEZNS1_13binary_searchIS3_S5_NSA_INS8_10device_ptrIfEEEESG_SI_NS1_21upper_bound_search_opENS9_16wrapped_functionINS8_6system6detail7generic6detail18binary_search_lessEbEEEE10hipError_tPvRmT1_T2_T3_mmT4_T5_P12ihipStream_tbEUlRKfE_EESV_SZ_S10_mS11_S14_bEUlT_E_NS1_11comp_targetILNS1_3genE9ELNS1_11target_archE1100ELNS1_3gpuE3ELNS1_3repE0EEENS1_30default_config_static_selectorELNS0_4arch9wavefront6targetE0EEEvSY_.num_vgpr, 0
	.set _ZN7rocprim17ROCPRIM_400000_NS6detail17trampoline_kernelINS0_14default_configENS1_27upper_bound_config_selectorIflEEZNS1_14transform_implILb0ES3_S5_N6thrust23THRUST_200600_302600_NS6detail15normal_iteratorINS8_7pointerIfNS8_11hip_rocprim5par_tENS8_11use_defaultESE_EEEENSA_INSB_IlSD_SE_SE_EEEEZNS1_13binary_searchIS3_S5_NSA_INS8_10device_ptrIfEEEESG_SI_NS1_21upper_bound_search_opENS9_16wrapped_functionINS8_6system6detail7generic6detail18binary_search_lessEbEEEE10hipError_tPvRmT1_T2_T3_mmT4_T5_P12ihipStream_tbEUlRKfE_EESV_SZ_S10_mS11_S14_bEUlT_E_NS1_11comp_targetILNS1_3genE9ELNS1_11target_archE1100ELNS1_3gpuE3ELNS1_3repE0EEENS1_30default_config_static_selectorELNS0_4arch9wavefront6targetE0EEEvSY_.num_agpr, 0
	.set _ZN7rocprim17ROCPRIM_400000_NS6detail17trampoline_kernelINS0_14default_configENS1_27upper_bound_config_selectorIflEEZNS1_14transform_implILb0ES3_S5_N6thrust23THRUST_200600_302600_NS6detail15normal_iteratorINS8_7pointerIfNS8_11hip_rocprim5par_tENS8_11use_defaultESE_EEEENSA_INSB_IlSD_SE_SE_EEEEZNS1_13binary_searchIS3_S5_NSA_INS8_10device_ptrIfEEEESG_SI_NS1_21upper_bound_search_opENS9_16wrapped_functionINS8_6system6detail7generic6detail18binary_search_lessEbEEEE10hipError_tPvRmT1_T2_T3_mmT4_T5_P12ihipStream_tbEUlRKfE_EESV_SZ_S10_mS11_S14_bEUlT_E_NS1_11comp_targetILNS1_3genE9ELNS1_11target_archE1100ELNS1_3gpuE3ELNS1_3repE0EEENS1_30default_config_static_selectorELNS0_4arch9wavefront6targetE0EEEvSY_.numbered_sgpr, 0
	.set _ZN7rocprim17ROCPRIM_400000_NS6detail17trampoline_kernelINS0_14default_configENS1_27upper_bound_config_selectorIflEEZNS1_14transform_implILb0ES3_S5_N6thrust23THRUST_200600_302600_NS6detail15normal_iteratorINS8_7pointerIfNS8_11hip_rocprim5par_tENS8_11use_defaultESE_EEEENSA_INSB_IlSD_SE_SE_EEEEZNS1_13binary_searchIS3_S5_NSA_INS8_10device_ptrIfEEEESG_SI_NS1_21upper_bound_search_opENS9_16wrapped_functionINS8_6system6detail7generic6detail18binary_search_lessEbEEEE10hipError_tPvRmT1_T2_T3_mmT4_T5_P12ihipStream_tbEUlRKfE_EESV_SZ_S10_mS11_S14_bEUlT_E_NS1_11comp_targetILNS1_3genE9ELNS1_11target_archE1100ELNS1_3gpuE3ELNS1_3repE0EEENS1_30default_config_static_selectorELNS0_4arch9wavefront6targetE0EEEvSY_.num_named_barrier, 0
	.set _ZN7rocprim17ROCPRIM_400000_NS6detail17trampoline_kernelINS0_14default_configENS1_27upper_bound_config_selectorIflEEZNS1_14transform_implILb0ES3_S5_N6thrust23THRUST_200600_302600_NS6detail15normal_iteratorINS8_7pointerIfNS8_11hip_rocprim5par_tENS8_11use_defaultESE_EEEENSA_INSB_IlSD_SE_SE_EEEEZNS1_13binary_searchIS3_S5_NSA_INS8_10device_ptrIfEEEESG_SI_NS1_21upper_bound_search_opENS9_16wrapped_functionINS8_6system6detail7generic6detail18binary_search_lessEbEEEE10hipError_tPvRmT1_T2_T3_mmT4_T5_P12ihipStream_tbEUlRKfE_EESV_SZ_S10_mS11_S14_bEUlT_E_NS1_11comp_targetILNS1_3genE9ELNS1_11target_archE1100ELNS1_3gpuE3ELNS1_3repE0EEENS1_30default_config_static_selectorELNS0_4arch9wavefront6targetE0EEEvSY_.private_seg_size, 0
	.set _ZN7rocprim17ROCPRIM_400000_NS6detail17trampoline_kernelINS0_14default_configENS1_27upper_bound_config_selectorIflEEZNS1_14transform_implILb0ES3_S5_N6thrust23THRUST_200600_302600_NS6detail15normal_iteratorINS8_7pointerIfNS8_11hip_rocprim5par_tENS8_11use_defaultESE_EEEENSA_INSB_IlSD_SE_SE_EEEEZNS1_13binary_searchIS3_S5_NSA_INS8_10device_ptrIfEEEESG_SI_NS1_21upper_bound_search_opENS9_16wrapped_functionINS8_6system6detail7generic6detail18binary_search_lessEbEEEE10hipError_tPvRmT1_T2_T3_mmT4_T5_P12ihipStream_tbEUlRKfE_EESV_SZ_S10_mS11_S14_bEUlT_E_NS1_11comp_targetILNS1_3genE9ELNS1_11target_archE1100ELNS1_3gpuE3ELNS1_3repE0EEENS1_30default_config_static_selectorELNS0_4arch9wavefront6targetE0EEEvSY_.uses_vcc, 0
	.set _ZN7rocprim17ROCPRIM_400000_NS6detail17trampoline_kernelINS0_14default_configENS1_27upper_bound_config_selectorIflEEZNS1_14transform_implILb0ES3_S5_N6thrust23THRUST_200600_302600_NS6detail15normal_iteratorINS8_7pointerIfNS8_11hip_rocprim5par_tENS8_11use_defaultESE_EEEENSA_INSB_IlSD_SE_SE_EEEEZNS1_13binary_searchIS3_S5_NSA_INS8_10device_ptrIfEEEESG_SI_NS1_21upper_bound_search_opENS9_16wrapped_functionINS8_6system6detail7generic6detail18binary_search_lessEbEEEE10hipError_tPvRmT1_T2_T3_mmT4_T5_P12ihipStream_tbEUlRKfE_EESV_SZ_S10_mS11_S14_bEUlT_E_NS1_11comp_targetILNS1_3genE9ELNS1_11target_archE1100ELNS1_3gpuE3ELNS1_3repE0EEENS1_30default_config_static_selectorELNS0_4arch9wavefront6targetE0EEEvSY_.uses_flat_scratch, 0
	.set _ZN7rocprim17ROCPRIM_400000_NS6detail17trampoline_kernelINS0_14default_configENS1_27upper_bound_config_selectorIflEEZNS1_14transform_implILb0ES3_S5_N6thrust23THRUST_200600_302600_NS6detail15normal_iteratorINS8_7pointerIfNS8_11hip_rocprim5par_tENS8_11use_defaultESE_EEEENSA_INSB_IlSD_SE_SE_EEEEZNS1_13binary_searchIS3_S5_NSA_INS8_10device_ptrIfEEEESG_SI_NS1_21upper_bound_search_opENS9_16wrapped_functionINS8_6system6detail7generic6detail18binary_search_lessEbEEEE10hipError_tPvRmT1_T2_T3_mmT4_T5_P12ihipStream_tbEUlRKfE_EESV_SZ_S10_mS11_S14_bEUlT_E_NS1_11comp_targetILNS1_3genE9ELNS1_11target_archE1100ELNS1_3gpuE3ELNS1_3repE0EEENS1_30default_config_static_selectorELNS0_4arch9wavefront6targetE0EEEvSY_.has_dyn_sized_stack, 0
	.set _ZN7rocprim17ROCPRIM_400000_NS6detail17trampoline_kernelINS0_14default_configENS1_27upper_bound_config_selectorIflEEZNS1_14transform_implILb0ES3_S5_N6thrust23THRUST_200600_302600_NS6detail15normal_iteratorINS8_7pointerIfNS8_11hip_rocprim5par_tENS8_11use_defaultESE_EEEENSA_INSB_IlSD_SE_SE_EEEEZNS1_13binary_searchIS3_S5_NSA_INS8_10device_ptrIfEEEESG_SI_NS1_21upper_bound_search_opENS9_16wrapped_functionINS8_6system6detail7generic6detail18binary_search_lessEbEEEE10hipError_tPvRmT1_T2_T3_mmT4_T5_P12ihipStream_tbEUlRKfE_EESV_SZ_S10_mS11_S14_bEUlT_E_NS1_11comp_targetILNS1_3genE9ELNS1_11target_archE1100ELNS1_3gpuE3ELNS1_3repE0EEENS1_30default_config_static_selectorELNS0_4arch9wavefront6targetE0EEEvSY_.has_recursion, 0
	.set _ZN7rocprim17ROCPRIM_400000_NS6detail17trampoline_kernelINS0_14default_configENS1_27upper_bound_config_selectorIflEEZNS1_14transform_implILb0ES3_S5_N6thrust23THRUST_200600_302600_NS6detail15normal_iteratorINS8_7pointerIfNS8_11hip_rocprim5par_tENS8_11use_defaultESE_EEEENSA_INSB_IlSD_SE_SE_EEEEZNS1_13binary_searchIS3_S5_NSA_INS8_10device_ptrIfEEEESG_SI_NS1_21upper_bound_search_opENS9_16wrapped_functionINS8_6system6detail7generic6detail18binary_search_lessEbEEEE10hipError_tPvRmT1_T2_T3_mmT4_T5_P12ihipStream_tbEUlRKfE_EESV_SZ_S10_mS11_S14_bEUlT_E_NS1_11comp_targetILNS1_3genE9ELNS1_11target_archE1100ELNS1_3gpuE3ELNS1_3repE0EEENS1_30default_config_static_selectorELNS0_4arch9wavefront6targetE0EEEvSY_.has_indirect_call, 0
	.section	.AMDGPU.csdata,"",@progbits
; Kernel info:
; codeLenInByte = 0
; TotalNumSgprs: 0
; NumVgprs: 0
; ScratchSize: 0
; MemoryBound: 0
; FloatMode: 240
; IeeeMode: 1
; LDSByteSize: 0 bytes/workgroup (compile time only)
; SGPRBlocks: 0
; VGPRBlocks: 0
; NumSGPRsForWavesPerEU: 1
; NumVGPRsForWavesPerEU: 1
; Occupancy: 16
; WaveLimiterHint : 0
; COMPUTE_PGM_RSRC2:SCRATCH_EN: 0
; COMPUTE_PGM_RSRC2:USER_SGPR: 6
; COMPUTE_PGM_RSRC2:TRAP_HANDLER: 0
; COMPUTE_PGM_RSRC2:TGID_X_EN: 1
; COMPUTE_PGM_RSRC2:TGID_Y_EN: 0
; COMPUTE_PGM_RSRC2:TGID_Z_EN: 0
; COMPUTE_PGM_RSRC2:TIDIG_COMP_CNT: 0
	.section	.text._ZN7rocprim17ROCPRIM_400000_NS6detail17trampoline_kernelINS0_14default_configENS1_27upper_bound_config_selectorIflEEZNS1_14transform_implILb0ES3_S5_N6thrust23THRUST_200600_302600_NS6detail15normal_iteratorINS8_7pointerIfNS8_11hip_rocprim5par_tENS8_11use_defaultESE_EEEENSA_INSB_IlSD_SE_SE_EEEEZNS1_13binary_searchIS3_S5_NSA_INS8_10device_ptrIfEEEESG_SI_NS1_21upper_bound_search_opENS9_16wrapped_functionINS8_6system6detail7generic6detail18binary_search_lessEbEEEE10hipError_tPvRmT1_T2_T3_mmT4_T5_P12ihipStream_tbEUlRKfE_EESV_SZ_S10_mS11_S14_bEUlT_E_NS1_11comp_targetILNS1_3genE8ELNS1_11target_archE1030ELNS1_3gpuE2ELNS1_3repE0EEENS1_30default_config_static_selectorELNS0_4arch9wavefront6targetE0EEEvSY_,"axG",@progbits,_ZN7rocprim17ROCPRIM_400000_NS6detail17trampoline_kernelINS0_14default_configENS1_27upper_bound_config_selectorIflEEZNS1_14transform_implILb0ES3_S5_N6thrust23THRUST_200600_302600_NS6detail15normal_iteratorINS8_7pointerIfNS8_11hip_rocprim5par_tENS8_11use_defaultESE_EEEENSA_INSB_IlSD_SE_SE_EEEEZNS1_13binary_searchIS3_S5_NSA_INS8_10device_ptrIfEEEESG_SI_NS1_21upper_bound_search_opENS9_16wrapped_functionINS8_6system6detail7generic6detail18binary_search_lessEbEEEE10hipError_tPvRmT1_T2_T3_mmT4_T5_P12ihipStream_tbEUlRKfE_EESV_SZ_S10_mS11_S14_bEUlT_E_NS1_11comp_targetILNS1_3genE8ELNS1_11target_archE1030ELNS1_3gpuE2ELNS1_3repE0EEENS1_30default_config_static_selectorELNS0_4arch9wavefront6targetE0EEEvSY_,comdat
	.protected	_ZN7rocprim17ROCPRIM_400000_NS6detail17trampoline_kernelINS0_14default_configENS1_27upper_bound_config_selectorIflEEZNS1_14transform_implILb0ES3_S5_N6thrust23THRUST_200600_302600_NS6detail15normal_iteratorINS8_7pointerIfNS8_11hip_rocprim5par_tENS8_11use_defaultESE_EEEENSA_INSB_IlSD_SE_SE_EEEEZNS1_13binary_searchIS3_S5_NSA_INS8_10device_ptrIfEEEESG_SI_NS1_21upper_bound_search_opENS9_16wrapped_functionINS8_6system6detail7generic6detail18binary_search_lessEbEEEE10hipError_tPvRmT1_T2_T3_mmT4_T5_P12ihipStream_tbEUlRKfE_EESV_SZ_S10_mS11_S14_bEUlT_E_NS1_11comp_targetILNS1_3genE8ELNS1_11target_archE1030ELNS1_3gpuE2ELNS1_3repE0EEENS1_30default_config_static_selectorELNS0_4arch9wavefront6targetE0EEEvSY_ ; -- Begin function _ZN7rocprim17ROCPRIM_400000_NS6detail17trampoline_kernelINS0_14default_configENS1_27upper_bound_config_selectorIflEEZNS1_14transform_implILb0ES3_S5_N6thrust23THRUST_200600_302600_NS6detail15normal_iteratorINS8_7pointerIfNS8_11hip_rocprim5par_tENS8_11use_defaultESE_EEEENSA_INSB_IlSD_SE_SE_EEEEZNS1_13binary_searchIS3_S5_NSA_INS8_10device_ptrIfEEEESG_SI_NS1_21upper_bound_search_opENS9_16wrapped_functionINS8_6system6detail7generic6detail18binary_search_lessEbEEEE10hipError_tPvRmT1_T2_T3_mmT4_T5_P12ihipStream_tbEUlRKfE_EESV_SZ_S10_mS11_S14_bEUlT_E_NS1_11comp_targetILNS1_3genE8ELNS1_11target_archE1030ELNS1_3gpuE2ELNS1_3repE0EEENS1_30default_config_static_selectorELNS0_4arch9wavefront6targetE0EEEvSY_
	.globl	_ZN7rocprim17ROCPRIM_400000_NS6detail17trampoline_kernelINS0_14default_configENS1_27upper_bound_config_selectorIflEEZNS1_14transform_implILb0ES3_S5_N6thrust23THRUST_200600_302600_NS6detail15normal_iteratorINS8_7pointerIfNS8_11hip_rocprim5par_tENS8_11use_defaultESE_EEEENSA_INSB_IlSD_SE_SE_EEEEZNS1_13binary_searchIS3_S5_NSA_INS8_10device_ptrIfEEEESG_SI_NS1_21upper_bound_search_opENS9_16wrapped_functionINS8_6system6detail7generic6detail18binary_search_lessEbEEEE10hipError_tPvRmT1_T2_T3_mmT4_T5_P12ihipStream_tbEUlRKfE_EESV_SZ_S10_mS11_S14_bEUlT_E_NS1_11comp_targetILNS1_3genE8ELNS1_11target_archE1030ELNS1_3gpuE2ELNS1_3repE0EEENS1_30default_config_static_selectorELNS0_4arch9wavefront6targetE0EEEvSY_
	.p2align	8
	.type	_ZN7rocprim17ROCPRIM_400000_NS6detail17trampoline_kernelINS0_14default_configENS1_27upper_bound_config_selectorIflEEZNS1_14transform_implILb0ES3_S5_N6thrust23THRUST_200600_302600_NS6detail15normal_iteratorINS8_7pointerIfNS8_11hip_rocprim5par_tENS8_11use_defaultESE_EEEENSA_INSB_IlSD_SE_SE_EEEEZNS1_13binary_searchIS3_S5_NSA_INS8_10device_ptrIfEEEESG_SI_NS1_21upper_bound_search_opENS9_16wrapped_functionINS8_6system6detail7generic6detail18binary_search_lessEbEEEE10hipError_tPvRmT1_T2_T3_mmT4_T5_P12ihipStream_tbEUlRKfE_EESV_SZ_S10_mS11_S14_bEUlT_E_NS1_11comp_targetILNS1_3genE8ELNS1_11target_archE1030ELNS1_3gpuE2ELNS1_3repE0EEENS1_30default_config_static_selectorELNS0_4arch9wavefront6targetE0EEEvSY_,@function
_ZN7rocprim17ROCPRIM_400000_NS6detail17trampoline_kernelINS0_14default_configENS1_27upper_bound_config_selectorIflEEZNS1_14transform_implILb0ES3_S5_N6thrust23THRUST_200600_302600_NS6detail15normal_iteratorINS8_7pointerIfNS8_11hip_rocprim5par_tENS8_11use_defaultESE_EEEENSA_INSB_IlSD_SE_SE_EEEEZNS1_13binary_searchIS3_S5_NSA_INS8_10device_ptrIfEEEESG_SI_NS1_21upper_bound_search_opENS9_16wrapped_functionINS8_6system6detail7generic6detail18binary_search_lessEbEEEE10hipError_tPvRmT1_T2_T3_mmT4_T5_P12ihipStream_tbEUlRKfE_EESV_SZ_S10_mS11_S14_bEUlT_E_NS1_11comp_targetILNS1_3genE8ELNS1_11target_archE1030ELNS1_3gpuE2ELNS1_3repE0EEENS1_30default_config_static_selectorELNS0_4arch9wavefront6targetE0EEEvSY_: ; @_ZN7rocprim17ROCPRIM_400000_NS6detail17trampoline_kernelINS0_14default_configENS1_27upper_bound_config_selectorIflEEZNS1_14transform_implILb0ES3_S5_N6thrust23THRUST_200600_302600_NS6detail15normal_iteratorINS8_7pointerIfNS8_11hip_rocprim5par_tENS8_11use_defaultESE_EEEENSA_INSB_IlSD_SE_SE_EEEEZNS1_13binary_searchIS3_S5_NSA_INS8_10device_ptrIfEEEESG_SI_NS1_21upper_bound_search_opENS9_16wrapped_functionINS8_6system6detail7generic6detail18binary_search_lessEbEEEE10hipError_tPvRmT1_T2_T3_mmT4_T5_P12ihipStream_tbEUlRKfE_EESV_SZ_S10_mS11_S14_bEUlT_E_NS1_11comp_targetILNS1_3genE8ELNS1_11target_archE1030ELNS1_3gpuE2ELNS1_3repE0EEENS1_30default_config_static_selectorELNS0_4arch9wavefront6targetE0EEEvSY_
; %bb.0:
	s_clause 0x3
	s_load_dwordx4 s[12:15], s[4:5], 0x0
	s_load_dwordx4 s[0:3], s[4:5], 0x18
	s_load_dword s16, s[4:5], 0x38
	s_load_dwordx2 s[10:11], s[4:5], 0x28
	s_waitcnt lgkmcnt(0)
	s_lshl_b64 s[8:9], s[14:15], 2
	s_add_u32 s12, s12, s8
	s_addc_u32 s13, s13, s9
	s_lshl_b64 s[8:9], s[14:15], 3
	s_add_u32 s7, s0, s8
	s_addc_u32 s1, s1, s9
	s_add_i32 s16, s16, -1
	s_lshl_b32 s8, s6, 8
	s_mov_b32 s9, 0
	s_cmp_lg_u32 s6, s16
	s_mov_b32 s0, -1
	s_cbranch_scc0 .LBB535_7
; %bb.1:
	s_cmp_eq_u64 s[10:11], 0
	s_cbranch_scc1 .LBB535_5
; %bb.2:
	v_lshlrev_b32_e32 v1, 2, v0
	s_lshl_b64 s[14:15], s[8:9], 2
	v_mov_b32_e32 v3, s10
	s_add_u32 s0, s12, s14
	s_addc_u32 s6, s13, s15
	v_add_co_u32 v1, s0, s0, v1
	v_add_co_ci_u32_e64 v2, null, s6, 0, s0
	v_mov_b32_e32 v4, s11
	s_mov_b32 s0, 0
	flat_load_dword v5, v[1:2]
	v_mov_b32_e32 v1, 0
	v_mov_b32_e32 v2, 0
	s_inst_prefetch 0x1
	.p2align	6
.LBB535_3:                              ; =>This Inner Loop Header: Depth=1
	v_sub_co_u32 v6, vcc_lo, v3, v1
	v_sub_co_ci_u32_e64 v7, null, v4, v2, vcc_lo
	v_lshrrev_b64 v[8:9], 1, v[6:7]
	v_lshrrev_b64 v[6:7], 6, v[6:7]
	v_add_co_u32 v8, vcc_lo, v8, v1
	v_add_co_ci_u32_e64 v9, null, v9, v2, vcc_lo
	v_add_co_u32 v6, vcc_lo, v8, v6
	v_add_co_ci_u32_e64 v7, null, v9, v7, vcc_lo
	v_lshlrev_b64 v[8:9], 2, v[6:7]
	v_add_co_u32 v8, vcc_lo, s2, v8
	v_add_co_ci_u32_e64 v9, null, s3, v9, vcc_lo
	global_load_dword v8, v[8:9], off
	v_add_co_u32 v9, vcc_lo, v6, 1
	v_add_co_ci_u32_e64 v10, null, 0, v7, vcc_lo
	s_waitcnt vmcnt(0) lgkmcnt(0)
	v_cmp_lt_f32_e32 vcc_lo, v5, v8
	v_cndmask_b32_e32 v4, v4, v7, vcc_lo
	v_cndmask_b32_e32 v3, v3, v6, vcc_lo
	;; [unrolled: 1-line block ×4, first 2 shown]
	v_cmp_ge_u64_e32 vcc_lo, v[1:2], v[3:4]
	s_or_b32 s0, vcc_lo, s0
	s_andn2_b32 exec_lo, exec_lo, s0
	s_cbranch_execnz .LBB535_3
; %bb.4:
	s_inst_prefetch 0x2
	s_or_b32 exec_lo, exec_lo, s0
	s_branch .LBB535_6
.LBB535_5:
	v_mov_b32_e32 v1, 0
	v_mov_b32_e32 v2, 0
.LBB535_6:
	v_lshlrev_b32_e32 v3, 3, v0
	s_lshl_b64 s[14:15], s[8:9], 3
	s_add_u32 s0, s7, s14
	s_addc_u32 s6, s1, s15
	v_add_co_u32 v3, s0, s0, v3
	v_add_co_ci_u32_e64 v4, null, s6, 0, s0
	s_mov_b32 s0, 0
	flat_store_dwordx2 v[3:4], v[1:2]
.LBB535_7:
	s_and_b32 vcc_lo, exec_lo, s0
	s_cbranch_vccz .LBB535_16
; %bb.8:
	s_load_dword s0, s[4:5], 0x10
                                        ; implicit-def: $vgpr5
	s_waitcnt lgkmcnt(0)
	s_sub_i32 s4, s0, s8
	v_cmp_le_u32_e64 s0, s4, v0
	v_cmp_gt_u32_e32 vcc_lo, s4, v0
	s_and_saveexec_b32 s4, vcc_lo
	s_cbranch_execz .LBB535_10
; %bb.9:
	v_lshlrev_b32_e32 v1, 2, v0
	s_lshl_b64 s[14:15], s[8:9], 2
	s_add_u32 s5, s12, s14
	s_addc_u32 s6, s13, s15
	v_add_co_u32 v1, s5, s5, v1
	v_add_co_ci_u32_e64 v2, null, s6, 0, s5
	flat_load_dword v5, v[1:2]
.LBB535_10:
	s_or_b32 exec_lo, exec_lo, s4
	s_cmp_lg_u64 s[10:11], 0
	v_mov_b32_e32 v1, 0
	v_mov_b32_e32 v2, 0
	s_cselect_b32 s4, -1, 0
	s_xor_b32 s0, s0, -1
	s_and_b32 s0, s0, s4
	s_and_saveexec_b32 s4, s0
	s_cbranch_execz .LBB535_14
; %bb.11:
	v_mov_b32_e32 v1, 0
	v_mov_b32_e32 v3, s10
	;; [unrolled: 1-line block ×4, first 2 shown]
	s_mov_b32 s5, 0
	s_inst_prefetch 0x1
	.p2align	6
.LBB535_12:                             ; =>This Inner Loop Header: Depth=1
	v_sub_co_u32 v6, s0, v3, v1
	v_sub_co_ci_u32_e64 v7, null, v4, v2, s0
	v_lshrrev_b64 v[8:9], 1, v[6:7]
	v_lshrrev_b64 v[6:7], 6, v[6:7]
	v_add_co_u32 v8, s0, v8, v1
	v_add_co_ci_u32_e64 v9, null, v9, v2, s0
	v_add_co_u32 v6, s0, v8, v6
	v_add_co_ci_u32_e64 v7, null, v9, v7, s0
	v_lshlrev_b64 v[8:9], 2, v[6:7]
	v_add_co_u32 v8, s0, s2, v8
	v_add_co_ci_u32_e64 v9, null, s3, v9, s0
	global_load_dword v8, v[8:9], off
	v_add_co_u32 v9, s0, v6, 1
	v_add_co_ci_u32_e64 v10, null, 0, v7, s0
	s_waitcnt vmcnt(0) lgkmcnt(0)
	v_cmp_lt_f32_e64 s0, v5, v8
	v_cndmask_b32_e64 v4, v4, v7, s0
	v_cndmask_b32_e64 v3, v3, v6, s0
	;; [unrolled: 1-line block ×4, first 2 shown]
	v_cmp_ge_u64_e64 s0, v[1:2], v[3:4]
	s_or_b32 s5, s0, s5
	s_andn2_b32 exec_lo, exec_lo, s5
	s_cbranch_execnz .LBB535_12
; %bb.13:
	s_inst_prefetch 0x2
	s_or_b32 exec_lo, exec_lo, s5
.LBB535_14:
	s_or_b32 exec_lo, exec_lo, s4
	s_and_saveexec_b32 s0, vcc_lo
	s_cbranch_execz .LBB535_16
; %bb.15:
	v_lshlrev_b32_e32 v0, 3, v0
	s_lshl_b64 s[2:3], s[8:9], 3
	s_add_u32 s0, s7, s2
	s_addc_u32 s1, s1, s3
	v_add_co_u32 v3, s0, s0, v0
	v_add_co_ci_u32_e64 v4, null, s1, 0, s0
	flat_store_dwordx2 v[3:4], v[1:2]
.LBB535_16:
	s_endpgm
	.section	.rodata,"a",@progbits
	.p2align	6, 0x0
	.amdhsa_kernel _ZN7rocprim17ROCPRIM_400000_NS6detail17trampoline_kernelINS0_14default_configENS1_27upper_bound_config_selectorIflEEZNS1_14transform_implILb0ES3_S5_N6thrust23THRUST_200600_302600_NS6detail15normal_iteratorINS8_7pointerIfNS8_11hip_rocprim5par_tENS8_11use_defaultESE_EEEENSA_INSB_IlSD_SE_SE_EEEEZNS1_13binary_searchIS3_S5_NSA_INS8_10device_ptrIfEEEESG_SI_NS1_21upper_bound_search_opENS9_16wrapped_functionINS8_6system6detail7generic6detail18binary_search_lessEbEEEE10hipError_tPvRmT1_T2_T3_mmT4_T5_P12ihipStream_tbEUlRKfE_EESV_SZ_S10_mS11_S14_bEUlT_E_NS1_11comp_targetILNS1_3genE8ELNS1_11target_archE1030ELNS1_3gpuE2ELNS1_3repE0EEENS1_30default_config_static_selectorELNS0_4arch9wavefront6targetE0EEEvSY_
		.amdhsa_group_segment_fixed_size 0
		.amdhsa_private_segment_fixed_size 0
		.amdhsa_kernarg_size 312
		.amdhsa_user_sgpr_count 6
		.amdhsa_user_sgpr_private_segment_buffer 1
		.amdhsa_user_sgpr_dispatch_ptr 0
		.amdhsa_user_sgpr_queue_ptr 0
		.amdhsa_user_sgpr_kernarg_segment_ptr 1
		.amdhsa_user_sgpr_dispatch_id 0
		.amdhsa_user_sgpr_flat_scratch_init 0
		.amdhsa_user_sgpr_private_segment_size 0
		.amdhsa_wavefront_size32 1
		.amdhsa_uses_dynamic_stack 0
		.amdhsa_system_sgpr_private_segment_wavefront_offset 0
		.amdhsa_system_sgpr_workgroup_id_x 1
		.amdhsa_system_sgpr_workgroup_id_y 0
		.amdhsa_system_sgpr_workgroup_id_z 0
		.amdhsa_system_sgpr_workgroup_info 0
		.amdhsa_system_vgpr_workitem_id 0
		.amdhsa_next_free_vgpr 11
		.amdhsa_next_free_sgpr 17
		.amdhsa_reserve_vcc 1
		.amdhsa_reserve_flat_scratch 0
		.amdhsa_float_round_mode_32 0
		.amdhsa_float_round_mode_16_64 0
		.amdhsa_float_denorm_mode_32 3
		.amdhsa_float_denorm_mode_16_64 3
		.amdhsa_dx10_clamp 1
		.amdhsa_ieee_mode 1
		.amdhsa_fp16_overflow 0
		.amdhsa_workgroup_processor_mode 1
		.amdhsa_memory_ordered 1
		.amdhsa_forward_progress 1
		.amdhsa_shared_vgpr_count 0
		.amdhsa_exception_fp_ieee_invalid_op 0
		.amdhsa_exception_fp_denorm_src 0
		.amdhsa_exception_fp_ieee_div_zero 0
		.amdhsa_exception_fp_ieee_overflow 0
		.amdhsa_exception_fp_ieee_underflow 0
		.amdhsa_exception_fp_ieee_inexact 0
		.amdhsa_exception_int_div_zero 0
	.end_amdhsa_kernel
	.section	.text._ZN7rocprim17ROCPRIM_400000_NS6detail17trampoline_kernelINS0_14default_configENS1_27upper_bound_config_selectorIflEEZNS1_14transform_implILb0ES3_S5_N6thrust23THRUST_200600_302600_NS6detail15normal_iteratorINS8_7pointerIfNS8_11hip_rocprim5par_tENS8_11use_defaultESE_EEEENSA_INSB_IlSD_SE_SE_EEEEZNS1_13binary_searchIS3_S5_NSA_INS8_10device_ptrIfEEEESG_SI_NS1_21upper_bound_search_opENS9_16wrapped_functionINS8_6system6detail7generic6detail18binary_search_lessEbEEEE10hipError_tPvRmT1_T2_T3_mmT4_T5_P12ihipStream_tbEUlRKfE_EESV_SZ_S10_mS11_S14_bEUlT_E_NS1_11comp_targetILNS1_3genE8ELNS1_11target_archE1030ELNS1_3gpuE2ELNS1_3repE0EEENS1_30default_config_static_selectorELNS0_4arch9wavefront6targetE0EEEvSY_,"axG",@progbits,_ZN7rocprim17ROCPRIM_400000_NS6detail17trampoline_kernelINS0_14default_configENS1_27upper_bound_config_selectorIflEEZNS1_14transform_implILb0ES3_S5_N6thrust23THRUST_200600_302600_NS6detail15normal_iteratorINS8_7pointerIfNS8_11hip_rocprim5par_tENS8_11use_defaultESE_EEEENSA_INSB_IlSD_SE_SE_EEEEZNS1_13binary_searchIS3_S5_NSA_INS8_10device_ptrIfEEEESG_SI_NS1_21upper_bound_search_opENS9_16wrapped_functionINS8_6system6detail7generic6detail18binary_search_lessEbEEEE10hipError_tPvRmT1_T2_T3_mmT4_T5_P12ihipStream_tbEUlRKfE_EESV_SZ_S10_mS11_S14_bEUlT_E_NS1_11comp_targetILNS1_3genE8ELNS1_11target_archE1030ELNS1_3gpuE2ELNS1_3repE0EEENS1_30default_config_static_selectorELNS0_4arch9wavefront6targetE0EEEvSY_,comdat
.Lfunc_end535:
	.size	_ZN7rocprim17ROCPRIM_400000_NS6detail17trampoline_kernelINS0_14default_configENS1_27upper_bound_config_selectorIflEEZNS1_14transform_implILb0ES3_S5_N6thrust23THRUST_200600_302600_NS6detail15normal_iteratorINS8_7pointerIfNS8_11hip_rocprim5par_tENS8_11use_defaultESE_EEEENSA_INSB_IlSD_SE_SE_EEEEZNS1_13binary_searchIS3_S5_NSA_INS8_10device_ptrIfEEEESG_SI_NS1_21upper_bound_search_opENS9_16wrapped_functionINS8_6system6detail7generic6detail18binary_search_lessEbEEEE10hipError_tPvRmT1_T2_T3_mmT4_T5_P12ihipStream_tbEUlRKfE_EESV_SZ_S10_mS11_S14_bEUlT_E_NS1_11comp_targetILNS1_3genE8ELNS1_11target_archE1030ELNS1_3gpuE2ELNS1_3repE0EEENS1_30default_config_static_selectorELNS0_4arch9wavefront6targetE0EEEvSY_, .Lfunc_end535-_ZN7rocprim17ROCPRIM_400000_NS6detail17trampoline_kernelINS0_14default_configENS1_27upper_bound_config_selectorIflEEZNS1_14transform_implILb0ES3_S5_N6thrust23THRUST_200600_302600_NS6detail15normal_iteratorINS8_7pointerIfNS8_11hip_rocprim5par_tENS8_11use_defaultESE_EEEENSA_INSB_IlSD_SE_SE_EEEEZNS1_13binary_searchIS3_S5_NSA_INS8_10device_ptrIfEEEESG_SI_NS1_21upper_bound_search_opENS9_16wrapped_functionINS8_6system6detail7generic6detail18binary_search_lessEbEEEE10hipError_tPvRmT1_T2_T3_mmT4_T5_P12ihipStream_tbEUlRKfE_EESV_SZ_S10_mS11_S14_bEUlT_E_NS1_11comp_targetILNS1_3genE8ELNS1_11target_archE1030ELNS1_3gpuE2ELNS1_3repE0EEENS1_30default_config_static_selectorELNS0_4arch9wavefront6targetE0EEEvSY_
                                        ; -- End function
	.set _ZN7rocprim17ROCPRIM_400000_NS6detail17trampoline_kernelINS0_14default_configENS1_27upper_bound_config_selectorIflEEZNS1_14transform_implILb0ES3_S5_N6thrust23THRUST_200600_302600_NS6detail15normal_iteratorINS8_7pointerIfNS8_11hip_rocprim5par_tENS8_11use_defaultESE_EEEENSA_INSB_IlSD_SE_SE_EEEEZNS1_13binary_searchIS3_S5_NSA_INS8_10device_ptrIfEEEESG_SI_NS1_21upper_bound_search_opENS9_16wrapped_functionINS8_6system6detail7generic6detail18binary_search_lessEbEEEE10hipError_tPvRmT1_T2_T3_mmT4_T5_P12ihipStream_tbEUlRKfE_EESV_SZ_S10_mS11_S14_bEUlT_E_NS1_11comp_targetILNS1_3genE8ELNS1_11target_archE1030ELNS1_3gpuE2ELNS1_3repE0EEENS1_30default_config_static_selectorELNS0_4arch9wavefront6targetE0EEEvSY_.num_vgpr, 11
	.set _ZN7rocprim17ROCPRIM_400000_NS6detail17trampoline_kernelINS0_14default_configENS1_27upper_bound_config_selectorIflEEZNS1_14transform_implILb0ES3_S5_N6thrust23THRUST_200600_302600_NS6detail15normal_iteratorINS8_7pointerIfNS8_11hip_rocprim5par_tENS8_11use_defaultESE_EEEENSA_INSB_IlSD_SE_SE_EEEEZNS1_13binary_searchIS3_S5_NSA_INS8_10device_ptrIfEEEESG_SI_NS1_21upper_bound_search_opENS9_16wrapped_functionINS8_6system6detail7generic6detail18binary_search_lessEbEEEE10hipError_tPvRmT1_T2_T3_mmT4_T5_P12ihipStream_tbEUlRKfE_EESV_SZ_S10_mS11_S14_bEUlT_E_NS1_11comp_targetILNS1_3genE8ELNS1_11target_archE1030ELNS1_3gpuE2ELNS1_3repE0EEENS1_30default_config_static_selectorELNS0_4arch9wavefront6targetE0EEEvSY_.num_agpr, 0
	.set _ZN7rocprim17ROCPRIM_400000_NS6detail17trampoline_kernelINS0_14default_configENS1_27upper_bound_config_selectorIflEEZNS1_14transform_implILb0ES3_S5_N6thrust23THRUST_200600_302600_NS6detail15normal_iteratorINS8_7pointerIfNS8_11hip_rocprim5par_tENS8_11use_defaultESE_EEEENSA_INSB_IlSD_SE_SE_EEEEZNS1_13binary_searchIS3_S5_NSA_INS8_10device_ptrIfEEEESG_SI_NS1_21upper_bound_search_opENS9_16wrapped_functionINS8_6system6detail7generic6detail18binary_search_lessEbEEEE10hipError_tPvRmT1_T2_T3_mmT4_T5_P12ihipStream_tbEUlRKfE_EESV_SZ_S10_mS11_S14_bEUlT_E_NS1_11comp_targetILNS1_3genE8ELNS1_11target_archE1030ELNS1_3gpuE2ELNS1_3repE0EEENS1_30default_config_static_selectorELNS0_4arch9wavefront6targetE0EEEvSY_.numbered_sgpr, 17
	.set _ZN7rocprim17ROCPRIM_400000_NS6detail17trampoline_kernelINS0_14default_configENS1_27upper_bound_config_selectorIflEEZNS1_14transform_implILb0ES3_S5_N6thrust23THRUST_200600_302600_NS6detail15normal_iteratorINS8_7pointerIfNS8_11hip_rocprim5par_tENS8_11use_defaultESE_EEEENSA_INSB_IlSD_SE_SE_EEEEZNS1_13binary_searchIS3_S5_NSA_INS8_10device_ptrIfEEEESG_SI_NS1_21upper_bound_search_opENS9_16wrapped_functionINS8_6system6detail7generic6detail18binary_search_lessEbEEEE10hipError_tPvRmT1_T2_T3_mmT4_T5_P12ihipStream_tbEUlRKfE_EESV_SZ_S10_mS11_S14_bEUlT_E_NS1_11comp_targetILNS1_3genE8ELNS1_11target_archE1030ELNS1_3gpuE2ELNS1_3repE0EEENS1_30default_config_static_selectorELNS0_4arch9wavefront6targetE0EEEvSY_.num_named_barrier, 0
	.set _ZN7rocprim17ROCPRIM_400000_NS6detail17trampoline_kernelINS0_14default_configENS1_27upper_bound_config_selectorIflEEZNS1_14transform_implILb0ES3_S5_N6thrust23THRUST_200600_302600_NS6detail15normal_iteratorINS8_7pointerIfNS8_11hip_rocprim5par_tENS8_11use_defaultESE_EEEENSA_INSB_IlSD_SE_SE_EEEEZNS1_13binary_searchIS3_S5_NSA_INS8_10device_ptrIfEEEESG_SI_NS1_21upper_bound_search_opENS9_16wrapped_functionINS8_6system6detail7generic6detail18binary_search_lessEbEEEE10hipError_tPvRmT1_T2_T3_mmT4_T5_P12ihipStream_tbEUlRKfE_EESV_SZ_S10_mS11_S14_bEUlT_E_NS1_11comp_targetILNS1_3genE8ELNS1_11target_archE1030ELNS1_3gpuE2ELNS1_3repE0EEENS1_30default_config_static_selectorELNS0_4arch9wavefront6targetE0EEEvSY_.private_seg_size, 0
	.set _ZN7rocprim17ROCPRIM_400000_NS6detail17trampoline_kernelINS0_14default_configENS1_27upper_bound_config_selectorIflEEZNS1_14transform_implILb0ES3_S5_N6thrust23THRUST_200600_302600_NS6detail15normal_iteratorINS8_7pointerIfNS8_11hip_rocprim5par_tENS8_11use_defaultESE_EEEENSA_INSB_IlSD_SE_SE_EEEEZNS1_13binary_searchIS3_S5_NSA_INS8_10device_ptrIfEEEESG_SI_NS1_21upper_bound_search_opENS9_16wrapped_functionINS8_6system6detail7generic6detail18binary_search_lessEbEEEE10hipError_tPvRmT1_T2_T3_mmT4_T5_P12ihipStream_tbEUlRKfE_EESV_SZ_S10_mS11_S14_bEUlT_E_NS1_11comp_targetILNS1_3genE8ELNS1_11target_archE1030ELNS1_3gpuE2ELNS1_3repE0EEENS1_30default_config_static_selectorELNS0_4arch9wavefront6targetE0EEEvSY_.uses_vcc, 1
	.set _ZN7rocprim17ROCPRIM_400000_NS6detail17trampoline_kernelINS0_14default_configENS1_27upper_bound_config_selectorIflEEZNS1_14transform_implILb0ES3_S5_N6thrust23THRUST_200600_302600_NS6detail15normal_iteratorINS8_7pointerIfNS8_11hip_rocprim5par_tENS8_11use_defaultESE_EEEENSA_INSB_IlSD_SE_SE_EEEEZNS1_13binary_searchIS3_S5_NSA_INS8_10device_ptrIfEEEESG_SI_NS1_21upper_bound_search_opENS9_16wrapped_functionINS8_6system6detail7generic6detail18binary_search_lessEbEEEE10hipError_tPvRmT1_T2_T3_mmT4_T5_P12ihipStream_tbEUlRKfE_EESV_SZ_S10_mS11_S14_bEUlT_E_NS1_11comp_targetILNS1_3genE8ELNS1_11target_archE1030ELNS1_3gpuE2ELNS1_3repE0EEENS1_30default_config_static_selectorELNS0_4arch9wavefront6targetE0EEEvSY_.uses_flat_scratch, 0
	.set _ZN7rocprim17ROCPRIM_400000_NS6detail17trampoline_kernelINS0_14default_configENS1_27upper_bound_config_selectorIflEEZNS1_14transform_implILb0ES3_S5_N6thrust23THRUST_200600_302600_NS6detail15normal_iteratorINS8_7pointerIfNS8_11hip_rocprim5par_tENS8_11use_defaultESE_EEEENSA_INSB_IlSD_SE_SE_EEEEZNS1_13binary_searchIS3_S5_NSA_INS8_10device_ptrIfEEEESG_SI_NS1_21upper_bound_search_opENS9_16wrapped_functionINS8_6system6detail7generic6detail18binary_search_lessEbEEEE10hipError_tPvRmT1_T2_T3_mmT4_T5_P12ihipStream_tbEUlRKfE_EESV_SZ_S10_mS11_S14_bEUlT_E_NS1_11comp_targetILNS1_3genE8ELNS1_11target_archE1030ELNS1_3gpuE2ELNS1_3repE0EEENS1_30default_config_static_selectorELNS0_4arch9wavefront6targetE0EEEvSY_.has_dyn_sized_stack, 0
	.set _ZN7rocprim17ROCPRIM_400000_NS6detail17trampoline_kernelINS0_14default_configENS1_27upper_bound_config_selectorIflEEZNS1_14transform_implILb0ES3_S5_N6thrust23THRUST_200600_302600_NS6detail15normal_iteratorINS8_7pointerIfNS8_11hip_rocprim5par_tENS8_11use_defaultESE_EEEENSA_INSB_IlSD_SE_SE_EEEEZNS1_13binary_searchIS3_S5_NSA_INS8_10device_ptrIfEEEESG_SI_NS1_21upper_bound_search_opENS9_16wrapped_functionINS8_6system6detail7generic6detail18binary_search_lessEbEEEE10hipError_tPvRmT1_T2_T3_mmT4_T5_P12ihipStream_tbEUlRKfE_EESV_SZ_S10_mS11_S14_bEUlT_E_NS1_11comp_targetILNS1_3genE8ELNS1_11target_archE1030ELNS1_3gpuE2ELNS1_3repE0EEENS1_30default_config_static_selectorELNS0_4arch9wavefront6targetE0EEEvSY_.has_recursion, 0
	.set _ZN7rocprim17ROCPRIM_400000_NS6detail17trampoline_kernelINS0_14default_configENS1_27upper_bound_config_selectorIflEEZNS1_14transform_implILb0ES3_S5_N6thrust23THRUST_200600_302600_NS6detail15normal_iteratorINS8_7pointerIfNS8_11hip_rocprim5par_tENS8_11use_defaultESE_EEEENSA_INSB_IlSD_SE_SE_EEEEZNS1_13binary_searchIS3_S5_NSA_INS8_10device_ptrIfEEEESG_SI_NS1_21upper_bound_search_opENS9_16wrapped_functionINS8_6system6detail7generic6detail18binary_search_lessEbEEEE10hipError_tPvRmT1_T2_T3_mmT4_T5_P12ihipStream_tbEUlRKfE_EESV_SZ_S10_mS11_S14_bEUlT_E_NS1_11comp_targetILNS1_3genE8ELNS1_11target_archE1030ELNS1_3gpuE2ELNS1_3repE0EEENS1_30default_config_static_selectorELNS0_4arch9wavefront6targetE0EEEvSY_.has_indirect_call, 0
	.section	.AMDGPU.csdata,"",@progbits
; Kernel info:
; codeLenInByte = 816
; TotalNumSgprs: 19
; NumVgprs: 11
; ScratchSize: 0
; MemoryBound: 0
; FloatMode: 240
; IeeeMode: 1
; LDSByteSize: 0 bytes/workgroup (compile time only)
; SGPRBlocks: 0
; VGPRBlocks: 1
; NumSGPRsForWavesPerEU: 19
; NumVGPRsForWavesPerEU: 11
; Occupancy: 16
; WaveLimiterHint : 0
; COMPUTE_PGM_RSRC2:SCRATCH_EN: 0
; COMPUTE_PGM_RSRC2:USER_SGPR: 6
; COMPUTE_PGM_RSRC2:TRAP_HANDLER: 0
; COMPUTE_PGM_RSRC2:TGID_X_EN: 1
; COMPUTE_PGM_RSRC2:TGID_Y_EN: 0
; COMPUTE_PGM_RSRC2:TGID_Z_EN: 0
; COMPUTE_PGM_RSRC2:TIDIG_COMP_CNT: 0
	.section	.text._ZN7rocprim17ROCPRIM_400000_NS6detail17trampoline_kernelINS0_14default_configENS1_27upper_bound_config_selectorIylEEZNS1_14transform_implILb0ES3_S5_N6thrust23THRUST_200600_302600_NS6detail15normal_iteratorINS8_7pointerIyNS8_11hip_rocprim5par_tENS8_11use_defaultESE_EEEENSA_INSB_IlSD_SE_SE_EEEEZNS1_13binary_searchIS3_S5_NSA_INS8_10device_ptrIyEEEESG_SI_NS1_21upper_bound_search_opENS9_16wrapped_functionINS8_6system6detail7generic6detail18binary_search_lessEbEEEE10hipError_tPvRmT1_T2_T3_mmT4_T5_P12ihipStream_tbEUlRKyE_EESV_SZ_S10_mS11_S14_bEUlT_E_NS1_11comp_targetILNS1_3genE0ELNS1_11target_archE4294967295ELNS1_3gpuE0ELNS1_3repE0EEENS1_30default_config_static_selectorELNS0_4arch9wavefront6targetE0EEEvSY_,"axG",@progbits,_ZN7rocprim17ROCPRIM_400000_NS6detail17trampoline_kernelINS0_14default_configENS1_27upper_bound_config_selectorIylEEZNS1_14transform_implILb0ES3_S5_N6thrust23THRUST_200600_302600_NS6detail15normal_iteratorINS8_7pointerIyNS8_11hip_rocprim5par_tENS8_11use_defaultESE_EEEENSA_INSB_IlSD_SE_SE_EEEEZNS1_13binary_searchIS3_S5_NSA_INS8_10device_ptrIyEEEESG_SI_NS1_21upper_bound_search_opENS9_16wrapped_functionINS8_6system6detail7generic6detail18binary_search_lessEbEEEE10hipError_tPvRmT1_T2_T3_mmT4_T5_P12ihipStream_tbEUlRKyE_EESV_SZ_S10_mS11_S14_bEUlT_E_NS1_11comp_targetILNS1_3genE0ELNS1_11target_archE4294967295ELNS1_3gpuE0ELNS1_3repE0EEENS1_30default_config_static_selectorELNS0_4arch9wavefront6targetE0EEEvSY_,comdat
	.protected	_ZN7rocprim17ROCPRIM_400000_NS6detail17trampoline_kernelINS0_14default_configENS1_27upper_bound_config_selectorIylEEZNS1_14transform_implILb0ES3_S5_N6thrust23THRUST_200600_302600_NS6detail15normal_iteratorINS8_7pointerIyNS8_11hip_rocprim5par_tENS8_11use_defaultESE_EEEENSA_INSB_IlSD_SE_SE_EEEEZNS1_13binary_searchIS3_S5_NSA_INS8_10device_ptrIyEEEESG_SI_NS1_21upper_bound_search_opENS9_16wrapped_functionINS8_6system6detail7generic6detail18binary_search_lessEbEEEE10hipError_tPvRmT1_T2_T3_mmT4_T5_P12ihipStream_tbEUlRKyE_EESV_SZ_S10_mS11_S14_bEUlT_E_NS1_11comp_targetILNS1_3genE0ELNS1_11target_archE4294967295ELNS1_3gpuE0ELNS1_3repE0EEENS1_30default_config_static_selectorELNS0_4arch9wavefront6targetE0EEEvSY_ ; -- Begin function _ZN7rocprim17ROCPRIM_400000_NS6detail17trampoline_kernelINS0_14default_configENS1_27upper_bound_config_selectorIylEEZNS1_14transform_implILb0ES3_S5_N6thrust23THRUST_200600_302600_NS6detail15normal_iteratorINS8_7pointerIyNS8_11hip_rocprim5par_tENS8_11use_defaultESE_EEEENSA_INSB_IlSD_SE_SE_EEEEZNS1_13binary_searchIS3_S5_NSA_INS8_10device_ptrIyEEEESG_SI_NS1_21upper_bound_search_opENS9_16wrapped_functionINS8_6system6detail7generic6detail18binary_search_lessEbEEEE10hipError_tPvRmT1_T2_T3_mmT4_T5_P12ihipStream_tbEUlRKyE_EESV_SZ_S10_mS11_S14_bEUlT_E_NS1_11comp_targetILNS1_3genE0ELNS1_11target_archE4294967295ELNS1_3gpuE0ELNS1_3repE0EEENS1_30default_config_static_selectorELNS0_4arch9wavefront6targetE0EEEvSY_
	.globl	_ZN7rocprim17ROCPRIM_400000_NS6detail17trampoline_kernelINS0_14default_configENS1_27upper_bound_config_selectorIylEEZNS1_14transform_implILb0ES3_S5_N6thrust23THRUST_200600_302600_NS6detail15normal_iteratorINS8_7pointerIyNS8_11hip_rocprim5par_tENS8_11use_defaultESE_EEEENSA_INSB_IlSD_SE_SE_EEEEZNS1_13binary_searchIS3_S5_NSA_INS8_10device_ptrIyEEEESG_SI_NS1_21upper_bound_search_opENS9_16wrapped_functionINS8_6system6detail7generic6detail18binary_search_lessEbEEEE10hipError_tPvRmT1_T2_T3_mmT4_T5_P12ihipStream_tbEUlRKyE_EESV_SZ_S10_mS11_S14_bEUlT_E_NS1_11comp_targetILNS1_3genE0ELNS1_11target_archE4294967295ELNS1_3gpuE0ELNS1_3repE0EEENS1_30default_config_static_selectorELNS0_4arch9wavefront6targetE0EEEvSY_
	.p2align	8
	.type	_ZN7rocprim17ROCPRIM_400000_NS6detail17trampoline_kernelINS0_14default_configENS1_27upper_bound_config_selectorIylEEZNS1_14transform_implILb0ES3_S5_N6thrust23THRUST_200600_302600_NS6detail15normal_iteratorINS8_7pointerIyNS8_11hip_rocprim5par_tENS8_11use_defaultESE_EEEENSA_INSB_IlSD_SE_SE_EEEEZNS1_13binary_searchIS3_S5_NSA_INS8_10device_ptrIyEEEESG_SI_NS1_21upper_bound_search_opENS9_16wrapped_functionINS8_6system6detail7generic6detail18binary_search_lessEbEEEE10hipError_tPvRmT1_T2_T3_mmT4_T5_P12ihipStream_tbEUlRKyE_EESV_SZ_S10_mS11_S14_bEUlT_E_NS1_11comp_targetILNS1_3genE0ELNS1_11target_archE4294967295ELNS1_3gpuE0ELNS1_3repE0EEENS1_30default_config_static_selectorELNS0_4arch9wavefront6targetE0EEEvSY_,@function
_ZN7rocprim17ROCPRIM_400000_NS6detail17trampoline_kernelINS0_14default_configENS1_27upper_bound_config_selectorIylEEZNS1_14transform_implILb0ES3_S5_N6thrust23THRUST_200600_302600_NS6detail15normal_iteratorINS8_7pointerIyNS8_11hip_rocprim5par_tENS8_11use_defaultESE_EEEENSA_INSB_IlSD_SE_SE_EEEEZNS1_13binary_searchIS3_S5_NSA_INS8_10device_ptrIyEEEESG_SI_NS1_21upper_bound_search_opENS9_16wrapped_functionINS8_6system6detail7generic6detail18binary_search_lessEbEEEE10hipError_tPvRmT1_T2_T3_mmT4_T5_P12ihipStream_tbEUlRKyE_EESV_SZ_S10_mS11_S14_bEUlT_E_NS1_11comp_targetILNS1_3genE0ELNS1_11target_archE4294967295ELNS1_3gpuE0ELNS1_3repE0EEENS1_30default_config_static_selectorELNS0_4arch9wavefront6targetE0EEEvSY_: ; @_ZN7rocprim17ROCPRIM_400000_NS6detail17trampoline_kernelINS0_14default_configENS1_27upper_bound_config_selectorIylEEZNS1_14transform_implILb0ES3_S5_N6thrust23THRUST_200600_302600_NS6detail15normal_iteratorINS8_7pointerIyNS8_11hip_rocprim5par_tENS8_11use_defaultESE_EEEENSA_INSB_IlSD_SE_SE_EEEEZNS1_13binary_searchIS3_S5_NSA_INS8_10device_ptrIyEEEESG_SI_NS1_21upper_bound_search_opENS9_16wrapped_functionINS8_6system6detail7generic6detail18binary_search_lessEbEEEE10hipError_tPvRmT1_T2_T3_mmT4_T5_P12ihipStream_tbEUlRKyE_EESV_SZ_S10_mS11_S14_bEUlT_E_NS1_11comp_targetILNS1_3genE0ELNS1_11target_archE4294967295ELNS1_3gpuE0ELNS1_3repE0EEENS1_30default_config_static_selectorELNS0_4arch9wavefront6targetE0EEEvSY_
; %bb.0:
	.section	.rodata,"a",@progbits
	.p2align	6, 0x0
	.amdhsa_kernel _ZN7rocprim17ROCPRIM_400000_NS6detail17trampoline_kernelINS0_14default_configENS1_27upper_bound_config_selectorIylEEZNS1_14transform_implILb0ES3_S5_N6thrust23THRUST_200600_302600_NS6detail15normal_iteratorINS8_7pointerIyNS8_11hip_rocprim5par_tENS8_11use_defaultESE_EEEENSA_INSB_IlSD_SE_SE_EEEEZNS1_13binary_searchIS3_S5_NSA_INS8_10device_ptrIyEEEESG_SI_NS1_21upper_bound_search_opENS9_16wrapped_functionINS8_6system6detail7generic6detail18binary_search_lessEbEEEE10hipError_tPvRmT1_T2_T3_mmT4_T5_P12ihipStream_tbEUlRKyE_EESV_SZ_S10_mS11_S14_bEUlT_E_NS1_11comp_targetILNS1_3genE0ELNS1_11target_archE4294967295ELNS1_3gpuE0ELNS1_3repE0EEENS1_30default_config_static_selectorELNS0_4arch9wavefront6targetE0EEEvSY_
		.amdhsa_group_segment_fixed_size 0
		.amdhsa_private_segment_fixed_size 0
		.amdhsa_kernarg_size 56
		.amdhsa_user_sgpr_count 6
		.amdhsa_user_sgpr_private_segment_buffer 1
		.amdhsa_user_sgpr_dispatch_ptr 0
		.amdhsa_user_sgpr_queue_ptr 0
		.amdhsa_user_sgpr_kernarg_segment_ptr 1
		.amdhsa_user_sgpr_dispatch_id 0
		.amdhsa_user_sgpr_flat_scratch_init 0
		.amdhsa_user_sgpr_private_segment_size 0
		.amdhsa_wavefront_size32 1
		.amdhsa_uses_dynamic_stack 0
		.amdhsa_system_sgpr_private_segment_wavefront_offset 0
		.amdhsa_system_sgpr_workgroup_id_x 1
		.amdhsa_system_sgpr_workgroup_id_y 0
		.amdhsa_system_sgpr_workgroup_id_z 0
		.amdhsa_system_sgpr_workgroup_info 0
		.amdhsa_system_vgpr_workitem_id 0
		.amdhsa_next_free_vgpr 1
		.amdhsa_next_free_sgpr 1
		.amdhsa_reserve_vcc 0
		.amdhsa_reserve_flat_scratch 0
		.amdhsa_float_round_mode_32 0
		.amdhsa_float_round_mode_16_64 0
		.amdhsa_float_denorm_mode_32 3
		.amdhsa_float_denorm_mode_16_64 3
		.amdhsa_dx10_clamp 1
		.amdhsa_ieee_mode 1
		.amdhsa_fp16_overflow 0
		.amdhsa_workgroup_processor_mode 1
		.amdhsa_memory_ordered 1
		.amdhsa_forward_progress 1
		.amdhsa_shared_vgpr_count 0
		.amdhsa_exception_fp_ieee_invalid_op 0
		.amdhsa_exception_fp_denorm_src 0
		.amdhsa_exception_fp_ieee_div_zero 0
		.amdhsa_exception_fp_ieee_overflow 0
		.amdhsa_exception_fp_ieee_underflow 0
		.amdhsa_exception_fp_ieee_inexact 0
		.amdhsa_exception_int_div_zero 0
	.end_amdhsa_kernel
	.section	.text._ZN7rocprim17ROCPRIM_400000_NS6detail17trampoline_kernelINS0_14default_configENS1_27upper_bound_config_selectorIylEEZNS1_14transform_implILb0ES3_S5_N6thrust23THRUST_200600_302600_NS6detail15normal_iteratorINS8_7pointerIyNS8_11hip_rocprim5par_tENS8_11use_defaultESE_EEEENSA_INSB_IlSD_SE_SE_EEEEZNS1_13binary_searchIS3_S5_NSA_INS8_10device_ptrIyEEEESG_SI_NS1_21upper_bound_search_opENS9_16wrapped_functionINS8_6system6detail7generic6detail18binary_search_lessEbEEEE10hipError_tPvRmT1_T2_T3_mmT4_T5_P12ihipStream_tbEUlRKyE_EESV_SZ_S10_mS11_S14_bEUlT_E_NS1_11comp_targetILNS1_3genE0ELNS1_11target_archE4294967295ELNS1_3gpuE0ELNS1_3repE0EEENS1_30default_config_static_selectorELNS0_4arch9wavefront6targetE0EEEvSY_,"axG",@progbits,_ZN7rocprim17ROCPRIM_400000_NS6detail17trampoline_kernelINS0_14default_configENS1_27upper_bound_config_selectorIylEEZNS1_14transform_implILb0ES3_S5_N6thrust23THRUST_200600_302600_NS6detail15normal_iteratorINS8_7pointerIyNS8_11hip_rocprim5par_tENS8_11use_defaultESE_EEEENSA_INSB_IlSD_SE_SE_EEEEZNS1_13binary_searchIS3_S5_NSA_INS8_10device_ptrIyEEEESG_SI_NS1_21upper_bound_search_opENS9_16wrapped_functionINS8_6system6detail7generic6detail18binary_search_lessEbEEEE10hipError_tPvRmT1_T2_T3_mmT4_T5_P12ihipStream_tbEUlRKyE_EESV_SZ_S10_mS11_S14_bEUlT_E_NS1_11comp_targetILNS1_3genE0ELNS1_11target_archE4294967295ELNS1_3gpuE0ELNS1_3repE0EEENS1_30default_config_static_selectorELNS0_4arch9wavefront6targetE0EEEvSY_,comdat
.Lfunc_end536:
	.size	_ZN7rocprim17ROCPRIM_400000_NS6detail17trampoline_kernelINS0_14default_configENS1_27upper_bound_config_selectorIylEEZNS1_14transform_implILb0ES3_S5_N6thrust23THRUST_200600_302600_NS6detail15normal_iteratorINS8_7pointerIyNS8_11hip_rocprim5par_tENS8_11use_defaultESE_EEEENSA_INSB_IlSD_SE_SE_EEEEZNS1_13binary_searchIS3_S5_NSA_INS8_10device_ptrIyEEEESG_SI_NS1_21upper_bound_search_opENS9_16wrapped_functionINS8_6system6detail7generic6detail18binary_search_lessEbEEEE10hipError_tPvRmT1_T2_T3_mmT4_T5_P12ihipStream_tbEUlRKyE_EESV_SZ_S10_mS11_S14_bEUlT_E_NS1_11comp_targetILNS1_3genE0ELNS1_11target_archE4294967295ELNS1_3gpuE0ELNS1_3repE0EEENS1_30default_config_static_selectorELNS0_4arch9wavefront6targetE0EEEvSY_, .Lfunc_end536-_ZN7rocprim17ROCPRIM_400000_NS6detail17trampoline_kernelINS0_14default_configENS1_27upper_bound_config_selectorIylEEZNS1_14transform_implILb0ES3_S5_N6thrust23THRUST_200600_302600_NS6detail15normal_iteratorINS8_7pointerIyNS8_11hip_rocprim5par_tENS8_11use_defaultESE_EEEENSA_INSB_IlSD_SE_SE_EEEEZNS1_13binary_searchIS3_S5_NSA_INS8_10device_ptrIyEEEESG_SI_NS1_21upper_bound_search_opENS9_16wrapped_functionINS8_6system6detail7generic6detail18binary_search_lessEbEEEE10hipError_tPvRmT1_T2_T3_mmT4_T5_P12ihipStream_tbEUlRKyE_EESV_SZ_S10_mS11_S14_bEUlT_E_NS1_11comp_targetILNS1_3genE0ELNS1_11target_archE4294967295ELNS1_3gpuE0ELNS1_3repE0EEENS1_30default_config_static_selectorELNS0_4arch9wavefront6targetE0EEEvSY_
                                        ; -- End function
	.set _ZN7rocprim17ROCPRIM_400000_NS6detail17trampoline_kernelINS0_14default_configENS1_27upper_bound_config_selectorIylEEZNS1_14transform_implILb0ES3_S5_N6thrust23THRUST_200600_302600_NS6detail15normal_iteratorINS8_7pointerIyNS8_11hip_rocprim5par_tENS8_11use_defaultESE_EEEENSA_INSB_IlSD_SE_SE_EEEEZNS1_13binary_searchIS3_S5_NSA_INS8_10device_ptrIyEEEESG_SI_NS1_21upper_bound_search_opENS9_16wrapped_functionINS8_6system6detail7generic6detail18binary_search_lessEbEEEE10hipError_tPvRmT1_T2_T3_mmT4_T5_P12ihipStream_tbEUlRKyE_EESV_SZ_S10_mS11_S14_bEUlT_E_NS1_11comp_targetILNS1_3genE0ELNS1_11target_archE4294967295ELNS1_3gpuE0ELNS1_3repE0EEENS1_30default_config_static_selectorELNS0_4arch9wavefront6targetE0EEEvSY_.num_vgpr, 0
	.set _ZN7rocprim17ROCPRIM_400000_NS6detail17trampoline_kernelINS0_14default_configENS1_27upper_bound_config_selectorIylEEZNS1_14transform_implILb0ES3_S5_N6thrust23THRUST_200600_302600_NS6detail15normal_iteratorINS8_7pointerIyNS8_11hip_rocprim5par_tENS8_11use_defaultESE_EEEENSA_INSB_IlSD_SE_SE_EEEEZNS1_13binary_searchIS3_S5_NSA_INS8_10device_ptrIyEEEESG_SI_NS1_21upper_bound_search_opENS9_16wrapped_functionINS8_6system6detail7generic6detail18binary_search_lessEbEEEE10hipError_tPvRmT1_T2_T3_mmT4_T5_P12ihipStream_tbEUlRKyE_EESV_SZ_S10_mS11_S14_bEUlT_E_NS1_11comp_targetILNS1_3genE0ELNS1_11target_archE4294967295ELNS1_3gpuE0ELNS1_3repE0EEENS1_30default_config_static_selectorELNS0_4arch9wavefront6targetE0EEEvSY_.num_agpr, 0
	.set _ZN7rocprim17ROCPRIM_400000_NS6detail17trampoline_kernelINS0_14default_configENS1_27upper_bound_config_selectorIylEEZNS1_14transform_implILb0ES3_S5_N6thrust23THRUST_200600_302600_NS6detail15normal_iteratorINS8_7pointerIyNS8_11hip_rocprim5par_tENS8_11use_defaultESE_EEEENSA_INSB_IlSD_SE_SE_EEEEZNS1_13binary_searchIS3_S5_NSA_INS8_10device_ptrIyEEEESG_SI_NS1_21upper_bound_search_opENS9_16wrapped_functionINS8_6system6detail7generic6detail18binary_search_lessEbEEEE10hipError_tPvRmT1_T2_T3_mmT4_T5_P12ihipStream_tbEUlRKyE_EESV_SZ_S10_mS11_S14_bEUlT_E_NS1_11comp_targetILNS1_3genE0ELNS1_11target_archE4294967295ELNS1_3gpuE0ELNS1_3repE0EEENS1_30default_config_static_selectorELNS0_4arch9wavefront6targetE0EEEvSY_.numbered_sgpr, 0
	.set _ZN7rocprim17ROCPRIM_400000_NS6detail17trampoline_kernelINS0_14default_configENS1_27upper_bound_config_selectorIylEEZNS1_14transform_implILb0ES3_S5_N6thrust23THRUST_200600_302600_NS6detail15normal_iteratorINS8_7pointerIyNS8_11hip_rocprim5par_tENS8_11use_defaultESE_EEEENSA_INSB_IlSD_SE_SE_EEEEZNS1_13binary_searchIS3_S5_NSA_INS8_10device_ptrIyEEEESG_SI_NS1_21upper_bound_search_opENS9_16wrapped_functionINS8_6system6detail7generic6detail18binary_search_lessEbEEEE10hipError_tPvRmT1_T2_T3_mmT4_T5_P12ihipStream_tbEUlRKyE_EESV_SZ_S10_mS11_S14_bEUlT_E_NS1_11comp_targetILNS1_3genE0ELNS1_11target_archE4294967295ELNS1_3gpuE0ELNS1_3repE0EEENS1_30default_config_static_selectorELNS0_4arch9wavefront6targetE0EEEvSY_.num_named_barrier, 0
	.set _ZN7rocprim17ROCPRIM_400000_NS6detail17trampoline_kernelINS0_14default_configENS1_27upper_bound_config_selectorIylEEZNS1_14transform_implILb0ES3_S5_N6thrust23THRUST_200600_302600_NS6detail15normal_iteratorINS8_7pointerIyNS8_11hip_rocprim5par_tENS8_11use_defaultESE_EEEENSA_INSB_IlSD_SE_SE_EEEEZNS1_13binary_searchIS3_S5_NSA_INS8_10device_ptrIyEEEESG_SI_NS1_21upper_bound_search_opENS9_16wrapped_functionINS8_6system6detail7generic6detail18binary_search_lessEbEEEE10hipError_tPvRmT1_T2_T3_mmT4_T5_P12ihipStream_tbEUlRKyE_EESV_SZ_S10_mS11_S14_bEUlT_E_NS1_11comp_targetILNS1_3genE0ELNS1_11target_archE4294967295ELNS1_3gpuE0ELNS1_3repE0EEENS1_30default_config_static_selectorELNS0_4arch9wavefront6targetE0EEEvSY_.private_seg_size, 0
	.set _ZN7rocprim17ROCPRIM_400000_NS6detail17trampoline_kernelINS0_14default_configENS1_27upper_bound_config_selectorIylEEZNS1_14transform_implILb0ES3_S5_N6thrust23THRUST_200600_302600_NS6detail15normal_iteratorINS8_7pointerIyNS8_11hip_rocprim5par_tENS8_11use_defaultESE_EEEENSA_INSB_IlSD_SE_SE_EEEEZNS1_13binary_searchIS3_S5_NSA_INS8_10device_ptrIyEEEESG_SI_NS1_21upper_bound_search_opENS9_16wrapped_functionINS8_6system6detail7generic6detail18binary_search_lessEbEEEE10hipError_tPvRmT1_T2_T3_mmT4_T5_P12ihipStream_tbEUlRKyE_EESV_SZ_S10_mS11_S14_bEUlT_E_NS1_11comp_targetILNS1_3genE0ELNS1_11target_archE4294967295ELNS1_3gpuE0ELNS1_3repE0EEENS1_30default_config_static_selectorELNS0_4arch9wavefront6targetE0EEEvSY_.uses_vcc, 0
	.set _ZN7rocprim17ROCPRIM_400000_NS6detail17trampoline_kernelINS0_14default_configENS1_27upper_bound_config_selectorIylEEZNS1_14transform_implILb0ES3_S5_N6thrust23THRUST_200600_302600_NS6detail15normal_iteratorINS8_7pointerIyNS8_11hip_rocprim5par_tENS8_11use_defaultESE_EEEENSA_INSB_IlSD_SE_SE_EEEEZNS1_13binary_searchIS3_S5_NSA_INS8_10device_ptrIyEEEESG_SI_NS1_21upper_bound_search_opENS9_16wrapped_functionINS8_6system6detail7generic6detail18binary_search_lessEbEEEE10hipError_tPvRmT1_T2_T3_mmT4_T5_P12ihipStream_tbEUlRKyE_EESV_SZ_S10_mS11_S14_bEUlT_E_NS1_11comp_targetILNS1_3genE0ELNS1_11target_archE4294967295ELNS1_3gpuE0ELNS1_3repE0EEENS1_30default_config_static_selectorELNS0_4arch9wavefront6targetE0EEEvSY_.uses_flat_scratch, 0
	.set _ZN7rocprim17ROCPRIM_400000_NS6detail17trampoline_kernelINS0_14default_configENS1_27upper_bound_config_selectorIylEEZNS1_14transform_implILb0ES3_S5_N6thrust23THRUST_200600_302600_NS6detail15normal_iteratorINS8_7pointerIyNS8_11hip_rocprim5par_tENS8_11use_defaultESE_EEEENSA_INSB_IlSD_SE_SE_EEEEZNS1_13binary_searchIS3_S5_NSA_INS8_10device_ptrIyEEEESG_SI_NS1_21upper_bound_search_opENS9_16wrapped_functionINS8_6system6detail7generic6detail18binary_search_lessEbEEEE10hipError_tPvRmT1_T2_T3_mmT4_T5_P12ihipStream_tbEUlRKyE_EESV_SZ_S10_mS11_S14_bEUlT_E_NS1_11comp_targetILNS1_3genE0ELNS1_11target_archE4294967295ELNS1_3gpuE0ELNS1_3repE0EEENS1_30default_config_static_selectorELNS0_4arch9wavefront6targetE0EEEvSY_.has_dyn_sized_stack, 0
	.set _ZN7rocprim17ROCPRIM_400000_NS6detail17trampoline_kernelINS0_14default_configENS1_27upper_bound_config_selectorIylEEZNS1_14transform_implILb0ES3_S5_N6thrust23THRUST_200600_302600_NS6detail15normal_iteratorINS8_7pointerIyNS8_11hip_rocprim5par_tENS8_11use_defaultESE_EEEENSA_INSB_IlSD_SE_SE_EEEEZNS1_13binary_searchIS3_S5_NSA_INS8_10device_ptrIyEEEESG_SI_NS1_21upper_bound_search_opENS9_16wrapped_functionINS8_6system6detail7generic6detail18binary_search_lessEbEEEE10hipError_tPvRmT1_T2_T3_mmT4_T5_P12ihipStream_tbEUlRKyE_EESV_SZ_S10_mS11_S14_bEUlT_E_NS1_11comp_targetILNS1_3genE0ELNS1_11target_archE4294967295ELNS1_3gpuE0ELNS1_3repE0EEENS1_30default_config_static_selectorELNS0_4arch9wavefront6targetE0EEEvSY_.has_recursion, 0
	.set _ZN7rocprim17ROCPRIM_400000_NS6detail17trampoline_kernelINS0_14default_configENS1_27upper_bound_config_selectorIylEEZNS1_14transform_implILb0ES3_S5_N6thrust23THRUST_200600_302600_NS6detail15normal_iteratorINS8_7pointerIyNS8_11hip_rocprim5par_tENS8_11use_defaultESE_EEEENSA_INSB_IlSD_SE_SE_EEEEZNS1_13binary_searchIS3_S5_NSA_INS8_10device_ptrIyEEEESG_SI_NS1_21upper_bound_search_opENS9_16wrapped_functionINS8_6system6detail7generic6detail18binary_search_lessEbEEEE10hipError_tPvRmT1_T2_T3_mmT4_T5_P12ihipStream_tbEUlRKyE_EESV_SZ_S10_mS11_S14_bEUlT_E_NS1_11comp_targetILNS1_3genE0ELNS1_11target_archE4294967295ELNS1_3gpuE0ELNS1_3repE0EEENS1_30default_config_static_selectorELNS0_4arch9wavefront6targetE0EEEvSY_.has_indirect_call, 0
	.section	.AMDGPU.csdata,"",@progbits
; Kernel info:
; codeLenInByte = 0
; TotalNumSgprs: 0
; NumVgprs: 0
; ScratchSize: 0
; MemoryBound: 0
; FloatMode: 240
; IeeeMode: 1
; LDSByteSize: 0 bytes/workgroup (compile time only)
; SGPRBlocks: 0
; VGPRBlocks: 0
; NumSGPRsForWavesPerEU: 1
; NumVGPRsForWavesPerEU: 1
; Occupancy: 16
; WaveLimiterHint : 0
; COMPUTE_PGM_RSRC2:SCRATCH_EN: 0
; COMPUTE_PGM_RSRC2:USER_SGPR: 6
; COMPUTE_PGM_RSRC2:TRAP_HANDLER: 0
; COMPUTE_PGM_RSRC2:TGID_X_EN: 1
; COMPUTE_PGM_RSRC2:TGID_Y_EN: 0
; COMPUTE_PGM_RSRC2:TGID_Z_EN: 0
; COMPUTE_PGM_RSRC2:TIDIG_COMP_CNT: 0
	.section	.text._ZN7rocprim17ROCPRIM_400000_NS6detail17trampoline_kernelINS0_14default_configENS1_27upper_bound_config_selectorIylEEZNS1_14transform_implILb0ES3_S5_N6thrust23THRUST_200600_302600_NS6detail15normal_iteratorINS8_7pointerIyNS8_11hip_rocprim5par_tENS8_11use_defaultESE_EEEENSA_INSB_IlSD_SE_SE_EEEEZNS1_13binary_searchIS3_S5_NSA_INS8_10device_ptrIyEEEESG_SI_NS1_21upper_bound_search_opENS9_16wrapped_functionINS8_6system6detail7generic6detail18binary_search_lessEbEEEE10hipError_tPvRmT1_T2_T3_mmT4_T5_P12ihipStream_tbEUlRKyE_EESV_SZ_S10_mS11_S14_bEUlT_E_NS1_11comp_targetILNS1_3genE5ELNS1_11target_archE942ELNS1_3gpuE9ELNS1_3repE0EEENS1_30default_config_static_selectorELNS0_4arch9wavefront6targetE0EEEvSY_,"axG",@progbits,_ZN7rocprim17ROCPRIM_400000_NS6detail17trampoline_kernelINS0_14default_configENS1_27upper_bound_config_selectorIylEEZNS1_14transform_implILb0ES3_S5_N6thrust23THRUST_200600_302600_NS6detail15normal_iteratorINS8_7pointerIyNS8_11hip_rocprim5par_tENS8_11use_defaultESE_EEEENSA_INSB_IlSD_SE_SE_EEEEZNS1_13binary_searchIS3_S5_NSA_INS8_10device_ptrIyEEEESG_SI_NS1_21upper_bound_search_opENS9_16wrapped_functionINS8_6system6detail7generic6detail18binary_search_lessEbEEEE10hipError_tPvRmT1_T2_T3_mmT4_T5_P12ihipStream_tbEUlRKyE_EESV_SZ_S10_mS11_S14_bEUlT_E_NS1_11comp_targetILNS1_3genE5ELNS1_11target_archE942ELNS1_3gpuE9ELNS1_3repE0EEENS1_30default_config_static_selectorELNS0_4arch9wavefront6targetE0EEEvSY_,comdat
	.protected	_ZN7rocprim17ROCPRIM_400000_NS6detail17trampoline_kernelINS0_14default_configENS1_27upper_bound_config_selectorIylEEZNS1_14transform_implILb0ES3_S5_N6thrust23THRUST_200600_302600_NS6detail15normal_iteratorINS8_7pointerIyNS8_11hip_rocprim5par_tENS8_11use_defaultESE_EEEENSA_INSB_IlSD_SE_SE_EEEEZNS1_13binary_searchIS3_S5_NSA_INS8_10device_ptrIyEEEESG_SI_NS1_21upper_bound_search_opENS9_16wrapped_functionINS8_6system6detail7generic6detail18binary_search_lessEbEEEE10hipError_tPvRmT1_T2_T3_mmT4_T5_P12ihipStream_tbEUlRKyE_EESV_SZ_S10_mS11_S14_bEUlT_E_NS1_11comp_targetILNS1_3genE5ELNS1_11target_archE942ELNS1_3gpuE9ELNS1_3repE0EEENS1_30default_config_static_selectorELNS0_4arch9wavefront6targetE0EEEvSY_ ; -- Begin function _ZN7rocprim17ROCPRIM_400000_NS6detail17trampoline_kernelINS0_14default_configENS1_27upper_bound_config_selectorIylEEZNS1_14transform_implILb0ES3_S5_N6thrust23THRUST_200600_302600_NS6detail15normal_iteratorINS8_7pointerIyNS8_11hip_rocprim5par_tENS8_11use_defaultESE_EEEENSA_INSB_IlSD_SE_SE_EEEEZNS1_13binary_searchIS3_S5_NSA_INS8_10device_ptrIyEEEESG_SI_NS1_21upper_bound_search_opENS9_16wrapped_functionINS8_6system6detail7generic6detail18binary_search_lessEbEEEE10hipError_tPvRmT1_T2_T3_mmT4_T5_P12ihipStream_tbEUlRKyE_EESV_SZ_S10_mS11_S14_bEUlT_E_NS1_11comp_targetILNS1_3genE5ELNS1_11target_archE942ELNS1_3gpuE9ELNS1_3repE0EEENS1_30default_config_static_selectorELNS0_4arch9wavefront6targetE0EEEvSY_
	.globl	_ZN7rocprim17ROCPRIM_400000_NS6detail17trampoline_kernelINS0_14default_configENS1_27upper_bound_config_selectorIylEEZNS1_14transform_implILb0ES3_S5_N6thrust23THRUST_200600_302600_NS6detail15normal_iteratorINS8_7pointerIyNS8_11hip_rocprim5par_tENS8_11use_defaultESE_EEEENSA_INSB_IlSD_SE_SE_EEEEZNS1_13binary_searchIS3_S5_NSA_INS8_10device_ptrIyEEEESG_SI_NS1_21upper_bound_search_opENS9_16wrapped_functionINS8_6system6detail7generic6detail18binary_search_lessEbEEEE10hipError_tPvRmT1_T2_T3_mmT4_T5_P12ihipStream_tbEUlRKyE_EESV_SZ_S10_mS11_S14_bEUlT_E_NS1_11comp_targetILNS1_3genE5ELNS1_11target_archE942ELNS1_3gpuE9ELNS1_3repE0EEENS1_30default_config_static_selectorELNS0_4arch9wavefront6targetE0EEEvSY_
	.p2align	8
	.type	_ZN7rocprim17ROCPRIM_400000_NS6detail17trampoline_kernelINS0_14default_configENS1_27upper_bound_config_selectorIylEEZNS1_14transform_implILb0ES3_S5_N6thrust23THRUST_200600_302600_NS6detail15normal_iteratorINS8_7pointerIyNS8_11hip_rocprim5par_tENS8_11use_defaultESE_EEEENSA_INSB_IlSD_SE_SE_EEEEZNS1_13binary_searchIS3_S5_NSA_INS8_10device_ptrIyEEEESG_SI_NS1_21upper_bound_search_opENS9_16wrapped_functionINS8_6system6detail7generic6detail18binary_search_lessEbEEEE10hipError_tPvRmT1_T2_T3_mmT4_T5_P12ihipStream_tbEUlRKyE_EESV_SZ_S10_mS11_S14_bEUlT_E_NS1_11comp_targetILNS1_3genE5ELNS1_11target_archE942ELNS1_3gpuE9ELNS1_3repE0EEENS1_30default_config_static_selectorELNS0_4arch9wavefront6targetE0EEEvSY_,@function
_ZN7rocprim17ROCPRIM_400000_NS6detail17trampoline_kernelINS0_14default_configENS1_27upper_bound_config_selectorIylEEZNS1_14transform_implILb0ES3_S5_N6thrust23THRUST_200600_302600_NS6detail15normal_iteratorINS8_7pointerIyNS8_11hip_rocprim5par_tENS8_11use_defaultESE_EEEENSA_INSB_IlSD_SE_SE_EEEEZNS1_13binary_searchIS3_S5_NSA_INS8_10device_ptrIyEEEESG_SI_NS1_21upper_bound_search_opENS9_16wrapped_functionINS8_6system6detail7generic6detail18binary_search_lessEbEEEE10hipError_tPvRmT1_T2_T3_mmT4_T5_P12ihipStream_tbEUlRKyE_EESV_SZ_S10_mS11_S14_bEUlT_E_NS1_11comp_targetILNS1_3genE5ELNS1_11target_archE942ELNS1_3gpuE9ELNS1_3repE0EEENS1_30default_config_static_selectorELNS0_4arch9wavefront6targetE0EEEvSY_: ; @_ZN7rocprim17ROCPRIM_400000_NS6detail17trampoline_kernelINS0_14default_configENS1_27upper_bound_config_selectorIylEEZNS1_14transform_implILb0ES3_S5_N6thrust23THRUST_200600_302600_NS6detail15normal_iteratorINS8_7pointerIyNS8_11hip_rocprim5par_tENS8_11use_defaultESE_EEEENSA_INSB_IlSD_SE_SE_EEEEZNS1_13binary_searchIS3_S5_NSA_INS8_10device_ptrIyEEEESG_SI_NS1_21upper_bound_search_opENS9_16wrapped_functionINS8_6system6detail7generic6detail18binary_search_lessEbEEEE10hipError_tPvRmT1_T2_T3_mmT4_T5_P12ihipStream_tbEUlRKyE_EESV_SZ_S10_mS11_S14_bEUlT_E_NS1_11comp_targetILNS1_3genE5ELNS1_11target_archE942ELNS1_3gpuE9ELNS1_3repE0EEENS1_30default_config_static_selectorELNS0_4arch9wavefront6targetE0EEEvSY_
; %bb.0:
	.section	.rodata,"a",@progbits
	.p2align	6, 0x0
	.amdhsa_kernel _ZN7rocprim17ROCPRIM_400000_NS6detail17trampoline_kernelINS0_14default_configENS1_27upper_bound_config_selectorIylEEZNS1_14transform_implILb0ES3_S5_N6thrust23THRUST_200600_302600_NS6detail15normal_iteratorINS8_7pointerIyNS8_11hip_rocprim5par_tENS8_11use_defaultESE_EEEENSA_INSB_IlSD_SE_SE_EEEEZNS1_13binary_searchIS3_S5_NSA_INS8_10device_ptrIyEEEESG_SI_NS1_21upper_bound_search_opENS9_16wrapped_functionINS8_6system6detail7generic6detail18binary_search_lessEbEEEE10hipError_tPvRmT1_T2_T3_mmT4_T5_P12ihipStream_tbEUlRKyE_EESV_SZ_S10_mS11_S14_bEUlT_E_NS1_11comp_targetILNS1_3genE5ELNS1_11target_archE942ELNS1_3gpuE9ELNS1_3repE0EEENS1_30default_config_static_selectorELNS0_4arch9wavefront6targetE0EEEvSY_
		.amdhsa_group_segment_fixed_size 0
		.amdhsa_private_segment_fixed_size 0
		.amdhsa_kernarg_size 56
		.amdhsa_user_sgpr_count 6
		.amdhsa_user_sgpr_private_segment_buffer 1
		.amdhsa_user_sgpr_dispatch_ptr 0
		.amdhsa_user_sgpr_queue_ptr 0
		.amdhsa_user_sgpr_kernarg_segment_ptr 1
		.amdhsa_user_sgpr_dispatch_id 0
		.amdhsa_user_sgpr_flat_scratch_init 0
		.amdhsa_user_sgpr_private_segment_size 0
		.amdhsa_wavefront_size32 1
		.amdhsa_uses_dynamic_stack 0
		.amdhsa_system_sgpr_private_segment_wavefront_offset 0
		.amdhsa_system_sgpr_workgroup_id_x 1
		.amdhsa_system_sgpr_workgroup_id_y 0
		.amdhsa_system_sgpr_workgroup_id_z 0
		.amdhsa_system_sgpr_workgroup_info 0
		.amdhsa_system_vgpr_workitem_id 0
		.amdhsa_next_free_vgpr 1
		.amdhsa_next_free_sgpr 1
		.amdhsa_reserve_vcc 0
		.amdhsa_reserve_flat_scratch 0
		.amdhsa_float_round_mode_32 0
		.amdhsa_float_round_mode_16_64 0
		.amdhsa_float_denorm_mode_32 3
		.amdhsa_float_denorm_mode_16_64 3
		.amdhsa_dx10_clamp 1
		.amdhsa_ieee_mode 1
		.amdhsa_fp16_overflow 0
		.amdhsa_workgroup_processor_mode 1
		.amdhsa_memory_ordered 1
		.amdhsa_forward_progress 1
		.amdhsa_shared_vgpr_count 0
		.amdhsa_exception_fp_ieee_invalid_op 0
		.amdhsa_exception_fp_denorm_src 0
		.amdhsa_exception_fp_ieee_div_zero 0
		.amdhsa_exception_fp_ieee_overflow 0
		.amdhsa_exception_fp_ieee_underflow 0
		.amdhsa_exception_fp_ieee_inexact 0
		.amdhsa_exception_int_div_zero 0
	.end_amdhsa_kernel
	.section	.text._ZN7rocprim17ROCPRIM_400000_NS6detail17trampoline_kernelINS0_14default_configENS1_27upper_bound_config_selectorIylEEZNS1_14transform_implILb0ES3_S5_N6thrust23THRUST_200600_302600_NS6detail15normal_iteratorINS8_7pointerIyNS8_11hip_rocprim5par_tENS8_11use_defaultESE_EEEENSA_INSB_IlSD_SE_SE_EEEEZNS1_13binary_searchIS3_S5_NSA_INS8_10device_ptrIyEEEESG_SI_NS1_21upper_bound_search_opENS9_16wrapped_functionINS8_6system6detail7generic6detail18binary_search_lessEbEEEE10hipError_tPvRmT1_T2_T3_mmT4_T5_P12ihipStream_tbEUlRKyE_EESV_SZ_S10_mS11_S14_bEUlT_E_NS1_11comp_targetILNS1_3genE5ELNS1_11target_archE942ELNS1_3gpuE9ELNS1_3repE0EEENS1_30default_config_static_selectorELNS0_4arch9wavefront6targetE0EEEvSY_,"axG",@progbits,_ZN7rocprim17ROCPRIM_400000_NS6detail17trampoline_kernelINS0_14default_configENS1_27upper_bound_config_selectorIylEEZNS1_14transform_implILb0ES3_S5_N6thrust23THRUST_200600_302600_NS6detail15normal_iteratorINS8_7pointerIyNS8_11hip_rocprim5par_tENS8_11use_defaultESE_EEEENSA_INSB_IlSD_SE_SE_EEEEZNS1_13binary_searchIS3_S5_NSA_INS8_10device_ptrIyEEEESG_SI_NS1_21upper_bound_search_opENS9_16wrapped_functionINS8_6system6detail7generic6detail18binary_search_lessEbEEEE10hipError_tPvRmT1_T2_T3_mmT4_T5_P12ihipStream_tbEUlRKyE_EESV_SZ_S10_mS11_S14_bEUlT_E_NS1_11comp_targetILNS1_3genE5ELNS1_11target_archE942ELNS1_3gpuE9ELNS1_3repE0EEENS1_30default_config_static_selectorELNS0_4arch9wavefront6targetE0EEEvSY_,comdat
.Lfunc_end537:
	.size	_ZN7rocprim17ROCPRIM_400000_NS6detail17trampoline_kernelINS0_14default_configENS1_27upper_bound_config_selectorIylEEZNS1_14transform_implILb0ES3_S5_N6thrust23THRUST_200600_302600_NS6detail15normal_iteratorINS8_7pointerIyNS8_11hip_rocprim5par_tENS8_11use_defaultESE_EEEENSA_INSB_IlSD_SE_SE_EEEEZNS1_13binary_searchIS3_S5_NSA_INS8_10device_ptrIyEEEESG_SI_NS1_21upper_bound_search_opENS9_16wrapped_functionINS8_6system6detail7generic6detail18binary_search_lessEbEEEE10hipError_tPvRmT1_T2_T3_mmT4_T5_P12ihipStream_tbEUlRKyE_EESV_SZ_S10_mS11_S14_bEUlT_E_NS1_11comp_targetILNS1_3genE5ELNS1_11target_archE942ELNS1_3gpuE9ELNS1_3repE0EEENS1_30default_config_static_selectorELNS0_4arch9wavefront6targetE0EEEvSY_, .Lfunc_end537-_ZN7rocprim17ROCPRIM_400000_NS6detail17trampoline_kernelINS0_14default_configENS1_27upper_bound_config_selectorIylEEZNS1_14transform_implILb0ES3_S5_N6thrust23THRUST_200600_302600_NS6detail15normal_iteratorINS8_7pointerIyNS8_11hip_rocprim5par_tENS8_11use_defaultESE_EEEENSA_INSB_IlSD_SE_SE_EEEEZNS1_13binary_searchIS3_S5_NSA_INS8_10device_ptrIyEEEESG_SI_NS1_21upper_bound_search_opENS9_16wrapped_functionINS8_6system6detail7generic6detail18binary_search_lessEbEEEE10hipError_tPvRmT1_T2_T3_mmT4_T5_P12ihipStream_tbEUlRKyE_EESV_SZ_S10_mS11_S14_bEUlT_E_NS1_11comp_targetILNS1_3genE5ELNS1_11target_archE942ELNS1_3gpuE9ELNS1_3repE0EEENS1_30default_config_static_selectorELNS0_4arch9wavefront6targetE0EEEvSY_
                                        ; -- End function
	.set _ZN7rocprim17ROCPRIM_400000_NS6detail17trampoline_kernelINS0_14default_configENS1_27upper_bound_config_selectorIylEEZNS1_14transform_implILb0ES3_S5_N6thrust23THRUST_200600_302600_NS6detail15normal_iteratorINS8_7pointerIyNS8_11hip_rocprim5par_tENS8_11use_defaultESE_EEEENSA_INSB_IlSD_SE_SE_EEEEZNS1_13binary_searchIS3_S5_NSA_INS8_10device_ptrIyEEEESG_SI_NS1_21upper_bound_search_opENS9_16wrapped_functionINS8_6system6detail7generic6detail18binary_search_lessEbEEEE10hipError_tPvRmT1_T2_T3_mmT4_T5_P12ihipStream_tbEUlRKyE_EESV_SZ_S10_mS11_S14_bEUlT_E_NS1_11comp_targetILNS1_3genE5ELNS1_11target_archE942ELNS1_3gpuE9ELNS1_3repE0EEENS1_30default_config_static_selectorELNS0_4arch9wavefront6targetE0EEEvSY_.num_vgpr, 0
	.set _ZN7rocprim17ROCPRIM_400000_NS6detail17trampoline_kernelINS0_14default_configENS1_27upper_bound_config_selectorIylEEZNS1_14transform_implILb0ES3_S5_N6thrust23THRUST_200600_302600_NS6detail15normal_iteratorINS8_7pointerIyNS8_11hip_rocprim5par_tENS8_11use_defaultESE_EEEENSA_INSB_IlSD_SE_SE_EEEEZNS1_13binary_searchIS3_S5_NSA_INS8_10device_ptrIyEEEESG_SI_NS1_21upper_bound_search_opENS9_16wrapped_functionINS8_6system6detail7generic6detail18binary_search_lessEbEEEE10hipError_tPvRmT1_T2_T3_mmT4_T5_P12ihipStream_tbEUlRKyE_EESV_SZ_S10_mS11_S14_bEUlT_E_NS1_11comp_targetILNS1_3genE5ELNS1_11target_archE942ELNS1_3gpuE9ELNS1_3repE0EEENS1_30default_config_static_selectorELNS0_4arch9wavefront6targetE0EEEvSY_.num_agpr, 0
	.set _ZN7rocprim17ROCPRIM_400000_NS6detail17trampoline_kernelINS0_14default_configENS1_27upper_bound_config_selectorIylEEZNS1_14transform_implILb0ES3_S5_N6thrust23THRUST_200600_302600_NS6detail15normal_iteratorINS8_7pointerIyNS8_11hip_rocprim5par_tENS8_11use_defaultESE_EEEENSA_INSB_IlSD_SE_SE_EEEEZNS1_13binary_searchIS3_S5_NSA_INS8_10device_ptrIyEEEESG_SI_NS1_21upper_bound_search_opENS9_16wrapped_functionINS8_6system6detail7generic6detail18binary_search_lessEbEEEE10hipError_tPvRmT1_T2_T3_mmT4_T5_P12ihipStream_tbEUlRKyE_EESV_SZ_S10_mS11_S14_bEUlT_E_NS1_11comp_targetILNS1_3genE5ELNS1_11target_archE942ELNS1_3gpuE9ELNS1_3repE0EEENS1_30default_config_static_selectorELNS0_4arch9wavefront6targetE0EEEvSY_.numbered_sgpr, 0
	.set _ZN7rocprim17ROCPRIM_400000_NS6detail17trampoline_kernelINS0_14default_configENS1_27upper_bound_config_selectorIylEEZNS1_14transform_implILb0ES3_S5_N6thrust23THRUST_200600_302600_NS6detail15normal_iteratorINS8_7pointerIyNS8_11hip_rocprim5par_tENS8_11use_defaultESE_EEEENSA_INSB_IlSD_SE_SE_EEEEZNS1_13binary_searchIS3_S5_NSA_INS8_10device_ptrIyEEEESG_SI_NS1_21upper_bound_search_opENS9_16wrapped_functionINS8_6system6detail7generic6detail18binary_search_lessEbEEEE10hipError_tPvRmT1_T2_T3_mmT4_T5_P12ihipStream_tbEUlRKyE_EESV_SZ_S10_mS11_S14_bEUlT_E_NS1_11comp_targetILNS1_3genE5ELNS1_11target_archE942ELNS1_3gpuE9ELNS1_3repE0EEENS1_30default_config_static_selectorELNS0_4arch9wavefront6targetE0EEEvSY_.num_named_barrier, 0
	.set _ZN7rocprim17ROCPRIM_400000_NS6detail17trampoline_kernelINS0_14default_configENS1_27upper_bound_config_selectorIylEEZNS1_14transform_implILb0ES3_S5_N6thrust23THRUST_200600_302600_NS6detail15normal_iteratorINS8_7pointerIyNS8_11hip_rocprim5par_tENS8_11use_defaultESE_EEEENSA_INSB_IlSD_SE_SE_EEEEZNS1_13binary_searchIS3_S5_NSA_INS8_10device_ptrIyEEEESG_SI_NS1_21upper_bound_search_opENS9_16wrapped_functionINS8_6system6detail7generic6detail18binary_search_lessEbEEEE10hipError_tPvRmT1_T2_T3_mmT4_T5_P12ihipStream_tbEUlRKyE_EESV_SZ_S10_mS11_S14_bEUlT_E_NS1_11comp_targetILNS1_3genE5ELNS1_11target_archE942ELNS1_3gpuE9ELNS1_3repE0EEENS1_30default_config_static_selectorELNS0_4arch9wavefront6targetE0EEEvSY_.private_seg_size, 0
	.set _ZN7rocprim17ROCPRIM_400000_NS6detail17trampoline_kernelINS0_14default_configENS1_27upper_bound_config_selectorIylEEZNS1_14transform_implILb0ES3_S5_N6thrust23THRUST_200600_302600_NS6detail15normal_iteratorINS8_7pointerIyNS8_11hip_rocprim5par_tENS8_11use_defaultESE_EEEENSA_INSB_IlSD_SE_SE_EEEEZNS1_13binary_searchIS3_S5_NSA_INS8_10device_ptrIyEEEESG_SI_NS1_21upper_bound_search_opENS9_16wrapped_functionINS8_6system6detail7generic6detail18binary_search_lessEbEEEE10hipError_tPvRmT1_T2_T3_mmT4_T5_P12ihipStream_tbEUlRKyE_EESV_SZ_S10_mS11_S14_bEUlT_E_NS1_11comp_targetILNS1_3genE5ELNS1_11target_archE942ELNS1_3gpuE9ELNS1_3repE0EEENS1_30default_config_static_selectorELNS0_4arch9wavefront6targetE0EEEvSY_.uses_vcc, 0
	.set _ZN7rocprim17ROCPRIM_400000_NS6detail17trampoline_kernelINS0_14default_configENS1_27upper_bound_config_selectorIylEEZNS1_14transform_implILb0ES3_S5_N6thrust23THRUST_200600_302600_NS6detail15normal_iteratorINS8_7pointerIyNS8_11hip_rocprim5par_tENS8_11use_defaultESE_EEEENSA_INSB_IlSD_SE_SE_EEEEZNS1_13binary_searchIS3_S5_NSA_INS8_10device_ptrIyEEEESG_SI_NS1_21upper_bound_search_opENS9_16wrapped_functionINS8_6system6detail7generic6detail18binary_search_lessEbEEEE10hipError_tPvRmT1_T2_T3_mmT4_T5_P12ihipStream_tbEUlRKyE_EESV_SZ_S10_mS11_S14_bEUlT_E_NS1_11comp_targetILNS1_3genE5ELNS1_11target_archE942ELNS1_3gpuE9ELNS1_3repE0EEENS1_30default_config_static_selectorELNS0_4arch9wavefront6targetE0EEEvSY_.uses_flat_scratch, 0
	.set _ZN7rocprim17ROCPRIM_400000_NS6detail17trampoline_kernelINS0_14default_configENS1_27upper_bound_config_selectorIylEEZNS1_14transform_implILb0ES3_S5_N6thrust23THRUST_200600_302600_NS6detail15normal_iteratorINS8_7pointerIyNS8_11hip_rocprim5par_tENS8_11use_defaultESE_EEEENSA_INSB_IlSD_SE_SE_EEEEZNS1_13binary_searchIS3_S5_NSA_INS8_10device_ptrIyEEEESG_SI_NS1_21upper_bound_search_opENS9_16wrapped_functionINS8_6system6detail7generic6detail18binary_search_lessEbEEEE10hipError_tPvRmT1_T2_T3_mmT4_T5_P12ihipStream_tbEUlRKyE_EESV_SZ_S10_mS11_S14_bEUlT_E_NS1_11comp_targetILNS1_3genE5ELNS1_11target_archE942ELNS1_3gpuE9ELNS1_3repE0EEENS1_30default_config_static_selectorELNS0_4arch9wavefront6targetE0EEEvSY_.has_dyn_sized_stack, 0
	.set _ZN7rocprim17ROCPRIM_400000_NS6detail17trampoline_kernelINS0_14default_configENS1_27upper_bound_config_selectorIylEEZNS1_14transform_implILb0ES3_S5_N6thrust23THRUST_200600_302600_NS6detail15normal_iteratorINS8_7pointerIyNS8_11hip_rocprim5par_tENS8_11use_defaultESE_EEEENSA_INSB_IlSD_SE_SE_EEEEZNS1_13binary_searchIS3_S5_NSA_INS8_10device_ptrIyEEEESG_SI_NS1_21upper_bound_search_opENS9_16wrapped_functionINS8_6system6detail7generic6detail18binary_search_lessEbEEEE10hipError_tPvRmT1_T2_T3_mmT4_T5_P12ihipStream_tbEUlRKyE_EESV_SZ_S10_mS11_S14_bEUlT_E_NS1_11comp_targetILNS1_3genE5ELNS1_11target_archE942ELNS1_3gpuE9ELNS1_3repE0EEENS1_30default_config_static_selectorELNS0_4arch9wavefront6targetE0EEEvSY_.has_recursion, 0
	.set _ZN7rocprim17ROCPRIM_400000_NS6detail17trampoline_kernelINS0_14default_configENS1_27upper_bound_config_selectorIylEEZNS1_14transform_implILb0ES3_S5_N6thrust23THRUST_200600_302600_NS6detail15normal_iteratorINS8_7pointerIyNS8_11hip_rocprim5par_tENS8_11use_defaultESE_EEEENSA_INSB_IlSD_SE_SE_EEEEZNS1_13binary_searchIS3_S5_NSA_INS8_10device_ptrIyEEEESG_SI_NS1_21upper_bound_search_opENS9_16wrapped_functionINS8_6system6detail7generic6detail18binary_search_lessEbEEEE10hipError_tPvRmT1_T2_T3_mmT4_T5_P12ihipStream_tbEUlRKyE_EESV_SZ_S10_mS11_S14_bEUlT_E_NS1_11comp_targetILNS1_3genE5ELNS1_11target_archE942ELNS1_3gpuE9ELNS1_3repE0EEENS1_30default_config_static_selectorELNS0_4arch9wavefront6targetE0EEEvSY_.has_indirect_call, 0
	.section	.AMDGPU.csdata,"",@progbits
; Kernel info:
; codeLenInByte = 0
; TotalNumSgprs: 0
; NumVgprs: 0
; ScratchSize: 0
; MemoryBound: 0
; FloatMode: 240
; IeeeMode: 1
; LDSByteSize: 0 bytes/workgroup (compile time only)
; SGPRBlocks: 0
; VGPRBlocks: 0
; NumSGPRsForWavesPerEU: 1
; NumVGPRsForWavesPerEU: 1
; Occupancy: 16
; WaveLimiterHint : 0
; COMPUTE_PGM_RSRC2:SCRATCH_EN: 0
; COMPUTE_PGM_RSRC2:USER_SGPR: 6
; COMPUTE_PGM_RSRC2:TRAP_HANDLER: 0
; COMPUTE_PGM_RSRC2:TGID_X_EN: 1
; COMPUTE_PGM_RSRC2:TGID_Y_EN: 0
; COMPUTE_PGM_RSRC2:TGID_Z_EN: 0
; COMPUTE_PGM_RSRC2:TIDIG_COMP_CNT: 0
	.section	.text._ZN7rocprim17ROCPRIM_400000_NS6detail17trampoline_kernelINS0_14default_configENS1_27upper_bound_config_selectorIylEEZNS1_14transform_implILb0ES3_S5_N6thrust23THRUST_200600_302600_NS6detail15normal_iteratorINS8_7pointerIyNS8_11hip_rocprim5par_tENS8_11use_defaultESE_EEEENSA_INSB_IlSD_SE_SE_EEEEZNS1_13binary_searchIS3_S5_NSA_INS8_10device_ptrIyEEEESG_SI_NS1_21upper_bound_search_opENS9_16wrapped_functionINS8_6system6detail7generic6detail18binary_search_lessEbEEEE10hipError_tPvRmT1_T2_T3_mmT4_T5_P12ihipStream_tbEUlRKyE_EESV_SZ_S10_mS11_S14_bEUlT_E_NS1_11comp_targetILNS1_3genE4ELNS1_11target_archE910ELNS1_3gpuE8ELNS1_3repE0EEENS1_30default_config_static_selectorELNS0_4arch9wavefront6targetE0EEEvSY_,"axG",@progbits,_ZN7rocprim17ROCPRIM_400000_NS6detail17trampoline_kernelINS0_14default_configENS1_27upper_bound_config_selectorIylEEZNS1_14transform_implILb0ES3_S5_N6thrust23THRUST_200600_302600_NS6detail15normal_iteratorINS8_7pointerIyNS8_11hip_rocprim5par_tENS8_11use_defaultESE_EEEENSA_INSB_IlSD_SE_SE_EEEEZNS1_13binary_searchIS3_S5_NSA_INS8_10device_ptrIyEEEESG_SI_NS1_21upper_bound_search_opENS9_16wrapped_functionINS8_6system6detail7generic6detail18binary_search_lessEbEEEE10hipError_tPvRmT1_T2_T3_mmT4_T5_P12ihipStream_tbEUlRKyE_EESV_SZ_S10_mS11_S14_bEUlT_E_NS1_11comp_targetILNS1_3genE4ELNS1_11target_archE910ELNS1_3gpuE8ELNS1_3repE0EEENS1_30default_config_static_selectorELNS0_4arch9wavefront6targetE0EEEvSY_,comdat
	.protected	_ZN7rocprim17ROCPRIM_400000_NS6detail17trampoline_kernelINS0_14default_configENS1_27upper_bound_config_selectorIylEEZNS1_14transform_implILb0ES3_S5_N6thrust23THRUST_200600_302600_NS6detail15normal_iteratorINS8_7pointerIyNS8_11hip_rocprim5par_tENS8_11use_defaultESE_EEEENSA_INSB_IlSD_SE_SE_EEEEZNS1_13binary_searchIS3_S5_NSA_INS8_10device_ptrIyEEEESG_SI_NS1_21upper_bound_search_opENS9_16wrapped_functionINS8_6system6detail7generic6detail18binary_search_lessEbEEEE10hipError_tPvRmT1_T2_T3_mmT4_T5_P12ihipStream_tbEUlRKyE_EESV_SZ_S10_mS11_S14_bEUlT_E_NS1_11comp_targetILNS1_3genE4ELNS1_11target_archE910ELNS1_3gpuE8ELNS1_3repE0EEENS1_30default_config_static_selectorELNS0_4arch9wavefront6targetE0EEEvSY_ ; -- Begin function _ZN7rocprim17ROCPRIM_400000_NS6detail17trampoline_kernelINS0_14default_configENS1_27upper_bound_config_selectorIylEEZNS1_14transform_implILb0ES3_S5_N6thrust23THRUST_200600_302600_NS6detail15normal_iteratorINS8_7pointerIyNS8_11hip_rocprim5par_tENS8_11use_defaultESE_EEEENSA_INSB_IlSD_SE_SE_EEEEZNS1_13binary_searchIS3_S5_NSA_INS8_10device_ptrIyEEEESG_SI_NS1_21upper_bound_search_opENS9_16wrapped_functionINS8_6system6detail7generic6detail18binary_search_lessEbEEEE10hipError_tPvRmT1_T2_T3_mmT4_T5_P12ihipStream_tbEUlRKyE_EESV_SZ_S10_mS11_S14_bEUlT_E_NS1_11comp_targetILNS1_3genE4ELNS1_11target_archE910ELNS1_3gpuE8ELNS1_3repE0EEENS1_30default_config_static_selectorELNS0_4arch9wavefront6targetE0EEEvSY_
	.globl	_ZN7rocprim17ROCPRIM_400000_NS6detail17trampoline_kernelINS0_14default_configENS1_27upper_bound_config_selectorIylEEZNS1_14transform_implILb0ES3_S5_N6thrust23THRUST_200600_302600_NS6detail15normal_iteratorINS8_7pointerIyNS8_11hip_rocprim5par_tENS8_11use_defaultESE_EEEENSA_INSB_IlSD_SE_SE_EEEEZNS1_13binary_searchIS3_S5_NSA_INS8_10device_ptrIyEEEESG_SI_NS1_21upper_bound_search_opENS9_16wrapped_functionINS8_6system6detail7generic6detail18binary_search_lessEbEEEE10hipError_tPvRmT1_T2_T3_mmT4_T5_P12ihipStream_tbEUlRKyE_EESV_SZ_S10_mS11_S14_bEUlT_E_NS1_11comp_targetILNS1_3genE4ELNS1_11target_archE910ELNS1_3gpuE8ELNS1_3repE0EEENS1_30default_config_static_selectorELNS0_4arch9wavefront6targetE0EEEvSY_
	.p2align	8
	.type	_ZN7rocprim17ROCPRIM_400000_NS6detail17trampoline_kernelINS0_14default_configENS1_27upper_bound_config_selectorIylEEZNS1_14transform_implILb0ES3_S5_N6thrust23THRUST_200600_302600_NS6detail15normal_iteratorINS8_7pointerIyNS8_11hip_rocprim5par_tENS8_11use_defaultESE_EEEENSA_INSB_IlSD_SE_SE_EEEEZNS1_13binary_searchIS3_S5_NSA_INS8_10device_ptrIyEEEESG_SI_NS1_21upper_bound_search_opENS9_16wrapped_functionINS8_6system6detail7generic6detail18binary_search_lessEbEEEE10hipError_tPvRmT1_T2_T3_mmT4_T5_P12ihipStream_tbEUlRKyE_EESV_SZ_S10_mS11_S14_bEUlT_E_NS1_11comp_targetILNS1_3genE4ELNS1_11target_archE910ELNS1_3gpuE8ELNS1_3repE0EEENS1_30default_config_static_selectorELNS0_4arch9wavefront6targetE0EEEvSY_,@function
_ZN7rocprim17ROCPRIM_400000_NS6detail17trampoline_kernelINS0_14default_configENS1_27upper_bound_config_selectorIylEEZNS1_14transform_implILb0ES3_S5_N6thrust23THRUST_200600_302600_NS6detail15normal_iteratorINS8_7pointerIyNS8_11hip_rocprim5par_tENS8_11use_defaultESE_EEEENSA_INSB_IlSD_SE_SE_EEEEZNS1_13binary_searchIS3_S5_NSA_INS8_10device_ptrIyEEEESG_SI_NS1_21upper_bound_search_opENS9_16wrapped_functionINS8_6system6detail7generic6detail18binary_search_lessEbEEEE10hipError_tPvRmT1_T2_T3_mmT4_T5_P12ihipStream_tbEUlRKyE_EESV_SZ_S10_mS11_S14_bEUlT_E_NS1_11comp_targetILNS1_3genE4ELNS1_11target_archE910ELNS1_3gpuE8ELNS1_3repE0EEENS1_30default_config_static_selectorELNS0_4arch9wavefront6targetE0EEEvSY_: ; @_ZN7rocprim17ROCPRIM_400000_NS6detail17trampoline_kernelINS0_14default_configENS1_27upper_bound_config_selectorIylEEZNS1_14transform_implILb0ES3_S5_N6thrust23THRUST_200600_302600_NS6detail15normal_iteratorINS8_7pointerIyNS8_11hip_rocprim5par_tENS8_11use_defaultESE_EEEENSA_INSB_IlSD_SE_SE_EEEEZNS1_13binary_searchIS3_S5_NSA_INS8_10device_ptrIyEEEESG_SI_NS1_21upper_bound_search_opENS9_16wrapped_functionINS8_6system6detail7generic6detail18binary_search_lessEbEEEE10hipError_tPvRmT1_T2_T3_mmT4_T5_P12ihipStream_tbEUlRKyE_EESV_SZ_S10_mS11_S14_bEUlT_E_NS1_11comp_targetILNS1_3genE4ELNS1_11target_archE910ELNS1_3gpuE8ELNS1_3repE0EEENS1_30default_config_static_selectorELNS0_4arch9wavefront6targetE0EEEvSY_
; %bb.0:
	.section	.rodata,"a",@progbits
	.p2align	6, 0x0
	.amdhsa_kernel _ZN7rocprim17ROCPRIM_400000_NS6detail17trampoline_kernelINS0_14default_configENS1_27upper_bound_config_selectorIylEEZNS1_14transform_implILb0ES3_S5_N6thrust23THRUST_200600_302600_NS6detail15normal_iteratorINS8_7pointerIyNS8_11hip_rocprim5par_tENS8_11use_defaultESE_EEEENSA_INSB_IlSD_SE_SE_EEEEZNS1_13binary_searchIS3_S5_NSA_INS8_10device_ptrIyEEEESG_SI_NS1_21upper_bound_search_opENS9_16wrapped_functionINS8_6system6detail7generic6detail18binary_search_lessEbEEEE10hipError_tPvRmT1_T2_T3_mmT4_T5_P12ihipStream_tbEUlRKyE_EESV_SZ_S10_mS11_S14_bEUlT_E_NS1_11comp_targetILNS1_3genE4ELNS1_11target_archE910ELNS1_3gpuE8ELNS1_3repE0EEENS1_30default_config_static_selectorELNS0_4arch9wavefront6targetE0EEEvSY_
		.amdhsa_group_segment_fixed_size 0
		.amdhsa_private_segment_fixed_size 0
		.amdhsa_kernarg_size 56
		.amdhsa_user_sgpr_count 6
		.amdhsa_user_sgpr_private_segment_buffer 1
		.amdhsa_user_sgpr_dispatch_ptr 0
		.amdhsa_user_sgpr_queue_ptr 0
		.amdhsa_user_sgpr_kernarg_segment_ptr 1
		.amdhsa_user_sgpr_dispatch_id 0
		.amdhsa_user_sgpr_flat_scratch_init 0
		.amdhsa_user_sgpr_private_segment_size 0
		.amdhsa_wavefront_size32 1
		.amdhsa_uses_dynamic_stack 0
		.amdhsa_system_sgpr_private_segment_wavefront_offset 0
		.amdhsa_system_sgpr_workgroup_id_x 1
		.amdhsa_system_sgpr_workgroup_id_y 0
		.amdhsa_system_sgpr_workgroup_id_z 0
		.amdhsa_system_sgpr_workgroup_info 0
		.amdhsa_system_vgpr_workitem_id 0
		.amdhsa_next_free_vgpr 1
		.amdhsa_next_free_sgpr 1
		.amdhsa_reserve_vcc 0
		.amdhsa_reserve_flat_scratch 0
		.amdhsa_float_round_mode_32 0
		.amdhsa_float_round_mode_16_64 0
		.amdhsa_float_denorm_mode_32 3
		.amdhsa_float_denorm_mode_16_64 3
		.amdhsa_dx10_clamp 1
		.amdhsa_ieee_mode 1
		.amdhsa_fp16_overflow 0
		.amdhsa_workgroup_processor_mode 1
		.amdhsa_memory_ordered 1
		.amdhsa_forward_progress 1
		.amdhsa_shared_vgpr_count 0
		.amdhsa_exception_fp_ieee_invalid_op 0
		.amdhsa_exception_fp_denorm_src 0
		.amdhsa_exception_fp_ieee_div_zero 0
		.amdhsa_exception_fp_ieee_overflow 0
		.amdhsa_exception_fp_ieee_underflow 0
		.amdhsa_exception_fp_ieee_inexact 0
		.amdhsa_exception_int_div_zero 0
	.end_amdhsa_kernel
	.section	.text._ZN7rocprim17ROCPRIM_400000_NS6detail17trampoline_kernelINS0_14default_configENS1_27upper_bound_config_selectorIylEEZNS1_14transform_implILb0ES3_S5_N6thrust23THRUST_200600_302600_NS6detail15normal_iteratorINS8_7pointerIyNS8_11hip_rocprim5par_tENS8_11use_defaultESE_EEEENSA_INSB_IlSD_SE_SE_EEEEZNS1_13binary_searchIS3_S5_NSA_INS8_10device_ptrIyEEEESG_SI_NS1_21upper_bound_search_opENS9_16wrapped_functionINS8_6system6detail7generic6detail18binary_search_lessEbEEEE10hipError_tPvRmT1_T2_T3_mmT4_T5_P12ihipStream_tbEUlRKyE_EESV_SZ_S10_mS11_S14_bEUlT_E_NS1_11comp_targetILNS1_3genE4ELNS1_11target_archE910ELNS1_3gpuE8ELNS1_3repE0EEENS1_30default_config_static_selectorELNS0_4arch9wavefront6targetE0EEEvSY_,"axG",@progbits,_ZN7rocprim17ROCPRIM_400000_NS6detail17trampoline_kernelINS0_14default_configENS1_27upper_bound_config_selectorIylEEZNS1_14transform_implILb0ES3_S5_N6thrust23THRUST_200600_302600_NS6detail15normal_iteratorINS8_7pointerIyNS8_11hip_rocprim5par_tENS8_11use_defaultESE_EEEENSA_INSB_IlSD_SE_SE_EEEEZNS1_13binary_searchIS3_S5_NSA_INS8_10device_ptrIyEEEESG_SI_NS1_21upper_bound_search_opENS9_16wrapped_functionINS8_6system6detail7generic6detail18binary_search_lessEbEEEE10hipError_tPvRmT1_T2_T3_mmT4_T5_P12ihipStream_tbEUlRKyE_EESV_SZ_S10_mS11_S14_bEUlT_E_NS1_11comp_targetILNS1_3genE4ELNS1_11target_archE910ELNS1_3gpuE8ELNS1_3repE0EEENS1_30default_config_static_selectorELNS0_4arch9wavefront6targetE0EEEvSY_,comdat
.Lfunc_end538:
	.size	_ZN7rocprim17ROCPRIM_400000_NS6detail17trampoline_kernelINS0_14default_configENS1_27upper_bound_config_selectorIylEEZNS1_14transform_implILb0ES3_S5_N6thrust23THRUST_200600_302600_NS6detail15normal_iteratorINS8_7pointerIyNS8_11hip_rocprim5par_tENS8_11use_defaultESE_EEEENSA_INSB_IlSD_SE_SE_EEEEZNS1_13binary_searchIS3_S5_NSA_INS8_10device_ptrIyEEEESG_SI_NS1_21upper_bound_search_opENS9_16wrapped_functionINS8_6system6detail7generic6detail18binary_search_lessEbEEEE10hipError_tPvRmT1_T2_T3_mmT4_T5_P12ihipStream_tbEUlRKyE_EESV_SZ_S10_mS11_S14_bEUlT_E_NS1_11comp_targetILNS1_3genE4ELNS1_11target_archE910ELNS1_3gpuE8ELNS1_3repE0EEENS1_30default_config_static_selectorELNS0_4arch9wavefront6targetE0EEEvSY_, .Lfunc_end538-_ZN7rocprim17ROCPRIM_400000_NS6detail17trampoline_kernelINS0_14default_configENS1_27upper_bound_config_selectorIylEEZNS1_14transform_implILb0ES3_S5_N6thrust23THRUST_200600_302600_NS6detail15normal_iteratorINS8_7pointerIyNS8_11hip_rocprim5par_tENS8_11use_defaultESE_EEEENSA_INSB_IlSD_SE_SE_EEEEZNS1_13binary_searchIS3_S5_NSA_INS8_10device_ptrIyEEEESG_SI_NS1_21upper_bound_search_opENS9_16wrapped_functionINS8_6system6detail7generic6detail18binary_search_lessEbEEEE10hipError_tPvRmT1_T2_T3_mmT4_T5_P12ihipStream_tbEUlRKyE_EESV_SZ_S10_mS11_S14_bEUlT_E_NS1_11comp_targetILNS1_3genE4ELNS1_11target_archE910ELNS1_3gpuE8ELNS1_3repE0EEENS1_30default_config_static_selectorELNS0_4arch9wavefront6targetE0EEEvSY_
                                        ; -- End function
	.set _ZN7rocprim17ROCPRIM_400000_NS6detail17trampoline_kernelINS0_14default_configENS1_27upper_bound_config_selectorIylEEZNS1_14transform_implILb0ES3_S5_N6thrust23THRUST_200600_302600_NS6detail15normal_iteratorINS8_7pointerIyNS8_11hip_rocprim5par_tENS8_11use_defaultESE_EEEENSA_INSB_IlSD_SE_SE_EEEEZNS1_13binary_searchIS3_S5_NSA_INS8_10device_ptrIyEEEESG_SI_NS1_21upper_bound_search_opENS9_16wrapped_functionINS8_6system6detail7generic6detail18binary_search_lessEbEEEE10hipError_tPvRmT1_T2_T3_mmT4_T5_P12ihipStream_tbEUlRKyE_EESV_SZ_S10_mS11_S14_bEUlT_E_NS1_11comp_targetILNS1_3genE4ELNS1_11target_archE910ELNS1_3gpuE8ELNS1_3repE0EEENS1_30default_config_static_selectorELNS0_4arch9wavefront6targetE0EEEvSY_.num_vgpr, 0
	.set _ZN7rocprim17ROCPRIM_400000_NS6detail17trampoline_kernelINS0_14default_configENS1_27upper_bound_config_selectorIylEEZNS1_14transform_implILb0ES3_S5_N6thrust23THRUST_200600_302600_NS6detail15normal_iteratorINS8_7pointerIyNS8_11hip_rocprim5par_tENS8_11use_defaultESE_EEEENSA_INSB_IlSD_SE_SE_EEEEZNS1_13binary_searchIS3_S5_NSA_INS8_10device_ptrIyEEEESG_SI_NS1_21upper_bound_search_opENS9_16wrapped_functionINS8_6system6detail7generic6detail18binary_search_lessEbEEEE10hipError_tPvRmT1_T2_T3_mmT4_T5_P12ihipStream_tbEUlRKyE_EESV_SZ_S10_mS11_S14_bEUlT_E_NS1_11comp_targetILNS1_3genE4ELNS1_11target_archE910ELNS1_3gpuE8ELNS1_3repE0EEENS1_30default_config_static_selectorELNS0_4arch9wavefront6targetE0EEEvSY_.num_agpr, 0
	.set _ZN7rocprim17ROCPRIM_400000_NS6detail17trampoline_kernelINS0_14default_configENS1_27upper_bound_config_selectorIylEEZNS1_14transform_implILb0ES3_S5_N6thrust23THRUST_200600_302600_NS6detail15normal_iteratorINS8_7pointerIyNS8_11hip_rocprim5par_tENS8_11use_defaultESE_EEEENSA_INSB_IlSD_SE_SE_EEEEZNS1_13binary_searchIS3_S5_NSA_INS8_10device_ptrIyEEEESG_SI_NS1_21upper_bound_search_opENS9_16wrapped_functionINS8_6system6detail7generic6detail18binary_search_lessEbEEEE10hipError_tPvRmT1_T2_T3_mmT4_T5_P12ihipStream_tbEUlRKyE_EESV_SZ_S10_mS11_S14_bEUlT_E_NS1_11comp_targetILNS1_3genE4ELNS1_11target_archE910ELNS1_3gpuE8ELNS1_3repE0EEENS1_30default_config_static_selectorELNS0_4arch9wavefront6targetE0EEEvSY_.numbered_sgpr, 0
	.set _ZN7rocprim17ROCPRIM_400000_NS6detail17trampoline_kernelINS0_14default_configENS1_27upper_bound_config_selectorIylEEZNS1_14transform_implILb0ES3_S5_N6thrust23THRUST_200600_302600_NS6detail15normal_iteratorINS8_7pointerIyNS8_11hip_rocprim5par_tENS8_11use_defaultESE_EEEENSA_INSB_IlSD_SE_SE_EEEEZNS1_13binary_searchIS3_S5_NSA_INS8_10device_ptrIyEEEESG_SI_NS1_21upper_bound_search_opENS9_16wrapped_functionINS8_6system6detail7generic6detail18binary_search_lessEbEEEE10hipError_tPvRmT1_T2_T3_mmT4_T5_P12ihipStream_tbEUlRKyE_EESV_SZ_S10_mS11_S14_bEUlT_E_NS1_11comp_targetILNS1_3genE4ELNS1_11target_archE910ELNS1_3gpuE8ELNS1_3repE0EEENS1_30default_config_static_selectorELNS0_4arch9wavefront6targetE0EEEvSY_.num_named_barrier, 0
	.set _ZN7rocprim17ROCPRIM_400000_NS6detail17trampoline_kernelINS0_14default_configENS1_27upper_bound_config_selectorIylEEZNS1_14transform_implILb0ES3_S5_N6thrust23THRUST_200600_302600_NS6detail15normal_iteratorINS8_7pointerIyNS8_11hip_rocprim5par_tENS8_11use_defaultESE_EEEENSA_INSB_IlSD_SE_SE_EEEEZNS1_13binary_searchIS3_S5_NSA_INS8_10device_ptrIyEEEESG_SI_NS1_21upper_bound_search_opENS9_16wrapped_functionINS8_6system6detail7generic6detail18binary_search_lessEbEEEE10hipError_tPvRmT1_T2_T3_mmT4_T5_P12ihipStream_tbEUlRKyE_EESV_SZ_S10_mS11_S14_bEUlT_E_NS1_11comp_targetILNS1_3genE4ELNS1_11target_archE910ELNS1_3gpuE8ELNS1_3repE0EEENS1_30default_config_static_selectorELNS0_4arch9wavefront6targetE0EEEvSY_.private_seg_size, 0
	.set _ZN7rocprim17ROCPRIM_400000_NS6detail17trampoline_kernelINS0_14default_configENS1_27upper_bound_config_selectorIylEEZNS1_14transform_implILb0ES3_S5_N6thrust23THRUST_200600_302600_NS6detail15normal_iteratorINS8_7pointerIyNS8_11hip_rocprim5par_tENS8_11use_defaultESE_EEEENSA_INSB_IlSD_SE_SE_EEEEZNS1_13binary_searchIS3_S5_NSA_INS8_10device_ptrIyEEEESG_SI_NS1_21upper_bound_search_opENS9_16wrapped_functionINS8_6system6detail7generic6detail18binary_search_lessEbEEEE10hipError_tPvRmT1_T2_T3_mmT4_T5_P12ihipStream_tbEUlRKyE_EESV_SZ_S10_mS11_S14_bEUlT_E_NS1_11comp_targetILNS1_3genE4ELNS1_11target_archE910ELNS1_3gpuE8ELNS1_3repE0EEENS1_30default_config_static_selectorELNS0_4arch9wavefront6targetE0EEEvSY_.uses_vcc, 0
	.set _ZN7rocprim17ROCPRIM_400000_NS6detail17trampoline_kernelINS0_14default_configENS1_27upper_bound_config_selectorIylEEZNS1_14transform_implILb0ES3_S5_N6thrust23THRUST_200600_302600_NS6detail15normal_iteratorINS8_7pointerIyNS8_11hip_rocprim5par_tENS8_11use_defaultESE_EEEENSA_INSB_IlSD_SE_SE_EEEEZNS1_13binary_searchIS3_S5_NSA_INS8_10device_ptrIyEEEESG_SI_NS1_21upper_bound_search_opENS9_16wrapped_functionINS8_6system6detail7generic6detail18binary_search_lessEbEEEE10hipError_tPvRmT1_T2_T3_mmT4_T5_P12ihipStream_tbEUlRKyE_EESV_SZ_S10_mS11_S14_bEUlT_E_NS1_11comp_targetILNS1_3genE4ELNS1_11target_archE910ELNS1_3gpuE8ELNS1_3repE0EEENS1_30default_config_static_selectorELNS0_4arch9wavefront6targetE0EEEvSY_.uses_flat_scratch, 0
	.set _ZN7rocprim17ROCPRIM_400000_NS6detail17trampoline_kernelINS0_14default_configENS1_27upper_bound_config_selectorIylEEZNS1_14transform_implILb0ES3_S5_N6thrust23THRUST_200600_302600_NS6detail15normal_iteratorINS8_7pointerIyNS8_11hip_rocprim5par_tENS8_11use_defaultESE_EEEENSA_INSB_IlSD_SE_SE_EEEEZNS1_13binary_searchIS3_S5_NSA_INS8_10device_ptrIyEEEESG_SI_NS1_21upper_bound_search_opENS9_16wrapped_functionINS8_6system6detail7generic6detail18binary_search_lessEbEEEE10hipError_tPvRmT1_T2_T3_mmT4_T5_P12ihipStream_tbEUlRKyE_EESV_SZ_S10_mS11_S14_bEUlT_E_NS1_11comp_targetILNS1_3genE4ELNS1_11target_archE910ELNS1_3gpuE8ELNS1_3repE0EEENS1_30default_config_static_selectorELNS0_4arch9wavefront6targetE0EEEvSY_.has_dyn_sized_stack, 0
	.set _ZN7rocprim17ROCPRIM_400000_NS6detail17trampoline_kernelINS0_14default_configENS1_27upper_bound_config_selectorIylEEZNS1_14transform_implILb0ES3_S5_N6thrust23THRUST_200600_302600_NS6detail15normal_iteratorINS8_7pointerIyNS8_11hip_rocprim5par_tENS8_11use_defaultESE_EEEENSA_INSB_IlSD_SE_SE_EEEEZNS1_13binary_searchIS3_S5_NSA_INS8_10device_ptrIyEEEESG_SI_NS1_21upper_bound_search_opENS9_16wrapped_functionINS8_6system6detail7generic6detail18binary_search_lessEbEEEE10hipError_tPvRmT1_T2_T3_mmT4_T5_P12ihipStream_tbEUlRKyE_EESV_SZ_S10_mS11_S14_bEUlT_E_NS1_11comp_targetILNS1_3genE4ELNS1_11target_archE910ELNS1_3gpuE8ELNS1_3repE0EEENS1_30default_config_static_selectorELNS0_4arch9wavefront6targetE0EEEvSY_.has_recursion, 0
	.set _ZN7rocprim17ROCPRIM_400000_NS6detail17trampoline_kernelINS0_14default_configENS1_27upper_bound_config_selectorIylEEZNS1_14transform_implILb0ES3_S5_N6thrust23THRUST_200600_302600_NS6detail15normal_iteratorINS8_7pointerIyNS8_11hip_rocprim5par_tENS8_11use_defaultESE_EEEENSA_INSB_IlSD_SE_SE_EEEEZNS1_13binary_searchIS3_S5_NSA_INS8_10device_ptrIyEEEESG_SI_NS1_21upper_bound_search_opENS9_16wrapped_functionINS8_6system6detail7generic6detail18binary_search_lessEbEEEE10hipError_tPvRmT1_T2_T3_mmT4_T5_P12ihipStream_tbEUlRKyE_EESV_SZ_S10_mS11_S14_bEUlT_E_NS1_11comp_targetILNS1_3genE4ELNS1_11target_archE910ELNS1_3gpuE8ELNS1_3repE0EEENS1_30default_config_static_selectorELNS0_4arch9wavefront6targetE0EEEvSY_.has_indirect_call, 0
	.section	.AMDGPU.csdata,"",@progbits
; Kernel info:
; codeLenInByte = 0
; TotalNumSgprs: 0
; NumVgprs: 0
; ScratchSize: 0
; MemoryBound: 0
; FloatMode: 240
; IeeeMode: 1
; LDSByteSize: 0 bytes/workgroup (compile time only)
; SGPRBlocks: 0
; VGPRBlocks: 0
; NumSGPRsForWavesPerEU: 1
; NumVGPRsForWavesPerEU: 1
; Occupancy: 16
; WaveLimiterHint : 0
; COMPUTE_PGM_RSRC2:SCRATCH_EN: 0
; COMPUTE_PGM_RSRC2:USER_SGPR: 6
; COMPUTE_PGM_RSRC2:TRAP_HANDLER: 0
; COMPUTE_PGM_RSRC2:TGID_X_EN: 1
; COMPUTE_PGM_RSRC2:TGID_Y_EN: 0
; COMPUTE_PGM_RSRC2:TGID_Z_EN: 0
; COMPUTE_PGM_RSRC2:TIDIG_COMP_CNT: 0
	.section	.text._ZN7rocprim17ROCPRIM_400000_NS6detail17trampoline_kernelINS0_14default_configENS1_27upper_bound_config_selectorIylEEZNS1_14transform_implILb0ES3_S5_N6thrust23THRUST_200600_302600_NS6detail15normal_iteratorINS8_7pointerIyNS8_11hip_rocprim5par_tENS8_11use_defaultESE_EEEENSA_INSB_IlSD_SE_SE_EEEEZNS1_13binary_searchIS3_S5_NSA_INS8_10device_ptrIyEEEESG_SI_NS1_21upper_bound_search_opENS9_16wrapped_functionINS8_6system6detail7generic6detail18binary_search_lessEbEEEE10hipError_tPvRmT1_T2_T3_mmT4_T5_P12ihipStream_tbEUlRKyE_EESV_SZ_S10_mS11_S14_bEUlT_E_NS1_11comp_targetILNS1_3genE3ELNS1_11target_archE908ELNS1_3gpuE7ELNS1_3repE0EEENS1_30default_config_static_selectorELNS0_4arch9wavefront6targetE0EEEvSY_,"axG",@progbits,_ZN7rocprim17ROCPRIM_400000_NS6detail17trampoline_kernelINS0_14default_configENS1_27upper_bound_config_selectorIylEEZNS1_14transform_implILb0ES3_S5_N6thrust23THRUST_200600_302600_NS6detail15normal_iteratorINS8_7pointerIyNS8_11hip_rocprim5par_tENS8_11use_defaultESE_EEEENSA_INSB_IlSD_SE_SE_EEEEZNS1_13binary_searchIS3_S5_NSA_INS8_10device_ptrIyEEEESG_SI_NS1_21upper_bound_search_opENS9_16wrapped_functionINS8_6system6detail7generic6detail18binary_search_lessEbEEEE10hipError_tPvRmT1_T2_T3_mmT4_T5_P12ihipStream_tbEUlRKyE_EESV_SZ_S10_mS11_S14_bEUlT_E_NS1_11comp_targetILNS1_3genE3ELNS1_11target_archE908ELNS1_3gpuE7ELNS1_3repE0EEENS1_30default_config_static_selectorELNS0_4arch9wavefront6targetE0EEEvSY_,comdat
	.protected	_ZN7rocprim17ROCPRIM_400000_NS6detail17trampoline_kernelINS0_14default_configENS1_27upper_bound_config_selectorIylEEZNS1_14transform_implILb0ES3_S5_N6thrust23THRUST_200600_302600_NS6detail15normal_iteratorINS8_7pointerIyNS8_11hip_rocprim5par_tENS8_11use_defaultESE_EEEENSA_INSB_IlSD_SE_SE_EEEEZNS1_13binary_searchIS3_S5_NSA_INS8_10device_ptrIyEEEESG_SI_NS1_21upper_bound_search_opENS9_16wrapped_functionINS8_6system6detail7generic6detail18binary_search_lessEbEEEE10hipError_tPvRmT1_T2_T3_mmT4_T5_P12ihipStream_tbEUlRKyE_EESV_SZ_S10_mS11_S14_bEUlT_E_NS1_11comp_targetILNS1_3genE3ELNS1_11target_archE908ELNS1_3gpuE7ELNS1_3repE0EEENS1_30default_config_static_selectorELNS0_4arch9wavefront6targetE0EEEvSY_ ; -- Begin function _ZN7rocprim17ROCPRIM_400000_NS6detail17trampoline_kernelINS0_14default_configENS1_27upper_bound_config_selectorIylEEZNS1_14transform_implILb0ES3_S5_N6thrust23THRUST_200600_302600_NS6detail15normal_iteratorINS8_7pointerIyNS8_11hip_rocprim5par_tENS8_11use_defaultESE_EEEENSA_INSB_IlSD_SE_SE_EEEEZNS1_13binary_searchIS3_S5_NSA_INS8_10device_ptrIyEEEESG_SI_NS1_21upper_bound_search_opENS9_16wrapped_functionINS8_6system6detail7generic6detail18binary_search_lessEbEEEE10hipError_tPvRmT1_T2_T3_mmT4_T5_P12ihipStream_tbEUlRKyE_EESV_SZ_S10_mS11_S14_bEUlT_E_NS1_11comp_targetILNS1_3genE3ELNS1_11target_archE908ELNS1_3gpuE7ELNS1_3repE0EEENS1_30default_config_static_selectorELNS0_4arch9wavefront6targetE0EEEvSY_
	.globl	_ZN7rocprim17ROCPRIM_400000_NS6detail17trampoline_kernelINS0_14default_configENS1_27upper_bound_config_selectorIylEEZNS1_14transform_implILb0ES3_S5_N6thrust23THRUST_200600_302600_NS6detail15normal_iteratorINS8_7pointerIyNS8_11hip_rocprim5par_tENS8_11use_defaultESE_EEEENSA_INSB_IlSD_SE_SE_EEEEZNS1_13binary_searchIS3_S5_NSA_INS8_10device_ptrIyEEEESG_SI_NS1_21upper_bound_search_opENS9_16wrapped_functionINS8_6system6detail7generic6detail18binary_search_lessEbEEEE10hipError_tPvRmT1_T2_T3_mmT4_T5_P12ihipStream_tbEUlRKyE_EESV_SZ_S10_mS11_S14_bEUlT_E_NS1_11comp_targetILNS1_3genE3ELNS1_11target_archE908ELNS1_3gpuE7ELNS1_3repE0EEENS1_30default_config_static_selectorELNS0_4arch9wavefront6targetE0EEEvSY_
	.p2align	8
	.type	_ZN7rocprim17ROCPRIM_400000_NS6detail17trampoline_kernelINS0_14default_configENS1_27upper_bound_config_selectorIylEEZNS1_14transform_implILb0ES3_S5_N6thrust23THRUST_200600_302600_NS6detail15normal_iteratorINS8_7pointerIyNS8_11hip_rocprim5par_tENS8_11use_defaultESE_EEEENSA_INSB_IlSD_SE_SE_EEEEZNS1_13binary_searchIS3_S5_NSA_INS8_10device_ptrIyEEEESG_SI_NS1_21upper_bound_search_opENS9_16wrapped_functionINS8_6system6detail7generic6detail18binary_search_lessEbEEEE10hipError_tPvRmT1_T2_T3_mmT4_T5_P12ihipStream_tbEUlRKyE_EESV_SZ_S10_mS11_S14_bEUlT_E_NS1_11comp_targetILNS1_3genE3ELNS1_11target_archE908ELNS1_3gpuE7ELNS1_3repE0EEENS1_30default_config_static_selectorELNS0_4arch9wavefront6targetE0EEEvSY_,@function
_ZN7rocprim17ROCPRIM_400000_NS6detail17trampoline_kernelINS0_14default_configENS1_27upper_bound_config_selectorIylEEZNS1_14transform_implILb0ES3_S5_N6thrust23THRUST_200600_302600_NS6detail15normal_iteratorINS8_7pointerIyNS8_11hip_rocprim5par_tENS8_11use_defaultESE_EEEENSA_INSB_IlSD_SE_SE_EEEEZNS1_13binary_searchIS3_S5_NSA_INS8_10device_ptrIyEEEESG_SI_NS1_21upper_bound_search_opENS9_16wrapped_functionINS8_6system6detail7generic6detail18binary_search_lessEbEEEE10hipError_tPvRmT1_T2_T3_mmT4_T5_P12ihipStream_tbEUlRKyE_EESV_SZ_S10_mS11_S14_bEUlT_E_NS1_11comp_targetILNS1_3genE3ELNS1_11target_archE908ELNS1_3gpuE7ELNS1_3repE0EEENS1_30default_config_static_selectorELNS0_4arch9wavefront6targetE0EEEvSY_: ; @_ZN7rocprim17ROCPRIM_400000_NS6detail17trampoline_kernelINS0_14default_configENS1_27upper_bound_config_selectorIylEEZNS1_14transform_implILb0ES3_S5_N6thrust23THRUST_200600_302600_NS6detail15normal_iteratorINS8_7pointerIyNS8_11hip_rocprim5par_tENS8_11use_defaultESE_EEEENSA_INSB_IlSD_SE_SE_EEEEZNS1_13binary_searchIS3_S5_NSA_INS8_10device_ptrIyEEEESG_SI_NS1_21upper_bound_search_opENS9_16wrapped_functionINS8_6system6detail7generic6detail18binary_search_lessEbEEEE10hipError_tPvRmT1_T2_T3_mmT4_T5_P12ihipStream_tbEUlRKyE_EESV_SZ_S10_mS11_S14_bEUlT_E_NS1_11comp_targetILNS1_3genE3ELNS1_11target_archE908ELNS1_3gpuE7ELNS1_3repE0EEENS1_30default_config_static_selectorELNS0_4arch9wavefront6targetE0EEEvSY_
; %bb.0:
	.section	.rodata,"a",@progbits
	.p2align	6, 0x0
	.amdhsa_kernel _ZN7rocprim17ROCPRIM_400000_NS6detail17trampoline_kernelINS0_14default_configENS1_27upper_bound_config_selectorIylEEZNS1_14transform_implILb0ES3_S5_N6thrust23THRUST_200600_302600_NS6detail15normal_iteratorINS8_7pointerIyNS8_11hip_rocprim5par_tENS8_11use_defaultESE_EEEENSA_INSB_IlSD_SE_SE_EEEEZNS1_13binary_searchIS3_S5_NSA_INS8_10device_ptrIyEEEESG_SI_NS1_21upper_bound_search_opENS9_16wrapped_functionINS8_6system6detail7generic6detail18binary_search_lessEbEEEE10hipError_tPvRmT1_T2_T3_mmT4_T5_P12ihipStream_tbEUlRKyE_EESV_SZ_S10_mS11_S14_bEUlT_E_NS1_11comp_targetILNS1_3genE3ELNS1_11target_archE908ELNS1_3gpuE7ELNS1_3repE0EEENS1_30default_config_static_selectorELNS0_4arch9wavefront6targetE0EEEvSY_
		.amdhsa_group_segment_fixed_size 0
		.amdhsa_private_segment_fixed_size 0
		.amdhsa_kernarg_size 56
		.amdhsa_user_sgpr_count 6
		.amdhsa_user_sgpr_private_segment_buffer 1
		.amdhsa_user_sgpr_dispatch_ptr 0
		.amdhsa_user_sgpr_queue_ptr 0
		.amdhsa_user_sgpr_kernarg_segment_ptr 1
		.amdhsa_user_sgpr_dispatch_id 0
		.amdhsa_user_sgpr_flat_scratch_init 0
		.amdhsa_user_sgpr_private_segment_size 0
		.amdhsa_wavefront_size32 1
		.amdhsa_uses_dynamic_stack 0
		.amdhsa_system_sgpr_private_segment_wavefront_offset 0
		.amdhsa_system_sgpr_workgroup_id_x 1
		.amdhsa_system_sgpr_workgroup_id_y 0
		.amdhsa_system_sgpr_workgroup_id_z 0
		.amdhsa_system_sgpr_workgroup_info 0
		.amdhsa_system_vgpr_workitem_id 0
		.amdhsa_next_free_vgpr 1
		.amdhsa_next_free_sgpr 1
		.amdhsa_reserve_vcc 0
		.amdhsa_reserve_flat_scratch 0
		.amdhsa_float_round_mode_32 0
		.amdhsa_float_round_mode_16_64 0
		.amdhsa_float_denorm_mode_32 3
		.amdhsa_float_denorm_mode_16_64 3
		.amdhsa_dx10_clamp 1
		.amdhsa_ieee_mode 1
		.amdhsa_fp16_overflow 0
		.amdhsa_workgroup_processor_mode 1
		.amdhsa_memory_ordered 1
		.amdhsa_forward_progress 1
		.amdhsa_shared_vgpr_count 0
		.amdhsa_exception_fp_ieee_invalid_op 0
		.amdhsa_exception_fp_denorm_src 0
		.amdhsa_exception_fp_ieee_div_zero 0
		.amdhsa_exception_fp_ieee_overflow 0
		.amdhsa_exception_fp_ieee_underflow 0
		.amdhsa_exception_fp_ieee_inexact 0
		.amdhsa_exception_int_div_zero 0
	.end_amdhsa_kernel
	.section	.text._ZN7rocprim17ROCPRIM_400000_NS6detail17trampoline_kernelINS0_14default_configENS1_27upper_bound_config_selectorIylEEZNS1_14transform_implILb0ES3_S5_N6thrust23THRUST_200600_302600_NS6detail15normal_iteratorINS8_7pointerIyNS8_11hip_rocprim5par_tENS8_11use_defaultESE_EEEENSA_INSB_IlSD_SE_SE_EEEEZNS1_13binary_searchIS3_S5_NSA_INS8_10device_ptrIyEEEESG_SI_NS1_21upper_bound_search_opENS9_16wrapped_functionINS8_6system6detail7generic6detail18binary_search_lessEbEEEE10hipError_tPvRmT1_T2_T3_mmT4_T5_P12ihipStream_tbEUlRKyE_EESV_SZ_S10_mS11_S14_bEUlT_E_NS1_11comp_targetILNS1_3genE3ELNS1_11target_archE908ELNS1_3gpuE7ELNS1_3repE0EEENS1_30default_config_static_selectorELNS0_4arch9wavefront6targetE0EEEvSY_,"axG",@progbits,_ZN7rocprim17ROCPRIM_400000_NS6detail17trampoline_kernelINS0_14default_configENS1_27upper_bound_config_selectorIylEEZNS1_14transform_implILb0ES3_S5_N6thrust23THRUST_200600_302600_NS6detail15normal_iteratorINS8_7pointerIyNS8_11hip_rocprim5par_tENS8_11use_defaultESE_EEEENSA_INSB_IlSD_SE_SE_EEEEZNS1_13binary_searchIS3_S5_NSA_INS8_10device_ptrIyEEEESG_SI_NS1_21upper_bound_search_opENS9_16wrapped_functionINS8_6system6detail7generic6detail18binary_search_lessEbEEEE10hipError_tPvRmT1_T2_T3_mmT4_T5_P12ihipStream_tbEUlRKyE_EESV_SZ_S10_mS11_S14_bEUlT_E_NS1_11comp_targetILNS1_3genE3ELNS1_11target_archE908ELNS1_3gpuE7ELNS1_3repE0EEENS1_30default_config_static_selectorELNS0_4arch9wavefront6targetE0EEEvSY_,comdat
.Lfunc_end539:
	.size	_ZN7rocprim17ROCPRIM_400000_NS6detail17trampoline_kernelINS0_14default_configENS1_27upper_bound_config_selectorIylEEZNS1_14transform_implILb0ES3_S5_N6thrust23THRUST_200600_302600_NS6detail15normal_iteratorINS8_7pointerIyNS8_11hip_rocprim5par_tENS8_11use_defaultESE_EEEENSA_INSB_IlSD_SE_SE_EEEEZNS1_13binary_searchIS3_S5_NSA_INS8_10device_ptrIyEEEESG_SI_NS1_21upper_bound_search_opENS9_16wrapped_functionINS8_6system6detail7generic6detail18binary_search_lessEbEEEE10hipError_tPvRmT1_T2_T3_mmT4_T5_P12ihipStream_tbEUlRKyE_EESV_SZ_S10_mS11_S14_bEUlT_E_NS1_11comp_targetILNS1_3genE3ELNS1_11target_archE908ELNS1_3gpuE7ELNS1_3repE0EEENS1_30default_config_static_selectorELNS0_4arch9wavefront6targetE0EEEvSY_, .Lfunc_end539-_ZN7rocprim17ROCPRIM_400000_NS6detail17trampoline_kernelINS0_14default_configENS1_27upper_bound_config_selectorIylEEZNS1_14transform_implILb0ES3_S5_N6thrust23THRUST_200600_302600_NS6detail15normal_iteratorINS8_7pointerIyNS8_11hip_rocprim5par_tENS8_11use_defaultESE_EEEENSA_INSB_IlSD_SE_SE_EEEEZNS1_13binary_searchIS3_S5_NSA_INS8_10device_ptrIyEEEESG_SI_NS1_21upper_bound_search_opENS9_16wrapped_functionINS8_6system6detail7generic6detail18binary_search_lessEbEEEE10hipError_tPvRmT1_T2_T3_mmT4_T5_P12ihipStream_tbEUlRKyE_EESV_SZ_S10_mS11_S14_bEUlT_E_NS1_11comp_targetILNS1_3genE3ELNS1_11target_archE908ELNS1_3gpuE7ELNS1_3repE0EEENS1_30default_config_static_selectorELNS0_4arch9wavefront6targetE0EEEvSY_
                                        ; -- End function
	.set _ZN7rocprim17ROCPRIM_400000_NS6detail17trampoline_kernelINS0_14default_configENS1_27upper_bound_config_selectorIylEEZNS1_14transform_implILb0ES3_S5_N6thrust23THRUST_200600_302600_NS6detail15normal_iteratorINS8_7pointerIyNS8_11hip_rocprim5par_tENS8_11use_defaultESE_EEEENSA_INSB_IlSD_SE_SE_EEEEZNS1_13binary_searchIS3_S5_NSA_INS8_10device_ptrIyEEEESG_SI_NS1_21upper_bound_search_opENS9_16wrapped_functionINS8_6system6detail7generic6detail18binary_search_lessEbEEEE10hipError_tPvRmT1_T2_T3_mmT4_T5_P12ihipStream_tbEUlRKyE_EESV_SZ_S10_mS11_S14_bEUlT_E_NS1_11comp_targetILNS1_3genE3ELNS1_11target_archE908ELNS1_3gpuE7ELNS1_3repE0EEENS1_30default_config_static_selectorELNS0_4arch9wavefront6targetE0EEEvSY_.num_vgpr, 0
	.set _ZN7rocprim17ROCPRIM_400000_NS6detail17trampoline_kernelINS0_14default_configENS1_27upper_bound_config_selectorIylEEZNS1_14transform_implILb0ES3_S5_N6thrust23THRUST_200600_302600_NS6detail15normal_iteratorINS8_7pointerIyNS8_11hip_rocprim5par_tENS8_11use_defaultESE_EEEENSA_INSB_IlSD_SE_SE_EEEEZNS1_13binary_searchIS3_S5_NSA_INS8_10device_ptrIyEEEESG_SI_NS1_21upper_bound_search_opENS9_16wrapped_functionINS8_6system6detail7generic6detail18binary_search_lessEbEEEE10hipError_tPvRmT1_T2_T3_mmT4_T5_P12ihipStream_tbEUlRKyE_EESV_SZ_S10_mS11_S14_bEUlT_E_NS1_11comp_targetILNS1_3genE3ELNS1_11target_archE908ELNS1_3gpuE7ELNS1_3repE0EEENS1_30default_config_static_selectorELNS0_4arch9wavefront6targetE0EEEvSY_.num_agpr, 0
	.set _ZN7rocprim17ROCPRIM_400000_NS6detail17trampoline_kernelINS0_14default_configENS1_27upper_bound_config_selectorIylEEZNS1_14transform_implILb0ES3_S5_N6thrust23THRUST_200600_302600_NS6detail15normal_iteratorINS8_7pointerIyNS8_11hip_rocprim5par_tENS8_11use_defaultESE_EEEENSA_INSB_IlSD_SE_SE_EEEEZNS1_13binary_searchIS3_S5_NSA_INS8_10device_ptrIyEEEESG_SI_NS1_21upper_bound_search_opENS9_16wrapped_functionINS8_6system6detail7generic6detail18binary_search_lessEbEEEE10hipError_tPvRmT1_T2_T3_mmT4_T5_P12ihipStream_tbEUlRKyE_EESV_SZ_S10_mS11_S14_bEUlT_E_NS1_11comp_targetILNS1_3genE3ELNS1_11target_archE908ELNS1_3gpuE7ELNS1_3repE0EEENS1_30default_config_static_selectorELNS0_4arch9wavefront6targetE0EEEvSY_.numbered_sgpr, 0
	.set _ZN7rocprim17ROCPRIM_400000_NS6detail17trampoline_kernelINS0_14default_configENS1_27upper_bound_config_selectorIylEEZNS1_14transform_implILb0ES3_S5_N6thrust23THRUST_200600_302600_NS6detail15normal_iteratorINS8_7pointerIyNS8_11hip_rocprim5par_tENS8_11use_defaultESE_EEEENSA_INSB_IlSD_SE_SE_EEEEZNS1_13binary_searchIS3_S5_NSA_INS8_10device_ptrIyEEEESG_SI_NS1_21upper_bound_search_opENS9_16wrapped_functionINS8_6system6detail7generic6detail18binary_search_lessEbEEEE10hipError_tPvRmT1_T2_T3_mmT4_T5_P12ihipStream_tbEUlRKyE_EESV_SZ_S10_mS11_S14_bEUlT_E_NS1_11comp_targetILNS1_3genE3ELNS1_11target_archE908ELNS1_3gpuE7ELNS1_3repE0EEENS1_30default_config_static_selectorELNS0_4arch9wavefront6targetE0EEEvSY_.num_named_barrier, 0
	.set _ZN7rocprim17ROCPRIM_400000_NS6detail17trampoline_kernelINS0_14default_configENS1_27upper_bound_config_selectorIylEEZNS1_14transform_implILb0ES3_S5_N6thrust23THRUST_200600_302600_NS6detail15normal_iteratorINS8_7pointerIyNS8_11hip_rocprim5par_tENS8_11use_defaultESE_EEEENSA_INSB_IlSD_SE_SE_EEEEZNS1_13binary_searchIS3_S5_NSA_INS8_10device_ptrIyEEEESG_SI_NS1_21upper_bound_search_opENS9_16wrapped_functionINS8_6system6detail7generic6detail18binary_search_lessEbEEEE10hipError_tPvRmT1_T2_T3_mmT4_T5_P12ihipStream_tbEUlRKyE_EESV_SZ_S10_mS11_S14_bEUlT_E_NS1_11comp_targetILNS1_3genE3ELNS1_11target_archE908ELNS1_3gpuE7ELNS1_3repE0EEENS1_30default_config_static_selectorELNS0_4arch9wavefront6targetE0EEEvSY_.private_seg_size, 0
	.set _ZN7rocprim17ROCPRIM_400000_NS6detail17trampoline_kernelINS0_14default_configENS1_27upper_bound_config_selectorIylEEZNS1_14transform_implILb0ES3_S5_N6thrust23THRUST_200600_302600_NS6detail15normal_iteratorINS8_7pointerIyNS8_11hip_rocprim5par_tENS8_11use_defaultESE_EEEENSA_INSB_IlSD_SE_SE_EEEEZNS1_13binary_searchIS3_S5_NSA_INS8_10device_ptrIyEEEESG_SI_NS1_21upper_bound_search_opENS9_16wrapped_functionINS8_6system6detail7generic6detail18binary_search_lessEbEEEE10hipError_tPvRmT1_T2_T3_mmT4_T5_P12ihipStream_tbEUlRKyE_EESV_SZ_S10_mS11_S14_bEUlT_E_NS1_11comp_targetILNS1_3genE3ELNS1_11target_archE908ELNS1_3gpuE7ELNS1_3repE0EEENS1_30default_config_static_selectorELNS0_4arch9wavefront6targetE0EEEvSY_.uses_vcc, 0
	.set _ZN7rocprim17ROCPRIM_400000_NS6detail17trampoline_kernelINS0_14default_configENS1_27upper_bound_config_selectorIylEEZNS1_14transform_implILb0ES3_S5_N6thrust23THRUST_200600_302600_NS6detail15normal_iteratorINS8_7pointerIyNS8_11hip_rocprim5par_tENS8_11use_defaultESE_EEEENSA_INSB_IlSD_SE_SE_EEEEZNS1_13binary_searchIS3_S5_NSA_INS8_10device_ptrIyEEEESG_SI_NS1_21upper_bound_search_opENS9_16wrapped_functionINS8_6system6detail7generic6detail18binary_search_lessEbEEEE10hipError_tPvRmT1_T2_T3_mmT4_T5_P12ihipStream_tbEUlRKyE_EESV_SZ_S10_mS11_S14_bEUlT_E_NS1_11comp_targetILNS1_3genE3ELNS1_11target_archE908ELNS1_3gpuE7ELNS1_3repE0EEENS1_30default_config_static_selectorELNS0_4arch9wavefront6targetE0EEEvSY_.uses_flat_scratch, 0
	.set _ZN7rocprim17ROCPRIM_400000_NS6detail17trampoline_kernelINS0_14default_configENS1_27upper_bound_config_selectorIylEEZNS1_14transform_implILb0ES3_S5_N6thrust23THRUST_200600_302600_NS6detail15normal_iteratorINS8_7pointerIyNS8_11hip_rocprim5par_tENS8_11use_defaultESE_EEEENSA_INSB_IlSD_SE_SE_EEEEZNS1_13binary_searchIS3_S5_NSA_INS8_10device_ptrIyEEEESG_SI_NS1_21upper_bound_search_opENS9_16wrapped_functionINS8_6system6detail7generic6detail18binary_search_lessEbEEEE10hipError_tPvRmT1_T2_T3_mmT4_T5_P12ihipStream_tbEUlRKyE_EESV_SZ_S10_mS11_S14_bEUlT_E_NS1_11comp_targetILNS1_3genE3ELNS1_11target_archE908ELNS1_3gpuE7ELNS1_3repE0EEENS1_30default_config_static_selectorELNS0_4arch9wavefront6targetE0EEEvSY_.has_dyn_sized_stack, 0
	.set _ZN7rocprim17ROCPRIM_400000_NS6detail17trampoline_kernelINS0_14default_configENS1_27upper_bound_config_selectorIylEEZNS1_14transform_implILb0ES3_S5_N6thrust23THRUST_200600_302600_NS6detail15normal_iteratorINS8_7pointerIyNS8_11hip_rocprim5par_tENS8_11use_defaultESE_EEEENSA_INSB_IlSD_SE_SE_EEEEZNS1_13binary_searchIS3_S5_NSA_INS8_10device_ptrIyEEEESG_SI_NS1_21upper_bound_search_opENS9_16wrapped_functionINS8_6system6detail7generic6detail18binary_search_lessEbEEEE10hipError_tPvRmT1_T2_T3_mmT4_T5_P12ihipStream_tbEUlRKyE_EESV_SZ_S10_mS11_S14_bEUlT_E_NS1_11comp_targetILNS1_3genE3ELNS1_11target_archE908ELNS1_3gpuE7ELNS1_3repE0EEENS1_30default_config_static_selectorELNS0_4arch9wavefront6targetE0EEEvSY_.has_recursion, 0
	.set _ZN7rocprim17ROCPRIM_400000_NS6detail17trampoline_kernelINS0_14default_configENS1_27upper_bound_config_selectorIylEEZNS1_14transform_implILb0ES3_S5_N6thrust23THRUST_200600_302600_NS6detail15normal_iteratorINS8_7pointerIyNS8_11hip_rocprim5par_tENS8_11use_defaultESE_EEEENSA_INSB_IlSD_SE_SE_EEEEZNS1_13binary_searchIS3_S5_NSA_INS8_10device_ptrIyEEEESG_SI_NS1_21upper_bound_search_opENS9_16wrapped_functionINS8_6system6detail7generic6detail18binary_search_lessEbEEEE10hipError_tPvRmT1_T2_T3_mmT4_T5_P12ihipStream_tbEUlRKyE_EESV_SZ_S10_mS11_S14_bEUlT_E_NS1_11comp_targetILNS1_3genE3ELNS1_11target_archE908ELNS1_3gpuE7ELNS1_3repE0EEENS1_30default_config_static_selectorELNS0_4arch9wavefront6targetE0EEEvSY_.has_indirect_call, 0
	.section	.AMDGPU.csdata,"",@progbits
; Kernel info:
; codeLenInByte = 0
; TotalNumSgprs: 0
; NumVgprs: 0
; ScratchSize: 0
; MemoryBound: 0
; FloatMode: 240
; IeeeMode: 1
; LDSByteSize: 0 bytes/workgroup (compile time only)
; SGPRBlocks: 0
; VGPRBlocks: 0
; NumSGPRsForWavesPerEU: 1
; NumVGPRsForWavesPerEU: 1
; Occupancy: 16
; WaveLimiterHint : 0
; COMPUTE_PGM_RSRC2:SCRATCH_EN: 0
; COMPUTE_PGM_RSRC2:USER_SGPR: 6
; COMPUTE_PGM_RSRC2:TRAP_HANDLER: 0
; COMPUTE_PGM_RSRC2:TGID_X_EN: 1
; COMPUTE_PGM_RSRC2:TGID_Y_EN: 0
; COMPUTE_PGM_RSRC2:TGID_Z_EN: 0
; COMPUTE_PGM_RSRC2:TIDIG_COMP_CNT: 0
	.section	.text._ZN7rocprim17ROCPRIM_400000_NS6detail17trampoline_kernelINS0_14default_configENS1_27upper_bound_config_selectorIylEEZNS1_14transform_implILb0ES3_S5_N6thrust23THRUST_200600_302600_NS6detail15normal_iteratorINS8_7pointerIyNS8_11hip_rocprim5par_tENS8_11use_defaultESE_EEEENSA_INSB_IlSD_SE_SE_EEEEZNS1_13binary_searchIS3_S5_NSA_INS8_10device_ptrIyEEEESG_SI_NS1_21upper_bound_search_opENS9_16wrapped_functionINS8_6system6detail7generic6detail18binary_search_lessEbEEEE10hipError_tPvRmT1_T2_T3_mmT4_T5_P12ihipStream_tbEUlRKyE_EESV_SZ_S10_mS11_S14_bEUlT_E_NS1_11comp_targetILNS1_3genE2ELNS1_11target_archE906ELNS1_3gpuE6ELNS1_3repE0EEENS1_30default_config_static_selectorELNS0_4arch9wavefront6targetE0EEEvSY_,"axG",@progbits,_ZN7rocprim17ROCPRIM_400000_NS6detail17trampoline_kernelINS0_14default_configENS1_27upper_bound_config_selectorIylEEZNS1_14transform_implILb0ES3_S5_N6thrust23THRUST_200600_302600_NS6detail15normal_iteratorINS8_7pointerIyNS8_11hip_rocprim5par_tENS8_11use_defaultESE_EEEENSA_INSB_IlSD_SE_SE_EEEEZNS1_13binary_searchIS3_S5_NSA_INS8_10device_ptrIyEEEESG_SI_NS1_21upper_bound_search_opENS9_16wrapped_functionINS8_6system6detail7generic6detail18binary_search_lessEbEEEE10hipError_tPvRmT1_T2_T3_mmT4_T5_P12ihipStream_tbEUlRKyE_EESV_SZ_S10_mS11_S14_bEUlT_E_NS1_11comp_targetILNS1_3genE2ELNS1_11target_archE906ELNS1_3gpuE6ELNS1_3repE0EEENS1_30default_config_static_selectorELNS0_4arch9wavefront6targetE0EEEvSY_,comdat
	.protected	_ZN7rocprim17ROCPRIM_400000_NS6detail17trampoline_kernelINS0_14default_configENS1_27upper_bound_config_selectorIylEEZNS1_14transform_implILb0ES3_S5_N6thrust23THRUST_200600_302600_NS6detail15normal_iteratorINS8_7pointerIyNS8_11hip_rocprim5par_tENS8_11use_defaultESE_EEEENSA_INSB_IlSD_SE_SE_EEEEZNS1_13binary_searchIS3_S5_NSA_INS8_10device_ptrIyEEEESG_SI_NS1_21upper_bound_search_opENS9_16wrapped_functionINS8_6system6detail7generic6detail18binary_search_lessEbEEEE10hipError_tPvRmT1_T2_T3_mmT4_T5_P12ihipStream_tbEUlRKyE_EESV_SZ_S10_mS11_S14_bEUlT_E_NS1_11comp_targetILNS1_3genE2ELNS1_11target_archE906ELNS1_3gpuE6ELNS1_3repE0EEENS1_30default_config_static_selectorELNS0_4arch9wavefront6targetE0EEEvSY_ ; -- Begin function _ZN7rocprim17ROCPRIM_400000_NS6detail17trampoline_kernelINS0_14default_configENS1_27upper_bound_config_selectorIylEEZNS1_14transform_implILb0ES3_S5_N6thrust23THRUST_200600_302600_NS6detail15normal_iteratorINS8_7pointerIyNS8_11hip_rocprim5par_tENS8_11use_defaultESE_EEEENSA_INSB_IlSD_SE_SE_EEEEZNS1_13binary_searchIS3_S5_NSA_INS8_10device_ptrIyEEEESG_SI_NS1_21upper_bound_search_opENS9_16wrapped_functionINS8_6system6detail7generic6detail18binary_search_lessEbEEEE10hipError_tPvRmT1_T2_T3_mmT4_T5_P12ihipStream_tbEUlRKyE_EESV_SZ_S10_mS11_S14_bEUlT_E_NS1_11comp_targetILNS1_3genE2ELNS1_11target_archE906ELNS1_3gpuE6ELNS1_3repE0EEENS1_30default_config_static_selectorELNS0_4arch9wavefront6targetE0EEEvSY_
	.globl	_ZN7rocprim17ROCPRIM_400000_NS6detail17trampoline_kernelINS0_14default_configENS1_27upper_bound_config_selectorIylEEZNS1_14transform_implILb0ES3_S5_N6thrust23THRUST_200600_302600_NS6detail15normal_iteratorINS8_7pointerIyNS8_11hip_rocprim5par_tENS8_11use_defaultESE_EEEENSA_INSB_IlSD_SE_SE_EEEEZNS1_13binary_searchIS3_S5_NSA_INS8_10device_ptrIyEEEESG_SI_NS1_21upper_bound_search_opENS9_16wrapped_functionINS8_6system6detail7generic6detail18binary_search_lessEbEEEE10hipError_tPvRmT1_T2_T3_mmT4_T5_P12ihipStream_tbEUlRKyE_EESV_SZ_S10_mS11_S14_bEUlT_E_NS1_11comp_targetILNS1_3genE2ELNS1_11target_archE906ELNS1_3gpuE6ELNS1_3repE0EEENS1_30default_config_static_selectorELNS0_4arch9wavefront6targetE0EEEvSY_
	.p2align	8
	.type	_ZN7rocprim17ROCPRIM_400000_NS6detail17trampoline_kernelINS0_14default_configENS1_27upper_bound_config_selectorIylEEZNS1_14transform_implILb0ES3_S5_N6thrust23THRUST_200600_302600_NS6detail15normal_iteratorINS8_7pointerIyNS8_11hip_rocprim5par_tENS8_11use_defaultESE_EEEENSA_INSB_IlSD_SE_SE_EEEEZNS1_13binary_searchIS3_S5_NSA_INS8_10device_ptrIyEEEESG_SI_NS1_21upper_bound_search_opENS9_16wrapped_functionINS8_6system6detail7generic6detail18binary_search_lessEbEEEE10hipError_tPvRmT1_T2_T3_mmT4_T5_P12ihipStream_tbEUlRKyE_EESV_SZ_S10_mS11_S14_bEUlT_E_NS1_11comp_targetILNS1_3genE2ELNS1_11target_archE906ELNS1_3gpuE6ELNS1_3repE0EEENS1_30default_config_static_selectorELNS0_4arch9wavefront6targetE0EEEvSY_,@function
_ZN7rocprim17ROCPRIM_400000_NS6detail17trampoline_kernelINS0_14default_configENS1_27upper_bound_config_selectorIylEEZNS1_14transform_implILb0ES3_S5_N6thrust23THRUST_200600_302600_NS6detail15normal_iteratorINS8_7pointerIyNS8_11hip_rocprim5par_tENS8_11use_defaultESE_EEEENSA_INSB_IlSD_SE_SE_EEEEZNS1_13binary_searchIS3_S5_NSA_INS8_10device_ptrIyEEEESG_SI_NS1_21upper_bound_search_opENS9_16wrapped_functionINS8_6system6detail7generic6detail18binary_search_lessEbEEEE10hipError_tPvRmT1_T2_T3_mmT4_T5_P12ihipStream_tbEUlRKyE_EESV_SZ_S10_mS11_S14_bEUlT_E_NS1_11comp_targetILNS1_3genE2ELNS1_11target_archE906ELNS1_3gpuE6ELNS1_3repE0EEENS1_30default_config_static_selectorELNS0_4arch9wavefront6targetE0EEEvSY_: ; @_ZN7rocprim17ROCPRIM_400000_NS6detail17trampoline_kernelINS0_14default_configENS1_27upper_bound_config_selectorIylEEZNS1_14transform_implILb0ES3_S5_N6thrust23THRUST_200600_302600_NS6detail15normal_iteratorINS8_7pointerIyNS8_11hip_rocprim5par_tENS8_11use_defaultESE_EEEENSA_INSB_IlSD_SE_SE_EEEEZNS1_13binary_searchIS3_S5_NSA_INS8_10device_ptrIyEEEESG_SI_NS1_21upper_bound_search_opENS9_16wrapped_functionINS8_6system6detail7generic6detail18binary_search_lessEbEEEE10hipError_tPvRmT1_T2_T3_mmT4_T5_P12ihipStream_tbEUlRKyE_EESV_SZ_S10_mS11_S14_bEUlT_E_NS1_11comp_targetILNS1_3genE2ELNS1_11target_archE906ELNS1_3gpuE6ELNS1_3repE0EEENS1_30default_config_static_selectorELNS0_4arch9wavefront6targetE0EEEvSY_
; %bb.0:
	.section	.rodata,"a",@progbits
	.p2align	6, 0x0
	.amdhsa_kernel _ZN7rocprim17ROCPRIM_400000_NS6detail17trampoline_kernelINS0_14default_configENS1_27upper_bound_config_selectorIylEEZNS1_14transform_implILb0ES3_S5_N6thrust23THRUST_200600_302600_NS6detail15normal_iteratorINS8_7pointerIyNS8_11hip_rocprim5par_tENS8_11use_defaultESE_EEEENSA_INSB_IlSD_SE_SE_EEEEZNS1_13binary_searchIS3_S5_NSA_INS8_10device_ptrIyEEEESG_SI_NS1_21upper_bound_search_opENS9_16wrapped_functionINS8_6system6detail7generic6detail18binary_search_lessEbEEEE10hipError_tPvRmT1_T2_T3_mmT4_T5_P12ihipStream_tbEUlRKyE_EESV_SZ_S10_mS11_S14_bEUlT_E_NS1_11comp_targetILNS1_3genE2ELNS1_11target_archE906ELNS1_3gpuE6ELNS1_3repE0EEENS1_30default_config_static_selectorELNS0_4arch9wavefront6targetE0EEEvSY_
		.amdhsa_group_segment_fixed_size 0
		.amdhsa_private_segment_fixed_size 0
		.amdhsa_kernarg_size 56
		.amdhsa_user_sgpr_count 6
		.amdhsa_user_sgpr_private_segment_buffer 1
		.amdhsa_user_sgpr_dispatch_ptr 0
		.amdhsa_user_sgpr_queue_ptr 0
		.amdhsa_user_sgpr_kernarg_segment_ptr 1
		.amdhsa_user_sgpr_dispatch_id 0
		.amdhsa_user_sgpr_flat_scratch_init 0
		.amdhsa_user_sgpr_private_segment_size 0
		.amdhsa_wavefront_size32 1
		.amdhsa_uses_dynamic_stack 0
		.amdhsa_system_sgpr_private_segment_wavefront_offset 0
		.amdhsa_system_sgpr_workgroup_id_x 1
		.amdhsa_system_sgpr_workgroup_id_y 0
		.amdhsa_system_sgpr_workgroup_id_z 0
		.amdhsa_system_sgpr_workgroup_info 0
		.amdhsa_system_vgpr_workitem_id 0
		.amdhsa_next_free_vgpr 1
		.amdhsa_next_free_sgpr 1
		.amdhsa_reserve_vcc 0
		.amdhsa_reserve_flat_scratch 0
		.amdhsa_float_round_mode_32 0
		.amdhsa_float_round_mode_16_64 0
		.amdhsa_float_denorm_mode_32 3
		.amdhsa_float_denorm_mode_16_64 3
		.amdhsa_dx10_clamp 1
		.amdhsa_ieee_mode 1
		.amdhsa_fp16_overflow 0
		.amdhsa_workgroup_processor_mode 1
		.amdhsa_memory_ordered 1
		.amdhsa_forward_progress 1
		.amdhsa_shared_vgpr_count 0
		.amdhsa_exception_fp_ieee_invalid_op 0
		.amdhsa_exception_fp_denorm_src 0
		.amdhsa_exception_fp_ieee_div_zero 0
		.amdhsa_exception_fp_ieee_overflow 0
		.amdhsa_exception_fp_ieee_underflow 0
		.amdhsa_exception_fp_ieee_inexact 0
		.amdhsa_exception_int_div_zero 0
	.end_amdhsa_kernel
	.section	.text._ZN7rocprim17ROCPRIM_400000_NS6detail17trampoline_kernelINS0_14default_configENS1_27upper_bound_config_selectorIylEEZNS1_14transform_implILb0ES3_S5_N6thrust23THRUST_200600_302600_NS6detail15normal_iteratorINS8_7pointerIyNS8_11hip_rocprim5par_tENS8_11use_defaultESE_EEEENSA_INSB_IlSD_SE_SE_EEEEZNS1_13binary_searchIS3_S5_NSA_INS8_10device_ptrIyEEEESG_SI_NS1_21upper_bound_search_opENS9_16wrapped_functionINS8_6system6detail7generic6detail18binary_search_lessEbEEEE10hipError_tPvRmT1_T2_T3_mmT4_T5_P12ihipStream_tbEUlRKyE_EESV_SZ_S10_mS11_S14_bEUlT_E_NS1_11comp_targetILNS1_3genE2ELNS1_11target_archE906ELNS1_3gpuE6ELNS1_3repE0EEENS1_30default_config_static_selectorELNS0_4arch9wavefront6targetE0EEEvSY_,"axG",@progbits,_ZN7rocprim17ROCPRIM_400000_NS6detail17trampoline_kernelINS0_14default_configENS1_27upper_bound_config_selectorIylEEZNS1_14transform_implILb0ES3_S5_N6thrust23THRUST_200600_302600_NS6detail15normal_iteratorINS8_7pointerIyNS8_11hip_rocprim5par_tENS8_11use_defaultESE_EEEENSA_INSB_IlSD_SE_SE_EEEEZNS1_13binary_searchIS3_S5_NSA_INS8_10device_ptrIyEEEESG_SI_NS1_21upper_bound_search_opENS9_16wrapped_functionINS8_6system6detail7generic6detail18binary_search_lessEbEEEE10hipError_tPvRmT1_T2_T3_mmT4_T5_P12ihipStream_tbEUlRKyE_EESV_SZ_S10_mS11_S14_bEUlT_E_NS1_11comp_targetILNS1_3genE2ELNS1_11target_archE906ELNS1_3gpuE6ELNS1_3repE0EEENS1_30default_config_static_selectorELNS0_4arch9wavefront6targetE0EEEvSY_,comdat
.Lfunc_end540:
	.size	_ZN7rocprim17ROCPRIM_400000_NS6detail17trampoline_kernelINS0_14default_configENS1_27upper_bound_config_selectorIylEEZNS1_14transform_implILb0ES3_S5_N6thrust23THRUST_200600_302600_NS6detail15normal_iteratorINS8_7pointerIyNS8_11hip_rocprim5par_tENS8_11use_defaultESE_EEEENSA_INSB_IlSD_SE_SE_EEEEZNS1_13binary_searchIS3_S5_NSA_INS8_10device_ptrIyEEEESG_SI_NS1_21upper_bound_search_opENS9_16wrapped_functionINS8_6system6detail7generic6detail18binary_search_lessEbEEEE10hipError_tPvRmT1_T2_T3_mmT4_T5_P12ihipStream_tbEUlRKyE_EESV_SZ_S10_mS11_S14_bEUlT_E_NS1_11comp_targetILNS1_3genE2ELNS1_11target_archE906ELNS1_3gpuE6ELNS1_3repE0EEENS1_30default_config_static_selectorELNS0_4arch9wavefront6targetE0EEEvSY_, .Lfunc_end540-_ZN7rocprim17ROCPRIM_400000_NS6detail17trampoline_kernelINS0_14default_configENS1_27upper_bound_config_selectorIylEEZNS1_14transform_implILb0ES3_S5_N6thrust23THRUST_200600_302600_NS6detail15normal_iteratorINS8_7pointerIyNS8_11hip_rocprim5par_tENS8_11use_defaultESE_EEEENSA_INSB_IlSD_SE_SE_EEEEZNS1_13binary_searchIS3_S5_NSA_INS8_10device_ptrIyEEEESG_SI_NS1_21upper_bound_search_opENS9_16wrapped_functionINS8_6system6detail7generic6detail18binary_search_lessEbEEEE10hipError_tPvRmT1_T2_T3_mmT4_T5_P12ihipStream_tbEUlRKyE_EESV_SZ_S10_mS11_S14_bEUlT_E_NS1_11comp_targetILNS1_3genE2ELNS1_11target_archE906ELNS1_3gpuE6ELNS1_3repE0EEENS1_30default_config_static_selectorELNS0_4arch9wavefront6targetE0EEEvSY_
                                        ; -- End function
	.set _ZN7rocprim17ROCPRIM_400000_NS6detail17trampoline_kernelINS0_14default_configENS1_27upper_bound_config_selectorIylEEZNS1_14transform_implILb0ES3_S5_N6thrust23THRUST_200600_302600_NS6detail15normal_iteratorINS8_7pointerIyNS8_11hip_rocprim5par_tENS8_11use_defaultESE_EEEENSA_INSB_IlSD_SE_SE_EEEEZNS1_13binary_searchIS3_S5_NSA_INS8_10device_ptrIyEEEESG_SI_NS1_21upper_bound_search_opENS9_16wrapped_functionINS8_6system6detail7generic6detail18binary_search_lessEbEEEE10hipError_tPvRmT1_T2_T3_mmT4_T5_P12ihipStream_tbEUlRKyE_EESV_SZ_S10_mS11_S14_bEUlT_E_NS1_11comp_targetILNS1_3genE2ELNS1_11target_archE906ELNS1_3gpuE6ELNS1_3repE0EEENS1_30default_config_static_selectorELNS0_4arch9wavefront6targetE0EEEvSY_.num_vgpr, 0
	.set _ZN7rocprim17ROCPRIM_400000_NS6detail17trampoline_kernelINS0_14default_configENS1_27upper_bound_config_selectorIylEEZNS1_14transform_implILb0ES3_S5_N6thrust23THRUST_200600_302600_NS6detail15normal_iteratorINS8_7pointerIyNS8_11hip_rocprim5par_tENS8_11use_defaultESE_EEEENSA_INSB_IlSD_SE_SE_EEEEZNS1_13binary_searchIS3_S5_NSA_INS8_10device_ptrIyEEEESG_SI_NS1_21upper_bound_search_opENS9_16wrapped_functionINS8_6system6detail7generic6detail18binary_search_lessEbEEEE10hipError_tPvRmT1_T2_T3_mmT4_T5_P12ihipStream_tbEUlRKyE_EESV_SZ_S10_mS11_S14_bEUlT_E_NS1_11comp_targetILNS1_3genE2ELNS1_11target_archE906ELNS1_3gpuE6ELNS1_3repE0EEENS1_30default_config_static_selectorELNS0_4arch9wavefront6targetE0EEEvSY_.num_agpr, 0
	.set _ZN7rocprim17ROCPRIM_400000_NS6detail17trampoline_kernelINS0_14default_configENS1_27upper_bound_config_selectorIylEEZNS1_14transform_implILb0ES3_S5_N6thrust23THRUST_200600_302600_NS6detail15normal_iteratorINS8_7pointerIyNS8_11hip_rocprim5par_tENS8_11use_defaultESE_EEEENSA_INSB_IlSD_SE_SE_EEEEZNS1_13binary_searchIS3_S5_NSA_INS8_10device_ptrIyEEEESG_SI_NS1_21upper_bound_search_opENS9_16wrapped_functionINS8_6system6detail7generic6detail18binary_search_lessEbEEEE10hipError_tPvRmT1_T2_T3_mmT4_T5_P12ihipStream_tbEUlRKyE_EESV_SZ_S10_mS11_S14_bEUlT_E_NS1_11comp_targetILNS1_3genE2ELNS1_11target_archE906ELNS1_3gpuE6ELNS1_3repE0EEENS1_30default_config_static_selectorELNS0_4arch9wavefront6targetE0EEEvSY_.numbered_sgpr, 0
	.set _ZN7rocprim17ROCPRIM_400000_NS6detail17trampoline_kernelINS0_14default_configENS1_27upper_bound_config_selectorIylEEZNS1_14transform_implILb0ES3_S5_N6thrust23THRUST_200600_302600_NS6detail15normal_iteratorINS8_7pointerIyNS8_11hip_rocprim5par_tENS8_11use_defaultESE_EEEENSA_INSB_IlSD_SE_SE_EEEEZNS1_13binary_searchIS3_S5_NSA_INS8_10device_ptrIyEEEESG_SI_NS1_21upper_bound_search_opENS9_16wrapped_functionINS8_6system6detail7generic6detail18binary_search_lessEbEEEE10hipError_tPvRmT1_T2_T3_mmT4_T5_P12ihipStream_tbEUlRKyE_EESV_SZ_S10_mS11_S14_bEUlT_E_NS1_11comp_targetILNS1_3genE2ELNS1_11target_archE906ELNS1_3gpuE6ELNS1_3repE0EEENS1_30default_config_static_selectorELNS0_4arch9wavefront6targetE0EEEvSY_.num_named_barrier, 0
	.set _ZN7rocprim17ROCPRIM_400000_NS6detail17trampoline_kernelINS0_14default_configENS1_27upper_bound_config_selectorIylEEZNS1_14transform_implILb0ES3_S5_N6thrust23THRUST_200600_302600_NS6detail15normal_iteratorINS8_7pointerIyNS8_11hip_rocprim5par_tENS8_11use_defaultESE_EEEENSA_INSB_IlSD_SE_SE_EEEEZNS1_13binary_searchIS3_S5_NSA_INS8_10device_ptrIyEEEESG_SI_NS1_21upper_bound_search_opENS9_16wrapped_functionINS8_6system6detail7generic6detail18binary_search_lessEbEEEE10hipError_tPvRmT1_T2_T3_mmT4_T5_P12ihipStream_tbEUlRKyE_EESV_SZ_S10_mS11_S14_bEUlT_E_NS1_11comp_targetILNS1_3genE2ELNS1_11target_archE906ELNS1_3gpuE6ELNS1_3repE0EEENS1_30default_config_static_selectorELNS0_4arch9wavefront6targetE0EEEvSY_.private_seg_size, 0
	.set _ZN7rocprim17ROCPRIM_400000_NS6detail17trampoline_kernelINS0_14default_configENS1_27upper_bound_config_selectorIylEEZNS1_14transform_implILb0ES3_S5_N6thrust23THRUST_200600_302600_NS6detail15normal_iteratorINS8_7pointerIyNS8_11hip_rocprim5par_tENS8_11use_defaultESE_EEEENSA_INSB_IlSD_SE_SE_EEEEZNS1_13binary_searchIS3_S5_NSA_INS8_10device_ptrIyEEEESG_SI_NS1_21upper_bound_search_opENS9_16wrapped_functionINS8_6system6detail7generic6detail18binary_search_lessEbEEEE10hipError_tPvRmT1_T2_T3_mmT4_T5_P12ihipStream_tbEUlRKyE_EESV_SZ_S10_mS11_S14_bEUlT_E_NS1_11comp_targetILNS1_3genE2ELNS1_11target_archE906ELNS1_3gpuE6ELNS1_3repE0EEENS1_30default_config_static_selectorELNS0_4arch9wavefront6targetE0EEEvSY_.uses_vcc, 0
	.set _ZN7rocprim17ROCPRIM_400000_NS6detail17trampoline_kernelINS0_14default_configENS1_27upper_bound_config_selectorIylEEZNS1_14transform_implILb0ES3_S5_N6thrust23THRUST_200600_302600_NS6detail15normal_iteratorINS8_7pointerIyNS8_11hip_rocprim5par_tENS8_11use_defaultESE_EEEENSA_INSB_IlSD_SE_SE_EEEEZNS1_13binary_searchIS3_S5_NSA_INS8_10device_ptrIyEEEESG_SI_NS1_21upper_bound_search_opENS9_16wrapped_functionINS8_6system6detail7generic6detail18binary_search_lessEbEEEE10hipError_tPvRmT1_T2_T3_mmT4_T5_P12ihipStream_tbEUlRKyE_EESV_SZ_S10_mS11_S14_bEUlT_E_NS1_11comp_targetILNS1_3genE2ELNS1_11target_archE906ELNS1_3gpuE6ELNS1_3repE0EEENS1_30default_config_static_selectorELNS0_4arch9wavefront6targetE0EEEvSY_.uses_flat_scratch, 0
	.set _ZN7rocprim17ROCPRIM_400000_NS6detail17trampoline_kernelINS0_14default_configENS1_27upper_bound_config_selectorIylEEZNS1_14transform_implILb0ES3_S5_N6thrust23THRUST_200600_302600_NS6detail15normal_iteratorINS8_7pointerIyNS8_11hip_rocprim5par_tENS8_11use_defaultESE_EEEENSA_INSB_IlSD_SE_SE_EEEEZNS1_13binary_searchIS3_S5_NSA_INS8_10device_ptrIyEEEESG_SI_NS1_21upper_bound_search_opENS9_16wrapped_functionINS8_6system6detail7generic6detail18binary_search_lessEbEEEE10hipError_tPvRmT1_T2_T3_mmT4_T5_P12ihipStream_tbEUlRKyE_EESV_SZ_S10_mS11_S14_bEUlT_E_NS1_11comp_targetILNS1_3genE2ELNS1_11target_archE906ELNS1_3gpuE6ELNS1_3repE0EEENS1_30default_config_static_selectorELNS0_4arch9wavefront6targetE0EEEvSY_.has_dyn_sized_stack, 0
	.set _ZN7rocprim17ROCPRIM_400000_NS6detail17trampoline_kernelINS0_14default_configENS1_27upper_bound_config_selectorIylEEZNS1_14transform_implILb0ES3_S5_N6thrust23THRUST_200600_302600_NS6detail15normal_iteratorINS8_7pointerIyNS8_11hip_rocprim5par_tENS8_11use_defaultESE_EEEENSA_INSB_IlSD_SE_SE_EEEEZNS1_13binary_searchIS3_S5_NSA_INS8_10device_ptrIyEEEESG_SI_NS1_21upper_bound_search_opENS9_16wrapped_functionINS8_6system6detail7generic6detail18binary_search_lessEbEEEE10hipError_tPvRmT1_T2_T3_mmT4_T5_P12ihipStream_tbEUlRKyE_EESV_SZ_S10_mS11_S14_bEUlT_E_NS1_11comp_targetILNS1_3genE2ELNS1_11target_archE906ELNS1_3gpuE6ELNS1_3repE0EEENS1_30default_config_static_selectorELNS0_4arch9wavefront6targetE0EEEvSY_.has_recursion, 0
	.set _ZN7rocprim17ROCPRIM_400000_NS6detail17trampoline_kernelINS0_14default_configENS1_27upper_bound_config_selectorIylEEZNS1_14transform_implILb0ES3_S5_N6thrust23THRUST_200600_302600_NS6detail15normal_iteratorINS8_7pointerIyNS8_11hip_rocprim5par_tENS8_11use_defaultESE_EEEENSA_INSB_IlSD_SE_SE_EEEEZNS1_13binary_searchIS3_S5_NSA_INS8_10device_ptrIyEEEESG_SI_NS1_21upper_bound_search_opENS9_16wrapped_functionINS8_6system6detail7generic6detail18binary_search_lessEbEEEE10hipError_tPvRmT1_T2_T3_mmT4_T5_P12ihipStream_tbEUlRKyE_EESV_SZ_S10_mS11_S14_bEUlT_E_NS1_11comp_targetILNS1_3genE2ELNS1_11target_archE906ELNS1_3gpuE6ELNS1_3repE0EEENS1_30default_config_static_selectorELNS0_4arch9wavefront6targetE0EEEvSY_.has_indirect_call, 0
	.section	.AMDGPU.csdata,"",@progbits
; Kernel info:
; codeLenInByte = 0
; TotalNumSgprs: 0
; NumVgprs: 0
; ScratchSize: 0
; MemoryBound: 0
; FloatMode: 240
; IeeeMode: 1
; LDSByteSize: 0 bytes/workgroup (compile time only)
; SGPRBlocks: 0
; VGPRBlocks: 0
; NumSGPRsForWavesPerEU: 1
; NumVGPRsForWavesPerEU: 1
; Occupancy: 16
; WaveLimiterHint : 0
; COMPUTE_PGM_RSRC2:SCRATCH_EN: 0
; COMPUTE_PGM_RSRC2:USER_SGPR: 6
; COMPUTE_PGM_RSRC2:TRAP_HANDLER: 0
; COMPUTE_PGM_RSRC2:TGID_X_EN: 1
; COMPUTE_PGM_RSRC2:TGID_Y_EN: 0
; COMPUTE_PGM_RSRC2:TGID_Z_EN: 0
; COMPUTE_PGM_RSRC2:TIDIG_COMP_CNT: 0
	.section	.text._ZN7rocprim17ROCPRIM_400000_NS6detail17trampoline_kernelINS0_14default_configENS1_27upper_bound_config_selectorIylEEZNS1_14transform_implILb0ES3_S5_N6thrust23THRUST_200600_302600_NS6detail15normal_iteratorINS8_7pointerIyNS8_11hip_rocprim5par_tENS8_11use_defaultESE_EEEENSA_INSB_IlSD_SE_SE_EEEEZNS1_13binary_searchIS3_S5_NSA_INS8_10device_ptrIyEEEESG_SI_NS1_21upper_bound_search_opENS9_16wrapped_functionINS8_6system6detail7generic6detail18binary_search_lessEbEEEE10hipError_tPvRmT1_T2_T3_mmT4_T5_P12ihipStream_tbEUlRKyE_EESV_SZ_S10_mS11_S14_bEUlT_E_NS1_11comp_targetILNS1_3genE10ELNS1_11target_archE1201ELNS1_3gpuE5ELNS1_3repE0EEENS1_30default_config_static_selectorELNS0_4arch9wavefront6targetE0EEEvSY_,"axG",@progbits,_ZN7rocprim17ROCPRIM_400000_NS6detail17trampoline_kernelINS0_14default_configENS1_27upper_bound_config_selectorIylEEZNS1_14transform_implILb0ES3_S5_N6thrust23THRUST_200600_302600_NS6detail15normal_iteratorINS8_7pointerIyNS8_11hip_rocprim5par_tENS8_11use_defaultESE_EEEENSA_INSB_IlSD_SE_SE_EEEEZNS1_13binary_searchIS3_S5_NSA_INS8_10device_ptrIyEEEESG_SI_NS1_21upper_bound_search_opENS9_16wrapped_functionINS8_6system6detail7generic6detail18binary_search_lessEbEEEE10hipError_tPvRmT1_T2_T3_mmT4_T5_P12ihipStream_tbEUlRKyE_EESV_SZ_S10_mS11_S14_bEUlT_E_NS1_11comp_targetILNS1_3genE10ELNS1_11target_archE1201ELNS1_3gpuE5ELNS1_3repE0EEENS1_30default_config_static_selectorELNS0_4arch9wavefront6targetE0EEEvSY_,comdat
	.protected	_ZN7rocprim17ROCPRIM_400000_NS6detail17trampoline_kernelINS0_14default_configENS1_27upper_bound_config_selectorIylEEZNS1_14transform_implILb0ES3_S5_N6thrust23THRUST_200600_302600_NS6detail15normal_iteratorINS8_7pointerIyNS8_11hip_rocprim5par_tENS8_11use_defaultESE_EEEENSA_INSB_IlSD_SE_SE_EEEEZNS1_13binary_searchIS3_S5_NSA_INS8_10device_ptrIyEEEESG_SI_NS1_21upper_bound_search_opENS9_16wrapped_functionINS8_6system6detail7generic6detail18binary_search_lessEbEEEE10hipError_tPvRmT1_T2_T3_mmT4_T5_P12ihipStream_tbEUlRKyE_EESV_SZ_S10_mS11_S14_bEUlT_E_NS1_11comp_targetILNS1_3genE10ELNS1_11target_archE1201ELNS1_3gpuE5ELNS1_3repE0EEENS1_30default_config_static_selectorELNS0_4arch9wavefront6targetE0EEEvSY_ ; -- Begin function _ZN7rocprim17ROCPRIM_400000_NS6detail17trampoline_kernelINS0_14default_configENS1_27upper_bound_config_selectorIylEEZNS1_14transform_implILb0ES3_S5_N6thrust23THRUST_200600_302600_NS6detail15normal_iteratorINS8_7pointerIyNS8_11hip_rocprim5par_tENS8_11use_defaultESE_EEEENSA_INSB_IlSD_SE_SE_EEEEZNS1_13binary_searchIS3_S5_NSA_INS8_10device_ptrIyEEEESG_SI_NS1_21upper_bound_search_opENS9_16wrapped_functionINS8_6system6detail7generic6detail18binary_search_lessEbEEEE10hipError_tPvRmT1_T2_T3_mmT4_T5_P12ihipStream_tbEUlRKyE_EESV_SZ_S10_mS11_S14_bEUlT_E_NS1_11comp_targetILNS1_3genE10ELNS1_11target_archE1201ELNS1_3gpuE5ELNS1_3repE0EEENS1_30default_config_static_selectorELNS0_4arch9wavefront6targetE0EEEvSY_
	.globl	_ZN7rocprim17ROCPRIM_400000_NS6detail17trampoline_kernelINS0_14default_configENS1_27upper_bound_config_selectorIylEEZNS1_14transform_implILb0ES3_S5_N6thrust23THRUST_200600_302600_NS6detail15normal_iteratorINS8_7pointerIyNS8_11hip_rocprim5par_tENS8_11use_defaultESE_EEEENSA_INSB_IlSD_SE_SE_EEEEZNS1_13binary_searchIS3_S5_NSA_INS8_10device_ptrIyEEEESG_SI_NS1_21upper_bound_search_opENS9_16wrapped_functionINS8_6system6detail7generic6detail18binary_search_lessEbEEEE10hipError_tPvRmT1_T2_T3_mmT4_T5_P12ihipStream_tbEUlRKyE_EESV_SZ_S10_mS11_S14_bEUlT_E_NS1_11comp_targetILNS1_3genE10ELNS1_11target_archE1201ELNS1_3gpuE5ELNS1_3repE0EEENS1_30default_config_static_selectorELNS0_4arch9wavefront6targetE0EEEvSY_
	.p2align	8
	.type	_ZN7rocprim17ROCPRIM_400000_NS6detail17trampoline_kernelINS0_14default_configENS1_27upper_bound_config_selectorIylEEZNS1_14transform_implILb0ES3_S5_N6thrust23THRUST_200600_302600_NS6detail15normal_iteratorINS8_7pointerIyNS8_11hip_rocprim5par_tENS8_11use_defaultESE_EEEENSA_INSB_IlSD_SE_SE_EEEEZNS1_13binary_searchIS3_S5_NSA_INS8_10device_ptrIyEEEESG_SI_NS1_21upper_bound_search_opENS9_16wrapped_functionINS8_6system6detail7generic6detail18binary_search_lessEbEEEE10hipError_tPvRmT1_T2_T3_mmT4_T5_P12ihipStream_tbEUlRKyE_EESV_SZ_S10_mS11_S14_bEUlT_E_NS1_11comp_targetILNS1_3genE10ELNS1_11target_archE1201ELNS1_3gpuE5ELNS1_3repE0EEENS1_30default_config_static_selectorELNS0_4arch9wavefront6targetE0EEEvSY_,@function
_ZN7rocprim17ROCPRIM_400000_NS6detail17trampoline_kernelINS0_14default_configENS1_27upper_bound_config_selectorIylEEZNS1_14transform_implILb0ES3_S5_N6thrust23THRUST_200600_302600_NS6detail15normal_iteratorINS8_7pointerIyNS8_11hip_rocprim5par_tENS8_11use_defaultESE_EEEENSA_INSB_IlSD_SE_SE_EEEEZNS1_13binary_searchIS3_S5_NSA_INS8_10device_ptrIyEEEESG_SI_NS1_21upper_bound_search_opENS9_16wrapped_functionINS8_6system6detail7generic6detail18binary_search_lessEbEEEE10hipError_tPvRmT1_T2_T3_mmT4_T5_P12ihipStream_tbEUlRKyE_EESV_SZ_S10_mS11_S14_bEUlT_E_NS1_11comp_targetILNS1_3genE10ELNS1_11target_archE1201ELNS1_3gpuE5ELNS1_3repE0EEENS1_30default_config_static_selectorELNS0_4arch9wavefront6targetE0EEEvSY_: ; @_ZN7rocprim17ROCPRIM_400000_NS6detail17trampoline_kernelINS0_14default_configENS1_27upper_bound_config_selectorIylEEZNS1_14transform_implILb0ES3_S5_N6thrust23THRUST_200600_302600_NS6detail15normal_iteratorINS8_7pointerIyNS8_11hip_rocprim5par_tENS8_11use_defaultESE_EEEENSA_INSB_IlSD_SE_SE_EEEEZNS1_13binary_searchIS3_S5_NSA_INS8_10device_ptrIyEEEESG_SI_NS1_21upper_bound_search_opENS9_16wrapped_functionINS8_6system6detail7generic6detail18binary_search_lessEbEEEE10hipError_tPvRmT1_T2_T3_mmT4_T5_P12ihipStream_tbEUlRKyE_EESV_SZ_S10_mS11_S14_bEUlT_E_NS1_11comp_targetILNS1_3genE10ELNS1_11target_archE1201ELNS1_3gpuE5ELNS1_3repE0EEENS1_30default_config_static_selectorELNS0_4arch9wavefront6targetE0EEEvSY_
; %bb.0:
	.section	.rodata,"a",@progbits
	.p2align	6, 0x0
	.amdhsa_kernel _ZN7rocprim17ROCPRIM_400000_NS6detail17trampoline_kernelINS0_14default_configENS1_27upper_bound_config_selectorIylEEZNS1_14transform_implILb0ES3_S5_N6thrust23THRUST_200600_302600_NS6detail15normal_iteratorINS8_7pointerIyNS8_11hip_rocprim5par_tENS8_11use_defaultESE_EEEENSA_INSB_IlSD_SE_SE_EEEEZNS1_13binary_searchIS3_S5_NSA_INS8_10device_ptrIyEEEESG_SI_NS1_21upper_bound_search_opENS9_16wrapped_functionINS8_6system6detail7generic6detail18binary_search_lessEbEEEE10hipError_tPvRmT1_T2_T3_mmT4_T5_P12ihipStream_tbEUlRKyE_EESV_SZ_S10_mS11_S14_bEUlT_E_NS1_11comp_targetILNS1_3genE10ELNS1_11target_archE1201ELNS1_3gpuE5ELNS1_3repE0EEENS1_30default_config_static_selectorELNS0_4arch9wavefront6targetE0EEEvSY_
		.amdhsa_group_segment_fixed_size 0
		.amdhsa_private_segment_fixed_size 0
		.amdhsa_kernarg_size 56
		.amdhsa_user_sgpr_count 6
		.amdhsa_user_sgpr_private_segment_buffer 1
		.amdhsa_user_sgpr_dispatch_ptr 0
		.amdhsa_user_sgpr_queue_ptr 0
		.amdhsa_user_sgpr_kernarg_segment_ptr 1
		.amdhsa_user_sgpr_dispatch_id 0
		.amdhsa_user_sgpr_flat_scratch_init 0
		.amdhsa_user_sgpr_private_segment_size 0
		.amdhsa_wavefront_size32 1
		.amdhsa_uses_dynamic_stack 0
		.amdhsa_system_sgpr_private_segment_wavefront_offset 0
		.amdhsa_system_sgpr_workgroup_id_x 1
		.amdhsa_system_sgpr_workgroup_id_y 0
		.amdhsa_system_sgpr_workgroup_id_z 0
		.amdhsa_system_sgpr_workgroup_info 0
		.amdhsa_system_vgpr_workitem_id 0
		.amdhsa_next_free_vgpr 1
		.amdhsa_next_free_sgpr 1
		.amdhsa_reserve_vcc 0
		.amdhsa_reserve_flat_scratch 0
		.amdhsa_float_round_mode_32 0
		.amdhsa_float_round_mode_16_64 0
		.amdhsa_float_denorm_mode_32 3
		.amdhsa_float_denorm_mode_16_64 3
		.amdhsa_dx10_clamp 1
		.amdhsa_ieee_mode 1
		.amdhsa_fp16_overflow 0
		.amdhsa_workgroup_processor_mode 1
		.amdhsa_memory_ordered 1
		.amdhsa_forward_progress 1
		.amdhsa_shared_vgpr_count 0
		.amdhsa_exception_fp_ieee_invalid_op 0
		.amdhsa_exception_fp_denorm_src 0
		.amdhsa_exception_fp_ieee_div_zero 0
		.amdhsa_exception_fp_ieee_overflow 0
		.amdhsa_exception_fp_ieee_underflow 0
		.amdhsa_exception_fp_ieee_inexact 0
		.amdhsa_exception_int_div_zero 0
	.end_amdhsa_kernel
	.section	.text._ZN7rocprim17ROCPRIM_400000_NS6detail17trampoline_kernelINS0_14default_configENS1_27upper_bound_config_selectorIylEEZNS1_14transform_implILb0ES3_S5_N6thrust23THRUST_200600_302600_NS6detail15normal_iteratorINS8_7pointerIyNS8_11hip_rocprim5par_tENS8_11use_defaultESE_EEEENSA_INSB_IlSD_SE_SE_EEEEZNS1_13binary_searchIS3_S5_NSA_INS8_10device_ptrIyEEEESG_SI_NS1_21upper_bound_search_opENS9_16wrapped_functionINS8_6system6detail7generic6detail18binary_search_lessEbEEEE10hipError_tPvRmT1_T2_T3_mmT4_T5_P12ihipStream_tbEUlRKyE_EESV_SZ_S10_mS11_S14_bEUlT_E_NS1_11comp_targetILNS1_3genE10ELNS1_11target_archE1201ELNS1_3gpuE5ELNS1_3repE0EEENS1_30default_config_static_selectorELNS0_4arch9wavefront6targetE0EEEvSY_,"axG",@progbits,_ZN7rocprim17ROCPRIM_400000_NS6detail17trampoline_kernelINS0_14default_configENS1_27upper_bound_config_selectorIylEEZNS1_14transform_implILb0ES3_S5_N6thrust23THRUST_200600_302600_NS6detail15normal_iteratorINS8_7pointerIyNS8_11hip_rocprim5par_tENS8_11use_defaultESE_EEEENSA_INSB_IlSD_SE_SE_EEEEZNS1_13binary_searchIS3_S5_NSA_INS8_10device_ptrIyEEEESG_SI_NS1_21upper_bound_search_opENS9_16wrapped_functionINS8_6system6detail7generic6detail18binary_search_lessEbEEEE10hipError_tPvRmT1_T2_T3_mmT4_T5_P12ihipStream_tbEUlRKyE_EESV_SZ_S10_mS11_S14_bEUlT_E_NS1_11comp_targetILNS1_3genE10ELNS1_11target_archE1201ELNS1_3gpuE5ELNS1_3repE0EEENS1_30default_config_static_selectorELNS0_4arch9wavefront6targetE0EEEvSY_,comdat
.Lfunc_end541:
	.size	_ZN7rocprim17ROCPRIM_400000_NS6detail17trampoline_kernelINS0_14default_configENS1_27upper_bound_config_selectorIylEEZNS1_14transform_implILb0ES3_S5_N6thrust23THRUST_200600_302600_NS6detail15normal_iteratorINS8_7pointerIyNS8_11hip_rocprim5par_tENS8_11use_defaultESE_EEEENSA_INSB_IlSD_SE_SE_EEEEZNS1_13binary_searchIS3_S5_NSA_INS8_10device_ptrIyEEEESG_SI_NS1_21upper_bound_search_opENS9_16wrapped_functionINS8_6system6detail7generic6detail18binary_search_lessEbEEEE10hipError_tPvRmT1_T2_T3_mmT4_T5_P12ihipStream_tbEUlRKyE_EESV_SZ_S10_mS11_S14_bEUlT_E_NS1_11comp_targetILNS1_3genE10ELNS1_11target_archE1201ELNS1_3gpuE5ELNS1_3repE0EEENS1_30default_config_static_selectorELNS0_4arch9wavefront6targetE0EEEvSY_, .Lfunc_end541-_ZN7rocprim17ROCPRIM_400000_NS6detail17trampoline_kernelINS0_14default_configENS1_27upper_bound_config_selectorIylEEZNS1_14transform_implILb0ES3_S5_N6thrust23THRUST_200600_302600_NS6detail15normal_iteratorINS8_7pointerIyNS8_11hip_rocprim5par_tENS8_11use_defaultESE_EEEENSA_INSB_IlSD_SE_SE_EEEEZNS1_13binary_searchIS3_S5_NSA_INS8_10device_ptrIyEEEESG_SI_NS1_21upper_bound_search_opENS9_16wrapped_functionINS8_6system6detail7generic6detail18binary_search_lessEbEEEE10hipError_tPvRmT1_T2_T3_mmT4_T5_P12ihipStream_tbEUlRKyE_EESV_SZ_S10_mS11_S14_bEUlT_E_NS1_11comp_targetILNS1_3genE10ELNS1_11target_archE1201ELNS1_3gpuE5ELNS1_3repE0EEENS1_30default_config_static_selectorELNS0_4arch9wavefront6targetE0EEEvSY_
                                        ; -- End function
	.set _ZN7rocprim17ROCPRIM_400000_NS6detail17trampoline_kernelINS0_14default_configENS1_27upper_bound_config_selectorIylEEZNS1_14transform_implILb0ES3_S5_N6thrust23THRUST_200600_302600_NS6detail15normal_iteratorINS8_7pointerIyNS8_11hip_rocprim5par_tENS8_11use_defaultESE_EEEENSA_INSB_IlSD_SE_SE_EEEEZNS1_13binary_searchIS3_S5_NSA_INS8_10device_ptrIyEEEESG_SI_NS1_21upper_bound_search_opENS9_16wrapped_functionINS8_6system6detail7generic6detail18binary_search_lessEbEEEE10hipError_tPvRmT1_T2_T3_mmT4_T5_P12ihipStream_tbEUlRKyE_EESV_SZ_S10_mS11_S14_bEUlT_E_NS1_11comp_targetILNS1_3genE10ELNS1_11target_archE1201ELNS1_3gpuE5ELNS1_3repE0EEENS1_30default_config_static_selectorELNS0_4arch9wavefront6targetE0EEEvSY_.num_vgpr, 0
	.set _ZN7rocprim17ROCPRIM_400000_NS6detail17trampoline_kernelINS0_14default_configENS1_27upper_bound_config_selectorIylEEZNS1_14transform_implILb0ES3_S5_N6thrust23THRUST_200600_302600_NS6detail15normal_iteratorINS8_7pointerIyNS8_11hip_rocprim5par_tENS8_11use_defaultESE_EEEENSA_INSB_IlSD_SE_SE_EEEEZNS1_13binary_searchIS3_S5_NSA_INS8_10device_ptrIyEEEESG_SI_NS1_21upper_bound_search_opENS9_16wrapped_functionINS8_6system6detail7generic6detail18binary_search_lessEbEEEE10hipError_tPvRmT1_T2_T3_mmT4_T5_P12ihipStream_tbEUlRKyE_EESV_SZ_S10_mS11_S14_bEUlT_E_NS1_11comp_targetILNS1_3genE10ELNS1_11target_archE1201ELNS1_3gpuE5ELNS1_3repE0EEENS1_30default_config_static_selectorELNS0_4arch9wavefront6targetE0EEEvSY_.num_agpr, 0
	.set _ZN7rocprim17ROCPRIM_400000_NS6detail17trampoline_kernelINS0_14default_configENS1_27upper_bound_config_selectorIylEEZNS1_14transform_implILb0ES3_S5_N6thrust23THRUST_200600_302600_NS6detail15normal_iteratorINS8_7pointerIyNS8_11hip_rocprim5par_tENS8_11use_defaultESE_EEEENSA_INSB_IlSD_SE_SE_EEEEZNS1_13binary_searchIS3_S5_NSA_INS8_10device_ptrIyEEEESG_SI_NS1_21upper_bound_search_opENS9_16wrapped_functionINS8_6system6detail7generic6detail18binary_search_lessEbEEEE10hipError_tPvRmT1_T2_T3_mmT4_T5_P12ihipStream_tbEUlRKyE_EESV_SZ_S10_mS11_S14_bEUlT_E_NS1_11comp_targetILNS1_3genE10ELNS1_11target_archE1201ELNS1_3gpuE5ELNS1_3repE0EEENS1_30default_config_static_selectorELNS0_4arch9wavefront6targetE0EEEvSY_.numbered_sgpr, 0
	.set _ZN7rocprim17ROCPRIM_400000_NS6detail17trampoline_kernelINS0_14default_configENS1_27upper_bound_config_selectorIylEEZNS1_14transform_implILb0ES3_S5_N6thrust23THRUST_200600_302600_NS6detail15normal_iteratorINS8_7pointerIyNS8_11hip_rocprim5par_tENS8_11use_defaultESE_EEEENSA_INSB_IlSD_SE_SE_EEEEZNS1_13binary_searchIS3_S5_NSA_INS8_10device_ptrIyEEEESG_SI_NS1_21upper_bound_search_opENS9_16wrapped_functionINS8_6system6detail7generic6detail18binary_search_lessEbEEEE10hipError_tPvRmT1_T2_T3_mmT4_T5_P12ihipStream_tbEUlRKyE_EESV_SZ_S10_mS11_S14_bEUlT_E_NS1_11comp_targetILNS1_3genE10ELNS1_11target_archE1201ELNS1_3gpuE5ELNS1_3repE0EEENS1_30default_config_static_selectorELNS0_4arch9wavefront6targetE0EEEvSY_.num_named_barrier, 0
	.set _ZN7rocprim17ROCPRIM_400000_NS6detail17trampoline_kernelINS0_14default_configENS1_27upper_bound_config_selectorIylEEZNS1_14transform_implILb0ES3_S5_N6thrust23THRUST_200600_302600_NS6detail15normal_iteratorINS8_7pointerIyNS8_11hip_rocprim5par_tENS8_11use_defaultESE_EEEENSA_INSB_IlSD_SE_SE_EEEEZNS1_13binary_searchIS3_S5_NSA_INS8_10device_ptrIyEEEESG_SI_NS1_21upper_bound_search_opENS9_16wrapped_functionINS8_6system6detail7generic6detail18binary_search_lessEbEEEE10hipError_tPvRmT1_T2_T3_mmT4_T5_P12ihipStream_tbEUlRKyE_EESV_SZ_S10_mS11_S14_bEUlT_E_NS1_11comp_targetILNS1_3genE10ELNS1_11target_archE1201ELNS1_3gpuE5ELNS1_3repE0EEENS1_30default_config_static_selectorELNS0_4arch9wavefront6targetE0EEEvSY_.private_seg_size, 0
	.set _ZN7rocprim17ROCPRIM_400000_NS6detail17trampoline_kernelINS0_14default_configENS1_27upper_bound_config_selectorIylEEZNS1_14transform_implILb0ES3_S5_N6thrust23THRUST_200600_302600_NS6detail15normal_iteratorINS8_7pointerIyNS8_11hip_rocprim5par_tENS8_11use_defaultESE_EEEENSA_INSB_IlSD_SE_SE_EEEEZNS1_13binary_searchIS3_S5_NSA_INS8_10device_ptrIyEEEESG_SI_NS1_21upper_bound_search_opENS9_16wrapped_functionINS8_6system6detail7generic6detail18binary_search_lessEbEEEE10hipError_tPvRmT1_T2_T3_mmT4_T5_P12ihipStream_tbEUlRKyE_EESV_SZ_S10_mS11_S14_bEUlT_E_NS1_11comp_targetILNS1_3genE10ELNS1_11target_archE1201ELNS1_3gpuE5ELNS1_3repE0EEENS1_30default_config_static_selectorELNS0_4arch9wavefront6targetE0EEEvSY_.uses_vcc, 0
	.set _ZN7rocprim17ROCPRIM_400000_NS6detail17trampoline_kernelINS0_14default_configENS1_27upper_bound_config_selectorIylEEZNS1_14transform_implILb0ES3_S5_N6thrust23THRUST_200600_302600_NS6detail15normal_iteratorINS8_7pointerIyNS8_11hip_rocprim5par_tENS8_11use_defaultESE_EEEENSA_INSB_IlSD_SE_SE_EEEEZNS1_13binary_searchIS3_S5_NSA_INS8_10device_ptrIyEEEESG_SI_NS1_21upper_bound_search_opENS9_16wrapped_functionINS8_6system6detail7generic6detail18binary_search_lessEbEEEE10hipError_tPvRmT1_T2_T3_mmT4_T5_P12ihipStream_tbEUlRKyE_EESV_SZ_S10_mS11_S14_bEUlT_E_NS1_11comp_targetILNS1_3genE10ELNS1_11target_archE1201ELNS1_3gpuE5ELNS1_3repE0EEENS1_30default_config_static_selectorELNS0_4arch9wavefront6targetE0EEEvSY_.uses_flat_scratch, 0
	.set _ZN7rocprim17ROCPRIM_400000_NS6detail17trampoline_kernelINS0_14default_configENS1_27upper_bound_config_selectorIylEEZNS1_14transform_implILb0ES3_S5_N6thrust23THRUST_200600_302600_NS6detail15normal_iteratorINS8_7pointerIyNS8_11hip_rocprim5par_tENS8_11use_defaultESE_EEEENSA_INSB_IlSD_SE_SE_EEEEZNS1_13binary_searchIS3_S5_NSA_INS8_10device_ptrIyEEEESG_SI_NS1_21upper_bound_search_opENS9_16wrapped_functionINS8_6system6detail7generic6detail18binary_search_lessEbEEEE10hipError_tPvRmT1_T2_T3_mmT4_T5_P12ihipStream_tbEUlRKyE_EESV_SZ_S10_mS11_S14_bEUlT_E_NS1_11comp_targetILNS1_3genE10ELNS1_11target_archE1201ELNS1_3gpuE5ELNS1_3repE0EEENS1_30default_config_static_selectorELNS0_4arch9wavefront6targetE0EEEvSY_.has_dyn_sized_stack, 0
	.set _ZN7rocprim17ROCPRIM_400000_NS6detail17trampoline_kernelINS0_14default_configENS1_27upper_bound_config_selectorIylEEZNS1_14transform_implILb0ES3_S5_N6thrust23THRUST_200600_302600_NS6detail15normal_iteratorINS8_7pointerIyNS8_11hip_rocprim5par_tENS8_11use_defaultESE_EEEENSA_INSB_IlSD_SE_SE_EEEEZNS1_13binary_searchIS3_S5_NSA_INS8_10device_ptrIyEEEESG_SI_NS1_21upper_bound_search_opENS9_16wrapped_functionINS8_6system6detail7generic6detail18binary_search_lessEbEEEE10hipError_tPvRmT1_T2_T3_mmT4_T5_P12ihipStream_tbEUlRKyE_EESV_SZ_S10_mS11_S14_bEUlT_E_NS1_11comp_targetILNS1_3genE10ELNS1_11target_archE1201ELNS1_3gpuE5ELNS1_3repE0EEENS1_30default_config_static_selectorELNS0_4arch9wavefront6targetE0EEEvSY_.has_recursion, 0
	.set _ZN7rocprim17ROCPRIM_400000_NS6detail17trampoline_kernelINS0_14default_configENS1_27upper_bound_config_selectorIylEEZNS1_14transform_implILb0ES3_S5_N6thrust23THRUST_200600_302600_NS6detail15normal_iteratorINS8_7pointerIyNS8_11hip_rocprim5par_tENS8_11use_defaultESE_EEEENSA_INSB_IlSD_SE_SE_EEEEZNS1_13binary_searchIS3_S5_NSA_INS8_10device_ptrIyEEEESG_SI_NS1_21upper_bound_search_opENS9_16wrapped_functionINS8_6system6detail7generic6detail18binary_search_lessEbEEEE10hipError_tPvRmT1_T2_T3_mmT4_T5_P12ihipStream_tbEUlRKyE_EESV_SZ_S10_mS11_S14_bEUlT_E_NS1_11comp_targetILNS1_3genE10ELNS1_11target_archE1201ELNS1_3gpuE5ELNS1_3repE0EEENS1_30default_config_static_selectorELNS0_4arch9wavefront6targetE0EEEvSY_.has_indirect_call, 0
	.section	.AMDGPU.csdata,"",@progbits
; Kernel info:
; codeLenInByte = 0
; TotalNumSgprs: 0
; NumVgprs: 0
; ScratchSize: 0
; MemoryBound: 0
; FloatMode: 240
; IeeeMode: 1
; LDSByteSize: 0 bytes/workgroup (compile time only)
; SGPRBlocks: 0
; VGPRBlocks: 0
; NumSGPRsForWavesPerEU: 1
; NumVGPRsForWavesPerEU: 1
; Occupancy: 16
; WaveLimiterHint : 0
; COMPUTE_PGM_RSRC2:SCRATCH_EN: 0
; COMPUTE_PGM_RSRC2:USER_SGPR: 6
; COMPUTE_PGM_RSRC2:TRAP_HANDLER: 0
; COMPUTE_PGM_RSRC2:TGID_X_EN: 1
; COMPUTE_PGM_RSRC2:TGID_Y_EN: 0
; COMPUTE_PGM_RSRC2:TGID_Z_EN: 0
; COMPUTE_PGM_RSRC2:TIDIG_COMP_CNT: 0
	.section	.text._ZN7rocprim17ROCPRIM_400000_NS6detail17trampoline_kernelINS0_14default_configENS1_27upper_bound_config_selectorIylEEZNS1_14transform_implILb0ES3_S5_N6thrust23THRUST_200600_302600_NS6detail15normal_iteratorINS8_7pointerIyNS8_11hip_rocprim5par_tENS8_11use_defaultESE_EEEENSA_INSB_IlSD_SE_SE_EEEEZNS1_13binary_searchIS3_S5_NSA_INS8_10device_ptrIyEEEESG_SI_NS1_21upper_bound_search_opENS9_16wrapped_functionINS8_6system6detail7generic6detail18binary_search_lessEbEEEE10hipError_tPvRmT1_T2_T3_mmT4_T5_P12ihipStream_tbEUlRKyE_EESV_SZ_S10_mS11_S14_bEUlT_E_NS1_11comp_targetILNS1_3genE10ELNS1_11target_archE1200ELNS1_3gpuE4ELNS1_3repE0EEENS1_30default_config_static_selectorELNS0_4arch9wavefront6targetE0EEEvSY_,"axG",@progbits,_ZN7rocprim17ROCPRIM_400000_NS6detail17trampoline_kernelINS0_14default_configENS1_27upper_bound_config_selectorIylEEZNS1_14transform_implILb0ES3_S5_N6thrust23THRUST_200600_302600_NS6detail15normal_iteratorINS8_7pointerIyNS8_11hip_rocprim5par_tENS8_11use_defaultESE_EEEENSA_INSB_IlSD_SE_SE_EEEEZNS1_13binary_searchIS3_S5_NSA_INS8_10device_ptrIyEEEESG_SI_NS1_21upper_bound_search_opENS9_16wrapped_functionINS8_6system6detail7generic6detail18binary_search_lessEbEEEE10hipError_tPvRmT1_T2_T3_mmT4_T5_P12ihipStream_tbEUlRKyE_EESV_SZ_S10_mS11_S14_bEUlT_E_NS1_11comp_targetILNS1_3genE10ELNS1_11target_archE1200ELNS1_3gpuE4ELNS1_3repE0EEENS1_30default_config_static_selectorELNS0_4arch9wavefront6targetE0EEEvSY_,comdat
	.protected	_ZN7rocprim17ROCPRIM_400000_NS6detail17trampoline_kernelINS0_14default_configENS1_27upper_bound_config_selectorIylEEZNS1_14transform_implILb0ES3_S5_N6thrust23THRUST_200600_302600_NS6detail15normal_iteratorINS8_7pointerIyNS8_11hip_rocprim5par_tENS8_11use_defaultESE_EEEENSA_INSB_IlSD_SE_SE_EEEEZNS1_13binary_searchIS3_S5_NSA_INS8_10device_ptrIyEEEESG_SI_NS1_21upper_bound_search_opENS9_16wrapped_functionINS8_6system6detail7generic6detail18binary_search_lessEbEEEE10hipError_tPvRmT1_T2_T3_mmT4_T5_P12ihipStream_tbEUlRKyE_EESV_SZ_S10_mS11_S14_bEUlT_E_NS1_11comp_targetILNS1_3genE10ELNS1_11target_archE1200ELNS1_3gpuE4ELNS1_3repE0EEENS1_30default_config_static_selectorELNS0_4arch9wavefront6targetE0EEEvSY_ ; -- Begin function _ZN7rocprim17ROCPRIM_400000_NS6detail17trampoline_kernelINS0_14default_configENS1_27upper_bound_config_selectorIylEEZNS1_14transform_implILb0ES3_S5_N6thrust23THRUST_200600_302600_NS6detail15normal_iteratorINS8_7pointerIyNS8_11hip_rocprim5par_tENS8_11use_defaultESE_EEEENSA_INSB_IlSD_SE_SE_EEEEZNS1_13binary_searchIS3_S5_NSA_INS8_10device_ptrIyEEEESG_SI_NS1_21upper_bound_search_opENS9_16wrapped_functionINS8_6system6detail7generic6detail18binary_search_lessEbEEEE10hipError_tPvRmT1_T2_T3_mmT4_T5_P12ihipStream_tbEUlRKyE_EESV_SZ_S10_mS11_S14_bEUlT_E_NS1_11comp_targetILNS1_3genE10ELNS1_11target_archE1200ELNS1_3gpuE4ELNS1_3repE0EEENS1_30default_config_static_selectorELNS0_4arch9wavefront6targetE0EEEvSY_
	.globl	_ZN7rocprim17ROCPRIM_400000_NS6detail17trampoline_kernelINS0_14default_configENS1_27upper_bound_config_selectorIylEEZNS1_14transform_implILb0ES3_S5_N6thrust23THRUST_200600_302600_NS6detail15normal_iteratorINS8_7pointerIyNS8_11hip_rocprim5par_tENS8_11use_defaultESE_EEEENSA_INSB_IlSD_SE_SE_EEEEZNS1_13binary_searchIS3_S5_NSA_INS8_10device_ptrIyEEEESG_SI_NS1_21upper_bound_search_opENS9_16wrapped_functionINS8_6system6detail7generic6detail18binary_search_lessEbEEEE10hipError_tPvRmT1_T2_T3_mmT4_T5_P12ihipStream_tbEUlRKyE_EESV_SZ_S10_mS11_S14_bEUlT_E_NS1_11comp_targetILNS1_3genE10ELNS1_11target_archE1200ELNS1_3gpuE4ELNS1_3repE0EEENS1_30default_config_static_selectorELNS0_4arch9wavefront6targetE0EEEvSY_
	.p2align	8
	.type	_ZN7rocprim17ROCPRIM_400000_NS6detail17trampoline_kernelINS0_14default_configENS1_27upper_bound_config_selectorIylEEZNS1_14transform_implILb0ES3_S5_N6thrust23THRUST_200600_302600_NS6detail15normal_iteratorINS8_7pointerIyNS8_11hip_rocprim5par_tENS8_11use_defaultESE_EEEENSA_INSB_IlSD_SE_SE_EEEEZNS1_13binary_searchIS3_S5_NSA_INS8_10device_ptrIyEEEESG_SI_NS1_21upper_bound_search_opENS9_16wrapped_functionINS8_6system6detail7generic6detail18binary_search_lessEbEEEE10hipError_tPvRmT1_T2_T3_mmT4_T5_P12ihipStream_tbEUlRKyE_EESV_SZ_S10_mS11_S14_bEUlT_E_NS1_11comp_targetILNS1_3genE10ELNS1_11target_archE1200ELNS1_3gpuE4ELNS1_3repE0EEENS1_30default_config_static_selectorELNS0_4arch9wavefront6targetE0EEEvSY_,@function
_ZN7rocprim17ROCPRIM_400000_NS6detail17trampoline_kernelINS0_14default_configENS1_27upper_bound_config_selectorIylEEZNS1_14transform_implILb0ES3_S5_N6thrust23THRUST_200600_302600_NS6detail15normal_iteratorINS8_7pointerIyNS8_11hip_rocprim5par_tENS8_11use_defaultESE_EEEENSA_INSB_IlSD_SE_SE_EEEEZNS1_13binary_searchIS3_S5_NSA_INS8_10device_ptrIyEEEESG_SI_NS1_21upper_bound_search_opENS9_16wrapped_functionINS8_6system6detail7generic6detail18binary_search_lessEbEEEE10hipError_tPvRmT1_T2_T3_mmT4_T5_P12ihipStream_tbEUlRKyE_EESV_SZ_S10_mS11_S14_bEUlT_E_NS1_11comp_targetILNS1_3genE10ELNS1_11target_archE1200ELNS1_3gpuE4ELNS1_3repE0EEENS1_30default_config_static_selectorELNS0_4arch9wavefront6targetE0EEEvSY_: ; @_ZN7rocprim17ROCPRIM_400000_NS6detail17trampoline_kernelINS0_14default_configENS1_27upper_bound_config_selectorIylEEZNS1_14transform_implILb0ES3_S5_N6thrust23THRUST_200600_302600_NS6detail15normal_iteratorINS8_7pointerIyNS8_11hip_rocprim5par_tENS8_11use_defaultESE_EEEENSA_INSB_IlSD_SE_SE_EEEEZNS1_13binary_searchIS3_S5_NSA_INS8_10device_ptrIyEEEESG_SI_NS1_21upper_bound_search_opENS9_16wrapped_functionINS8_6system6detail7generic6detail18binary_search_lessEbEEEE10hipError_tPvRmT1_T2_T3_mmT4_T5_P12ihipStream_tbEUlRKyE_EESV_SZ_S10_mS11_S14_bEUlT_E_NS1_11comp_targetILNS1_3genE10ELNS1_11target_archE1200ELNS1_3gpuE4ELNS1_3repE0EEENS1_30default_config_static_selectorELNS0_4arch9wavefront6targetE0EEEvSY_
; %bb.0:
	.section	.rodata,"a",@progbits
	.p2align	6, 0x0
	.amdhsa_kernel _ZN7rocprim17ROCPRIM_400000_NS6detail17trampoline_kernelINS0_14default_configENS1_27upper_bound_config_selectorIylEEZNS1_14transform_implILb0ES3_S5_N6thrust23THRUST_200600_302600_NS6detail15normal_iteratorINS8_7pointerIyNS8_11hip_rocprim5par_tENS8_11use_defaultESE_EEEENSA_INSB_IlSD_SE_SE_EEEEZNS1_13binary_searchIS3_S5_NSA_INS8_10device_ptrIyEEEESG_SI_NS1_21upper_bound_search_opENS9_16wrapped_functionINS8_6system6detail7generic6detail18binary_search_lessEbEEEE10hipError_tPvRmT1_T2_T3_mmT4_T5_P12ihipStream_tbEUlRKyE_EESV_SZ_S10_mS11_S14_bEUlT_E_NS1_11comp_targetILNS1_3genE10ELNS1_11target_archE1200ELNS1_3gpuE4ELNS1_3repE0EEENS1_30default_config_static_selectorELNS0_4arch9wavefront6targetE0EEEvSY_
		.amdhsa_group_segment_fixed_size 0
		.amdhsa_private_segment_fixed_size 0
		.amdhsa_kernarg_size 56
		.amdhsa_user_sgpr_count 6
		.amdhsa_user_sgpr_private_segment_buffer 1
		.amdhsa_user_sgpr_dispatch_ptr 0
		.amdhsa_user_sgpr_queue_ptr 0
		.amdhsa_user_sgpr_kernarg_segment_ptr 1
		.amdhsa_user_sgpr_dispatch_id 0
		.amdhsa_user_sgpr_flat_scratch_init 0
		.amdhsa_user_sgpr_private_segment_size 0
		.amdhsa_wavefront_size32 1
		.amdhsa_uses_dynamic_stack 0
		.amdhsa_system_sgpr_private_segment_wavefront_offset 0
		.amdhsa_system_sgpr_workgroup_id_x 1
		.amdhsa_system_sgpr_workgroup_id_y 0
		.amdhsa_system_sgpr_workgroup_id_z 0
		.amdhsa_system_sgpr_workgroup_info 0
		.amdhsa_system_vgpr_workitem_id 0
		.amdhsa_next_free_vgpr 1
		.amdhsa_next_free_sgpr 1
		.amdhsa_reserve_vcc 0
		.amdhsa_reserve_flat_scratch 0
		.amdhsa_float_round_mode_32 0
		.amdhsa_float_round_mode_16_64 0
		.amdhsa_float_denorm_mode_32 3
		.amdhsa_float_denorm_mode_16_64 3
		.amdhsa_dx10_clamp 1
		.amdhsa_ieee_mode 1
		.amdhsa_fp16_overflow 0
		.amdhsa_workgroup_processor_mode 1
		.amdhsa_memory_ordered 1
		.amdhsa_forward_progress 1
		.amdhsa_shared_vgpr_count 0
		.amdhsa_exception_fp_ieee_invalid_op 0
		.amdhsa_exception_fp_denorm_src 0
		.amdhsa_exception_fp_ieee_div_zero 0
		.amdhsa_exception_fp_ieee_overflow 0
		.amdhsa_exception_fp_ieee_underflow 0
		.amdhsa_exception_fp_ieee_inexact 0
		.amdhsa_exception_int_div_zero 0
	.end_amdhsa_kernel
	.section	.text._ZN7rocprim17ROCPRIM_400000_NS6detail17trampoline_kernelINS0_14default_configENS1_27upper_bound_config_selectorIylEEZNS1_14transform_implILb0ES3_S5_N6thrust23THRUST_200600_302600_NS6detail15normal_iteratorINS8_7pointerIyNS8_11hip_rocprim5par_tENS8_11use_defaultESE_EEEENSA_INSB_IlSD_SE_SE_EEEEZNS1_13binary_searchIS3_S5_NSA_INS8_10device_ptrIyEEEESG_SI_NS1_21upper_bound_search_opENS9_16wrapped_functionINS8_6system6detail7generic6detail18binary_search_lessEbEEEE10hipError_tPvRmT1_T2_T3_mmT4_T5_P12ihipStream_tbEUlRKyE_EESV_SZ_S10_mS11_S14_bEUlT_E_NS1_11comp_targetILNS1_3genE10ELNS1_11target_archE1200ELNS1_3gpuE4ELNS1_3repE0EEENS1_30default_config_static_selectorELNS0_4arch9wavefront6targetE0EEEvSY_,"axG",@progbits,_ZN7rocprim17ROCPRIM_400000_NS6detail17trampoline_kernelINS0_14default_configENS1_27upper_bound_config_selectorIylEEZNS1_14transform_implILb0ES3_S5_N6thrust23THRUST_200600_302600_NS6detail15normal_iteratorINS8_7pointerIyNS8_11hip_rocprim5par_tENS8_11use_defaultESE_EEEENSA_INSB_IlSD_SE_SE_EEEEZNS1_13binary_searchIS3_S5_NSA_INS8_10device_ptrIyEEEESG_SI_NS1_21upper_bound_search_opENS9_16wrapped_functionINS8_6system6detail7generic6detail18binary_search_lessEbEEEE10hipError_tPvRmT1_T2_T3_mmT4_T5_P12ihipStream_tbEUlRKyE_EESV_SZ_S10_mS11_S14_bEUlT_E_NS1_11comp_targetILNS1_3genE10ELNS1_11target_archE1200ELNS1_3gpuE4ELNS1_3repE0EEENS1_30default_config_static_selectorELNS0_4arch9wavefront6targetE0EEEvSY_,comdat
.Lfunc_end542:
	.size	_ZN7rocprim17ROCPRIM_400000_NS6detail17trampoline_kernelINS0_14default_configENS1_27upper_bound_config_selectorIylEEZNS1_14transform_implILb0ES3_S5_N6thrust23THRUST_200600_302600_NS6detail15normal_iteratorINS8_7pointerIyNS8_11hip_rocprim5par_tENS8_11use_defaultESE_EEEENSA_INSB_IlSD_SE_SE_EEEEZNS1_13binary_searchIS3_S5_NSA_INS8_10device_ptrIyEEEESG_SI_NS1_21upper_bound_search_opENS9_16wrapped_functionINS8_6system6detail7generic6detail18binary_search_lessEbEEEE10hipError_tPvRmT1_T2_T3_mmT4_T5_P12ihipStream_tbEUlRKyE_EESV_SZ_S10_mS11_S14_bEUlT_E_NS1_11comp_targetILNS1_3genE10ELNS1_11target_archE1200ELNS1_3gpuE4ELNS1_3repE0EEENS1_30default_config_static_selectorELNS0_4arch9wavefront6targetE0EEEvSY_, .Lfunc_end542-_ZN7rocprim17ROCPRIM_400000_NS6detail17trampoline_kernelINS0_14default_configENS1_27upper_bound_config_selectorIylEEZNS1_14transform_implILb0ES3_S5_N6thrust23THRUST_200600_302600_NS6detail15normal_iteratorINS8_7pointerIyNS8_11hip_rocprim5par_tENS8_11use_defaultESE_EEEENSA_INSB_IlSD_SE_SE_EEEEZNS1_13binary_searchIS3_S5_NSA_INS8_10device_ptrIyEEEESG_SI_NS1_21upper_bound_search_opENS9_16wrapped_functionINS8_6system6detail7generic6detail18binary_search_lessEbEEEE10hipError_tPvRmT1_T2_T3_mmT4_T5_P12ihipStream_tbEUlRKyE_EESV_SZ_S10_mS11_S14_bEUlT_E_NS1_11comp_targetILNS1_3genE10ELNS1_11target_archE1200ELNS1_3gpuE4ELNS1_3repE0EEENS1_30default_config_static_selectorELNS0_4arch9wavefront6targetE0EEEvSY_
                                        ; -- End function
	.set _ZN7rocprim17ROCPRIM_400000_NS6detail17trampoline_kernelINS0_14default_configENS1_27upper_bound_config_selectorIylEEZNS1_14transform_implILb0ES3_S5_N6thrust23THRUST_200600_302600_NS6detail15normal_iteratorINS8_7pointerIyNS8_11hip_rocprim5par_tENS8_11use_defaultESE_EEEENSA_INSB_IlSD_SE_SE_EEEEZNS1_13binary_searchIS3_S5_NSA_INS8_10device_ptrIyEEEESG_SI_NS1_21upper_bound_search_opENS9_16wrapped_functionINS8_6system6detail7generic6detail18binary_search_lessEbEEEE10hipError_tPvRmT1_T2_T3_mmT4_T5_P12ihipStream_tbEUlRKyE_EESV_SZ_S10_mS11_S14_bEUlT_E_NS1_11comp_targetILNS1_3genE10ELNS1_11target_archE1200ELNS1_3gpuE4ELNS1_3repE0EEENS1_30default_config_static_selectorELNS0_4arch9wavefront6targetE0EEEvSY_.num_vgpr, 0
	.set _ZN7rocprim17ROCPRIM_400000_NS6detail17trampoline_kernelINS0_14default_configENS1_27upper_bound_config_selectorIylEEZNS1_14transform_implILb0ES3_S5_N6thrust23THRUST_200600_302600_NS6detail15normal_iteratorINS8_7pointerIyNS8_11hip_rocprim5par_tENS8_11use_defaultESE_EEEENSA_INSB_IlSD_SE_SE_EEEEZNS1_13binary_searchIS3_S5_NSA_INS8_10device_ptrIyEEEESG_SI_NS1_21upper_bound_search_opENS9_16wrapped_functionINS8_6system6detail7generic6detail18binary_search_lessEbEEEE10hipError_tPvRmT1_T2_T3_mmT4_T5_P12ihipStream_tbEUlRKyE_EESV_SZ_S10_mS11_S14_bEUlT_E_NS1_11comp_targetILNS1_3genE10ELNS1_11target_archE1200ELNS1_3gpuE4ELNS1_3repE0EEENS1_30default_config_static_selectorELNS0_4arch9wavefront6targetE0EEEvSY_.num_agpr, 0
	.set _ZN7rocprim17ROCPRIM_400000_NS6detail17trampoline_kernelINS0_14default_configENS1_27upper_bound_config_selectorIylEEZNS1_14transform_implILb0ES3_S5_N6thrust23THRUST_200600_302600_NS6detail15normal_iteratorINS8_7pointerIyNS8_11hip_rocprim5par_tENS8_11use_defaultESE_EEEENSA_INSB_IlSD_SE_SE_EEEEZNS1_13binary_searchIS3_S5_NSA_INS8_10device_ptrIyEEEESG_SI_NS1_21upper_bound_search_opENS9_16wrapped_functionINS8_6system6detail7generic6detail18binary_search_lessEbEEEE10hipError_tPvRmT1_T2_T3_mmT4_T5_P12ihipStream_tbEUlRKyE_EESV_SZ_S10_mS11_S14_bEUlT_E_NS1_11comp_targetILNS1_3genE10ELNS1_11target_archE1200ELNS1_3gpuE4ELNS1_3repE0EEENS1_30default_config_static_selectorELNS0_4arch9wavefront6targetE0EEEvSY_.numbered_sgpr, 0
	.set _ZN7rocprim17ROCPRIM_400000_NS6detail17trampoline_kernelINS0_14default_configENS1_27upper_bound_config_selectorIylEEZNS1_14transform_implILb0ES3_S5_N6thrust23THRUST_200600_302600_NS6detail15normal_iteratorINS8_7pointerIyNS8_11hip_rocprim5par_tENS8_11use_defaultESE_EEEENSA_INSB_IlSD_SE_SE_EEEEZNS1_13binary_searchIS3_S5_NSA_INS8_10device_ptrIyEEEESG_SI_NS1_21upper_bound_search_opENS9_16wrapped_functionINS8_6system6detail7generic6detail18binary_search_lessEbEEEE10hipError_tPvRmT1_T2_T3_mmT4_T5_P12ihipStream_tbEUlRKyE_EESV_SZ_S10_mS11_S14_bEUlT_E_NS1_11comp_targetILNS1_3genE10ELNS1_11target_archE1200ELNS1_3gpuE4ELNS1_3repE0EEENS1_30default_config_static_selectorELNS0_4arch9wavefront6targetE0EEEvSY_.num_named_barrier, 0
	.set _ZN7rocprim17ROCPRIM_400000_NS6detail17trampoline_kernelINS0_14default_configENS1_27upper_bound_config_selectorIylEEZNS1_14transform_implILb0ES3_S5_N6thrust23THRUST_200600_302600_NS6detail15normal_iteratorINS8_7pointerIyNS8_11hip_rocprim5par_tENS8_11use_defaultESE_EEEENSA_INSB_IlSD_SE_SE_EEEEZNS1_13binary_searchIS3_S5_NSA_INS8_10device_ptrIyEEEESG_SI_NS1_21upper_bound_search_opENS9_16wrapped_functionINS8_6system6detail7generic6detail18binary_search_lessEbEEEE10hipError_tPvRmT1_T2_T3_mmT4_T5_P12ihipStream_tbEUlRKyE_EESV_SZ_S10_mS11_S14_bEUlT_E_NS1_11comp_targetILNS1_3genE10ELNS1_11target_archE1200ELNS1_3gpuE4ELNS1_3repE0EEENS1_30default_config_static_selectorELNS0_4arch9wavefront6targetE0EEEvSY_.private_seg_size, 0
	.set _ZN7rocprim17ROCPRIM_400000_NS6detail17trampoline_kernelINS0_14default_configENS1_27upper_bound_config_selectorIylEEZNS1_14transform_implILb0ES3_S5_N6thrust23THRUST_200600_302600_NS6detail15normal_iteratorINS8_7pointerIyNS8_11hip_rocprim5par_tENS8_11use_defaultESE_EEEENSA_INSB_IlSD_SE_SE_EEEEZNS1_13binary_searchIS3_S5_NSA_INS8_10device_ptrIyEEEESG_SI_NS1_21upper_bound_search_opENS9_16wrapped_functionINS8_6system6detail7generic6detail18binary_search_lessEbEEEE10hipError_tPvRmT1_T2_T3_mmT4_T5_P12ihipStream_tbEUlRKyE_EESV_SZ_S10_mS11_S14_bEUlT_E_NS1_11comp_targetILNS1_3genE10ELNS1_11target_archE1200ELNS1_3gpuE4ELNS1_3repE0EEENS1_30default_config_static_selectorELNS0_4arch9wavefront6targetE0EEEvSY_.uses_vcc, 0
	.set _ZN7rocprim17ROCPRIM_400000_NS6detail17trampoline_kernelINS0_14default_configENS1_27upper_bound_config_selectorIylEEZNS1_14transform_implILb0ES3_S5_N6thrust23THRUST_200600_302600_NS6detail15normal_iteratorINS8_7pointerIyNS8_11hip_rocprim5par_tENS8_11use_defaultESE_EEEENSA_INSB_IlSD_SE_SE_EEEEZNS1_13binary_searchIS3_S5_NSA_INS8_10device_ptrIyEEEESG_SI_NS1_21upper_bound_search_opENS9_16wrapped_functionINS8_6system6detail7generic6detail18binary_search_lessEbEEEE10hipError_tPvRmT1_T2_T3_mmT4_T5_P12ihipStream_tbEUlRKyE_EESV_SZ_S10_mS11_S14_bEUlT_E_NS1_11comp_targetILNS1_3genE10ELNS1_11target_archE1200ELNS1_3gpuE4ELNS1_3repE0EEENS1_30default_config_static_selectorELNS0_4arch9wavefront6targetE0EEEvSY_.uses_flat_scratch, 0
	.set _ZN7rocprim17ROCPRIM_400000_NS6detail17trampoline_kernelINS0_14default_configENS1_27upper_bound_config_selectorIylEEZNS1_14transform_implILb0ES3_S5_N6thrust23THRUST_200600_302600_NS6detail15normal_iteratorINS8_7pointerIyNS8_11hip_rocprim5par_tENS8_11use_defaultESE_EEEENSA_INSB_IlSD_SE_SE_EEEEZNS1_13binary_searchIS3_S5_NSA_INS8_10device_ptrIyEEEESG_SI_NS1_21upper_bound_search_opENS9_16wrapped_functionINS8_6system6detail7generic6detail18binary_search_lessEbEEEE10hipError_tPvRmT1_T2_T3_mmT4_T5_P12ihipStream_tbEUlRKyE_EESV_SZ_S10_mS11_S14_bEUlT_E_NS1_11comp_targetILNS1_3genE10ELNS1_11target_archE1200ELNS1_3gpuE4ELNS1_3repE0EEENS1_30default_config_static_selectorELNS0_4arch9wavefront6targetE0EEEvSY_.has_dyn_sized_stack, 0
	.set _ZN7rocprim17ROCPRIM_400000_NS6detail17trampoline_kernelINS0_14default_configENS1_27upper_bound_config_selectorIylEEZNS1_14transform_implILb0ES3_S5_N6thrust23THRUST_200600_302600_NS6detail15normal_iteratorINS8_7pointerIyNS8_11hip_rocprim5par_tENS8_11use_defaultESE_EEEENSA_INSB_IlSD_SE_SE_EEEEZNS1_13binary_searchIS3_S5_NSA_INS8_10device_ptrIyEEEESG_SI_NS1_21upper_bound_search_opENS9_16wrapped_functionINS8_6system6detail7generic6detail18binary_search_lessEbEEEE10hipError_tPvRmT1_T2_T3_mmT4_T5_P12ihipStream_tbEUlRKyE_EESV_SZ_S10_mS11_S14_bEUlT_E_NS1_11comp_targetILNS1_3genE10ELNS1_11target_archE1200ELNS1_3gpuE4ELNS1_3repE0EEENS1_30default_config_static_selectorELNS0_4arch9wavefront6targetE0EEEvSY_.has_recursion, 0
	.set _ZN7rocprim17ROCPRIM_400000_NS6detail17trampoline_kernelINS0_14default_configENS1_27upper_bound_config_selectorIylEEZNS1_14transform_implILb0ES3_S5_N6thrust23THRUST_200600_302600_NS6detail15normal_iteratorINS8_7pointerIyNS8_11hip_rocprim5par_tENS8_11use_defaultESE_EEEENSA_INSB_IlSD_SE_SE_EEEEZNS1_13binary_searchIS3_S5_NSA_INS8_10device_ptrIyEEEESG_SI_NS1_21upper_bound_search_opENS9_16wrapped_functionINS8_6system6detail7generic6detail18binary_search_lessEbEEEE10hipError_tPvRmT1_T2_T3_mmT4_T5_P12ihipStream_tbEUlRKyE_EESV_SZ_S10_mS11_S14_bEUlT_E_NS1_11comp_targetILNS1_3genE10ELNS1_11target_archE1200ELNS1_3gpuE4ELNS1_3repE0EEENS1_30default_config_static_selectorELNS0_4arch9wavefront6targetE0EEEvSY_.has_indirect_call, 0
	.section	.AMDGPU.csdata,"",@progbits
; Kernel info:
; codeLenInByte = 0
; TotalNumSgprs: 0
; NumVgprs: 0
; ScratchSize: 0
; MemoryBound: 0
; FloatMode: 240
; IeeeMode: 1
; LDSByteSize: 0 bytes/workgroup (compile time only)
; SGPRBlocks: 0
; VGPRBlocks: 0
; NumSGPRsForWavesPerEU: 1
; NumVGPRsForWavesPerEU: 1
; Occupancy: 16
; WaveLimiterHint : 0
; COMPUTE_PGM_RSRC2:SCRATCH_EN: 0
; COMPUTE_PGM_RSRC2:USER_SGPR: 6
; COMPUTE_PGM_RSRC2:TRAP_HANDLER: 0
; COMPUTE_PGM_RSRC2:TGID_X_EN: 1
; COMPUTE_PGM_RSRC2:TGID_Y_EN: 0
; COMPUTE_PGM_RSRC2:TGID_Z_EN: 0
; COMPUTE_PGM_RSRC2:TIDIG_COMP_CNT: 0
	.section	.text._ZN7rocprim17ROCPRIM_400000_NS6detail17trampoline_kernelINS0_14default_configENS1_27upper_bound_config_selectorIylEEZNS1_14transform_implILb0ES3_S5_N6thrust23THRUST_200600_302600_NS6detail15normal_iteratorINS8_7pointerIyNS8_11hip_rocprim5par_tENS8_11use_defaultESE_EEEENSA_INSB_IlSD_SE_SE_EEEEZNS1_13binary_searchIS3_S5_NSA_INS8_10device_ptrIyEEEESG_SI_NS1_21upper_bound_search_opENS9_16wrapped_functionINS8_6system6detail7generic6detail18binary_search_lessEbEEEE10hipError_tPvRmT1_T2_T3_mmT4_T5_P12ihipStream_tbEUlRKyE_EESV_SZ_S10_mS11_S14_bEUlT_E_NS1_11comp_targetILNS1_3genE9ELNS1_11target_archE1100ELNS1_3gpuE3ELNS1_3repE0EEENS1_30default_config_static_selectorELNS0_4arch9wavefront6targetE0EEEvSY_,"axG",@progbits,_ZN7rocprim17ROCPRIM_400000_NS6detail17trampoline_kernelINS0_14default_configENS1_27upper_bound_config_selectorIylEEZNS1_14transform_implILb0ES3_S5_N6thrust23THRUST_200600_302600_NS6detail15normal_iteratorINS8_7pointerIyNS8_11hip_rocprim5par_tENS8_11use_defaultESE_EEEENSA_INSB_IlSD_SE_SE_EEEEZNS1_13binary_searchIS3_S5_NSA_INS8_10device_ptrIyEEEESG_SI_NS1_21upper_bound_search_opENS9_16wrapped_functionINS8_6system6detail7generic6detail18binary_search_lessEbEEEE10hipError_tPvRmT1_T2_T3_mmT4_T5_P12ihipStream_tbEUlRKyE_EESV_SZ_S10_mS11_S14_bEUlT_E_NS1_11comp_targetILNS1_3genE9ELNS1_11target_archE1100ELNS1_3gpuE3ELNS1_3repE0EEENS1_30default_config_static_selectorELNS0_4arch9wavefront6targetE0EEEvSY_,comdat
	.protected	_ZN7rocprim17ROCPRIM_400000_NS6detail17trampoline_kernelINS0_14default_configENS1_27upper_bound_config_selectorIylEEZNS1_14transform_implILb0ES3_S5_N6thrust23THRUST_200600_302600_NS6detail15normal_iteratorINS8_7pointerIyNS8_11hip_rocprim5par_tENS8_11use_defaultESE_EEEENSA_INSB_IlSD_SE_SE_EEEEZNS1_13binary_searchIS3_S5_NSA_INS8_10device_ptrIyEEEESG_SI_NS1_21upper_bound_search_opENS9_16wrapped_functionINS8_6system6detail7generic6detail18binary_search_lessEbEEEE10hipError_tPvRmT1_T2_T3_mmT4_T5_P12ihipStream_tbEUlRKyE_EESV_SZ_S10_mS11_S14_bEUlT_E_NS1_11comp_targetILNS1_3genE9ELNS1_11target_archE1100ELNS1_3gpuE3ELNS1_3repE0EEENS1_30default_config_static_selectorELNS0_4arch9wavefront6targetE0EEEvSY_ ; -- Begin function _ZN7rocprim17ROCPRIM_400000_NS6detail17trampoline_kernelINS0_14default_configENS1_27upper_bound_config_selectorIylEEZNS1_14transform_implILb0ES3_S5_N6thrust23THRUST_200600_302600_NS6detail15normal_iteratorINS8_7pointerIyNS8_11hip_rocprim5par_tENS8_11use_defaultESE_EEEENSA_INSB_IlSD_SE_SE_EEEEZNS1_13binary_searchIS3_S5_NSA_INS8_10device_ptrIyEEEESG_SI_NS1_21upper_bound_search_opENS9_16wrapped_functionINS8_6system6detail7generic6detail18binary_search_lessEbEEEE10hipError_tPvRmT1_T2_T3_mmT4_T5_P12ihipStream_tbEUlRKyE_EESV_SZ_S10_mS11_S14_bEUlT_E_NS1_11comp_targetILNS1_3genE9ELNS1_11target_archE1100ELNS1_3gpuE3ELNS1_3repE0EEENS1_30default_config_static_selectorELNS0_4arch9wavefront6targetE0EEEvSY_
	.globl	_ZN7rocprim17ROCPRIM_400000_NS6detail17trampoline_kernelINS0_14default_configENS1_27upper_bound_config_selectorIylEEZNS1_14transform_implILb0ES3_S5_N6thrust23THRUST_200600_302600_NS6detail15normal_iteratorINS8_7pointerIyNS8_11hip_rocprim5par_tENS8_11use_defaultESE_EEEENSA_INSB_IlSD_SE_SE_EEEEZNS1_13binary_searchIS3_S5_NSA_INS8_10device_ptrIyEEEESG_SI_NS1_21upper_bound_search_opENS9_16wrapped_functionINS8_6system6detail7generic6detail18binary_search_lessEbEEEE10hipError_tPvRmT1_T2_T3_mmT4_T5_P12ihipStream_tbEUlRKyE_EESV_SZ_S10_mS11_S14_bEUlT_E_NS1_11comp_targetILNS1_3genE9ELNS1_11target_archE1100ELNS1_3gpuE3ELNS1_3repE0EEENS1_30default_config_static_selectorELNS0_4arch9wavefront6targetE0EEEvSY_
	.p2align	8
	.type	_ZN7rocprim17ROCPRIM_400000_NS6detail17trampoline_kernelINS0_14default_configENS1_27upper_bound_config_selectorIylEEZNS1_14transform_implILb0ES3_S5_N6thrust23THRUST_200600_302600_NS6detail15normal_iteratorINS8_7pointerIyNS8_11hip_rocprim5par_tENS8_11use_defaultESE_EEEENSA_INSB_IlSD_SE_SE_EEEEZNS1_13binary_searchIS3_S5_NSA_INS8_10device_ptrIyEEEESG_SI_NS1_21upper_bound_search_opENS9_16wrapped_functionINS8_6system6detail7generic6detail18binary_search_lessEbEEEE10hipError_tPvRmT1_T2_T3_mmT4_T5_P12ihipStream_tbEUlRKyE_EESV_SZ_S10_mS11_S14_bEUlT_E_NS1_11comp_targetILNS1_3genE9ELNS1_11target_archE1100ELNS1_3gpuE3ELNS1_3repE0EEENS1_30default_config_static_selectorELNS0_4arch9wavefront6targetE0EEEvSY_,@function
_ZN7rocprim17ROCPRIM_400000_NS6detail17trampoline_kernelINS0_14default_configENS1_27upper_bound_config_selectorIylEEZNS1_14transform_implILb0ES3_S5_N6thrust23THRUST_200600_302600_NS6detail15normal_iteratorINS8_7pointerIyNS8_11hip_rocprim5par_tENS8_11use_defaultESE_EEEENSA_INSB_IlSD_SE_SE_EEEEZNS1_13binary_searchIS3_S5_NSA_INS8_10device_ptrIyEEEESG_SI_NS1_21upper_bound_search_opENS9_16wrapped_functionINS8_6system6detail7generic6detail18binary_search_lessEbEEEE10hipError_tPvRmT1_T2_T3_mmT4_T5_P12ihipStream_tbEUlRKyE_EESV_SZ_S10_mS11_S14_bEUlT_E_NS1_11comp_targetILNS1_3genE9ELNS1_11target_archE1100ELNS1_3gpuE3ELNS1_3repE0EEENS1_30default_config_static_selectorELNS0_4arch9wavefront6targetE0EEEvSY_: ; @_ZN7rocprim17ROCPRIM_400000_NS6detail17trampoline_kernelINS0_14default_configENS1_27upper_bound_config_selectorIylEEZNS1_14transform_implILb0ES3_S5_N6thrust23THRUST_200600_302600_NS6detail15normal_iteratorINS8_7pointerIyNS8_11hip_rocprim5par_tENS8_11use_defaultESE_EEEENSA_INSB_IlSD_SE_SE_EEEEZNS1_13binary_searchIS3_S5_NSA_INS8_10device_ptrIyEEEESG_SI_NS1_21upper_bound_search_opENS9_16wrapped_functionINS8_6system6detail7generic6detail18binary_search_lessEbEEEE10hipError_tPvRmT1_T2_T3_mmT4_T5_P12ihipStream_tbEUlRKyE_EESV_SZ_S10_mS11_S14_bEUlT_E_NS1_11comp_targetILNS1_3genE9ELNS1_11target_archE1100ELNS1_3gpuE3ELNS1_3repE0EEENS1_30default_config_static_selectorELNS0_4arch9wavefront6targetE0EEEvSY_
; %bb.0:
	.section	.rodata,"a",@progbits
	.p2align	6, 0x0
	.amdhsa_kernel _ZN7rocprim17ROCPRIM_400000_NS6detail17trampoline_kernelINS0_14default_configENS1_27upper_bound_config_selectorIylEEZNS1_14transform_implILb0ES3_S5_N6thrust23THRUST_200600_302600_NS6detail15normal_iteratorINS8_7pointerIyNS8_11hip_rocprim5par_tENS8_11use_defaultESE_EEEENSA_INSB_IlSD_SE_SE_EEEEZNS1_13binary_searchIS3_S5_NSA_INS8_10device_ptrIyEEEESG_SI_NS1_21upper_bound_search_opENS9_16wrapped_functionINS8_6system6detail7generic6detail18binary_search_lessEbEEEE10hipError_tPvRmT1_T2_T3_mmT4_T5_P12ihipStream_tbEUlRKyE_EESV_SZ_S10_mS11_S14_bEUlT_E_NS1_11comp_targetILNS1_3genE9ELNS1_11target_archE1100ELNS1_3gpuE3ELNS1_3repE0EEENS1_30default_config_static_selectorELNS0_4arch9wavefront6targetE0EEEvSY_
		.amdhsa_group_segment_fixed_size 0
		.amdhsa_private_segment_fixed_size 0
		.amdhsa_kernarg_size 56
		.amdhsa_user_sgpr_count 6
		.amdhsa_user_sgpr_private_segment_buffer 1
		.amdhsa_user_sgpr_dispatch_ptr 0
		.amdhsa_user_sgpr_queue_ptr 0
		.amdhsa_user_sgpr_kernarg_segment_ptr 1
		.amdhsa_user_sgpr_dispatch_id 0
		.amdhsa_user_sgpr_flat_scratch_init 0
		.amdhsa_user_sgpr_private_segment_size 0
		.amdhsa_wavefront_size32 1
		.amdhsa_uses_dynamic_stack 0
		.amdhsa_system_sgpr_private_segment_wavefront_offset 0
		.amdhsa_system_sgpr_workgroup_id_x 1
		.amdhsa_system_sgpr_workgroup_id_y 0
		.amdhsa_system_sgpr_workgroup_id_z 0
		.amdhsa_system_sgpr_workgroup_info 0
		.amdhsa_system_vgpr_workitem_id 0
		.amdhsa_next_free_vgpr 1
		.amdhsa_next_free_sgpr 1
		.amdhsa_reserve_vcc 0
		.amdhsa_reserve_flat_scratch 0
		.amdhsa_float_round_mode_32 0
		.amdhsa_float_round_mode_16_64 0
		.amdhsa_float_denorm_mode_32 3
		.amdhsa_float_denorm_mode_16_64 3
		.amdhsa_dx10_clamp 1
		.amdhsa_ieee_mode 1
		.amdhsa_fp16_overflow 0
		.amdhsa_workgroup_processor_mode 1
		.amdhsa_memory_ordered 1
		.amdhsa_forward_progress 1
		.amdhsa_shared_vgpr_count 0
		.amdhsa_exception_fp_ieee_invalid_op 0
		.amdhsa_exception_fp_denorm_src 0
		.amdhsa_exception_fp_ieee_div_zero 0
		.amdhsa_exception_fp_ieee_overflow 0
		.amdhsa_exception_fp_ieee_underflow 0
		.amdhsa_exception_fp_ieee_inexact 0
		.amdhsa_exception_int_div_zero 0
	.end_amdhsa_kernel
	.section	.text._ZN7rocprim17ROCPRIM_400000_NS6detail17trampoline_kernelINS0_14default_configENS1_27upper_bound_config_selectorIylEEZNS1_14transform_implILb0ES3_S5_N6thrust23THRUST_200600_302600_NS6detail15normal_iteratorINS8_7pointerIyNS8_11hip_rocprim5par_tENS8_11use_defaultESE_EEEENSA_INSB_IlSD_SE_SE_EEEEZNS1_13binary_searchIS3_S5_NSA_INS8_10device_ptrIyEEEESG_SI_NS1_21upper_bound_search_opENS9_16wrapped_functionINS8_6system6detail7generic6detail18binary_search_lessEbEEEE10hipError_tPvRmT1_T2_T3_mmT4_T5_P12ihipStream_tbEUlRKyE_EESV_SZ_S10_mS11_S14_bEUlT_E_NS1_11comp_targetILNS1_3genE9ELNS1_11target_archE1100ELNS1_3gpuE3ELNS1_3repE0EEENS1_30default_config_static_selectorELNS0_4arch9wavefront6targetE0EEEvSY_,"axG",@progbits,_ZN7rocprim17ROCPRIM_400000_NS6detail17trampoline_kernelINS0_14default_configENS1_27upper_bound_config_selectorIylEEZNS1_14transform_implILb0ES3_S5_N6thrust23THRUST_200600_302600_NS6detail15normal_iteratorINS8_7pointerIyNS8_11hip_rocprim5par_tENS8_11use_defaultESE_EEEENSA_INSB_IlSD_SE_SE_EEEEZNS1_13binary_searchIS3_S5_NSA_INS8_10device_ptrIyEEEESG_SI_NS1_21upper_bound_search_opENS9_16wrapped_functionINS8_6system6detail7generic6detail18binary_search_lessEbEEEE10hipError_tPvRmT1_T2_T3_mmT4_T5_P12ihipStream_tbEUlRKyE_EESV_SZ_S10_mS11_S14_bEUlT_E_NS1_11comp_targetILNS1_3genE9ELNS1_11target_archE1100ELNS1_3gpuE3ELNS1_3repE0EEENS1_30default_config_static_selectorELNS0_4arch9wavefront6targetE0EEEvSY_,comdat
.Lfunc_end543:
	.size	_ZN7rocprim17ROCPRIM_400000_NS6detail17trampoline_kernelINS0_14default_configENS1_27upper_bound_config_selectorIylEEZNS1_14transform_implILb0ES3_S5_N6thrust23THRUST_200600_302600_NS6detail15normal_iteratorINS8_7pointerIyNS8_11hip_rocprim5par_tENS8_11use_defaultESE_EEEENSA_INSB_IlSD_SE_SE_EEEEZNS1_13binary_searchIS3_S5_NSA_INS8_10device_ptrIyEEEESG_SI_NS1_21upper_bound_search_opENS9_16wrapped_functionINS8_6system6detail7generic6detail18binary_search_lessEbEEEE10hipError_tPvRmT1_T2_T3_mmT4_T5_P12ihipStream_tbEUlRKyE_EESV_SZ_S10_mS11_S14_bEUlT_E_NS1_11comp_targetILNS1_3genE9ELNS1_11target_archE1100ELNS1_3gpuE3ELNS1_3repE0EEENS1_30default_config_static_selectorELNS0_4arch9wavefront6targetE0EEEvSY_, .Lfunc_end543-_ZN7rocprim17ROCPRIM_400000_NS6detail17trampoline_kernelINS0_14default_configENS1_27upper_bound_config_selectorIylEEZNS1_14transform_implILb0ES3_S5_N6thrust23THRUST_200600_302600_NS6detail15normal_iteratorINS8_7pointerIyNS8_11hip_rocprim5par_tENS8_11use_defaultESE_EEEENSA_INSB_IlSD_SE_SE_EEEEZNS1_13binary_searchIS3_S5_NSA_INS8_10device_ptrIyEEEESG_SI_NS1_21upper_bound_search_opENS9_16wrapped_functionINS8_6system6detail7generic6detail18binary_search_lessEbEEEE10hipError_tPvRmT1_T2_T3_mmT4_T5_P12ihipStream_tbEUlRKyE_EESV_SZ_S10_mS11_S14_bEUlT_E_NS1_11comp_targetILNS1_3genE9ELNS1_11target_archE1100ELNS1_3gpuE3ELNS1_3repE0EEENS1_30default_config_static_selectorELNS0_4arch9wavefront6targetE0EEEvSY_
                                        ; -- End function
	.set _ZN7rocprim17ROCPRIM_400000_NS6detail17trampoline_kernelINS0_14default_configENS1_27upper_bound_config_selectorIylEEZNS1_14transform_implILb0ES3_S5_N6thrust23THRUST_200600_302600_NS6detail15normal_iteratorINS8_7pointerIyNS8_11hip_rocprim5par_tENS8_11use_defaultESE_EEEENSA_INSB_IlSD_SE_SE_EEEEZNS1_13binary_searchIS3_S5_NSA_INS8_10device_ptrIyEEEESG_SI_NS1_21upper_bound_search_opENS9_16wrapped_functionINS8_6system6detail7generic6detail18binary_search_lessEbEEEE10hipError_tPvRmT1_T2_T3_mmT4_T5_P12ihipStream_tbEUlRKyE_EESV_SZ_S10_mS11_S14_bEUlT_E_NS1_11comp_targetILNS1_3genE9ELNS1_11target_archE1100ELNS1_3gpuE3ELNS1_3repE0EEENS1_30default_config_static_selectorELNS0_4arch9wavefront6targetE0EEEvSY_.num_vgpr, 0
	.set _ZN7rocprim17ROCPRIM_400000_NS6detail17trampoline_kernelINS0_14default_configENS1_27upper_bound_config_selectorIylEEZNS1_14transform_implILb0ES3_S5_N6thrust23THRUST_200600_302600_NS6detail15normal_iteratorINS8_7pointerIyNS8_11hip_rocprim5par_tENS8_11use_defaultESE_EEEENSA_INSB_IlSD_SE_SE_EEEEZNS1_13binary_searchIS3_S5_NSA_INS8_10device_ptrIyEEEESG_SI_NS1_21upper_bound_search_opENS9_16wrapped_functionINS8_6system6detail7generic6detail18binary_search_lessEbEEEE10hipError_tPvRmT1_T2_T3_mmT4_T5_P12ihipStream_tbEUlRKyE_EESV_SZ_S10_mS11_S14_bEUlT_E_NS1_11comp_targetILNS1_3genE9ELNS1_11target_archE1100ELNS1_3gpuE3ELNS1_3repE0EEENS1_30default_config_static_selectorELNS0_4arch9wavefront6targetE0EEEvSY_.num_agpr, 0
	.set _ZN7rocprim17ROCPRIM_400000_NS6detail17trampoline_kernelINS0_14default_configENS1_27upper_bound_config_selectorIylEEZNS1_14transform_implILb0ES3_S5_N6thrust23THRUST_200600_302600_NS6detail15normal_iteratorINS8_7pointerIyNS8_11hip_rocprim5par_tENS8_11use_defaultESE_EEEENSA_INSB_IlSD_SE_SE_EEEEZNS1_13binary_searchIS3_S5_NSA_INS8_10device_ptrIyEEEESG_SI_NS1_21upper_bound_search_opENS9_16wrapped_functionINS8_6system6detail7generic6detail18binary_search_lessEbEEEE10hipError_tPvRmT1_T2_T3_mmT4_T5_P12ihipStream_tbEUlRKyE_EESV_SZ_S10_mS11_S14_bEUlT_E_NS1_11comp_targetILNS1_3genE9ELNS1_11target_archE1100ELNS1_3gpuE3ELNS1_3repE0EEENS1_30default_config_static_selectorELNS0_4arch9wavefront6targetE0EEEvSY_.numbered_sgpr, 0
	.set _ZN7rocprim17ROCPRIM_400000_NS6detail17trampoline_kernelINS0_14default_configENS1_27upper_bound_config_selectorIylEEZNS1_14transform_implILb0ES3_S5_N6thrust23THRUST_200600_302600_NS6detail15normal_iteratorINS8_7pointerIyNS8_11hip_rocprim5par_tENS8_11use_defaultESE_EEEENSA_INSB_IlSD_SE_SE_EEEEZNS1_13binary_searchIS3_S5_NSA_INS8_10device_ptrIyEEEESG_SI_NS1_21upper_bound_search_opENS9_16wrapped_functionINS8_6system6detail7generic6detail18binary_search_lessEbEEEE10hipError_tPvRmT1_T2_T3_mmT4_T5_P12ihipStream_tbEUlRKyE_EESV_SZ_S10_mS11_S14_bEUlT_E_NS1_11comp_targetILNS1_3genE9ELNS1_11target_archE1100ELNS1_3gpuE3ELNS1_3repE0EEENS1_30default_config_static_selectorELNS0_4arch9wavefront6targetE0EEEvSY_.num_named_barrier, 0
	.set _ZN7rocprim17ROCPRIM_400000_NS6detail17trampoline_kernelINS0_14default_configENS1_27upper_bound_config_selectorIylEEZNS1_14transform_implILb0ES3_S5_N6thrust23THRUST_200600_302600_NS6detail15normal_iteratorINS8_7pointerIyNS8_11hip_rocprim5par_tENS8_11use_defaultESE_EEEENSA_INSB_IlSD_SE_SE_EEEEZNS1_13binary_searchIS3_S5_NSA_INS8_10device_ptrIyEEEESG_SI_NS1_21upper_bound_search_opENS9_16wrapped_functionINS8_6system6detail7generic6detail18binary_search_lessEbEEEE10hipError_tPvRmT1_T2_T3_mmT4_T5_P12ihipStream_tbEUlRKyE_EESV_SZ_S10_mS11_S14_bEUlT_E_NS1_11comp_targetILNS1_3genE9ELNS1_11target_archE1100ELNS1_3gpuE3ELNS1_3repE0EEENS1_30default_config_static_selectorELNS0_4arch9wavefront6targetE0EEEvSY_.private_seg_size, 0
	.set _ZN7rocprim17ROCPRIM_400000_NS6detail17trampoline_kernelINS0_14default_configENS1_27upper_bound_config_selectorIylEEZNS1_14transform_implILb0ES3_S5_N6thrust23THRUST_200600_302600_NS6detail15normal_iteratorINS8_7pointerIyNS8_11hip_rocprim5par_tENS8_11use_defaultESE_EEEENSA_INSB_IlSD_SE_SE_EEEEZNS1_13binary_searchIS3_S5_NSA_INS8_10device_ptrIyEEEESG_SI_NS1_21upper_bound_search_opENS9_16wrapped_functionINS8_6system6detail7generic6detail18binary_search_lessEbEEEE10hipError_tPvRmT1_T2_T3_mmT4_T5_P12ihipStream_tbEUlRKyE_EESV_SZ_S10_mS11_S14_bEUlT_E_NS1_11comp_targetILNS1_3genE9ELNS1_11target_archE1100ELNS1_3gpuE3ELNS1_3repE0EEENS1_30default_config_static_selectorELNS0_4arch9wavefront6targetE0EEEvSY_.uses_vcc, 0
	.set _ZN7rocprim17ROCPRIM_400000_NS6detail17trampoline_kernelINS0_14default_configENS1_27upper_bound_config_selectorIylEEZNS1_14transform_implILb0ES3_S5_N6thrust23THRUST_200600_302600_NS6detail15normal_iteratorINS8_7pointerIyNS8_11hip_rocprim5par_tENS8_11use_defaultESE_EEEENSA_INSB_IlSD_SE_SE_EEEEZNS1_13binary_searchIS3_S5_NSA_INS8_10device_ptrIyEEEESG_SI_NS1_21upper_bound_search_opENS9_16wrapped_functionINS8_6system6detail7generic6detail18binary_search_lessEbEEEE10hipError_tPvRmT1_T2_T3_mmT4_T5_P12ihipStream_tbEUlRKyE_EESV_SZ_S10_mS11_S14_bEUlT_E_NS1_11comp_targetILNS1_3genE9ELNS1_11target_archE1100ELNS1_3gpuE3ELNS1_3repE0EEENS1_30default_config_static_selectorELNS0_4arch9wavefront6targetE0EEEvSY_.uses_flat_scratch, 0
	.set _ZN7rocprim17ROCPRIM_400000_NS6detail17trampoline_kernelINS0_14default_configENS1_27upper_bound_config_selectorIylEEZNS1_14transform_implILb0ES3_S5_N6thrust23THRUST_200600_302600_NS6detail15normal_iteratorINS8_7pointerIyNS8_11hip_rocprim5par_tENS8_11use_defaultESE_EEEENSA_INSB_IlSD_SE_SE_EEEEZNS1_13binary_searchIS3_S5_NSA_INS8_10device_ptrIyEEEESG_SI_NS1_21upper_bound_search_opENS9_16wrapped_functionINS8_6system6detail7generic6detail18binary_search_lessEbEEEE10hipError_tPvRmT1_T2_T3_mmT4_T5_P12ihipStream_tbEUlRKyE_EESV_SZ_S10_mS11_S14_bEUlT_E_NS1_11comp_targetILNS1_3genE9ELNS1_11target_archE1100ELNS1_3gpuE3ELNS1_3repE0EEENS1_30default_config_static_selectorELNS0_4arch9wavefront6targetE0EEEvSY_.has_dyn_sized_stack, 0
	.set _ZN7rocprim17ROCPRIM_400000_NS6detail17trampoline_kernelINS0_14default_configENS1_27upper_bound_config_selectorIylEEZNS1_14transform_implILb0ES3_S5_N6thrust23THRUST_200600_302600_NS6detail15normal_iteratorINS8_7pointerIyNS8_11hip_rocprim5par_tENS8_11use_defaultESE_EEEENSA_INSB_IlSD_SE_SE_EEEEZNS1_13binary_searchIS3_S5_NSA_INS8_10device_ptrIyEEEESG_SI_NS1_21upper_bound_search_opENS9_16wrapped_functionINS8_6system6detail7generic6detail18binary_search_lessEbEEEE10hipError_tPvRmT1_T2_T3_mmT4_T5_P12ihipStream_tbEUlRKyE_EESV_SZ_S10_mS11_S14_bEUlT_E_NS1_11comp_targetILNS1_3genE9ELNS1_11target_archE1100ELNS1_3gpuE3ELNS1_3repE0EEENS1_30default_config_static_selectorELNS0_4arch9wavefront6targetE0EEEvSY_.has_recursion, 0
	.set _ZN7rocprim17ROCPRIM_400000_NS6detail17trampoline_kernelINS0_14default_configENS1_27upper_bound_config_selectorIylEEZNS1_14transform_implILb0ES3_S5_N6thrust23THRUST_200600_302600_NS6detail15normal_iteratorINS8_7pointerIyNS8_11hip_rocprim5par_tENS8_11use_defaultESE_EEEENSA_INSB_IlSD_SE_SE_EEEEZNS1_13binary_searchIS3_S5_NSA_INS8_10device_ptrIyEEEESG_SI_NS1_21upper_bound_search_opENS9_16wrapped_functionINS8_6system6detail7generic6detail18binary_search_lessEbEEEE10hipError_tPvRmT1_T2_T3_mmT4_T5_P12ihipStream_tbEUlRKyE_EESV_SZ_S10_mS11_S14_bEUlT_E_NS1_11comp_targetILNS1_3genE9ELNS1_11target_archE1100ELNS1_3gpuE3ELNS1_3repE0EEENS1_30default_config_static_selectorELNS0_4arch9wavefront6targetE0EEEvSY_.has_indirect_call, 0
	.section	.AMDGPU.csdata,"",@progbits
; Kernel info:
; codeLenInByte = 0
; TotalNumSgprs: 0
; NumVgprs: 0
; ScratchSize: 0
; MemoryBound: 0
; FloatMode: 240
; IeeeMode: 1
; LDSByteSize: 0 bytes/workgroup (compile time only)
; SGPRBlocks: 0
; VGPRBlocks: 0
; NumSGPRsForWavesPerEU: 1
; NumVGPRsForWavesPerEU: 1
; Occupancy: 16
; WaveLimiterHint : 0
; COMPUTE_PGM_RSRC2:SCRATCH_EN: 0
; COMPUTE_PGM_RSRC2:USER_SGPR: 6
; COMPUTE_PGM_RSRC2:TRAP_HANDLER: 0
; COMPUTE_PGM_RSRC2:TGID_X_EN: 1
; COMPUTE_PGM_RSRC2:TGID_Y_EN: 0
; COMPUTE_PGM_RSRC2:TGID_Z_EN: 0
; COMPUTE_PGM_RSRC2:TIDIG_COMP_CNT: 0
	.section	.text._ZN7rocprim17ROCPRIM_400000_NS6detail17trampoline_kernelINS0_14default_configENS1_27upper_bound_config_selectorIylEEZNS1_14transform_implILb0ES3_S5_N6thrust23THRUST_200600_302600_NS6detail15normal_iteratorINS8_7pointerIyNS8_11hip_rocprim5par_tENS8_11use_defaultESE_EEEENSA_INSB_IlSD_SE_SE_EEEEZNS1_13binary_searchIS3_S5_NSA_INS8_10device_ptrIyEEEESG_SI_NS1_21upper_bound_search_opENS9_16wrapped_functionINS8_6system6detail7generic6detail18binary_search_lessEbEEEE10hipError_tPvRmT1_T2_T3_mmT4_T5_P12ihipStream_tbEUlRKyE_EESV_SZ_S10_mS11_S14_bEUlT_E_NS1_11comp_targetILNS1_3genE8ELNS1_11target_archE1030ELNS1_3gpuE2ELNS1_3repE0EEENS1_30default_config_static_selectorELNS0_4arch9wavefront6targetE0EEEvSY_,"axG",@progbits,_ZN7rocprim17ROCPRIM_400000_NS6detail17trampoline_kernelINS0_14default_configENS1_27upper_bound_config_selectorIylEEZNS1_14transform_implILb0ES3_S5_N6thrust23THRUST_200600_302600_NS6detail15normal_iteratorINS8_7pointerIyNS8_11hip_rocprim5par_tENS8_11use_defaultESE_EEEENSA_INSB_IlSD_SE_SE_EEEEZNS1_13binary_searchIS3_S5_NSA_INS8_10device_ptrIyEEEESG_SI_NS1_21upper_bound_search_opENS9_16wrapped_functionINS8_6system6detail7generic6detail18binary_search_lessEbEEEE10hipError_tPvRmT1_T2_T3_mmT4_T5_P12ihipStream_tbEUlRKyE_EESV_SZ_S10_mS11_S14_bEUlT_E_NS1_11comp_targetILNS1_3genE8ELNS1_11target_archE1030ELNS1_3gpuE2ELNS1_3repE0EEENS1_30default_config_static_selectorELNS0_4arch9wavefront6targetE0EEEvSY_,comdat
	.protected	_ZN7rocprim17ROCPRIM_400000_NS6detail17trampoline_kernelINS0_14default_configENS1_27upper_bound_config_selectorIylEEZNS1_14transform_implILb0ES3_S5_N6thrust23THRUST_200600_302600_NS6detail15normal_iteratorINS8_7pointerIyNS8_11hip_rocprim5par_tENS8_11use_defaultESE_EEEENSA_INSB_IlSD_SE_SE_EEEEZNS1_13binary_searchIS3_S5_NSA_INS8_10device_ptrIyEEEESG_SI_NS1_21upper_bound_search_opENS9_16wrapped_functionINS8_6system6detail7generic6detail18binary_search_lessEbEEEE10hipError_tPvRmT1_T2_T3_mmT4_T5_P12ihipStream_tbEUlRKyE_EESV_SZ_S10_mS11_S14_bEUlT_E_NS1_11comp_targetILNS1_3genE8ELNS1_11target_archE1030ELNS1_3gpuE2ELNS1_3repE0EEENS1_30default_config_static_selectorELNS0_4arch9wavefront6targetE0EEEvSY_ ; -- Begin function _ZN7rocprim17ROCPRIM_400000_NS6detail17trampoline_kernelINS0_14default_configENS1_27upper_bound_config_selectorIylEEZNS1_14transform_implILb0ES3_S5_N6thrust23THRUST_200600_302600_NS6detail15normal_iteratorINS8_7pointerIyNS8_11hip_rocprim5par_tENS8_11use_defaultESE_EEEENSA_INSB_IlSD_SE_SE_EEEEZNS1_13binary_searchIS3_S5_NSA_INS8_10device_ptrIyEEEESG_SI_NS1_21upper_bound_search_opENS9_16wrapped_functionINS8_6system6detail7generic6detail18binary_search_lessEbEEEE10hipError_tPvRmT1_T2_T3_mmT4_T5_P12ihipStream_tbEUlRKyE_EESV_SZ_S10_mS11_S14_bEUlT_E_NS1_11comp_targetILNS1_3genE8ELNS1_11target_archE1030ELNS1_3gpuE2ELNS1_3repE0EEENS1_30default_config_static_selectorELNS0_4arch9wavefront6targetE0EEEvSY_
	.globl	_ZN7rocprim17ROCPRIM_400000_NS6detail17trampoline_kernelINS0_14default_configENS1_27upper_bound_config_selectorIylEEZNS1_14transform_implILb0ES3_S5_N6thrust23THRUST_200600_302600_NS6detail15normal_iteratorINS8_7pointerIyNS8_11hip_rocprim5par_tENS8_11use_defaultESE_EEEENSA_INSB_IlSD_SE_SE_EEEEZNS1_13binary_searchIS3_S5_NSA_INS8_10device_ptrIyEEEESG_SI_NS1_21upper_bound_search_opENS9_16wrapped_functionINS8_6system6detail7generic6detail18binary_search_lessEbEEEE10hipError_tPvRmT1_T2_T3_mmT4_T5_P12ihipStream_tbEUlRKyE_EESV_SZ_S10_mS11_S14_bEUlT_E_NS1_11comp_targetILNS1_3genE8ELNS1_11target_archE1030ELNS1_3gpuE2ELNS1_3repE0EEENS1_30default_config_static_selectorELNS0_4arch9wavefront6targetE0EEEvSY_
	.p2align	8
	.type	_ZN7rocprim17ROCPRIM_400000_NS6detail17trampoline_kernelINS0_14default_configENS1_27upper_bound_config_selectorIylEEZNS1_14transform_implILb0ES3_S5_N6thrust23THRUST_200600_302600_NS6detail15normal_iteratorINS8_7pointerIyNS8_11hip_rocprim5par_tENS8_11use_defaultESE_EEEENSA_INSB_IlSD_SE_SE_EEEEZNS1_13binary_searchIS3_S5_NSA_INS8_10device_ptrIyEEEESG_SI_NS1_21upper_bound_search_opENS9_16wrapped_functionINS8_6system6detail7generic6detail18binary_search_lessEbEEEE10hipError_tPvRmT1_T2_T3_mmT4_T5_P12ihipStream_tbEUlRKyE_EESV_SZ_S10_mS11_S14_bEUlT_E_NS1_11comp_targetILNS1_3genE8ELNS1_11target_archE1030ELNS1_3gpuE2ELNS1_3repE0EEENS1_30default_config_static_selectorELNS0_4arch9wavefront6targetE0EEEvSY_,@function
_ZN7rocprim17ROCPRIM_400000_NS6detail17trampoline_kernelINS0_14default_configENS1_27upper_bound_config_selectorIylEEZNS1_14transform_implILb0ES3_S5_N6thrust23THRUST_200600_302600_NS6detail15normal_iteratorINS8_7pointerIyNS8_11hip_rocprim5par_tENS8_11use_defaultESE_EEEENSA_INSB_IlSD_SE_SE_EEEEZNS1_13binary_searchIS3_S5_NSA_INS8_10device_ptrIyEEEESG_SI_NS1_21upper_bound_search_opENS9_16wrapped_functionINS8_6system6detail7generic6detail18binary_search_lessEbEEEE10hipError_tPvRmT1_T2_T3_mmT4_T5_P12ihipStream_tbEUlRKyE_EESV_SZ_S10_mS11_S14_bEUlT_E_NS1_11comp_targetILNS1_3genE8ELNS1_11target_archE1030ELNS1_3gpuE2ELNS1_3repE0EEENS1_30default_config_static_selectorELNS0_4arch9wavefront6targetE0EEEvSY_: ; @_ZN7rocprim17ROCPRIM_400000_NS6detail17trampoline_kernelINS0_14default_configENS1_27upper_bound_config_selectorIylEEZNS1_14transform_implILb0ES3_S5_N6thrust23THRUST_200600_302600_NS6detail15normal_iteratorINS8_7pointerIyNS8_11hip_rocprim5par_tENS8_11use_defaultESE_EEEENSA_INSB_IlSD_SE_SE_EEEEZNS1_13binary_searchIS3_S5_NSA_INS8_10device_ptrIyEEEESG_SI_NS1_21upper_bound_search_opENS9_16wrapped_functionINS8_6system6detail7generic6detail18binary_search_lessEbEEEE10hipError_tPvRmT1_T2_T3_mmT4_T5_P12ihipStream_tbEUlRKyE_EESV_SZ_S10_mS11_S14_bEUlT_E_NS1_11comp_targetILNS1_3genE8ELNS1_11target_archE1030ELNS1_3gpuE2ELNS1_3repE0EEENS1_30default_config_static_selectorELNS0_4arch9wavefront6targetE0EEEvSY_
; %bb.0:
	s_clause 0x3
	s_load_dwordx4 s[16:19], s[4:5], 0x0
	s_load_dwordx4 s[0:3], s[4:5], 0x18
	s_load_dword s15, s[4:5], 0x38
	s_load_dwordx2 s[10:11], s[4:5], 0x28
	s_waitcnt lgkmcnt(0)
	s_lshl_b64 s[8:9], s[18:19], 3
	s_add_u32 s13, s16, s8
	s_addc_u32 s14, s17, s9
	s_add_u32 s7, s0, s8
	s_addc_u32 s12, s1, s9
	s_add_i32 s15, s15, -1
	s_lshl_b32 s8, s6, 8
	s_mov_b32 s9, 0
	s_cmp_lg_u32 s6, s15
	s_mov_b32 s0, -1
	s_cbranch_scc0 .LBB544_7
; %bb.1:
	s_cmp_eq_u64 s[10:11], 0
	s_cbranch_scc1 .LBB544_5
; %bb.2:
	v_lshlrev_b32_e32 v1, 3, v0
	s_lshl_b64 s[0:1], s[8:9], 3
	v_mov_b32_e32 v5, s10
	s_add_u32 s0, s13, s0
	s_addc_u32 s1, s14, s1
	v_add_co_u32 v1, s0, s0, v1
	v_add_co_ci_u32_e64 v2, null, s1, 0, s0
	v_mov_b32_e32 v6, s11
	s_mov_b32 s1, 0
	flat_load_dwordx2 v[3:4], v[1:2]
	v_mov_b32_e32 v1, 0
	v_mov_b32_e32 v2, 0
	s_inst_prefetch 0x1
	.p2align	6
.LBB544_3:                              ; =>This Inner Loop Header: Depth=1
	v_sub_co_u32 v7, vcc_lo, v5, v1
	v_sub_co_ci_u32_e64 v8, null, v6, v2, vcc_lo
	v_lshrrev_b64 v[9:10], 1, v[7:8]
	v_lshrrev_b64 v[7:8], 6, v[7:8]
	v_add_co_u32 v9, vcc_lo, v9, v1
	v_add_co_ci_u32_e64 v10, null, v10, v2, vcc_lo
	v_add_co_u32 v7, vcc_lo, v9, v7
	v_add_co_ci_u32_e64 v8, null, v10, v8, vcc_lo
	v_lshlrev_b64 v[9:10], 3, v[7:8]
	v_add_co_u32 v9, vcc_lo, s2, v9
	v_add_co_ci_u32_e64 v10, null, s3, v10, vcc_lo
	v_add_co_u32 v11, vcc_lo, v7, 1
	global_load_dwordx2 v[9:10], v[9:10], off
	s_waitcnt vmcnt(0) lgkmcnt(0)
	v_cmp_lt_u64_e64 s0, v[3:4], v[9:10]
	v_add_co_ci_u32_e64 v9, null, 0, v8, vcc_lo
	v_cndmask_b32_e64 v6, v6, v8, s0
	v_cndmask_b32_e64 v5, v5, v7, s0
	;; [unrolled: 1-line block ×4, first 2 shown]
	v_cmp_ge_u64_e32 vcc_lo, v[1:2], v[5:6]
	s_or_b32 s1, vcc_lo, s1
	s_andn2_b32 exec_lo, exec_lo, s1
	s_cbranch_execnz .LBB544_3
; %bb.4:
	s_inst_prefetch 0x2
	s_or_b32 exec_lo, exec_lo, s1
	s_branch .LBB544_6
.LBB544_5:
	v_mov_b32_e32 v1, 0
	v_mov_b32_e32 v2, 0
.LBB544_6:
	v_lshlrev_b32_e32 v3, 3, v0
	s_lshl_b64 s[0:1], s[8:9], 3
	s_add_u32 s0, s7, s0
	s_addc_u32 s1, s12, s1
	v_add_co_u32 v3, s0, s0, v3
	v_add_co_ci_u32_e64 v4, null, s1, 0, s0
	s_mov_b32 s0, 0
	flat_store_dwordx2 v[3:4], v[1:2]
.LBB544_7:
	s_and_b32 vcc_lo, exec_lo, s0
	s_cbranch_vccz .LBB544_16
; %bb.8:
	s_load_dword s0, s[4:5], 0x10
                                        ; implicit-def: $vgpr3_vgpr4
	s_waitcnt lgkmcnt(0)
	s_sub_i32 s1, s0, s8
	v_cmp_le_u32_e64 s0, s1, v0
	v_cmp_gt_u32_e32 vcc_lo, s1, v0
	s_and_saveexec_b32 s1, vcc_lo
	s_cbranch_execz .LBB544_10
; %bb.9:
	v_lshlrev_b32_e32 v1, 3, v0
	s_lshl_b64 s[4:5], s[8:9], 3
	s_add_u32 s4, s13, s4
	s_addc_u32 s5, s14, s5
	v_add_co_u32 v1, s4, s4, v1
	v_add_co_ci_u32_e64 v2, null, s5, 0, s4
	flat_load_dwordx2 v[3:4], v[1:2]
.LBB544_10:
	s_or_b32 exec_lo, exec_lo, s1
	s_cmp_lg_u64 s[10:11], 0
	v_mov_b32_e32 v1, 0
	v_mov_b32_e32 v2, 0
	s_cselect_b32 s1, -1, 0
	s_xor_b32 s0, s0, -1
	s_and_b32 s0, s0, s1
	s_and_saveexec_b32 s4, s0
	s_cbranch_execz .LBB544_14
; %bb.11:
	v_mov_b32_e32 v1, 0
	v_mov_b32_e32 v5, s10
	;; [unrolled: 1-line block ×4, first 2 shown]
	s_mov_b32 s5, 0
	s_inst_prefetch 0x1
	.p2align	6
.LBB544_12:                             ; =>This Inner Loop Header: Depth=1
	v_sub_co_u32 v7, s0, v5, v1
	v_sub_co_ci_u32_e64 v8, null, v6, v2, s0
	v_lshrrev_b64 v[9:10], 1, v[7:8]
	v_lshrrev_b64 v[7:8], 6, v[7:8]
	v_add_co_u32 v9, s0, v9, v1
	v_add_co_ci_u32_e64 v10, null, v10, v2, s0
	v_add_co_u32 v7, s0, v9, v7
	v_add_co_ci_u32_e64 v8, null, v10, v8, s0
	v_lshlrev_b64 v[9:10], 3, v[7:8]
	v_add_co_u32 v9, s0, s2, v9
	v_add_co_ci_u32_e64 v10, null, s3, v10, s0
	v_add_co_u32 v11, s0, v7, 1
	global_load_dwordx2 v[9:10], v[9:10], off
	s_waitcnt vmcnt(0) lgkmcnt(0)
	v_cmp_lt_u64_e64 s1, v[3:4], v[9:10]
	v_add_co_ci_u32_e64 v9, null, 0, v8, s0
	v_cndmask_b32_e64 v6, v6, v8, s1
	v_cndmask_b32_e64 v5, v5, v7, s1
	;; [unrolled: 1-line block ×4, first 2 shown]
	v_cmp_ge_u64_e64 s0, v[1:2], v[5:6]
	s_or_b32 s5, s0, s5
	s_andn2_b32 exec_lo, exec_lo, s5
	s_cbranch_execnz .LBB544_12
; %bb.13:
	s_inst_prefetch 0x2
	s_or_b32 exec_lo, exec_lo, s5
.LBB544_14:
	s_or_b32 exec_lo, exec_lo, s4
	s_and_saveexec_b32 s0, vcc_lo
	s_cbranch_execz .LBB544_16
; %bb.15:
	v_lshlrev_b32_e32 v0, 3, v0
	s_lshl_b64 s[0:1], s[8:9], 3
	s_add_u32 s0, s7, s0
	s_addc_u32 s1, s12, s1
	s_waitcnt vmcnt(0) lgkmcnt(0)
	v_add_co_u32 v3, s0, s0, v0
	v_add_co_ci_u32_e64 v4, null, s1, 0, s0
	flat_store_dwordx2 v[3:4], v[1:2]
.LBB544_16:
	s_endpgm
	.section	.rodata,"a",@progbits
	.p2align	6, 0x0
	.amdhsa_kernel _ZN7rocprim17ROCPRIM_400000_NS6detail17trampoline_kernelINS0_14default_configENS1_27upper_bound_config_selectorIylEEZNS1_14transform_implILb0ES3_S5_N6thrust23THRUST_200600_302600_NS6detail15normal_iteratorINS8_7pointerIyNS8_11hip_rocprim5par_tENS8_11use_defaultESE_EEEENSA_INSB_IlSD_SE_SE_EEEEZNS1_13binary_searchIS3_S5_NSA_INS8_10device_ptrIyEEEESG_SI_NS1_21upper_bound_search_opENS9_16wrapped_functionINS8_6system6detail7generic6detail18binary_search_lessEbEEEE10hipError_tPvRmT1_T2_T3_mmT4_T5_P12ihipStream_tbEUlRKyE_EESV_SZ_S10_mS11_S14_bEUlT_E_NS1_11comp_targetILNS1_3genE8ELNS1_11target_archE1030ELNS1_3gpuE2ELNS1_3repE0EEENS1_30default_config_static_selectorELNS0_4arch9wavefront6targetE0EEEvSY_
		.amdhsa_group_segment_fixed_size 0
		.amdhsa_private_segment_fixed_size 0
		.amdhsa_kernarg_size 312
		.amdhsa_user_sgpr_count 6
		.amdhsa_user_sgpr_private_segment_buffer 1
		.amdhsa_user_sgpr_dispatch_ptr 0
		.amdhsa_user_sgpr_queue_ptr 0
		.amdhsa_user_sgpr_kernarg_segment_ptr 1
		.amdhsa_user_sgpr_dispatch_id 0
		.amdhsa_user_sgpr_flat_scratch_init 0
		.amdhsa_user_sgpr_private_segment_size 0
		.amdhsa_wavefront_size32 1
		.amdhsa_uses_dynamic_stack 0
		.amdhsa_system_sgpr_private_segment_wavefront_offset 0
		.amdhsa_system_sgpr_workgroup_id_x 1
		.amdhsa_system_sgpr_workgroup_id_y 0
		.amdhsa_system_sgpr_workgroup_id_z 0
		.amdhsa_system_sgpr_workgroup_info 0
		.amdhsa_system_vgpr_workitem_id 0
		.amdhsa_next_free_vgpr 12
		.amdhsa_next_free_sgpr 20
		.amdhsa_reserve_vcc 1
		.amdhsa_reserve_flat_scratch 0
		.amdhsa_float_round_mode_32 0
		.amdhsa_float_round_mode_16_64 0
		.amdhsa_float_denorm_mode_32 3
		.amdhsa_float_denorm_mode_16_64 3
		.amdhsa_dx10_clamp 1
		.amdhsa_ieee_mode 1
		.amdhsa_fp16_overflow 0
		.amdhsa_workgroup_processor_mode 1
		.amdhsa_memory_ordered 1
		.amdhsa_forward_progress 1
		.amdhsa_shared_vgpr_count 0
		.amdhsa_exception_fp_ieee_invalid_op 0
		.amdhsa_exception_fp_denorm_src 0
		.amdhsa_exception_fp_ieee_div_zero 0
		.amdhsa_exception_fp_ieee_overflow 0
		.amdhsa_exception_fp_ieee_underflow 0
		.amdhsa_exception_fp_ieee_inexact 0
		.amdhsa_exception_int_div_zero 0
	.end_amdhsa_kernel
	.section	.text._ZN7rocprim17ROCPRIM_400000_NS6detail17trampoline_kernelINS0_14default_configENS1_27upper_bound_config_selectorIylEEZNS1_14transform_implILb0ES3_S5_N6thrust23THRUST_200600_302600_NS6detail15normal_iteratorINS8_7pointerIyNS8_11hip_rocprim5par_tENS8_11use_defaultESE_EEEENSA_INSB_IlSD_SE_SE_EEEEZNS1_13binary_searchIS3_S5_NSA_INS8_10device_ptrIyEEEESG_SI_NS1_21upper_bound_search_opENS9_16wrapped_functionINS8_6system6detail7generic6detail18binary_search_lessEbEEEE10hipError_tPvRmT1_T2_T3_mmT4_T5_P12ihipStream_tbEUlRKyE_EESV_SZ_S10_mS11_S14_bEUlT_E_NS1_11comp_targetILNS1_3genE8ELNS1_11target_archE1030ELNS1_3gpuE2ELNS1_3repE0EEENS1_30default_config_static_selectorELNS0_4arch9wavefront6targetE0EEEvSY_,"axG",@progbits,_ZN7rocprim17ROCPRIM_400000_NS6detail17trampoline_kernelINS0_14default_configENS1_27upper_bound_config_selectorIylEEZNS1_14transform_implILb0ES3_S5_N6thrust23THRUST_200600_302600_NS6detail15normal_iteratorINS8_7pointerIyNS8_11hip_rocprim5par_tENS8_11use_defaultESE_EEEENSA_INSB_IlSD_SE_SE_EEEEZNS1_13binary_searchIS3_S5_NSA_INS8_10device_ptrIyEEEESG_SI_NS1_21upper_bound_search_opENS9_16wrapped_functionINS8_6system6detail7generic6detail18binary_search_lessEbEEEE10hipError_tPvRmT1_T2_T3_mmT4_T5_P12ihipStream_tbEUlRKyE_EESV_SZ_S10_mS11_S14_bEUlT_E_NS1_11comp_targetILNS1_3genE8ELNS1_11target_archE1030ELNS1_3gpuE2ELNS1_3repE0EEENS1_30default_config_static_selectorELNS0_4arch9wavefront6targetE0EEEvSY_,comdat
.Lfunc_end544:
	.size	_ZN7rocprim17ROCPRIM_400000_NS6detail17trampoline_kernelINS0_14default_configENS1_27upper_bound_config_selectorIylEEZNS1_14transform_implILb0ES3_S5_N6thrust23THRUST_200600_302600_NS6detail15normal_iteratorINS8_7pointerIyNS8_11hip_rocprim5par_tENS8_11use_defaultESE_EEEENSA_INSB_IlSD_SE_SE_EEEEZNS1_13binary_searchIS3_S5_NSA_INS8_10device_ptrIyEEEESG_SI_NS1_21upper_bound_search_opENS9_16wrapped_functionINS8_6system6detail7generic6detail18binary_search_lessEbEEEE10hipError_tPvRmT1_T2_T3_mmT4_T5_P12ihipStream_tbEUlRKyE_EESV_SZ_S10_mS11_S14_bEUlT_E_NS1_11comp_targetILNS1_3genE8ELNS1_11target_archE1030ELNS1_3gpuE2ELNS1_3repE0EEENS1_30default_config_static_selectorELNS0_4arch9wavefront6targetE0EEEvSY_, .Lfunc_end544-_ZN7rocprim17ROCPRIM_400000_NS6detail17trampoline_kernelINS0_14default_configENS1_27upper_bound_config_selectorIylEEZNS1_14transform_implILb0ES3_S5_N6thrust23THRUST_200600_302600_NS6detail15normal_iteratorINS8_7pointerIyNS8_11hip_rocprim5par_tENS8_11use_defaultESE_EEEENSA_INSB_IlSD_SE_SE_EEEEZNS1_13binary_searchIS3_S5_NSA_INS8_10device_ptrIyEEEESG_SI_NS1_21upper_bound_search_opENS9_16wrapped_functionINS8_6system6detail7generic6detail18binary_search_lessEbEEEE10hipError_tPvRmT1_T2_T3_mmT4_T5_P12ihipStream_tbEUlRKyE_EESV_SZ_S10_mS11_S14_bEUlT_E_NS1_11comp_targetILNS1_3genE8ELNS1_11target_archE1030ELNS1_3gpuE2ELNS1_3repE0EEENS1_30default_config_static_selectorELNS0_4arch9wavefront6targetE0EEEvSY_
                                        ; -- End function
	.set _ZN7rocprim17ROCPRIM_400000_NS6detail17trampoline_kernelINS0_14default_configENS1_27upper_bound_config_selectorIylEEZNS1_14transform_implILb0ES3_S5_N6thrust23THRUST_200600_302600_NS6detail15normal_iteratorINS8_7pointerIyNS8_11hip_rocprim5par_tENS8_11use_defaultESE_EEEENSA_INSB_IlSD_SE_SE_EEEEZNS1_13binary_searchIS3_S5_NSA_INS8_10device_ptrIyEEEESG_SI_NS1_21upper_bound_search_opENS9_16wrapped_functionINS8_6system6detail7generic6detail18binary_search_lessEbEEEE10hipError_tPvRmT1_T2_T3_mmT4_T5_P12ihipStream_tbEUlRKyE_EESV_SZ_S10_mS11_S14_bEUlT_E_NS1_11comp_targetILNS1_3genE8ELNS1_11target_archE1030ELNS1_3gpuE2ELNS1_3repE0EEENS1_30default_config_static_selectorELNS0_4arch9wavefront6targetE0EEEvSY_.num_vgpr, 12
	.set _ZN7rocprim17ROCPRIM_400000_NS6detail17trampoline_kernelINS0_14default_configENS1_27upper_bound_config_selectorIylEEZNS1_14transform_implILb0ES3_S5_N6thrust23THRUST_200600_302600_NS6detail15normal_iteratorINS8_7pointerIyNS8_11hip_rocprim5par_tENS8_11use_defaultESE_EEEENSA_INSB_IlSD_SE_SE_EEEEZNS1_13binary_searchIS3_S5_NSA_INS8_10device_ptrIyEEEESG_SI_NS1_21upper_bound_search_opENS9_16wrapped_functionINS8_6system6detail7generic6detail18binary_search_lessEbEEEE10hipError_tPvRmT1_T2_T3_mmT4_T5_P12ihipStream_tbEUlRKyE_EESV_SZ_S10_mS11_S14_bEUlT_E_NS1_11comp_targetILNS1_3genE8ELNS1_11target_archE1030ELNS1_3gpuE2ELNS1_3repE0EEENS1_30default_config_static_selectorELNS0_4arch9wavefront6targetE0EEEvSY_.num_agpr, 0
	.set _ZN7rocprim17ROCPRIM_400000_NS6detail17trampoline_kernelINS0_14default_configENS1_27upper_bound_config_selectorIylEEZNS1_14transform_implILb0ES3_S5_N6thrust23THRUST_200600_302600_NS6detail15normal_iteratorINS8_7pointerIyNS8_11hip_rocprim5par_tENS8_11use_defaultESE_EEEENSA_INSB_IlSD_SE_SE_EEEEZNS1_13binary_searchIS3_S5_NSA_INS8_10device_ptrIyEEEESG_SI_NS1_21upper_bound_search_opENS9_16wrapped_functionINS8_6system6detail7generic6detail18binary_search_lessEbEEEE10hipError_tPvRmT1_T2_T3_mmT4_T5_P12ihipStream_tbEUlRKyE_EESV_SZ_S10_mS11_S14_bEUlT_E_NS1_11comp_targetILNS1_3genE8ELNS1_11target_archE1030ELNS1_3gpuE2ELNS1_3repE0EEENS1_30default_config_static_selectorELNS0_4arch9wavefront6targetE0EEEvSY_.numbered_sgpr, 20
	.set _ZN7rocprim17ROCPRIM_400000_NS6detail17trampoline_kernelINS0_14default_configENS1_27upper_bound_config_selectorIylEEZNS1_14transform_implILb0ES3_S5_N6thrust23THRUST_200600_302600_NS6detail15normal_iteratorINS8_7pointerIyNS8_11hip_rocprim5par_tENS8_11use_defaultESE_EEEENSA_INSB_IlSD_SE_SE_EEEEZNS1_13binary_searchIS3_S5_NSA_INS8_10device_ptrIyEEEESG_SI_NS1_21upper_bound_search_opENS9_16wrapped_functionINS8_6system6detail7generic6detail18binary_search_lessEbEEEE10hipError_tPvRmT1_T2_T3_mmT4_T5_P12ihipStream_tbEUlRKyE_EESV_SZ_S10_mS11_S14_bEUlT_E_NS1_11comp_targetILNS1_3genE8ELNS1_11target_archE1030ELNS1_3gpuE2ELNS1_3repE0EEENS1_30default_config_static_selectorELNS0_4arch9wavefront6targetE0EEEvSY_.num_named_barrier, 0
	.set _ZN7rocprim17ROCPRIM_400000_NS6detail17trampoline_kernelINS0_14default_configENS1_27upper_bound_config_selectorIylEEZNS1_14transform_implILb0ES3_S5_N6thrust23THRUST_200600_302600_NS6detail15normal_iteratorINS8_7pointerIyNS8_11hip_rocprim5par_tENS8_11use_defaultESE_EEEENSA_INSB_IlSD_SE_SE_EEEEZNS1_13binary_searchIS3_S5_NSA_INS8_10device_ptrIyEEEESG_SI_NS1_21upper_bound_search_opENS9_16wrapped_functionINS8_6system6detail7generic6detail18binary_search_lessEbEEEE10hipError_tPvRmT1_T2_T3_mmT4_T5_P12ihipStream_tbEUlRKyE_EESV_SZ_S10_mS11_S14_bEUlT_E_NS1_11comp_targetILNS1_3genE8ELNS1_11target_archE1030ELNS1_3gpuE2ELNS1_3repE0EEENS1_30default_config_static_selectorELNS0_4arch9wavefront6targetE0EEEvSY_.private_seg_size, 0
	.set _ZN7rocprim17ROCPRIM_400000_NS6detail17trampoline_kernelINS0_14default_configENS1_27upper_bound_config_selectorIylEEZNS1_14transform_implILb0ES3_S5_N6thrust23THRUST_200600_302600_NS6detail15normal_iteratorINS8_7pointerIyNS8_11hip_rocprim5par_tENS8_11use_defaultESE_EEEENSA_INSB_IlSD_SE_SE_EEEEZNS1_13binary_searchIS3_S5_NSA_INS8_10device_ptrIyEEEESG_SI_NS1_21upper_bound_search_opENS9_16wrapped_functionINS8_6system6detail7generic6detail18binary_search_lessEbEEEE10hipError_tPvRmT1_T2_T3_mmT4_T5_P12ihipStream_tbEUlRKyE_EESV_SZ_S10_mS11_S14_bEUlT_E_NS1_11comp_targetILNS1_3genE8ELNS1_11target_archE1030ELNS1_3gpuE2ELNS1_3repE0EEENS1_30default_config_static_selectorELNS0_4arch9wavefront6targetE0EEEvSY_.uses_vcc, 1
	.set _ZN7rocprim17ROCPRIM_400000_NS6detail17trampoline_kernelINS0_14default_configENS1_27upper_bound_config_selectorIylEEZNS1_14transform_implILb0ES3_S5_N6thrust23THRUST_200600_302600_NS6detail15normal_iteratorINS8_7pointerIyNS8_11hip_rocprim5par_tENS8_11use_defaultESE_EEEENSA_INSB_IlSD_SE_SE_EEEEZNS1_13binary_searchIS3_S5_NSA_INS8_10device_ptrIyEEEESG_SI_NS1_21upper_bound_search_opENS9_16wrapped_functionINS8_6system6detail7generic6detail18binary_search_lessEbEEEE10hipError_tPvRmT1_T2_T3_mmT4_T5_P12ihipStream_tbEUlRKyE_EESV_SZ_S10_mS11_S14_bEUlT_E_NS1_11comp_targetILNS1_3genE8ELNS1_11target_archE1030ELNS1_3gpuE2ELNS1_3repE0EEENS1_30default_config_static_selectorELNS0_4arch9wavefront6targetE0EEEvSY_.uses_flat_scratch, 0
	.set _ZN7rocprim17ROCPRIM_400000_NS6detail17trampoline_kernelINS0_14default_configENS1_27upper_bound_config_selectorIylEEZNS1_14transform_implILb0ES3_S5_N6thrust23THRUST_200600_302600_NS6detail15normal_iteratorINS8_7pointerIyNS8_11hip_rocprim5par_tENS8_11use_defaultESE_EEEENSA_INSB_IlSD_SE_SE_EEEEZNS1_13binary_searchIS3_S5_NSA_INS8_10device_ptrIyEEEESG_SI_NS1_21upper_bound_search_opENS9_16wrapped_functionINS8_6system6detail7generic6detail18binary_search_lessEbEEEE10hipError_tPvRmT1_T2_T3_mmT4_T5_P12ihipStream_tbEUlRKyE_EESV_SZ_S10_mS11_S14_bEUlT_E_NS1_11comp_targetILNS1_3genE8ELNS1_11target_archE1030ELNS1_3gpuE2ELNS1_3repE0EEENS1_30default_config_static_selectorELNS0_4arch9wavefront6targetE0EEEvSY_.has_dyn_sized_stack, 0
	.set _ZN7rocprim17ROCPRIM_400000_NS6detail17trampoline_kernelINS0_14default_configENS1_27upper_bound_config_selectorIylEEZNS1_14transform_implILb0ES3_S5_N6thrust23THRUST_200600_302600_NS6detail15normal_iteratorINS8_7pointerIyNS8_11hip_rocprim5par_tENS8_11use_defaultESE_EEEENSA_INSB_IlSD_SE_SE_EEEEZNS1_13binary_searchIS3_S5_NSA_INS8_10device_ptrIyEEEESG_SI_NS1_21upper_bound_search_opENS9_16wrapped_functionINS8_6system6detail7generic6detail18binary_search_lessEbEEEE10hipError_tPvRmT1_T2_T3_mmT4_T5_P12ihipStream_tbEUlRKyE_EESV_SZ_S10_mS11_S14_bEUlT_E_NS1_11comp_targetILNS1_3genE8ELNS1_11target_archE1030ELNS1_3gpuE2ELNS1_3repE0EEENS1_30default_config_static_selectorELNS0_4arch9wavefront6targetE0EEEvSY_.has_recursion, 0
	.set _ZN7rocprim17ROCPRIM_400000_NS6detail17trampoline_kernelINS0_14default_configENS1_27upper_bound_config_selectorIylEEZNS1_14transform_implILb0ES3_S5_N6thrust23THRUST_200600_302600_NS6detail15normal_iteratorINS8_7pointerIyNS8_11hip_rocprim5par_tENS8_11use_defaultESE_EEEENSA_INSB_IlSD_SE_SE_EEEEZNS1_13binary_searchIS3_S5_NSA_INS8_10device_ptrIyEEEESG_SI_NS1_21upper_bound_search_opENS9_16wrapped_functionINS8_6system6detail7generic6detail18binary_search_lessEbEEEE10hipError_tPvRmT1_T2_T3_mmT4_T5_P12ihipStream_tbEUlRKyE_EESV_SZ_S10_mS11_S14_bEUlT_E_NS1_11comp_targetILNS1_3genE8ELNS1_11target_archE1030ELNS1_3gpuE2ELNS1_3repE0EEENS1_30default_config_static_selectorELNS0_4arch9wavefront6targetE0EEEvSY_.has_indirect_call, 0
	.section	.AMDGPU.csdata,"",@progbits
; Kernel info:
; codeLenInByte = 820
; TotalNumSgprs: 22
; NumVgprs: 12
; ScratchSize: 0
; MemoryBound: 0
; FloatMode: 240
; IeeeMode: 1
; LDSByteSize: 0 bytes/workgroup (compile time only)
; SGPRBlocks: 0
; VGPRBlocks: 1
; NumSGPRsForWavesPerEU: 22
; NumVGPRsForWavesPerEU: 12
; Occupancy: 16
; WaveLimiterHint : 0
; COMPUTE_PGM_RSRC2:SCRATCH_EN: 0
; COMPUTE_PGM_RSRC2:USER_SGPR: 6
; COMPUTE_PGM_RSRC2:TRAP_HANDLER: 0
; COMPUTE_PGM_RSRC2:TGID_X_EN: 1
; COMPUTE_PGM_RSRC2:TGID_Y_EN: 0
; COMPUTE_PGM_RSRC2:TGID_Z_EN: 0
; COMPUTE_PGM_RSRC2:TIDIG_COMP_CNT: 0
	.section	.text._ZN7rocprim17ROCPRIM_400000_NS6detail17trampoline_kernelINS0_14default_configENS1_27upper_bound_config_selectorIjlEEZNS1_14transform_implILb0ES3_S5_N6thrust23THRUST_200600_302600_NS6detail15normal_iteratorINS8_7pointerIjNS8_11hip_rocprim5par_tENS8_11use_defaultESE_EEEENSA_INSB_IlSD_SE_SE_EEEEZNS1_13binary_searchIS3_S5_NSA_INS8_10device_ptrIjEEEESG_SI_NS1_21upper_bound_search_opENS9_16wrapped_functionINS8_6system6detail7generic6detail18binary_search_lessEbEEEE10hipError_tPvRmT1_T2_T3_mmT4_T5_P12ihipStream_tbEUlRKjE_EESV_SZ_S10_mS11_S14_bEUlT_E_NS1_11comp_targetILNS1_3genE0ELNS1_11target_archE4294967295ELNS1_3gpuE0ELNS1_3repE0EEENS1_30default_config_static_selectorELNS0_4arch9wavefront6targetE0EEEvSY_,"axG",@progbits,_ZN7rocprim17ROCPRIM_400000_NS6detail17trampoline_kernelINS0_14default_configENS1_27upper_bound_config_selectorIjlEEZNS1_14transform_implILb0ES3_S5_N6thrust23THRUST_200600_302600_NS6detail15normal_iteratorINS8_7pointerIjNS8_11hip_rocprim5par_tENS8_11use_defaultESE_EEEENSA_INSB_IlSD_SE_SE_EEEEZNS1_13binary_searchIS3_S5_NSA_INS8_10device_ptrIjEEEESG_SI_NS1_21upper_bound_search_opENS9_16wrapped_functionINS8_6system6detail7generic6detail18binary_search_lessEbEEEE10hipError_tPvRmT1_T2_T3_mmT4_T5_P12ihipStream_tbEUlRKjE_EESV_SZ_S10_mS11_S14_bEUlT_E_NS1_11comp_targetILNS1_3genE0ELNS1_11target_archE4294967295ELNS1_3gpuE0ELNS1_3repE0EEENS1_30default_config_static_selectorELNS0_4arch9wavefront6targetE0EEEvSY_,comdat
	.protected	_ZN7rocprim17ROCPRIM_400000_NS6detail17trampoline_kernelINS0_14default_configENS1_27upper_bound_config_selectorIjlEEZNS1_14transform_implILb0ES3_S5_N6thrust23THRUST_200600_302600_NS6detail15normal_iteratorINS8_7pointerIjNS8_11hip_rocprim5par_tENS8_11use_defaultESE_EEEENSA_INSB_IlSD_SE_SE_EEEEZNS1_13binary_searchIS3_S5_NSA_INS8_10device_ptrIjEEEESG_SI_NS1_21upper_bound_search_opENS9_16wrapped_functionINS8_6system6detail7generic6detail18binary_search_lessEbEEEE10hipError_tPvRmT1_T2_T3_mmT4_T5_P12ihipStream_tbEUlRKjE_EESV_SZ_S10_mS11_S14_bEUlT_E_NS1_11comp_targetILNS1_3genE0ELNS1_11target_archE4294967295ELNS1_3gpuE0ELNS1_3repE0EEENS1_30default_config_static_selectorELNS0_4arch9wavefront6targetE0EEEvSY_ ; -- Begin function _ZN7rocprim17ROCPRIM_400000_NS6detail17trampoline_kernelINS0_14default_configENS1_27upper_bound_config_selectorIjlEEZNS1_14transform_implILb0ES3_S5_N6thrust23THRUST_200600_302600_NS6detail15normal_iteratorINS8_7pointerIjNS8_11hip_rocprim5par_tENS8_11use_defaultESE_EEEENSA_INSB_IlSD_SE_SE_EEEEZNS1_13binary_searchIS3_S5_NSA_INS8_10device_ptrIjEEEESG_SI_NS1_21upper_bound_search_opENS9_16wrapped_functionINS8_6system6detail7generic6detail18binary_search_lessEbEEEE10hipError_tPvRmT1_T2_T3_mmT4_T5_P12ihipStream_tbEUlRKjE_EESV_SZ_S10_mS11_S14_bEUlT_E_NS1_11comp_targetILNS1_3genE0ELNS1_11target_archE4294967295ELNS1_3gpuE0ELNS1_3repE0EEENS1_30default_config_static_selectorELNS0_4arch9wavefront6targetE0EEEvSY_
	.globl	_ZN7rocprim17ROCPRIM_400000_NS6detail17trampoline_kernelINS0_14default_configENS1_27upper_bound_config_selectorIjlEEZNS1_14transform_implILb0ES3_S5_N6thrust23THRUST_200600_302600_NS6detail15normal_iteratorINS8_7pointerIjNS8_11hip_rocprim5par_tENS8_11use_defaultESE_EEEENSA_INSB_IlSD_SE_SE_EEEEZNS1_13binary_searchIS3_S5_NSA_INS8_10device_ptrIjEEEESG_SI_NS1_21upper_bound_search_opENS9_16wrapped_functionINS8_6system6detail7generic6detail18binary_search_lessEbEEEE10hipError_tPvRmT1_T2_T3_mmT4_T5_P12ihipStream_tbEUlRKjE_EESV_SZ_S10_mS11_S14_bEUlT_E_NS1_11comp_targetILNS1_3genE0ELNS1_11target_archE4294967295ELNS1_3gpuE0ELNS1_3repE0EEENS1_30default_config_static_selectorELNS0_4arch9wavefront6targetE0EEEvSY_
	.p2align	8
	.type	_ZN7rocprim17ROCPRIM_400000_NS6detail17trampoline_kernelINS0_14default_configENS1_27upper_bound_config_selectorIjlEEZNS1_14transform_implILb0ES3_S5_N6thrust23THRUST_200600_302600_NS6detail15normal_iteratorINS8_7pointerIjNS8_11hip_rocprim5par_tENS8_11use_defaultESE_EEEENSA_INSB_IlSD_SE_SE_EEEEZNS1_13binary_searchIS3_S5_NSA_INS8_10device_ptrIjEEEESG_SI_NS1_21upper_bound_search_opENS9_16wrapped_functionINS8_6system6detail7generic6detail18binary_search_lessEbEEEE10hipError_tPvRmT1_T2_T3_mmT4_T5_P12ihipStream_tbEUlRKjE_EESV_SZ_S10_mS11_S14_bEUlT_E_NS1_11comp_targetILNS1_3genE0ELNS1_11target_archE4294967295ELNS1_3gpuE0ELNS1_3repE0EEENS1_30default_config_static_selectorELNS0_4arch9wavefront6targetE0EEEvSY_,@function
_ZN7rocprim17ROCPRIM_400000_NS6detail17trampoline_kernelINS0_14default_configENS1_27upper_bound_config_selectorIjlEEZNS1_14transform_implILb0ES3_S5_N6thrust23THRUST_200600_302600_NS6detail15normal_iteratorINS8_7pointerIjNS8_11hip_rocprim5par_tENS8_11use_defaultESE_EEEENSA_INSB_IlSD_SE_SE_EEEEZNS1_13binary_searchIS3_S5_NSA_INS8_10device_ptrIjEEEESG_SI_NS1_21upper_bound_search_opENS9_16wrapped_functionINS8_6system6detail7generic6detail18binary_search_lessEbEEEE10hipError_tPvRmT1_T2_T3_mmT4_T5_P12ihipStream_tbEUlRKjE_EESV_SZ_S10_mS11_S14_bEUlT_E_NS1_11comp_targetILNS1_3genE0ELNS1_11target_archE4294967295ELNS1_3gpuE0ELNS1_3repE0EEENS1_30default_config_static_selectorELNS0_4arch9wavefront6targetE0EEEvSY_: ; @_ZN7rocprim17ROCPRIM_400000_NS6detail17trampoline_kernelINS0_14default_configENS1_27upper_bound_config_selectorIjlEEZNS1_14transform_implILb0ES3_S5_N6thrust23THRUST_200600_302600_NS6detail15normal_iteratorINS8_7pointerIjNS8_11hip_rocprim5par_tENS8_11use_defaultESE_EEEENSA_INSB_IlSD_SE_SE_EEEEZNS1_13binary_searchIS3_S5_NSA_INS8_10device_ptrIjEEEESG_SI_NS1_21upper_bound_search_opENS9_16wrapped_functionINS8_6system6detail7generic6detail18binary_search_lessEbEEEE10hipError_tPvRmT1_T2_T3_mmT4_T5_P12ihipStream_tbEUlRKjE_EESV_SZ_S10_mS11_S14_bEUlT_E_NS1_11comp_targetILNS1_3genE0ELNS1_11target_archE4294967295ELNS1_3gpuE0ELNS1_3repE0EEENS1_30default_config_static_selectorELNS0_4arch9wavefront6targetE0EEEvSY_
; %bb.0:
	.section	.rodata,"a",@progbits
	.p2align	6, 0x0
	.amdhsa_kernel _ZN7rocprim17ROCPRIM_400000_NS6detail17trampoline_kernelINS0_14default_configENS1_27upper_bound_config_selectorIjlEEZNS1_14transform_implILb0ES3_S5_N6thrust23THRUST_200600_302600_NS6detail15normal_iteratorINS8_7pointerIjNS8_11hip_rocprim5par_tENS8_11use_defaultESE_EEEENSA_INSB_IlSD_SE_SE_EEEEZNS1_13binary_searchIS3_S5_NSA_INS8_10device_ptrIjEEEESG_SI_NS1_21upper_bound_search_opENS9_16wrapped_functionINS8_6system6detail7generic6detail18binary_search_lessEbEEEE10hipError_tPvRmT1_T2_T3_mmT4_T5_P12ihipStream_tbEUlRKjE_EESV_SZ_S10_mS11_S14_bEUlT_E_NS1_11comp_targetILNS1_3genE0ELNS1_11target_archE4294967295ELNS1_3gpuE0ELNS1_3repE0EEENS1_30default_config_static_selectorELNS0_4arch9wavefront6targetE0EEEvSY_
		.amdhsa_group_segment_fixed_size 0
		.amdhsa_private_segment_fixed_size 0
		.amdhsa_kernarg_size 56
		.amdhsa_user_sgpr_count 6
		.amdhsa_user_sgpr_private_segment_buffer 1
		.amdhsa_user_sgpr_dispatch_ptr 0
		.amdhsa_user_sgpr_queue_ptr 0
		.amdhsa_user_sgpr_kernarg_segment_ptr 1
		.amdhsa_user_sgpr_dispatch_id 0
		.amdhsa_user_sgpr_flat_scratch_init 0
		.amdhsa_user_sgpr_private_segment_size 0
		.amdhsa_wavefront_size32 1
		.amdhsa_uses_dynamic_stack 0
		.amdhsa_system_sgpr_private_segment_wavefront_offset 0
		.amdhsa_system_sgpr_workgroup_id_x 1
		.amdhsa_system_sgpr_workgroup_id_y 0
		.amdhsa_system_sgpr_workgroup_id_z 0
		.amdhsa_system_sgpr_workgroup_info 0
		.amdhsa_system_vgpr_workitem_id 0
		.amdhsa_next_free_vgpr 1
		.amdhsa_next_free_sgpr 1
		.amdhsa_reserve_vcc 0
		.amdhsa_reserve_flat_scratch 0
		.amdhsa_float_round_mode_32 0
		.amdhsa_float_round_mode_16_64 0
		.amdhsa_float_denorm_mode_32 3
		.amdhsa_float_denorm_mode_16_64 3
		.amdhsa_dx10_clamp 1
		.amdhsa_ieee_mode 1
		.amdhsa_fp16_overflow 0
		.amdhsa_workgroup_processor_mode 1
		.amdhsa_memory_ordered 1
		.amdhsa_forward_progress 1
		.amdhsa_shared_vgpr_count 0
		.amdhsa_exception_fp_ieee_invalid_op 0
		.amdhsa_exception_fp_denorm_src 0
		.amdhsa_exception_fp_ieee_div_zero 0
		.amdhsa_exception_fp_ieee_overflow 0
		.amdhsa_exception_fp_ieee_underflow 0
		.amdhsa_exception_fp_ieee_inexact 0
		.amdhsa_exception_int_div_zero 0
	.end_amdhsa_kernel
	.section	.text._ZN7rocprim17ROCPRIM_400000_NS6detail17trampoline_kernelINS0_14default_configENS1_27upper_bound_config_selectorIjlEEZNS1_14transform_implILb0ES3_S5_N6thrust23THRUST_200600_302600_NS6detail15normal_iteratorINS8_7pointerIjNS8_11hip_rocprim5par_tENS8_11use_defaultESE_EEEENSA_INSB_IlSD_SE_SE_EEEEZNS1_13binary_searchIS3_S5_NSA_INS8_10device_ptrIjEEEESG_SI_NS1_21upper_bound_search_opENS9_16wrapped_functionINS8_6system6detail7generic6detail18binary_search_lessEbEEEE10hipError_tPvRmT1_T2_T3_mmT4_T5_P12ihipStream_tbEUlRKjE_EESV_SZ_S10_mS11_S14_bEUlT_E_NS1_11comp_targetILNS1_3genE0ELNS1_11target_archE4294967295ELNS1_3gpuE0ELNS1_3repE0EEENS1_30default_config_static_selectorELNS0_4arch9wavefront6targetE0EEEvSY_,"axG",@progbits,_ZN7rocprim17ROCPRIM_400000_NS6detail17trampoline_kernelINS0_14default_configENS1_27upper_bound_config_selectorIjlEEZNS1_14transform_implILb0ES3_S5_N6thrust23THRUST_200600_302600_NS6detail15normal_iteratorINS8_7pointerIjNS8_11hip_rocprim5par_tENS8_11use_defaultESE_EEEENSA_INSB_IlSD_SE_SE_EEEEZNS1_13binary_searchIS3_S5_NSA_INS8_10device_ptrIjEEEESG_SI_NS1_21upper_bound_search_opENS9_16wrapped_functionINS8_6system6detail7generic6detail18binary_search_lessEbEEEE10hipError_tPvRmT1_T2_T3_mmT4_T5_P12ihipStream_tbEUlRKjE_EESV_SZ_S10_mS11_S14_bEUlT_E_NS1_11comp_targetILNS1_3genE0ELNS1_11target_archE4294967295ELNS1_3gpuE0ELNS1_3repE0EEENS1_30default_config_static_selectorELNS0_4arch9wavefront6targetE0EEEvSY_,comdat
.Lfunc_end545:
	.size	_ZN7rocprim17ROCPRIM_400000_NS6detail17trampoline_kernelINS0_14default_configENS1_27upper_bound_config_selectorIjlEEZNS1_14transform_implILb0ES3_S5_N6thrust23THRUST_200600_302600_NS6detail15normal_iteratorINS8_7pointerIjNS8_11hip_rocprim5par_tENS8_11use_defaultESE_EEEENSA_INSB_IlSD_SE_SE_EEEEZNS1_13binary_searchIS3_S5_NSA_INS8_10device_ptrIjEEEESG_SI_NS1_21upper_bound_search_opENS9_16wrapped_functionINS8_6system6detail7generic6detail18binary_search_lessEbEEEE10hipError_tPvRmT1_T2_T3_mmT4_T5_P12ihipStream_tbEUlRKjE_EESV_SZ_S10_mS11_S14_bEUlT_E_NS1_11comp_targetILNS1_3genE0ELNS1_11target_archE4294967295ELNS1_3gpuE0ELNS1_3repE0EEENS1_30default_config_static_selectorELNS0_4arch9wavefront6targetE0EEEvSY_, .Lfunc_end545-_ZN7rocprim17ROCPRIM_400000_NS6detail17trampoline_kernelINS0_14default_configENS1_27upper_bound_config_selectorIjlEEZNS1_14transform_implILb0ES3_S5_N6thrust23THRUST_200600_302600_NS6detail15normal_iteratorINS8_7pointerIjNS8_11hip_rocprim5par_tENS8_11use_defaultESE_EEEENSA_INSB_IlSD_SE_SE_EEEEZNS1_13binary_searchIS3_S5_NSA_INS8_10device_ptrIjEEEESG_SI_NS1_21upper_bound_search_opENS9_16wrapped_functionINS8_6system6detail7generic6detail18binary_search_lessEbEEEE10hipError_tPvRmT1_T2_T3_mmT4_T5_P12ihipStream_tbEUlRKjE_EESV_SZ_S10_mS11_S14_bEUlT_E_NS1_11comp_targetILNS1_3genE0ELNS1_11target_archE4294967295ELNS1_3gpuE0ELNS1_3repE0EEENS1_30default_config_static_selectorELNS0_4arch9wavefront6targetE0EEEvSY_
                                        ; -- End function
	.set _ZN7rocprim17ROCPRIM_400000_NS6detail17trampoline_kernelINS0_14default_configENS1_27upper_bound_config_selectorIjlEEZNS1_14transform_implILb0ES3_S5_N6thrust23THRUST_200600_302600_NS6detail15normal_iteratorINS8_7pointerIjNS8_11hip_rocprim5par_tENS8_11use_defaultESE_EEEENSA_INSB_IlSD_SE_SE_EEEEZNS1_13binary_searchIS3_S5_NSA_INS8_10device_ptrIjEEEESG_SI_NS1_21upper_bound_search_opENS9_16wrapped_functionINS8_6system6detail7generic6detail18binary_search_lessEbEEEE10hipError_tPvRmT1_T2_T3_mmT4_T5_P12ihipStream_tbEUlRKjE_EESV_SZ_S10_mS11_S14_bEUlT_E_NS1_11comp_targetILNS1_3genE0ELNS1_11target_archE4294967295ELNS1_3gpuE0ELNS1_3repE0EEENS1_30default_config_static_selectorELNS0_4arch9wavefront6targetE0EEEvSY_.num_vgpr, 0
	.set _ZN7rocprim17ROCPRIM_400000_NS6detail17trampoline_kernelINS0_14default_configENS1_27upper_bound_config_selectorIjlEEZNS1_14transform_implILb0ES3_S5_N6thrust23THRUST_200600_302600_NS6detail15normal_iteratorINS8_7pointerIjNS8_11hip_rocprim5par_tENS8_11use_defaultESE_EEEENSA_INSB_IlSD_SE_SE_EEEEZNS1_13binary_searchIS3_S5_NSA_INS8_10device_ptrIjEEEESG_SI_NS1_21upper_bound_search_opENS9_16wrapped_functionINS8_6system6detail7generic6detail18binary_search_lessEbEEEE10hipError_tPvRmT1_T2_T3_mmT4_T5_P12ihipStream_tbEUlRKjE_EESV_SZ_S10_mS11_S14_bEUlT_E_NS1_11comp_targetILNS1_3genE0ELNS1_11target_archE4294967295ELNS1_3gpuE0ELNS1_3repE0EEENS1_30default_config_static_selectorELNS0_4arch9wavefront6targetE0EEEvSY_.num_agpr, 0
	.set _ZN7rocprim17ROCPRIM_400000_NS6detail17trampoline_kernelINS0_14default_configENS1_27upper_bound_config_selectorIjlEEZNS1_14transform_implILb0ES3_S5_N6thrust23THRUST_200600_302600_NS6detail15normal_iteratorINS8_7pointerIjNS8_11hip_rocprim5par_tENS8_11use_defaultESE_EEEENSA_INSB_IlSD_SE_SE_EEEEZNS1_13binary_searchIS3_S5_NSA_INS8_10device_ptrIjEEEESG_SI_NS1_21upper_bound_search_opENS9_16wrapped_functionINS8_6system6detail7generic6detail18binary_search_lessEbEEEE10hipError_tPvRmT1_T2_T3_mmT4_T5_P12ihipStream_tbEUlRKjE_EESV_SZ_S10_mS11_S14_bEUlT_E_NS1_11comp_targetILNS1_3genE0ELNS1_11target_archE4294967295ELNS1_3gpuE0ELNS1_3repE0EEENS1_30default_config_static_selectorELNS0_4arch9wavefront6targetE0EEEvSY_.numbered_sgpr, 0
	.set _ZN7rocprim17ROCPRIM_400000_NS6detail17trampoline_kernelINS0_14default_configENS1_27upper_bound_config_selectorIjlEEZNS1_14transform_implILb0ES3_S5_N6thrust23THRUST_200600_302600_NS6detail15normal_iteratorINS8_7pointerIjNS8_11hip_rocprim5par_tENS8_11use_defaultESE_EEEENSA_INSB_IlSD_SE_SE_EEEEZNS1_13binary_searchIS3_S5_NSA_INS8_10device_ptrIjEEEESG_SI_NS1_21upper_bound_search_opENS9_16wrapped_functionINS8_6system6detail7generic6detail18binary_search_lessEbEEEE10hipError_tPvRmT1_T2_T3_mmT4_T5_P12ihipStream_tbEUlRKjE_EESV_SZ_S10_mS11_S14_bEUlT_E_NS1_11comp_targetILNS1_3genE0ELNS1_11target_archE4294967295ELNS1_3gpuE0ELNS1_3repE0EEENS1_30default_config_static_selectorELNS0_4arch9wavefront6targetE0EEEvSY_.num_named_barrier, 0
	.set _ZN7rocprim17ROCPRIM_400000_NS6detail17trampoline_kernelINS0_14default_configENS1_27upper_bound_config_selectorIjlEEZNS1_14transform_implILb0ES3_S5_N6thrust23THRUST_200600_302600_NS6detail15normal_iteratorINS8_7pointerIjNS8_11hip_rocprim5par_tENS8_11use_defaultESE_EEEENSA_INSB_IlSD_SE_SE_EEEEZNS1_13binary_searchIS3_S5_NSA_INS8_10device_ptrIjEEEESG_SI_NS1_21upper_bound_search_opENS9_16wrapped_functionINS8_6system6detail7generic6detail18binary_search_lessEbEEEE10hipError_tPvRmT1_T2_T3_mmT4_T5_P12ihipStream_tbEUlRKjE_EESV_SZ_S10_mS11_S14_bEUlT_E_NS1_11comp_targetILNS1_3genE0ELNS1_11target_archE4294967295ELNS1_3gpuE0ELNS1_3repE0EEENS1_30default_config_static_selectorELNS0_4arch9wavefront6targetE0EEEvSY_.private_seg_size, 0
	.set _ZN7rocprim17ROCPRIM_400000_NS6detail17trampoline_kernelINS0_14default_configENS1_27upper_bound_config_selectorIjlEEZNS1_14transform_implILb0ES3_S5_N6thrust23THRUST_200600_302600_NS6detail15normal_iteratorINS8_7pointerIjNS8_11hip_rocprim5par_tENS8_11use_defaultESE_EEEENSA_INSB_IlSD_SE_SE_EEEEZNS1_13binary_searchIS3_S5_NSA_INS8_10device_ptrIjEEEESG_SI_NS1_21upper_bound_search_opENS9_16wrapped_functionINS8_6system6detail7generic6detail18binary_search_lessEbEEEE10hipError_tPvRmT1_T2_T3_mmT4_T5_P12ihipStream_tbEUlRKjE_EESV_SZ_S10_mS11_S14_bEUlT_E_NS1_11comp_targetILNS1_3genE0ELNS1_11target_archE4294967295ELNS1_3gpuE0ELNS1_3repE0EEENS1_30default_config_static_selectorELNS0_4arch9wavefront6targetE0EEEvSY_.uses_vcc, 0
	.set _ZN7rocprim17ROCPRIM_400000_NS6detail17trampoline_kernelINS0_14default_configENS1_27upper_bound_config_selectorIjlEEZNS1_14transform_implILb0ES3_S5_N6thrust23THRUST_200600_302600_NS6detail15normal_iteratorINS8_7pointerIjNS8_11hip_rocprim5par_tENS8_11use_defaultESE_EEEENSA_INSB_IlSD_SE_SE_EEEEZNS1_13binary_searchIS3_S5_NSA_INS8_10device_ptrIjEEEESG_SI_NS1_21upper_bound_search_opENS9_16wrapped_functionINS8_6system6detail7generic6detail18binary_search_lessEbEEEE10hipError_tPvRmT1_T2_T3_mmT4_T5_P12ihipStream_tbEUlRKjE_EESV_SZ_S10_mS11_S14_bEUlT_E_NS1_11comp_targetILNS1_3genE0ELNS1_11target_archE4294967295ELNS1_3gpuE0ELNS1_3repE0EEENS1_30default_config_static_selectorELNS0_4arch9wavefront6targetE0EEEvSY_.uses_flat_scratch, 0
	.set _ZN7rocprim17ROCPRIM_400000_NS6detail17trampoline_kernelINS0_14default_configENS1_27upper_bound_config_selectorIjlEEZNS1_14transform_implILb0ES3_S5_N6thrust23THRUST_200600_302600_NS6detail15normal_iteratorINS8_7pointerIjNS8_11hip_rocprim5par_tENS8_11use_defaultESE_EEEENSA_INSB_IlSD_SE_SE_EEEEZNS1_13binary_searchIS3_S5_NSA_INS8_10device_ptrIjEEEESG_SI_NS1_21upper_bound_search_opENS9_16wrapped_functionINS8_6system6detail7generic6detail18binary_search_lessEbEEEE10hipError_tPvRmT1_T2_T3_mmT4_T5_P12ihipStream_tbEUlRKjE_EESV_SZ_S10_mS11_S14_bEUlT_E_NS1_11comp_targetILNS1_3genE0ELNS1_11target_archE4294967295ELNS1_3gpuE0ELNS1_3repE0EEENS1_30default_config_static_selectorELNS0_4arch9wavefront6targetE0EEEvSY_.has_dyn_sized_stack, 0
	.set _ZN7rocprim17ROCPRIM_400000_NS6detail17trampoline_kernelINS0_14default_configENS1_27upper_bound_config_selectorIjlEEZNS1_14transform_implILb0ES3_S5_N6thrust23THRUST_200600_302600_NS6detail15normal_iteratorINS8_7pointerIjNS8_11hip_rocprim5par_tENS8_11use_defaultESE_EEEENSA_INSB_IlSD_SE_SE_EEEEZNS1_13binary_searchIS3_S5_NSA_INS8_10device_ptrIjEEEESG_SI_NS1_21upper_bound_search_opENS9_16wrapped_functionINS8_6system6detail7generic6detail18binary_search_lessEbEEEE10hipError_tPvRmT1_T2_T3_mmT4_T5_P12ihipStream_tbEUlRKjE_EESV_SZ_S10_mS11_S14_bEUlT_E_NS1_11comp_targetILNS1_3genE0ELNS1_11target_archE4294967295ELNS1_3gpuE0ELNS1_3repE0EEENS1_30default_config_static_selectorELNS0_4arch9wavefront6targetE0EEEvSY_.has_recursion, 0
	.set _ZN7rocprim17ROCPRIM_400000_NS6detail17trampoline_kernelINS0_14default_configENS1_27upper_bound_config_selectorIjlEEZNS1_14transform_implILb0ES3_S5_N6thrust23THRUST_200600_302600_NS6detail15normal_iteratorINS8_7pointerIjNS8_11hip_rocprim5par_tENS8_11use_defaultESE_EEEENSA_INSB_IlSD_SE_SE_EEEEZNS1_13binary_searchIS3_S5_NSA_INS8_10device_ptrIjEEEESG_SI_NS1_21upper_bound_search_opENS9_16wrapped_functionINS8_6system6detail7generic6detail18binary_search_lessEbEEEE10hipError_tPvRmT1_T2_T3_mmT4_T5_P12ihipStream_tbEUlRKjE_EESV_SZ_S10_mS11_S14_bEUlT_E_NS1_11comp_targetILNS1_3genE0ELNS1_11target_archE4294967295ELNS1_3gpuE0ELNS1_3repE0EEENS1_30default_config_static_selectorELNS0_4arch9wavefront6targetE0EEEvSY_.has_indirect_call, 0
	.section	.AMDGPU.csdata,"",@progbits
; Kernel info:
; codeLenInByte = 0
; TotalNumSgprs: 0
; NumVgprs: 0
; ScratchSize: 0
; MemoryBound: 0
; FloatMode: 240
; IeeeMode: 1
; LDSByteSize: 0 bytes/workgroup (compile time only)
; SGPRBlocks: 0
; VGPRBlocks: 0
; NumSGPRsForWavesPerEU: 1
; NumVGPRsForWavesPerEU: 1
; Occupancy: 16
; WaveLimiterHint : 0
; COMPUTE_PGM_RSRC2:SCRATCH_EN: 0
; COMPUTE_PGM_RSRC2:USER_SGPR: 6
; COMPUTE_PGM_RSRC2:TRAP_HANDLER: 0
; COMPUTE_PGM_RSRC2:TGID_X_EN: 1
; COMPUTE_PGM_RSRC2:TGID_Y_EN: 0
; COMPUTE_PGM_RSRC2:TGID_Z_EN: 0
; COMPUTE_PGM_RSRC2:TIDIG_COMP_CNT: 0
	.section	.text._ZN7rocprim17ROCPRIM_400000_NS6detail17trampoline_kernelINS0_14default_configENS1_27upper_bound_config_selectorIjlEEZNS1_14transform_implILb0ES3_S5_N6thrust23THRUST_200600_302600_NS6detail15normal_iteratorINS8_7pointerIjNS8_11hip_rocprim5par_tENS8_11use_defaultESE_EEEENSA_INSB_IlSD_SE_SE_EEEEZNS1_13binary_searchIS3_S5_NSA_INS8_10device_ptrIjEEEESG_SI_NS1_21upper_bound_search_opENS9_16wrapped_functionINS8_6system6detail7generic6detail18binary_search_lessEbEEEE10hipError_tPvRmT1_T2_T3_mmT4_T5_P12ihipStream_tbEUlRKjE_EESV_SZ_S10_mS11_S14_bEUlT_E_NS1_11comp_targetILNS1_3genE5ELNS1_11target_archE942ELNS1_3gpuE9ELNS1_3repE0EEENS1_30default_config_static_selectorELNS0_4arch9wavefront6targetE0EEEvSY_,"axG",@progbits,_ZN7rocprim17ROCPRIM_400000_NS6detail17trampoline_kernelINS0_14default_configENS1_27upper_bound_config_selectorIjlEEZNS1_14transform_implILb0ES3_S5_N6thrust23THRUST_200600_302600_NS6detail15normal_iteratorINS8_7pointerIjNS8_11hip_rocprim5par_tENS8_11use_defaultESE_EEEENSA_INSB_IlSD_SE_SE_EEEEZNS1_13binary_searchIS3_S5_NSA_INS8_10device_ptrIjEEEESG_SI_NS1_21upper_bound_search_opENS9_16wrapped_functionINS8_6system6detail7generic6detail18binary_search_lessEbEEEE10hipError_tPvRmT1_T2_T3_mmT4_T5_P12ihipStream_tbEUlRKjE_EESV_SZ_S10_mS11_S14_bEUlT_E_NS1_11comp_targetILNS1_3genE5ELNS1_11target_archE942ELNS1_3gpuE9ELNS1_3repE0EEENS1_30default_config_static_selectorELNS0_4arch9wavefront6targetE0EEEvSY_,comdat
	.protected	_ZN7rocprim17ROCPRIM_400000_NS6detail17trampoline_kernelINS0_14default_configENS1_27upper_bound_config_selectorIjlEEZNS1_14transform_implILb0ES3_S5_N6thrust23THRUST_200600_302600_NS6detail15normal_iteratorINS8_7pointerIjNS8_11hip_rocprim5par_tENS8_11use_defaultESE_EEEENSA_INSB_IlSD_SE_SE_EEEEZNS1_13binary_searchIS3_S5_NSA_INS8_10device_ptrIjEEEESG_SI_NS1_21upper_bound_search_opENS9_16wrapped_functionINS8_6system6detail7generic6detail18binary_search_lessEbEEEE10hipError_tPvRmT1_T2_T3_mmT4_T5_P12ihipStream_tbEUlRKjE_EESV_SZ_S10_mS11_S14_bEUlT_E_NS1_11comp_targetILNS1_3genE5ELNS1_11target_archE942ELNS1_3gpuE9ELNS1_3repE0EEENS1_30default_config_static_selectorELNS0_4arch9wavefront6targetE0EEEvSY_ ; -- Begin function _ZN7rocprim17ROCPRIM_400000_NS6detail17trampoline_kernelINS0_14default_configENS1_27upper_bound_config_selectorIjlEEZNS1_14transform_implILb0ES3_S5_N6thrust23THRUST_200600_302600_NS6detail15normal_iteratorINS8_7pointerIjNS8_11hip_rocprim5par_tENS8_11use_defaultESE_EEEENSA_INSB_IlSD_SE_SE_EEEEZNS1_13binary_searchIS3_S5_NSA_INS8_10device_ptrIjEEEESG_SI_NS1_21upper_bound_search_opENS9_16wrapped_functionINS8_6system6detail7generic6detail18binary_search_lessEbEEEE10hipError_tPvRmT1_T2_T3_mmT4_T5_P12ihipStream_tbEUlRKjE_EESV_SZ_S10_mS11_S14_bEUlT_E_NS1_11comp_targetILNS1_3genE5ELNS1_11target_archE942ELNS1_3gpuE9ELNS1_3repE0EEENS1_30default_config_static_selectorELNS0_4arch9wavefront6targetE0EEEvSY_
	.globl	_ZN7rocprim17ROCPRIM_400000_NS6detail17trampoline_kernelINS0_14default_configENS1_27upper_bound_config_selectorIjlEEZNS1_14transform_implILb0ES3_S5_N6thrust23THRUST_200600_302600_NS6detail15normal_iteratorINS8_7pointerIjNS8_11hip_rocprim5par_tENS8_11use_defaultESE_EEEENSA_INSB_IlSD_SE_SE_EEEEZNS1_13binary_searchIS3_S5_NSA_INS8_10device_ptrIjEEEESG_SI_NS1_21upper_bound_search_opENS9_16wrapped_functionINS8_6system6detail7generic6detail18binary_search_lessEbEEEE10hipError_tPvRmT1_T2_T3_mmT4_T5_P12ihipStream_tbEUlRKjE_EESV_SZ_S10_mS11_S14_bEUlT_E_NS1_11comp_targetILNS1_3genE5ELNS1_11target_archE942ELNS1_3gpuE9ELNS1_3repE0EEENS1_30default_config_static_selectorELNS0_4arch9wavefront6targetE0EEEvSY_
	.p2align	8
	.type	_ZN7rocprim17ROCPRIM_400000_NS6detail17trampoline_kernelINS0_14default_configENS1_27upper_bound_config_selectorIjlEEZNS1_14transform_implILb0ES3_S5_N6thrust23THRUST_200600_302600_NS6detail15normal_iteratorINS8_7pointerIjNS8_11hip_rocprim5par_tENS8_11use_defaultESE_EEEENSA_INSB_IlSD_SE_SE_EEEEZNS1_13binary_searchIS3_S5_NSA_INS8_10device_ptrIjEEEESG_SI_NS1_21upper_bound_search_opENS9_16wrapped_functionINS8_6system6detail7generic6detail18binary_search_lessEbEEEE10hipError_tPvRmT1_T2_T3_mmT4_T5_P12ihipStream_tbEUlRKjE_EESV_SZ_S10_mS11_S14_bEUlT_E_NS1_11comp_targetILNS1_3genE5ELNS1_11target_archE942ELNS1_3gpuE9ELNS1_3repE0EEENS1_30default_config_static_selectorELNS0_4arch9wavefront6targetE0EEEvSY_,@function
_ZN7rocprim17ROCPRIM_400000_NS6detail17trampoline_kernelINS0_14default_configENS1_27upper_bound_config_selectorIjlEEZNS1_14transform_implILb0ES3_S5_N6thrust23THRUST_200600_302600_NS6detail15normal_iteratorINS8_7pointerIjNS8_11hip_rocprim5par_tENS8_11use_defaultESE_EEEENSA_INSB_IlSD_SE_SE_EEEEZNS1_13binary_searchIS3_S5_NSA_INS8_10device_ptrIjEEEESG_SI_NS1_21upper_bound_search_opENS9_16wrapped_functionINS8_6system6detail7generic6detail18binary_search_lessEbEEEE10hipError_tPvRmT1_T2_T3_mmT4_T5_P12ihipStream_tbEUlRKjE_EESV_SZ_S10_mS11_S14_bEUlT_E_NS1_11comp_targetILNS1_3genE5ELNS1_11target_archE942ELNS1_3gpuE9ELNS1_3repE0EEENS1_30default_config_static_selectorELNS0_4arch9wavefront6targetE0EEEvSY_: ; @_ZN7rocprim17ROCPRIM_400000_NS6detail17trampoline_kernelINS0_14default_configENS1_27upper_bound_config_selectorIjlEEZNS1_14transform_implILb0ES3_S5_N6thrust23THRUST_200600_302600_NS6detail15normal_iteratorINS8_7pointerIjNS8_11hip_rocprim5par_tENS8_11use_defaultESE_EEEENSA_INSB_IlSD_SE_SE_EEEEZNS1_13binary_searchIS3_S5_NSA_INS8_10device_ptrIjEEEESG_SI_NS1_21upper_bound_search_opENS9_16wrapped_functionINS8_6system6detail7generic6detail18binary_search_lessEbEEEE10hipError_tPvRmT1_T2_T3_mmT4_T5_P12ihipStream_tbEUlRKjE_EESV_SZ_S10_mS11_S14_bEUlT_E_NS1_11comp_targetILNS1_3genE5ELNS1_11target_archE942ELNS1_3gpuE9ELNS1_3repE0EEENS1_30default_config_static_selectorELNS0_4arch9wavefront6targetE0EEEvSY_
; %bb.0:
	.section	.rodata,"a",@progbits
	.p2align	6, 0x0
	.amdhsa_kernel _ZN7rocprim17ROCPRIM_400000_NS6detail17trampoline_kernelINS0_14default_configENS1_27upper_bound_config_selectorIjlEEZNS1_14transform_implILb0ES3_S5_N6thrust23THRUST_200600_302600_NS6detail15normal_iteratorINS8_7pointerIjNS8_11hip_rocprim5par_tENS8_11use_defaultESE_EEEENSA_INSB_IlSD_SE_SE_EEEEZNS1_13binary_searchIS3_S5_NSA_INS8_10device_ptrIjEEEESG_SI_NS1_21upper_bound_search_opENS9_16wrapped_functionINS8_6system6detail7generic6detail18binary_search_lessEbEEEE10hipError_tPvRmT1_T2_T3_mmT4_T5_P12ihipStream_tbEUlRKjE_EESV_SZ_S10_mS11_S14_bEUlT_E_NS1_11comp_targetILNS1_3genE5ELNS1_11target_archE942ELNS1_3gpuE9ELNS1_3repE0EEENS1_30default_config_static_selectorELNS0_4arch9wavefront6targetE0EEEvSY_
		.amdhsa_group_segment_fixed_size 0
		.amdhsa_private_segment_fixed_size 0
		.amdhsa_kernarg_size 56
		.amdhsa_user_sgpr_count 6
		.amdhsa_user_sgpr_private_segment_buffer 1
		.amdhsa_user_sgpr_dispatch_ptr 0
		.amdhsa_user_sgpr_queue_ptr 0
		.amdhsa_user_sgpr_kernarg_segment_ptr 1
		.amdhsa_user_sgpr_dispatch_id 0
		.amdhsa_user_sgpr_flat_scratch_init 0
		.amdhsa_user_sgpr_private_segment_size 0
		.amdhsa_wavefront_size32 1
		.amdhsa_uses_dynamic_stack 0
		.amdhsa_system_sgpr_private_segment_wavefront_offset 0
		.amdhsa_system_sgpr_workgroup_id_x 1
		.amdhsa_system_sgpr_workgroup_id_y 0
		.amdhsa_system_sgpr_workgroup_id_z 0
		.amdhsa_system_sgpr_workgroup_info 0
		.amdhsa_system_vgpr_workitem_id 0
		.amdhsa_next_free_vgpr 1
		.amdhsa_next_free_sgpr 1
		.amdhsa_reserve_vcc 0
		.amdhsa_reserve_flat_scratch 0
		.amdhsa_float_round_mode_32 0
		.amdhsa_float_round_mode_16_64 0
		.amdhsa_float_denorm_mode_32 3
		.amdhsa_float_denorm_mode_16_64 3
		.amdhsa_dx10_clamp 1
		.amdhsa_ieee_mode 1
		.amdhsa_fp16_overflow 0
		.amdhsa_workgroup_processor_mode 1
		.amdhsa_memory_ordered 1
		.amdhsa_forward_progress 1
		.amdhsa_shared_vgpr_count 0
		.amdhsa_exception_fp_ieee_invalid_op 0
		.amdhsa_exception_fp_denorm_src 0
		.amdhsa_exception_fp_ieee_div_zero 0
		.amdhsa_exception_fp_ieee_overflow 0
		.amdhsa_exception_fp_ieee_underflow 0
		.amdhsa_exception_fp_ieee_inexact 0
		.amdhsa_exception_int_div_zero 0
	.end_amdhsa_kernel
	.section	.text._ZN7rocprim17ROCPRIM_400000_NS6detail17trampoline_kernelINS0_14default_configENS1_27upper_bound_config_selectorIjlEEZNS1_14transform_implILb0ES3_S5_N6thrust23THRUST_200600_302600_NS6detail15normal_iteratorINS8_7pointerIjNS8_11hip_rocprim5par_tENS8_11use_defaultESE_EEEENSA_INSB_IlSD_SE_SE_EEEEZNS1_13binary_searchIS3_S5_NSA_INS8_10device_ptrIjEEEESG_SI_NS1_21upper_bound_search_opENS9_16wrapped_functionINS8_6system6detail7generic6detail18binary_search_lessEbEEEE10hipError_tPvRmT1_T2_T3_mmT4_T5_P12ihipStream_tbEUlRKjE_EESV_SZ_S10_mS11_S14_bEUlT_E_NS1_11comp_targetILNS1_3genE5ELNS1_11target_archE942ELNS1_3gpuE9ELNS1_3repE0EEENS1_30default_config_static_selectorELNS0_4arch9wavefront6targetE0EEEvSY_,"axG",@progbits,_ZN7rocprim17ROCPRIM_400000_NS6detail17trampoline_kernelINS0_14default_configENS1_27upper_bound_config_selectorIjlEEZNS1_14transform_implILb0ES3_S5_N6thrust23THRUST_200600_302600_NS6detail15normal_iteratorINS8_7pointerIjNS8_11hip_rocprim5par_tENS8_11use_defaultESE_EEEENSA_INSB_IlSD_SE_SE_EEEEZNS1_13binary_searchIS3_S5_NSA_INS8_10device_ptrIjEEEESG_SI_NS1_21upper_bound_search_opENS9_16wrapped_functionINS8_6system6detail7generic6detail18binary_search_lessEbEEEE10hipError_tPvRmT1_T2_T3_mmT4_T5_P12ihipStream_tbEUlRKjE_EESV_SZ_S10_mS11_S14_bEUlT_E_NS1_11comp_targetILNS1_3genE5ELNS1_11target_archE942ELNS1_3gpuE9ELNS1_3repE0EEENS1_30default_config_static_selectorELNS0_4arch9wavefront6targetE0EEEvSY_,comdat
.Lfunc_end546:
	.size	_ZN7rocprim17ROCPRIM_400000_NS6detail17trampoline_kernelINS0_14default_configENS1_27upper_bound_config_selectorIjlEEZNS1_14transform_implILb0ES3_S5_N6thrust23THRUST_200600_302600_NS6detail15normal_iteratorINS8_7pointerIjNS8_11hip_rocprim5par_tENS8_11use_defaultESE_EEEENSA_INSB_IlSD_SE_SE_EEEEZNS1_13binary_searchIS3_S5_NSA_INS8_10device_ptrIjEEEESG_SI_NS1_21upper_bound_search_opENS9_16wrapped_functionINS8_6system6detail7generic6detail18binary_search_lessEbEEEE10hipError_tPvRmT1_T2_T3_mmT4_T5_P12ihipStream_tbEUlRKjE_EESV_SZ_S10_mS11_S14_bEUlT_E_NS1_11comp_targetILNS1_3genE5ELNS1_11target_archE942ELNS1_3gpuE9ELNS1_3repE0EEENS1_30default_config_static_selectorELNS0_4arch9wavefront6targetE0EEEvSY_, .Lfunc_end546-_ZN7rocprim17ROCPRIM_400000_NS6detail17trampoline_kernelINS0_14default_configENS1_27upper_bound_config_selectorIjlEEZNS1_14transform_implILb0ES3_S5_N6thrust23THRUST_200600_302600_NS6detail15normal_iteratorINS8_7pointerIjNS8_11hip_rocprim5par_tENS8_11use_defaultESE_EEEENSA_INSB_IlSD_SE_SE_EEEEZNS1_13binary_searchIS3_S5_NSA_INS8_10device_ptrIjEEEESG_SI_NS1_21upper_bound_search_opENS9_16wrapped_functionINS8_6system6detail7generic6detail18binary_search_lessEbEEEE10hipError_tPvRmT1_T2_T3_mmT4_T5_P12ihipStream_tbEUlRKjE_EESV_SZ_S10_mS11_S14_bEUlT_E_NS1_11comp_targetILNS1_3genE5ELNS1_11target_archE942ELNS1_3gpuE9ELNS1_3repE0EEENS1_30default_config_static_selectorELNS0_4arch9wavefront6targetE0EEEvSY_
                                        ; -- End function
	.set _ZN7rocprim17ROCPRIM_400000_NS6detail17trampoline_kernelINS0_14default_configENS1_27upper_bound_config_selectorIjlEEZNS1_14transform_implILb0ES3_S5_N6thrust23THRUST_200600_302600_NS6detail15normal_iteratorINS8_7pointerIjNS8_11hip_rocprim5par_tENS8_11use_defaultESE_EEEENSA_INSB_IlSD_SE_SE_EEEEZNS1_13binary_searchIS3_S5_NSA_INS8_10device_ptrIjEEEESG_SI_NS1_21upper_bound_search_opENS9_16wrapped_functionINS8_6system6detail7generic6detail18binary_search_lessEbEEEE10hipError_tPvRmT1_T2_T3_mmT4_T5_P12ihipStream_tbEUlRKjE_EESV_SZ_S10_mS11_S14_bEUlT_E_NS1_11comp_targetILNS1_3genE5ELNS1_11target_archE942ELNS1_3gpuE9ELNS1_3repE0EEENS1_30default_config_static_selectorELNS0_4arch9wavefront6targetE0EEEvSY_.num_vgpr, 0
	.set _ZN7rocprim17ROCPRIM_400000_NS6detail17trampoline_kernelINS0_14default_configENS1_27upper_bound_config_selectorIjlEEZNS1_14transform_implILb0ES3_S5_N6thrust23THRUST_200600_302600_NS6detail15normal_iteratorINS8_7pointerIjNS8_11hip_rocprim5par_tENS8_11use_defaultESE_EEEENSA_INSB_IlSD_SE_SE_EEEEZNS1_13binary_searchIS3_S5_NSA_INS8_10device_ptrIjEEEESG_SI_NS1_21upper_bound_search_opENS9_16wrapped_functionINS8_6system6detail7generic6detail18binary_search_lessEbEEEE10hipError_tPvRmT1_T2_T3_mmT4_T5_P12ihipStream_tbEUlRKjE_EESV_SZ_S10_mS11_S14_bEUlT_E_NS1_11comp_targetILNS1_3genE5ELNS1_11target_archE942ELNS1_3gpuE9ELNS1_3repE0EEENS1_30default_config_static_selectorELNS0_4arch9wavefront6targetE0EEEvSY_.num_agpr, 0
	.set _ZN7rocprim17ROCPRIM_400000_NS6detail17trampoline_kernelINS0_14default_configENS1_27upper_bound_config_selectorIjlEEZNS1_14transform_implILb0ES3_S5_N6thrust23THRUST_200600_302600_NS6detail15normal_iteratorINS8_7pointerIjNS8_11hip_rocprim5par_tENS8_11use_defaultESE_EEEENSA_INSB_IlSD_SE_SE_EEEEZNS1_13binary_searchIS3_S5_NSA_INS8_10device_ptrIjEEEESG_SI_NS1_21upper_bound_search_opENS9_16wrapped_functionINS8_6system6detail7generic6detail18binary_search_lessEbEEEE10hipError_tPvRmT1_T2_T3_mmT4_T5_P12ihipStream_tbEUlRKjE_EESV_SZ_S10_mS11_S14_bEUlT_E_NS1_11comp_targetILNS1_3genE5ELNS1_11target_archE942ELNS1_3gpuE9ELNS1_3repE0EEENS1_30default_config_static_selectorELNS0_4arch9wavefront6targetE0EEEvSY_.numbered_sgpr, 0
	.set _ZN7rocprim17ROCPRIM_400000_NS6detail17trampoline_kernelINS0_14default_configENS1_27upper_bound_config_selectorIjlEEZNS1_14transform_implILb0ES3_S5_N6thrust23THRUST_200600_302600_NS6detail15normal_iteratorINS8_7pointerIjNS8_11hip_rocprim5par_tENS8_11use_defaultESE_EEEENSA_INSB_IlSD_SE_SE_EEEEZNS1_13binary_searchIS3_S5_NSA_INS8_10device_ptrIjEEEESG_SI_NS1_21upper_bound_search_opENS9_16wrapped_functionINS8_6system6detail7generic6detail18binary_search_lessEbEEEE10hipError_tPvRmT1_T2_T3_mmT4_T5_P12ihipStream_tbEUlRKjE_EESV_SZ_S10_mS11_S14_bEUlT_E_NS1_11comp_targetILNS1_3genE5ELNS1_11target_archE942ELNS1_3gpuE9ELNS1_3repE0EEENS1_30default_config_static_selectorELNS0_4arch9wavefront6targetE0EEEvSY_.num_named_barrier, 0
	.set _ZN7rocprim17ROCPRIM_400000_NS6detail17trampoline_kernelINS0_14default_configENS1_27upper_bound_config_selectorIjlEEZNS1_14transform_implILb0ES3_S5_N6thrust23THRUST_200600_302600_NS6detail15normal_iteratorINS8_7pointerIjNS8_11hip_rocprim5par_tENS8_11use_defaultESE_EEEENSA_INSB_IlSD_SE_SE_EEEEZNS1_13binary_searchIS3_S5_NSA_INS8_10device_ptrIjEEEESG_SI_NS1_21upper_bound_search_opENS9_16wrapped_functionINS8_6system6detail7generic6detail18binary_search_lessEbEEEE10hipError_tPvRmT1_T2_T3_mmT4_T5_P12ihipStream_tbEUlRKjE_EESV_SZ_S10_mS11_S14_bEUlT_E_NS1_11comp_targetILNS1_3genE5ELNS1_11target_archE942ELNS1_3gpuE9ELNS1_3repE0EEENS1_30default_config_static_selectorELNS0_4arch9wavefront6targetE0EEEvSY_.private_seg_size, 0
	.set _ZN7rocprim17ROCPRIM_400000_NS6detail17trampoline_kernelINS0_14default_configENS1_27upper_bound_config_selectorIjlEEZNS1_14transform_implILb0ES3_S5_N6thrust23THRUST_200600_302600_NS6detail15normal_iteratorINS8_7pointerIjNS8_11hip_rocprim5par_tENS8_11use_defaultESE_EEEENSA_INSB_IlSD_SE_SE_EEEEZNS1_13binary_searchIS3_S5_NSA_INS8_10device_ptrIjEEEESG_SI_NS1_21upper_bound_search_opENS9_16wrapped_functionINS8_6system6detail7generic6detail18binary_search_lessEbEEEE10hipError_tPvRmT1_T2_T3_mmT4_T5_P12ihipStream_tbEUlRKjE_EESV_SZ_S10_mS11_S14_bEUlT_E_NS1_11comp_targetILNS1_3genE5ELNS1_11target_archE942ELNS1_3gpuE9ELNS1_3repE0EEENS1_30default_config_static_selectorELNS0_4arch9wavefront6targetE0EEEvSY_.uses_vcc, 0
	.set _ZN7rocprim17ROCPRIM_400000_NS6detail17trampoline_kernelINS0_14default_configENS1_27upper_bound_config_selectorIjlEEZNS1_14transform_implILb0ES3_S5_N6thrust23THRUST_200600_302600_NS6detail15normal_iteratorINS8_7pointerIjNS8_11hip_rocprim5par_tENS8_11use_defaultESE_EEEENSA_INSB_IlSD_SE_SE_EEEEZNS1_13binary_searchIS3_S5_NSA_INS8_10device_ptrIjEEEESG_SI_NS1_21upper_bound_search_opENS9_16wrapped_functionINS8_6system6detail7generic6detail18binary_search_lessEbEEEE10hipError_tPvRmT1_T2_T3_mmT4_T5_P12ihipStream_tbEUlRKjE_EESV_SZ_S10_mS11_S14_bEUlT_E_NS1_11comp_targetILNS1_3genE5ELNS1_11target_archE942ELNS1_3gpuE9ELNS1_3repE0EEENS1_30default_config_static_selectorELNS0_4arch9wavefront6targetE0EEEvSY_.uses_flat_scratch, 0
	.set _ZN7rocprim17ROCPRIM_400000_NS6detail17trampoline_kernelINS0_14default_configENS1_27upper_bound_config_selectorIjlEEZNS1_14transform_implILb0ES3_S5_N6thrust23THRUST_200600_302600_NS6detail15normal_iteratorINS8_7pointerIjNS8_11hip_rocprim5par_tENS8_11use_defaultESE_EEEENSA_INSB_IlSD_SE_SE_EEEEZNS1_13binary_searchIS3_S5_NSA_INS8_10device_ptrIjEEEESG_SI_NS1_21upper_bound_search_opENS9_16wrapped_functionINS8_6system6detail7generic6detail18binary_search_lessEbEEEE10hipError_tPvRmT1_T2_T3_mmT4_T5_P12ihipStream_tbEUlRKjE_EESV_SZ_S10_mS11_S14_bEUlT_E_NS1_11comp_targetILNS1_3genE5ELNS1_11target_archE942ELNS1_3gpuE9ELNS1_3repE0EEENS1_30default_config_static_selectorELNS0_4arch9wavefront6targetE0EEEvSY_.has_dyn_sized_stack, 0
	.set _ZN7rocprim17ROCPRIM_400000_NS6detail17trampoline_kernelINS0_14default_configENS1_27upper_bound_config_selectorIjlEEZNS1_14transform_implILb0ES3_S5_N6thrust23THRUST_200600_302600_NS6detail15normal_iteratorINS8_7pointerIjNS8_11hip_rocprim5par_tENS8_11use_defaultESE_EEEENSA_INSB_IlSD_SE_SE_EEEEZNS1_13binary_searchIS3_S5_NSA_INS8_10device_ptrIjEEEESG_SI_NS1_21upper_bound_search_opENS9_16wrapped_functionINS8_6system6detail7generic6detail18binary_search_lessEbEEEE10hipError_tPvRmT1_T2_T3_mmT4_T5_P12ihipStream_tbEUlRKjE_EESV_SZ_S10_mS11_S14_bEUlT_E_NS1_11comp_targetILNS1_3genE5ELNS1_11target_archE942ELNS1_3gpuE9ELNS1_3repE0EEENS1_30default_config_static_selectorELNS0_4arch9wavefront6targetE0EEEvSY_.has_recursion, 0
	.set _ZN7rocprim17ROCPRIM_400000_NS6detail17trampoline_kernelINS0_14default_configENS1_27upper_bound_config_selectorIjlEEZNS1_14transform_implILb0ES3_S5_N6thrust23THRUST_200600_302600_NS6detail15normal_iteratorINS8_7pointerIjNS8_11hip_rocprim5par_tENS8_11use_defaultESE_EEEENSA_INSB_IlSD_SE_SE_EEEEZNS1_13binary_searchIS3_S5_NSA_INS8_10device_ptrIjEEEESG_SI_NS1_21upper_bound_search_opENS9_16wrapped_functionINS8_6system6detail7generic6detail18binary_search_lessEbEEEE10hipError_tPvRmT1_T2_T3_mmT4_T5_P12ihipStream_tbEUlRKjE_EESV_SZ_S10_mS11_S14_bEUlT_E_NS1_11comp_targetILNS1_3genE5ELNS1_11target_archE942ELNS1_3gpuE9ELNS1_3repE0EEENS1_30default_config_static_selectorELNS0_4arch9wavefront6targetE0EEEvSY_.has_indirect_call, 0
	.section	.AMDGPU.csdata,"",@progbits
; Kernel info:
; codeLenInByte = 0
; TotalNumSgprs: 0
; NumVgprs: 0
; ScratchSize: 0
; MemoryBound: 0
; FloatMode: 240
; IeeeMode: 1
; LDSByteSize: 0 bytes/workgroup (compile time only)
; SGPRBlocks: 0
; VGPRBlocks: 0
; NumSGPRsForWavesPerEU: 1
; NumVGPRsForWavesPerEU: 1
; Occupancy: 16
; WaveLimiterHint : 0
; COMPUTE_PGM_RSRC2:SCRATCH_EN: 0
; COMPUTE_PGM_RSRC2:USER_SGPR: 6
; COMPUTE_PGM_RSRC2:TRAP_HANDLER: 0
; COMPUTE_PGM_RSRC2:TGID_X_EN: 1
; COMPUTE_PGM_RSRC2:TGID_Y_EN: 0
; COMPUTE_PGM_RSRC2:TGID_Z_EN: 0
; COMPUTE_PGM_RSRC2:TIDIG_COMP_CNT: 0
	.section	.text._ZN7rocprim17ROCPRIM_400000_NS6detail17trampoline_kernelINS0_14default_configENS1_27upper_bound_config_selectorIjlEEZNS1_14transform_implILb0ES3_S5_N6thrust23THRUST_200600_302600_NS6detail15normal_iteratorINS8_7pointerIjNS8_11hip_rocprim5par_tENS8_11use_defaultESE_EEEENSA_INSB_IlSD_SE_SE_EEEEZNS1_13binary_searchIS3_S5_NSA_INS8_10device_ptrIjEEEESG_SI_NS1_21upper_bound_search_opENS9_16wrapped_functionINS8_6system6detail7generic6detail18binary_search_lessEbEEEE10hipError_tPvRmT1_T2_T3_mmT4_T5_P12ihipStream_tbEUlRKjE_EESV_SZ_S10_mS11_S14_bEUlT_E_NS1_11comp_targetILNS1_3genE4ELNS1_11target_archE910ELNS1_3gpuE8ELNS1_3repE0EEENS1_30default_config_static_selectorELNS0_4arch9wavefront6targetE0EEEvSY_,"axG",@progbits,_ZN7rocprim17ROCPRIM_400000_NS6detail17trampoline_kernelINS0_14default_configENS1_27upper_bound_config_selectorIjlEEZNS1_14transform_implILb0ES3_S5_N6thrust23THRUST_200600_302600_NS6detail15normal_iteratorINS8_7pointerIjNS8_11hip_rocprim5par_tENS8_11use_defaultESE_EEEENSA_INSB_IlSD_SE_SE_EEEEZNS1_13binary_searchIS3_S5_NSA_INS8_10device_ptrIjEEEESG_SI_NS1_21upper_bound_search_opENS9_16wrapped_functionINS8_6system6detail7generic6detail18binary_search_lessEbEEEE10hipError_tPvRmT1_T2_T3_mmT4_T5_P12ihipStream_tbEUlRKjE_EESV_SZ_S10_mS11_S14_bEUlT_E_NS1_11comp_targetILNS1_3genE4ELNS1_11target_archE910ELNS1_3gpuE8ELNS1_3repE0EEENS1_30default_config_static_selectorELNS0_4arch9wavefront6targetE0EEEvSY_,comdat
	.protected	_ZN7rocprim17ROCPRIM_400000_NS6detail17trampoline_kernelINS0_14default_configENS1_27upper_bound_config_selectorIjlEEZNS1_14transform_implILb0ES3_S5_N6thrust23THRUST_200600_302600_NS6detail15normal_iteratorINS8_7pointerIjNS8_11hip_rocprim5par_tENS8_11use_defaultESE_EEEENSA_INSB_IlSD_SE_SE_EEEEZNS1_13binary_searchIS3_S5_NSA_INS8_10device_ptrIjEEEESG_SI_NS1_21upper_bound_search_opENS9_16wrapped_functionINS8_6system6detail7generic6detail18binary_search_lessEbEEEE10hipError_tPvRmT1_T2_T3_mmT4_T5_P12ihipStream_tbEUlRKjE_EESV_SZ_S10_mS11_S14_bEUlT_E_NS1_11comp_targetILNS1_3genE4ELNS1_11target_archE910ELNS1_3gpuE8ELNS1_3repE0EEENS1_30default_config_static_selectorELNS0_4arch9wavefront6targetE0EEEvSY_ ; -- Begin function _ZN7rocprim17ROCPRIM_400000_NS6detail17trampoline_kernelINS0_14default_configENS1_27upper_bound_config_selectorIjlEEZNS1_14transform_implILb0ES3_S5_N6thrust23THRUST_200600_302600_NS6detail15normal_iteratorINS8_7pointerIjNS8_11hip_rocprim5par_tENS8_11use_defaultESE_EEEENSA_INSB_IlSD_SE_SE_EEEEZNS1_13binary_searchIS3_S5_NSA_INS8_10device_ptrIjEEEESG_SI_NS1_21upper_bound_search_opENS9_16wrapped_functionINS8_6system6detail7generic6detail18binary_search_lessEbEEEE10hipError_tPvRmT1_T2_T3_mmT4_T5_P12ihipStream_tbEUlRKjE_EESV_SZ_S10_mS11_S14_bEUlT_E_NS1_11comp_targetILNS1_3genE4ELNS1_11target_archE910ELNS1_3gpuE8ELNS1_3repE0EEENS1_30default_config_static_selectorELNS0_4arch9wavefront6targetE0EEEvSY_
	.globl	_ZN7rocprim17ROCPRIM_400000_NS6detail17trampoline_kernelINS0_14default_configENS1_27upper_bound_config_selectorIjlEEZNS1_14transform_implILb0ES3_S5_N6thrust23THRUST_200600_302600_NS6detail15normal_iteratorINS8_7pointerIjNS8_11hip_rocprim5par_tENS8_11use_defaultESE_EEEENSA_INSB_IlSD_SE_SE_EEEEZNS1_13binary_searchIS3_S5_NSA_INS8_10device_ptrIjEEEESG_SI_NS1_21upper_bound_search_opENS9_16wrapped_functionINS8_6system6detail7generic6detail18binary_search_lessEbEEEE10hipError_tPvRmT1_T2_T3_mmT4_T5_P12ihipStream_tbEUlRKjE_EESV_SZ_S10_mS11_S14_bEUlT_E_NS1_11comp_targetILNS1_3genE4ELNS1_11target_archE910ELNS1_3gpuE8ELNS1_3repE0EEENS1_30default_config_static_selectorELNS0_4arch9wavefront6targetE0EEEvSY_
	.p2align	8
	.type	_ZN7rocprim17ROCPRIM_400000_NS6detail17trampoline_kernelINS0_14default_configENS1_27upper_bound_config_selectorIjlEEZNS1_14transform_implILb0ES3_S5_N6thrust23THRUST_200600_302600_NS6detail15normal_iteratorINS8_7pointerIjNS8_11hip_rocprim5par_tENS8_11use_defaultESE_EEEENSA_INSB_IlSD_SE_SE_EEEEZNS1_13binary_searchIS3_S5_NSA_INS8_10device_ptrIjEEEESG_SI_NS1_21upper_bound_search_opENS9_16wrapped_functionINS8_6system6detail7generic6detail18binary_search_lessEbEEEE10hipError_tPvRmT1_T2_T3_mmT4_T5_P12ihipStream_tbEUlRKjE_EESV_SZ_S10_mS11_S14_bEUlT_E_NS1_11comp_targetILNS1_3genE4ELNS1_11target_archE910ELNS1_3gpuE8ELNS1_3repE0EEENS1_30default_config_static_selectorELNS0_4arch9wavefront6targetE0EEEvSY_,@function
_ZN7rocprim17ROCPRIM_400000_NS6detail17trampoline_kernelINS0_14default_configENS1_27upper_bound_config_selectorIjlEEZNS1_14transform_implILb0ES3_S5_N6thrust23THRUST_200600_302600_NS6detail15normal_iteratorINS8_7pointerIjNS8_11hip_rocprim5par_tENS8_11use_defaultESE_EEEENSA_INSB_IlSD_SE_SE_EEEEZNS1_13binary_searchIS3_S5_NSA_INS8_10device_ptrIjEEEESG_SI_NS1_21upper_bound_search_opENS9_16wrapped_functionINS8_6system6detail7generic6detail18binary_search_lessEbEEEE10hipError_tPvRmT1_T2_T3_mmT4_T5_P12ihipStream_tbEUlRKjE_EESV_SZ_S10_mS11_S14_bEUlT_E_NS1_11comp_targetILNS1_3genE4ELNS1_11target_archE910ELNS1_3gpuE8ELNS1_3repE0EEENS1_30default_config_static_selectorELNS0_4arch9wavefront6targetE0EEEvSY_: ; @_ZN7rocprim17ROCPRIM_400000_NS6detail17trampoline_kernelINS0_14default_configENS1_27upper_bound_config_selectorIjlEEZNS1_14transform_implILb0ES3_S5_N6thrust23THRUST_200600_302600_NS6detail15normal_iteratorINS8_7pointerIjNS8_11hip_rocprim5par_tENS8_11use_defaultESE_EEEENSA_INSB_IlSD_SE_SE_EEEEZNS1_13binary_searchIS3_S5_NSA_INS8_10device_ptrIjEEEESG_SI_NS1_21upper_bound_search_opENS9_16wrapped_functionINS8_6system6detail7generic6detail18binary_search_lessEbEEEE10hipError_tPvRmT1_T2_T3_mmT4_T5_P12ihipStream_tbEUlRKjE_EESV_SZ_S10_mS11_S14_bEUlT_E_NS1_11comp_targetILNS1_3genE4ELNS1_11target_archE910ELNS1_3gpuE8ELNS1_3repE0EEENS1_30default_config_static_selectorELNS0_4arch9wavefront6targetE0EEEvSY_
; %bb.0:
	.section	.rodata,"a",@progbits
	.p2align	6, 0x0
	.amdhsa_kernel _ZN7rocprim17ROCPRIM_400000_NS6detail17trampoline_kernelINS0_14default_configENS1_27upper_bound_config_selectorIjlEEZNS1_14transform_implILb0ES3_S5_N6thrust23THRUST_200600_302600_NS6detail15normal_iteratorINS8_7pointerIjNS8_11hip_rocprim5par_tENS8_11use_defaultESE_EEEENSA_INSB_IlSD_SE_SE_EEEEZNS1_13binary_searchIS3_S5_NSA_INS8_10device_ptrIjEEEESG_SI_NS1_21upper_bound_search_opENS9_16wrapped_functionINS8_6system6detail7generic6detail18binary_search_lessEbEEEE10hipError_tPvRmT1_T2_T3_mmT4_T5_P12ihipStream_tbEUlRKjE_EESV_SZ_S10_mS11_S14_bEUlT_E_NS1_11comp_targetILNS1_3genE4ELNS1_11target_archE910ELNS1_3gpuE8ELNS1_3repE0EEENS1_30default_config_static_selectorELNS0_4arch9wavefront6targetE0EEEvSY_
		.amdhsa_group_segment_fixed_size 0
		.amdhsa_private_segment_fixed_size 0
		.amdhsa_kernarg_size 56
		.amdhsa_user_sgpr_count 6
		.amdhsa_user_sgpr_private_segment_buffer 1
		.amdhsa_user_sgpr_dispatch_ptr 0
		.amdhsa_user_sgpr_queue_ptr 0
		.amdhsa_user_sgpr_kernarg_segment_ptr 1
		.amdhsa_user_sgpr_dispatch_id 0
		.amdhsa_user_sgpr_flat_scratch_init 0
		.amdhsa_user_sgpr_private_segment_size 0
		.amdhsa_wavefront_size32 1
		.amdhsa_uses_dynamic_stack 0
		.amdhsa_system_sgpr_private_segment_wavefront_offset 0
		.amdhsa_system_sgpr_workgroup_id_x 1
		.amdhsa_system_sgpr_workgroup_id_y 0
		.amdhsa_system_sgpr_workgroup_id_z 0
		.amdhsa_system_sgpr_workgroup_info 0
		.amdhsa_system_vgpr_workitem_id 0
		.amdhsa_next_free_vgpr 1
		.amdhsa_next_free_sgpr 1
		.amdhsa_reserve_vcc 0
		.amdhsa_reserve_flat_scratch 0
		.amdhsa_float_round_mode_32 0
		.amdhsa_float_round_mode_16_64 0
		.amdhsa_float_denorm_mode_32 3
		.amdhsa_float_denorm_mode_16_64 3
		.amdhsa_dx10_clamp 1
		.amdhsa_ieee_mode 1
		.amdhsa_fp16_overflow 0
		.amdhsa_workgroup_processor_mode 1
		.amdhsa_memory_ordered 1
		.amdhsa_forward_progress 1
		.amdhsa_shared_vgpr_count 0
		.amdhsa_exception_fp_ieee_invalid_op 0
		.amdhsa_exception_fp_denorm_src 0
		.amdhsa_exception_fp_ieee_div_zero 0
		.amdhsa_exception_fp_ieee_overflow 0
		.amdhsa_exception_fp_ieee_underflow 0
		.amdhsa_exception_fp_ieee_inexact 0
		.amdhsa_exception_int_div_zero 0
	.end_amdhsa_kernel
	.section	.text._ZN7rocprim17ROCPRIM_400000_NS6detail17trampoline_kernelINS0_14default_configENS1_27upper_bound_config_selectorIjlEEZNS1_14transform_implILb0ES3_S5_N6thrust23THRUST_200600_302600_NS6detail15normal_iteratorINS8_7pointerIjNS8_11hip_rocprim5par_tENS8_11use_defaultESE_EEEENSA_INSB_IlSD_SE_SE_EEEEZNS1_13binary_searchIS3_S5_NSA_INS8_10device_ptrIjEEEESG_SI_NS1_21upper_bound_search_opENS9_16wrapped_functionINS8_6system6detail7generic6detail18binary_search_lessEbEEEE10hipError_tPvRmT1_T2_T3_mmT4_T5_P12ihipStream_tbEUlRKjE_EESV_SZ_S10_mS11_S14_bEUlT_E_NS1_11comp_targetILNS1_3genE4ELNS1_11target_archE910ELNS1_3gpuE8ELNS1_3repE0EEENS1_30default_config_static_selectorELNS0_4arch9wavefront6targetE0EEEvSY_,"axG",@progbits,_ZN7rocprim17ROCPRIM_400000_NS6detail17trampoline_kernelINS0_14default_configENS1_27upper_bound_config_selectorIjlEEZNS1_14transform_implILb0ES3_S5_N6thrust23THRUST_200600_302600_NS6detail15normal_iteratorINS8_7pointerIjNS8_11hip_rocprim5par_tENS8_11use_defaultESE_EEEENSA_INSB_IlSD_SE_SE_EEEEZNS1_13binary_searchIS3_S5_NSA_INS8_10device_ptrIjEEEESG_SI_NS1_21upper_bound_search_opENS9_16wrapped_functionINS8_6system6detail7generic6detail18binary_search_lessEbEEEE10hipError_tPvRmT1_T2_T3_mmT4_T5_P12ihipStream_tbEUlRKjE_EESV_SZ_S10_mS11_S14_bEUlT_E_NS1_11comp_targetILNS1_3genE4ELNS1_11target_archE910ELNS1_3gpuE8ELNS1_3repE0EEENS1_30default_config_static_selectorELNS0_4arch9wavefront6targetE0EEEvSY_,comdat
.Lfunc_end547:
	.size	_ZN7rocprim17ROCPRIM_400000_NS6detail17trampoline_kernelINS0_14default_configENS1_27upper_bound_config_selectorIjlEEZNS1_14transform_implILb0ES3_S5_N6thrust23THRUST_200600_302600_NS6detail15normal_iteratorINS8_7pointerIjNS8_11hip_rocprim5par_tENS8_11use_defaultESE_EEEENSA_INSB_IlSD_SE_SE_EEEEZNS1_13binary_searchIS3_S5_NSA_INS8_10device_ptrIjEEEESG_SI_NS1_21upper_bound_search_opENS9_16wrapped_functionINS8_6system6detail7generic6detail18binary_search_lessEbEEEE10hipError_tPvRmT1_T2_T3_mmT4_T5_P12ihipStream_tbEUlRKjE_EESV_SZ_S10_mS11_S14_bEUlT_E_NS1_11comp_targetILNS1_3genE4ELNS1_11target_archE910ELNS1_3gpuE8ELNS1_3repE0EEENS1_30default_config_static_selectorELNS0_4arch9wavefront6targetE0EEEvSY_, .Lfunc_end547-_ZN7rocprim17ROCPRIM_400000_NS6detail17trampoline_kernelINS0_14default_configENS1_27upper_bound_config_selectorIjlEEZNS1_14transform_implILb0ES3_S5_N6thrust23THRUST_200600_302600_NS6detail15normal_iteratorINS8_7pointerIjNS8_11hip_rocprim5par_tENS8_11use_defaultESE_EEEENSA_INSB_IlSD_SE_SE_EEEEZNS1_13binary_searchIS3_S5_NSA_INS8_10device_ptrIjEEEESG_SI_NS1_21upper_bound_search_opENS9_16wrapped_functionINS8_6system6detail7generic6detail18binary_search_lessEbEEEE10hipError_tPvRmT1_T2_T3_mmT4_T5_P12ihipStream_tbEUlRKjE_EESV_SZ_S10_mS11_S14_bEUlT_E_NS1_11comp_targetILNS1_3genE4ELNS1_11target_archE910ELNS1_3gpuE8ELNS1_3repE0EEENS1_30default_config_static_selectorELNS0_4arch9wavefront6targetE0EEEvSY_
                                        ; -- End function
	.set _ZN7rocprim17ROCPRIM_400000_NS6detail17trampoline_kernelINS0_14default_configENS1_27upper_bound_config_selectorIjlEEZNS1_14transform_implILb0ES3_S5_N6thrust23THRUST_200600_302600_NS6detail15normal_iteratorINS8_7pointerIjNS8_11hip_rocprim5par_tENS8_11use_defaultESE_EEEENSA_INSB_IlSD_SE_SE_EEEEZNS1_13binary_searchIS3_S5_NSA_INS8_10device_ptrIjEEEESG_SI_NS1_21upper_bound_search_opENS9_16wrapped_functionINS8_6system6detail7generic6detail18binary_search_lessEbEEEE10hipError_tPvRmT1_T2_T3_mmT4_T5_P12ihipStream_tbEUlRKjE_EESV_SZ_S10_mS11_S14_bEUlT_E_NS1_11comp_targetILNS1_3genE4ELNS1_11target_archE910ELNS1_3gpuE8ELNS1_3repE0EEENS1_30default_config_static_selectorELNS0_4arch9wavefront6targetE0EEEvSY_.num_vgpr, 0
	.set _ZN7rocprim17ROCPRIM_400000_NS6detail17trampoline_kernelINS0_14default_configENS1_27upper_bound_config_selectorIjlEEZNS1_14transform_implILb0ES3_S5_N6thrust23THRUST_200600_302600_NS6detail15normal_iteratorINS8_7pointerIjNS8_11hip_rocprim5par_tENS8_11use_defaultESE_EEEENSA_INSB_IlSD_SE_SE_EEEEZNS1_13binary_searchIS3_S5_NSA_INS8_10device_ptrIjEEEESG_SI_NS1_21upper_bound_search_opENS9_16wrapped_functionINS8_6system6detail7generic6detail18binary_search_lessEbEEEE10hipError_tPvRmT1_T2_T3_mmT4_T5_P12ihipStream_tbEUlRKjE_EESV_SZ_S10_mS11_S14_bEUlT_E_NS1_11comp_targetILNS1_3genE4ELNS1_11target_archE910ELNS1_3gpuE8ELNS1_3repE0EEENS1_30default_config_static_selectorELNS0_4arch9wavefront6targetE0EEEvSY_.num_agpr, 0
	.set _ZN7rocprim17ROCPRIM_400000_NS6detail17trampoline_kernelINS0_14default_configENS1_27upper_bound_config_selectorIjlEEZNS1_14transform_implILb0ES3_S5_N6thrust23THRUST_200600_302600_NS6detail15normal_iteratorINS8_7pointerIjNS8_11hip_rocprim5par_tENS8_11use_defaultESE_EEEENSA_INSB_IlSD_SE_SE_EEEEZNS1_13binary_searchIS3_S5_NSA_INS8_10device_ptrIjEEEESG_SI_NS1_21upper_bound_search_opENS9_16wrapped_functionINS8_6system6detail7generic6detail18binary_search_lessEbEEEE10hipError_tPvRmT1_T2_T3_mmT4_T5_P12ihipStream_tbEUlRKjE_EESV_SZ_S10_mS11_S14_bEUlT_E_NS1_11comp_targetILNS1_3genE4ELNS1_11target_archE910ELNS1_3gpuE8ELNS1_3repE0EEENS1_30default_config_static_selectorELNS0_4arch9wavefront6targetE0EEEvSY_.numbered_sgpr, 0
	.set _ZN7rocprim17ROCPRIM_400000_NS6detail17trampoline_kernelINS0_14default_configENS1_27upper_bound_config_selectorIjlEEZNS1_14transform_implILb0ES3_S5_N6thrust23THRUST_200600_302600_NS6detail15normal_iteratorINS8_7pointerIjNS8_11hip_rocprim5par_tENS8_11use_defaultESE_EEEENSA_INSB_IlSD_SE_SE_EEEEZNS1_13binary_searchIS3_S5_NSA_INS8_10device_ptrIjEEEESG_SI_NS1_21upper_bound_search_opENS9_16wrapped_functionINS8_6system6detail7generic6detail18binary_search_lessEbEEEE10hipError_tPvRmT1_T2_T3_mmT4_T5_P12ihipStream_tbEUlRKjE_EESV_SZ_S10_mS11_S14_bEUlT_E_NS1_11comp_targetILNS1_3genE4ELNS1_11target_archE910ELNS1_3gpuE8ELNS1_3repE0EEENS1_30default_config_static_selectorELNS0_4arch9wavefront6targetE0EEEvSY_.num_named_barrier, 0
	.set _ZN7rocprim17ROCPRIM_400000_NS6detail17trampoline_kernelINS0_14default_configENS1_27upper_bound_config_selectorIjlEEZNS1_14transform_implILb0ES3_S5_N6thrust23THRUST_200600_302600_NS6detail15normal_iteratorINS8_7pointerIjNS8_11hip_rocprim5par_tENS8_11use_defaultESE_EEEENSA_INSB_IlSD_SE_SE_EEEEZNS1_13binary_searchIS3_S5_NSA_INS8_10device_ptrIjEEEESG_SI_NS1_21upper_bound_search_opENS9_16wrapped_functionINS8_6system6detail7generic6detail18binary_search_lessEbEEEE10hipError_tPvRmT1_T2_T3_mmT4_T5_P12ihipStream_tbEUlRKjE_EESV_SZ_S10_mS11_S14_bEUlT_E_NS1_11comp_targetILNS1_3genE4ELNS1_11target_archE910ELNS1_3gpuE8ELNS1_3repE0EEENS1_30default_config_static_selectorELNS0_4arch9wavefront6targetE0EEEvSY_.private_seg_size, 0
	.set _ZN7rocprim17ROCPRIM_400000_NS6detail17trampoline_kernelINS0_14default_configENS1_27upper_bound_config_selectorIjlEEZNS1_14transform_implILb0ES3_S5_N6thrust23THRUST_200600_302600_NS6detail15normal_iteratorINS8_7pointerIjNS8_11hip_rocprim5par_tENS8_11use_defaultESE_EEEENSA_INSB_IlSD_SE_SE_EEEEZNS1_13binary_searchIS3_S5_NSA_INS8_10device_ptrIjEEEESG_SI_NS1_21upper_bound_search_opENS9_16wrapped_functionINS8_6system6detail7generic6detail18binary_search_lessEbEEEE10hipError_tPvRmT1_T2_T3_mmT4_T5_P12ihipStream_tbEUlRKjE_EESV_SZ_S10_mS11_S14_bEUlT_E_NS1_11comp_targetILNS1_3genE4ELNS1_11target_archE910ELNS1_3gpuE8ELNS1_3repE0EEENS1_30default_config_static_selectorELNS0_4arch9wavefront6targetE0EEEvSY_.uses_vcc, 0
	.set _ZN7rocprim17ROCPRIM_400000_NS6detail17trampoline_kernelINS0_14default_configENS1_27upper_bound_config_selectorIjlEEZNS1_14transform_implILb0ES3_S5_N6thrust23THRUST_200600_302600_NS6detail15normal_iteratorINS8_7pointerIjNS8_11hip_rocprim5par_tENS8_11use_defaultESE_EEEENSA_INSB_IlSD_SE_SE_EEEEZNS1_13binary_searchIS3_S5_NSA_INS8_10device_ptrIjEEEESG_SI_NS1_21upper_bound_search_opENS9_16wrapped_functionINS8_6system6detail7generic6detail18binary_search_lessEbEEEE10hipError_tPvRmT1_T2_T3_mmT4_T5_P12ihipStream_tbEUlRKjE_EESV_SZ_S10_mS11_S14_bEUlT_E_NS1_11comp_targetILNS1_3genE4ELNS1_11target_archE910ELNS1_3gpuE8ELNS1_3repE0EEENS1_30default_config_static_selectorELNS0_4arch9wavefront6targetE0EEEvSY_.uses_flat_scratch, 0
	.set _ZN7rocprim17ROCPRIM_400000_NS6detail17trampoline_kernelINS0_14default_configENS1_27upper_bound_config_selectorIjlEEZNS1_14transform_implILb0ES3_S5_N6thrust23THRUST_200600_302600_NS6detail15normal_iteratorINS8_7pointerIjNS8_11hip_rocprim5par_tENS8_11use_defaultESE_EEEENSA_INSB_IlSD_SE_SE_EEEEZNS1_13binary_searchIS3_S5_NSA_INS8_10device_ptrIjEEEESG_SI_NS1_21upper_bound_search_opENS9_16wrapped_functionINS8_6system6detail7generic6detail18binary_search_lessEbEEEE10hipError_tPvRmT1_T2_T3_mmT4_T5_P12ihipStream_tbEUlRKjE_EESV_SZ_S10_mS11_S14_bEUlT_E_NS1_11comp_targetILNS1_3genE4ELNS1_11target_archE910ELNS1_3gpuE8ELNS1_3repE0EEENS1_30default_config_static_selectorELNS0_4arch9wavefront6targetE0EEEvSY_.has_dyn_sized_stack, 0
	.set _ZN7rocprim17ROCPRIM_400000_NS6detail17trampoline_kernelINS0_14default_configENS1_27upper_bound_config_selectorIjlEEZNS1_14transform_implILb0ES3_S5_N6thrust23THRUST_200600_302600_NS6detail15normal_iteratorINS8_7pointerIjNS8_11hip_rocprim5par_tENS8_11use_defaultESE_EEEENSA_INSB_IlSD_SE_SE_EEEEZNS1_13binary_searchIS3_S5_NSA_INS8_10device_ptrIjEEEESG_SI_NS1_21upper_bound_search_opENS9_16wrapped_functionINS8_6system6detail7generic6detail18binary_search_lessEbEEEE10hipError_tPvRmT1_T2_T3_mmT4_T5_P12ihipStream_tbEUlRKjE_EESV_SZ_S10_mS11_S14_bEUlT_E_NS1_11comp_targetILNS1_3genE4ELNS1_11target_archE910ELNS1_3gpuE8ELNS1_3repE0EEENS1_30default_config_static_selectorELNS0_4arch9wavefront6targetE0EEEvSY_.has_recursion, 0
	.set _ZN7rocprim17ROCPRIM_400000_NS6detail17trampoline_kernelINS0_14default_configENS1_27upper_bound_config_selectorIjlEEZNS1_14transform_implILb0ES3_S5_N6thrust23THRUST_200600_302600_NS6detail15normal_iteratorINS8_7pointerIjNS8_11hip_rocprim5par_tENS8_11use_defaultESE_EEEENSA_INSB_IlSD_SE_SE_EEEEZNS1_13binary_searchIS3_S5_NSA_INS8_10device_ptrIjEEEESG_SI_NS1_21upper_bound_search_opENS9_16wrapped_functionINS8_6system6detail7generic6detail18binary_search_lessEbEEEE10hipError_tPvRmT1_T2_T3_mmT4_T5_P12ihipStream_tbEUlRKjE_EESV_SZ_S10_mS11_S14_bEUlT_E_NS1_11comp_targetILNS1_3genE4ELNS1_11target_archE910ELNS1_3gpuE8ELNS1_3repE0EEENS1_30default_config_static_selectorELNS0_4arch9wavefront6targetE0EEEvSY_.has_indirect_call, 0
	.section	.AMDGPU.csdata,"",@progbits
; Kernel info:
; codeLenInByte = 0
; TotalNumSgprs: 0
; NumVgprs: 0
; ScratchSize: 0
; MemoryBound: 0
; FloatMode: 240
; IeeeMode: 1
; LDSByteSize: 0 bytes/workgroup (compile time only)
; SGPRBlocks: 0
; VGPRBlocks: 0
; NumSGPRsForWavesPerEU: 1
; NumVGPRsForWavesPerEU: 1
; Occupancy: 16
; WaveLimiterHint : 0
; COMPUTE_PGM_RSRC2:SCRATCH_EN: 0
; COMPUTE_PGM_RSRC2:USER_SGPR: 6
; COMPUTE_PGM_RSRC2:TRAP_HANDLER: 0
; COMPUTE_PGM_RSRC2:TGID_X_EN: 1
; COMPUTE_PGM_RSRC2:TGID_Y_EN: 0
; COMPUTE_PGM_RSRC2:TGID_Z_EN: 0
; COMPUTE_PGM_RSRC2:TIDIG_COMP_CNT: 0
	.section	.text._ZN7rocprim17ROCPRIM_400000_NS6detail17trampoline_kernelINS0_14default_configENS1_27upper_bound_config_selectorIjlEEZNS1_14transform_implILb0ES3_S5_N6thrust23THRUST_200600_302600_NS6detail15normal_iteratorINS8_7pointerIjNS8_11hip_rocprim5par_tENS8_11use_defaultESE_EEEENSA_INSB_IlSD_SE_SE_EEEEZNS1_13binary_searchIS3_S5_NSA_INS8_10device_ptrIjEEEESG_SI_NS1_21upper_bound_search_opENS9_16wrapped_functionINS8_6system6detail7generic6detail18binary_search_lessEbEEEE10hipError_tPvRmT1_T2_T3_mmT4_T5_P12ihipStream_tbEUlRKjE_EESV_SZ_S10_mS11_S14_bEUlT_E_NS1_11comp_targetILNS1_3genE3ELNS1_11target_archE908ELNS1_3gpuE7ELNS1_3repE0EEENS1_30default_config_static_selectorELNS0_4arch9wavefront6targetE0EEEvSY_,"axG",@progbits,_ZN7rocprim17ROCPRIM_400000_NS6detail17trampoline_kernelINS0_14default_configENS1_27upper_bound_config_selectorIjlEEZNS1_14transform_implILb0ES3_S5_N6thrust23THRUST_200600_302600_NS6detail15normal_iteratorINS8_7pointerIjNS8_11hip_rocprim5par_tENS8_11use_defaultESE_EEEENSA_INSB_IlSD_SE_SE_EEEEZNS1_13binary_searchIS3_S5_NSA_INS8_10device_ptrIjEEEESG_SI_NS1_21upper_bound_search_opENS9_16wrapped_functionINS8_6system6detail7generic6detail18binary_search_lessEbEEEE10hipError_tPvRmT1_T2_T3_mmT4_T5_P12ihipStream_tbEUlRKjE_EESV_SZ_S10_mS11_S14_bEUlT_E_NS1_11comp_targetILNS1_3genE3ELNS1_11target_archE908ELNS1_3gpuE7ELNS1_3repE0EEENS1_30default_config_static_selectorELNS0_4arch9wavefront6targetE0EEEvSY_,comdat
	.protected	_ZN7rocprim17ROCPRIM_400000_NS6detail17trampoline_kernelINS0_14default_configENS1_27upper_bound_config_selectorIjlEEZNS1_14transform_implILb0ES3_S5_N6thrust23THRUST_200600_302600_NS6detail15normal_iteratorINS8_7pointerIjNS8_11hip_rocprim5par_tENS8_11use_defaultESE_EEEENSA_INSB_IlSD_SE_SE_EEEEZNS1_13binary_searchIS3_S5_NSA_INS8_10device_ptrIjEEEESG_SI_NS1_21upper_bound_search_opENS9_16wrapped_functionINS8_6system6detail7generic6detail18binary_search_lessEbEEEE10hipError_tPvRmT1_T2_T3_mmT4_T5_P12ihipStream_tbEUlRKjE_EESV_SZ_S10_mS11_S14_bEUlT_E_NS1_11comp_targetILNS1_3genE3ELNS1_11target_archE908ELNS1_3gpuE7ELNS1_3repE0EEENS1_30default_config_static_selectorELNS0_4arch9wavefront6targetE0EEEvSY_ ; -- Begin function _ZN7rocprim17ROCPRIM_400000_NS6detail17trampoline_kernelINS0_14default_configENS1_27upper_bound_config_selectorIjlEEZNS1_14transform_implILb0ES3_S5_N6thrust23THRUST_200600_302600_NS6detail15normal_iteratorINS8_7pointerIjNS8_11hip_rocprim5par_tENS8_11use_defaultESE_EEEENSA_INSB_IlSD_SE_SE_EEEEZNS1_13binary_searchIS3_S5_NSA_INS8_10device_ptrIjEEEESG_SI_NS1_21upper_bound_search_opENS9_16wrapped_functionINS8_6system6detail7generic6detail18binary_search_lessEbEEEE10hipError_tPvRmT1_T2_T3_mmT4_T5_P12ihipStream_tbEUlRKjE_EESV_SZ_S10_mS11_S14_bEUlT_E_NS1_11comp_targetILNS1_3genE3ELNS1_11target_archE908ELNS1_3gpuE7ELNS1_3repE0EEENS1_30default_config_static_selectorELNS0_4arch9wavefront6targetE0EEEvSY_
	.globl	_ZN7rocprim17ROCPRIM_400000_NS6detail17trampoline_kernelINS0_14default_configENS1_27upper_bound_config_selectorIjlEEZNS1_14transform_implILb0ES3_S5_N6thrust23THRUST_200600_302600_NS6detail15normal_iteratorINS8_7pointerIjNS8_11hip_rocprim5par_tENS8_11use_defaultESE_EEEENSA_INSB_IlSD_SE_SE_EEEEZNS1_13binary_searchIS3_S5_NSA_INS8_10device_ptrIjEEEESG_SI_NS1_21upper_bound_search_opENS9_16wrapped_functionINS8_6system6detail7generic6detail18binary_search_lessEbEEEE10hipError_tPvRmT1_T2_T3_mmT4_T5_P12ihipStream_tbEUlRKjE_EESV_SZ_S10_mS11_S14_bEUlT_E_NS1_11comp_targetILNS1_3genE3ELNS1_11target_archE908ELNS1_3gpuE7ELNS1_3repE0EEENS1_30default_config_static_selectorELNS0_4arch9wavefront6targetE0EEEvSY_
	.p2align	8
	.type	_ZN7rocprim17ROCPRIM_400000_NS6detail17trampoline_kernelINS0_14default_configENS1_27upper_bound_config_selectorIjlEEZNS1_14transform_implILb0ES3_S5_N6thrust23THRUST_200600_302600_NS6detail15normal_iteratorINS8_7pointerIjNS8_11hip_rocprim5par_tENS8_11use_defaultESE_EEEENSA_INSB_IlSD_SE_SE_EEEEZNS1_13binary_searchIS3_S5_NSA_INS8_10device_ptrIjEEEESG_SI_NS1_21upper_bound_search_opENS9_16wrapped_functionINS8_6system6detail7generic6detail18binary_search_lessEbEEEE10hipError_tPvRmT1_T2_T3_mmT4_T5_P12ihipStream_tbEUlRKjE_EESV_SZ_S10_mS11_S14_bEUlT_E_NS1_11comp_targetILNS1_3genE3ELNS1_11target_archE908ELNS1_3gpuE7ELNS1_3repE0EEENS1_30default_config_static_selectorELNS0_4arch9wavefront6targetE0EEEvSY_,@function
_ZN7rocprim17ROCPRIM_400000_NS6detail17trampoline_kernelINS0_14default_configENS1_27upper_bound_config_selectorIjlEEZNS1_14transform_implILb0ES3_S5_N6thrust23THRUST_200600_302600_NS6detail15normal_iteratorINS8_7pointerIjNS8_11hip_rocprim5par_tENS8_11use_defaultESE_EEEENSA_INSB_IlSD_SE_SE_EEEEZNS1_13binary_searchIS3_S5_NSA_INS8_10device_ptrIjEEEESG_SI_NS1_21upper_bound_search_opENS9_16wrapped_functionINS8_6system6detail7generic6detail18binary_search_lessEbEEEE10hipError_tPvRmT1_T2_T3_mmT4_T5_P12ihipStream_tbEUlRKjE_EESV_SZ_S10_mS11_S14_bEUlT_E_NS1_11comp_targetILNS1_3genE3ELNS1_11target_archE908ELNS1_3gpuE7ELNS1_3repE0EEENS1_30default_config_static_selectorELNS0_4arch9wavefront6targetE0EEEvSY_: ; @_ZN7rocprim17ROCPRIM_400000_NS6detail17trampoline_kernelINS0_14default_configENS1_27upper_bound_config_selectorIjlEEZNS1_14transform_implILb0ES3_S5_N6thrust23THRUST_200600_302600_NS6detail15normal_iteratorINS8_7pointerIjNS8_11hip_rocprim5par_tENS8_11use_defaultESE_EEEENSA_INSB_IlSD_SE_SE_EEEEZNS1_13binary_searchIS3_S5_NSA_INS8_10device_ptrIjEEEESG_SI_NS1_21upper_bound_search_opENS9_16wrapped_functionINS8_6system6detail7generic6detail18binary_search_lessEbEEEE10hipError_tPvRmT1_T2_T3_mmT4_T5_P12ihipStream_tbEUlRKjE_EESV_SZ_S10_mS11_S14_bEUlT_E_NS1_11comp_targetILNS1_3genE3ELNS1_11target_archE908ELNS1_3gpuE7ELNS1_3repE0EEENS1_30default_config_static_selectorELNS0_4arch9wavefront6targetE0EEEvSY_
; %bb.0:
	.section	.rodata,"a",@progbits
	.p2align	6, 0x0
	.amdhsa_kernel _ZN7rocprim17ROCPRIM_400000_NS6detail17trampoline_kernelINS0_14default_configENS1_27upper_bound_config_selectorIjlEEZNS1_14transform_implILb0ES3_S5_N6thrust23THRUST_200600_302600_NS6detail15normal_iteratorINS8_7pointerIjNS8_11hip_rocprim5par_tENS8_11use_defaultESE_EEEENSA_INSB_IlSD_SE_SE_EEEEZNS1_13binary_searchIS3_S5_NSA_INS8_10device_ptrIjEEEESG_SI_NS1_21upper_bound_search_opENS9_16wrapped_functionINS8_6system6detail7generic6detail18binary_search_lessEbEEEE10hipError_tPvRmT1_T2_T3_mmT4_T5_P12ihipStream_tbEUlRKjE_EESV_SZ_S10_mS11_S14_bEUlT_E_NS1_11comp_targetILNS1_3genE3ELNS1_11target_archE908ELNS1_3gpuE7ELNS1_3repE0EEENS1_30default_config_static_selectorELNS0_4arch9wavefront6targetE0EEEvSY_
		.amdhsa_group_segment_fixed_size 0
		.amdhsa_private_segment_fixed_size 0
		.amdhsa_kernarg_size 56
		.amdhsa_user_sgpr_count 6
		.amdhsa_user_sgpr_private_segment_buffer 1
		.amdhsa_user_sgpr_dispatch_ptr 0
		.amdhsa_user_sgpr_queue_ptr 0
		.amdhsa_user_sgpr_kernarg_segment_ptr 1
		.amdhsa_user_sgpr_dispatch_id 0
		.amdhsa_user_sgpr_flat_scratch_init 0
		.amdhsa_user_sgpr_private_segment_size 0
		.amdhsa_wavefront_size32 1
		.amdhsa_uses_dynamic_stack 0
		.amdhsa_system_sgpr_private_segment_wavefront_offset 0
		.amdhsa_system_sgpr_workgroup_id_x 1
		.amdhsa_system_sgpr_workgroup_id_y 0
		.amdhsa_system_sgpr_workgroup_id_z 0
		.amdhsa_system_sgpr_workgroup_info 0
		.amdhsa_system_vgpr_workitem_id 0
		.amdhsa_next_free_vgpr 1
		.amdhsa_next_free_sgpr 1
		.amdhsa_reserve_vcc 0
		.amdhsa_reserve_flat_scratch 0
		.amdhsa_float_round_mode_32 0
		.amdhsa_float_round_mode_16_64 0
		.amdhsa_float_denorm_mode_32 3
		.amdhsa_float_denorm_mode_16_64 3
		.amdhsa_dx10_clamp 1
		.amdhsa_ieee_mode 1
		.amdhsa_fp16_overflow 0
		.amdhsa_workgroup_processor_mode 1
		.amdhsa_memory_ordered 1
		.amdhsa_forward_progress 1
		.amdhsa_shared_vgpr_count 0
		.amdhsa_exception_fp_ieee_invalid_op 0
		.amdhsa_exception_fp_denorm_src 0
		.amdhsa_exception_fp_ieee_div_zero 0
		.amdhsa_exception_fp_ieee_overflow 0
		.amdhsa_exception_fp_ieee_underflow 0
		.amdhsa_exception_fp_ieee_inexact 0
		.amdhsa_exception_int_div_zero 0
	.end_amdhsa_kernel
	.section	.text._ZN7rocprim17ROCPRIM_400000_NS6detail17trampoline_kernelINS0_14default_configENS1_27upper_bound_config_selectorIjlEEZNS1_14transform_implILb0ES3_S5_N6thrust23THRUST_200600_302600_NS6detail15normal_iteratorINS8_7pointerIjNS8_11hip_rocprim5par_tENS8_11use_defaultESE_EEEENSA_INSB_IlSD_SE_SE_EEEEZNS1_13binary_searchIS3_S5_NSA_INS8_10device_ptrIjEEEESG_SI_NS1_21upper_bound_search_opENS9_16wrapped_functionINS8_6system6detail7generic6detail18binary_search_lessEbEEEE10hipError_tPvRmT1_T2_T3_mmT4_T5_P12ihipStream_tbEUlRKjE_EESV_SZ_S10_mS11_S14_bEUlT_E_NS1_11comp_targetILNS1_3genE3ELNS1_11target_archE908ELNS1_3gpuE7ELNS1_3repE0EEENS1_30default_config_static_selectorELNS0_4arch9wavefront6targetE0EEEvSY_,"axG",@progbits,_ZN7rocprim17ROCPRIM_400000_NS6detail17trampoline_kernelINS0_14default_configENS1_27upper_bound_config_selectorIjlEEZNS1_14transform_implILb0ES3_S5_N6thrust23THRUST_200600_302600_NS6detail15normal_iteratorINS8_7pointerIjNS8_11hip_rocprim5par_tENS8_11use_defaultESE_EEEENSA_INSB_IlSD_SE_SE_EEEEZNS1_13binary_searchIS3_S5_NSA_INS8_10device_ptrIjEEEESG_SI_NS1_21upper_bound_search_opENS9_16wrapped_functionINS8_6system6detail7generic6detail18binary_search_lessEbEEEE10hipError_tPvRmT1_T2_T3_mmT4_T5_P12ihipStream_tbEUlRKjE_EESV_SZ_S10_mS11_S14_bEUlT_E_NS1_11comp_targetILNS1_3genE3ELNS1_11target_archE908ELNS1_3gpuE7ELNS1_3repE0EEENS1_30default_config_static_selectorELNS0_4arch9wavefront6targetE0EEEvSY_,comdat
.Lfunc_end548:
	.size	_ZN7rocprim17ROCPRIM_400000_NS6detail17trampoline_kernelINS0_14default_configENS1_27upper_bound_config_selectorIjlEEZNS1_14transform_implILb0ES3_S5_N6thrust23THRUST_200600_302600_NS6detail15normal_iteratorINS8_7pointerIjNS8_11hip_rocprim5par_tENS8_11use_defaultESE_EEEENSA_INSB_IlSD_SE_SE_EEEEZNS1_13binary_searchIS3_S5_NSA_INS8_10device_ptrIjEEEESG_SI_NS1_21upper_bound_search_opENS9_16wrapped_functionINS8_6system6detail7generic6detail18binary_search_lessEbEEEE10hipError_tPvRmT1_T2_T3_mmT4_T5_P12ihipStream_tbEUlRKjE_EESV_SZ_S10_mS11_S14_bEUlT_E_NS1_11comp_targetILNS1_3genE3ELNS1_11target_archE908ELNS1_3gpuE7ELNS1_3repE0EEENS1_30default_config_static_selectorELNS0_4arch9wavefront6targetE0EEEvSY_, .Lfunc_end548-_ZN7rocprim17ROCPRIM_400000_NS6detail17trampoline_kernelINS0_14default_configENS1_27upper_bound_config_selectorIjlEEZNS1_14transform_implILb0ES3_S5_N6thrust23THRUST_200600_302600_NS6detail15normal_iteratorINS8_7pointerIjNS8_11hip_rocprim5par_tENS8_11use_defaultESE_EEEENSA_INSB_IlSD_SE_SE_EEEEZNS1_13binary_searchIS3_S5_NSA_INS8_10device_ptrIjEEEESG_SI_NS1_21upper_bound_search_opENS9_16wrapped_functionINS8_6system6detail7generic6detail18binary_search_lessEbEEEE10hipError_tPvRmT1_T2_T3_mmT4_T5_P12ihipStream_tbEUlRKjE_EESV_SZ_S10_mS11_S14_bEUlT_E_NS1_11comp_targetILNS1_3genE3ELNS1_11target_archE908ELNS1_3gpuE7ELNS1_3repE0EEENS1_30default_config_static_selectorELNS0_4arch9wavefront6targetE0EEEvSY_
                                        ; -- End function
	.set _ZN7rocprim17ROCPRIM_400000_NS6detail17trampoline_kernelINS0_14default_configENS1_27upper_bound_config_selectorIjlEEZNS1_14transform_implILb0ES3_S5_N6thrust23THRUST_200600_302600_NS6detail15normal_iteratorINS8_7pointerIjNS8_11hip_rocprim5par_tENS8_11use_defaultESE_EEEENSA_INSB_IlSD_SE_SE_EEEEZNS1_13binary_searchIS3_S5_NSA_INS8_10device_ptrIjEEEESG_SI_NS1_21upper_bound_search_opENS9_16wrapped_functionINS8_6system6detail7generic6detail18binary_search_lessEbEEEE10hipError_tPvRmT1_T2_T3_mmT4_T5_P12ihipStream_tbEUlRKjE_EESV_SZ_S10_mS11_S14_bEUlT_E_NS1_11comp_targetILNS1_3genE3ELNS1_11target_archE908ELNS1_3gpuE7ELNS1_3repE0EEENS1_30default_config_static_selectorELNS0_4arch9wavefront6targetE0EEEvSY_.num_vgpr, 0
	.set _ZN7rocprim17ROCPRIM_400000_NS6detail17trampoline_kernelINS0_14default_configENS1_27upper_bound_config_selectorIjlEEZNS1_14transform_implILb0ES3_S5_N6thrust23THRUST_200600_302600_NS6detail15normal_iteratorINS8_7pointerIjNS8_11hip_rocprim5par_tENS8_11use_defaultESE_EEEENSA_INSB_IlSD_SE_SE_EEEEZNS1_13binary_searchIS3_S5_NSA_INS8_10device_ptrIjEEEESG_SI_NS1_21upper_bound_search_opENS9_16wrapped_functionINS8_6system6detail7generic6detail18binary_search_lessEbEEEE10hipError_tPvRmT1_T2_T3_mmT4_T5_P12ihipStream_tbEUlRKjE_EESV_SZ_S10_mS11_S14_bEUlT_E_NS1_11comp_targetILNS1_3genE3ELNS1_11target_archE908ELNS1_3gpuE7ELNS1_3repE0EEENS1_30default_config_static_selectorELNS0_4arch9wavefront6targetE0EEEvSY_.num_agpr, 0
	.set _ZN7rocprim17ROCPRIM_400000_NS6detail17trampoline_kernelINS0_14default_configENS1_27upper_bound_config_selectorIjlEEZNS1_14transform_implILb0ES3_S5_N6thrust23THRUST_200600_302600_NS6detail15normal_iteratorINS8_7pointerIjNS8_11hip_rocprim5par_tENS8_11use_defaultESE_EEEENSA_INSB_IlSD_SE_SE_EEEEZNS1_13binary_searchIS3_S5_NSA_INS8_10device_ptrIjEEEESG_SI_NS1_21upper_bound_search_opENS9_16wrapped_functionINS8_6system6detail7generic6detail18binary_search_lessEbEEEE10hipError_tPvRmT1_T2_T3_mmT4_T5_P12ihipStream_tbEUlRKjE_EESV_SZ_S10_mS11_S14_bEUlT_E_NS1_11comp_targetILNS1_3genE3ELNS1_11target_archE908ELNS1_3gpuE7ELNS1_3repE0EEENS1_30default_config_static_selectorELNS0_4arch9wavefront6targetE0EEEvSY_.numbered_sgpr, 0
	.set _ZN7rocprim17ROCPRIM_400000_NS6detail17trampoline_kernelINS0_14default_configENS1_27upper_bound_config_selectorIjlEEZNS1_14transform_implILb0ES3_S5_N6thrust23THRUST_200600_302600_NS6detail15normal_iteratorINS8_7pointerIjNS8_11hip_rocprim5par_tENS8_11use_defaultESE_EEEENSA_INSB_IlSD_SE_SE_EEEEZNS1_13binary_searchIS3_S5_NSA_INS8_10device_ptrIjEEEESG_SI_NS1_21upper_bound_search_opENS9_16wrapped_functionINS8_6system6detail7generic6detail18binary_search_lessEbEEEE10hipError_tPvRmT1_T2_T3_mmT4_T5_P12ihipStream_tbEUlRKjE_EESV_SZ_S10_mS11_S14_bEUlT_E_NS1_11comp_targetILNS1_3genE3ELNS1_11target_archE908ELNS1_3gpuE7ELNS1_3repE0EEENS1_30default_config_static_selectorELNS0_4arch9wavefront6targetE0EEEvSY_.num_named_barrier, 0
	.set _ZN7rocprim17ROCPRIM_400000_NS6detail17trampoline_kernelINS0_14default_configENS1_27upper_bound_config_selectorIjlEEZNS1_14transform_implILb0ES3_S5_N6thrust23THRUST_200600_302600_NS6detail15normal_iteratorINS8_7pointerIjNS8_11hip_rocprim5par_tENS8_11use_defaultESE_EEEENSA_INSB_IlSD_SE_SE_EEEEZNS1_13binary_searchIS3_S5_NSA_INS8_10device_ptrIjEEEESG_SI_NS1_21upper_bound_search_opENS9_16wrapped_functionINS8_6system6detail7generic6detail18binary_search_lessEbEEEE10hipError_tPvRmT1_T2_T3_mmT4_T5_P12ihipStream_tbEUlRKjE_EESV_SZ_S10_mS11_S14_bEUlT_E_NS1_11comp_targetILNS1_3genE3ELNS1_11target_archE908ELNS1_3gpuE7ELNS1_3repE0EEENS1_30default_config_static_selectorELNS0_4arch9wavefront6targetE0EEEvSY_.private_seg_size, 0
	.set _ZN7rocprim17ROCPRIM_400000_NS6detail17trampoline_kernelINS0_14default_configENS1_27upper_bound_config_selectorIjlEEZNS1_14transform_implILb0ES3_S5_N6thrust23THRUST_200600_302600_NS6detail15normal_iteratorINS8_7pointerIjNS8_11hip_rocprim5par_tENS8_11use_defaultESE_EEEENSA_INSB_IlSD_SE_SE_EEEEZNS1_13binary_searchIS3_S5_NSA_INS8_10device_ptrIjEEEESG_SI_NS1_21upper_bound_search_opENS9_16wrapped_functionINS8_6system6detail7generic6detail18binary_search_lessEbEEEE10hipError_tPvRmT1_T2_T3_mmT4_T5_P12ihipStream_tbEUlRKjE_EESV_SZ_S10_mS11_S14_bEUlT_E_NS1_11comp_targetILNS1_3genE3ELNS1_11target_archE908ELNS1_3gpuE7ELNS1_3repE0EEENS1_30default_config_static_selectorELNS0_4arch9wavefront6targetE0EEEvSY_.uses_vcc, 0
	.set _ZN7rocprim17ROCPRIM_400000_NS6detail17trampoline_kernelINS0_14default_configENS1_27upper_bound_config_selectorIjlEEZNS1_14transform_implILb0ES3_S5_N6thrust23THRUST_200600_302600_NS6detail15normal_iteratorINS8_7pointerIjNS8_11hip_rocprim5par_tENS8_11use_defaultESE_EEEENSA_INSB_IlSD_SE_SE_EEEEZNS1_13binary_searchIS3_S5_NSA_INS8_10device_ptrIjEEEESG_SI_NS1_21upper_bound_search_opENS9_16wrapped_functionINS8_6system6detail7generic6detail18binary_search_lessEbEEEE10hipError_tPvRmT1_T2_T3_mmT4_T5_P12ihipStream_tbEUlRKjE_EESV_SZ_S10_mS11_S14_bEUlT_E_NS1_11comp_targetILNS1_3genE3ELNS1_11target_archE908ELNS1_3gpuE7ELNS1_3repE0EEENS1_30default_config_static_selectorELNS0_4arch9wavefront6targetE0EEEvSY_.uses_flat_scratch, 0
	.set _ZN7rocprim17ROCPRIM_400000_NS6detail17trampoline_kernelINS0_14default_configENS1_27upper_bound_config_selectorIjlEEZNS1_14transform_implILb0ES3_S5_N6thrust23THRUST_200600_302600_NS6detail15normal_iteratorINS8_7pointerIjNS8_11hip_rocprim5par_tENS8_11use_defaultESE_EEEENSA_INSB_IlSD_SE_SE_EEEEZNS1_13binary_searchIS3_S5_NSA_INS8_10device_ptrIjEEEESG_SI_NS1_21upper_bound_search_opENS9_16wrapped_functionINS8_6system6detail7generic6detail18binary_search_lessEbEEEE10hipError_tPvRmT1_T2_T3_mmT4_T5_P12ihipStream_tbEUlRKjE_EESV_SZ_S10_mS11_S14_bEUlT_E_NS1_11comp_targetILNS1_3genE3ELNS1_11target_archE908ELNS1_3gpuE7ELNS1_3repE0EEENS1_30default_config_static_selectorELNS0_4arch9wavefront6targetE0EEEvSY_.has_dyn_sized_stack, 0
	.set _ZN7rocprim17ROCPRIM_400000_NS6detail17trampoline_kernelINS0_14default_configENS1_27upper_bound_config_selectorIjlEEZNS1_14transform_implILb0ES3_S5_N6thrust23THRUST_200600_302600_NS6detail15normal_iteratorINS8_7pointerIjNS8_11hip_rocprim5par_tENS8_11use_defaultESE_EEEENSA_INSB_IlSD_SE_SE_EEEEZNS1_13binary_searchIS3_S5_NSA_INS8_10device_ptrIjEEEESG_SI_NS1_21upper_bound_search_opENS9_16wrapped_functionINS8_6system6detail7generic6detail18binary_search_lessEbEEEE10hipError_tPvRmT1_T2_T3_mmT4_T5_P12ihipStream_tbEUlRKjE_EESV_SZ_S10_mS11_S14_bEUlT_E_NS1_11comp_targetILNS1_3genE3ELNS1_11target_archE908ELNS1_3gpuE7ELNS1_3repE0EEENS1_30default_config_static_selectorELNS0_4arch9wavefront6targetE0EEEvSY_.has_recursion, 0
	.set _ZN7rocprim17ROCPRIM_400000_NS6detail17trampoline_kernelINS0_14default_configENS1_27upper_bound_config_selectorIjlEEZNS1_14transform_implILb0ES3_S5_N6thrust23THRUST_200600_302600_NS6detail15normal_iteratorINS8_7pointerIjNS8_11hip_rocprim5par_tENS8_11use_defaultESE_EEEENSA_INSB_IlSD_SE_SE_EEEEZNS1_13binary_searchIS3_S5_NSA_INS8_10device_ptrIjEEEESG_SI_NS1_21upper_bound_search_opENS9_16wrapped_functionINS8_6system6detail7generic6detail18binary_search_lessEbEEEE10hipError_tPvRmT1_T2_T3_mmT4_T5_P12ihipStream_tbEUlRKjE_EESV_SZ_S10_mS11_S14_bEUlT_E_NS1_11comp_targetILNS1_3genE3ELNS1_11target_archE908ELNS1_3gpuE7ELNS1_3repE0EEENS1_30default_config_static_selectorELNS0_4arch9wavefront6targetE0EEEvSY_.has_indirect_call, 0
	.section	.AMDGPU.csdata,"",@progbits
; Kernel info:
; codeLenInByte = 0
; TotalNumSgprs: 0
; NumVgprs: 0
; ScratchSize: 0
; MemoryBound: 0
; FloatMode: 240
; IeeeMode: 1
; LDSByteSize: 0 bytes/workgroup (compile time only)
; SGPRBlocks: 0
; VGPRBlocks: 0
; NumSGPRsForWavesPerEU: 1
; NumVGPRsForWavesPerEU: 1
; Occupancy: 16
; WaveLimiterHint : 0
; COMPUTE_PGM_RSRC2:SCRATCH_EN: 0
; COMPUTE_PGM_RSRC2:USER_SGPR: 6
; COMPUTE_PGM_RSRC2:TRAP_HANDLER: 0
; COMPUTE_PGM_RSRC2:TGID_X_EN: 1
; COMPUTE_PGM_RSRC2:TGID_Y_EN: 0
; COMPUTE_PGM_RSRC2:TGID_Z_EN: 0
; COMPUTE_PGM_RSRC2:TIDIG_COMP_CNT: 0
	.section	.text._ZN7rocprim17ROCPRIM_400000_NS6detail17trampoline_kernelINS0_14default_configENS1_27upper_bound_config_selectorIjlEEZNS1_14transform_implILb0ES3_S5_N6thrust23THRUST_200600_302600_NS6detail15normal_iteratorINS8_7pointerIjNS8_11hip_rocprim5par_tENS8_11use_defaultESE_EEEENSA_INSB_IlSD_SE_SE_EEEEZNS1_13binary_searchIS3_S5_NSA_INS8_10device_ptrIjEEEESG_SI_NS1_21upper_bound_search_opENS9_16wrapped_functionINS8_6system6detail7generic6detail18binary_search_lessEbEEEE10hipError_tPvRmT1_T2_T3_mmT4_T5_P12ihipStream_tbEUlRKjE_EESV_SZ_S10_mS11_S14_bEUlT_E_NS1_11comp_targetILNS1_3genE2ELNS1_11target_archE906ELNS1_3gpuE6ELNS1_3repE0EEENS1_30default_config_static_selectorELNS0_4arch9wavefront6targetE0EEEvSY_,"axG",@progbits,_ZN7rocprim17ROCPRIM_400000_NS6detail17trampoline_kernelINS0_14default_configENS1_27upper_bound_config_selectorIjlEEZNS1_14transform_implILb0ES3_S5_N6thrust23THRUST_200600_302600_NS6detail15normal_iteratorINS8_7pointerIjNS8_11hip_rocprim5par_tENS8_11use_defaultESE_EEEENSA_INSB_IlSD_SE_SE_EEEEZNS1_13binary_searchIS3_S5_NSA_INS8_10device_ptrIjEEEESG_SI_NS1_21upper_bound_search_opENS9_16wrapped_functionINS8_6system6detail7generic6detail18binary_search_lessEbEEEE10hipError_tPvRmT1_T2_T3_mmT4_T5_P12ihipStream_tbEUlRKjE_EESV_SZ_S10_mS11_S14_bEUlT_E_NS1_11comp_targetILNS1_3genE2ELNS1_11target_archE906ELNS1_3gpuE6ELNS1_3repE0EEENS1_30default_config_static_selectorELNS0_4arch9wavefront6targetE0EEEvSY_,comdat
	.protected	_ZN7rocprim17ROCPRIM_400000_NS6detail17trampoline_kernelINS0_14default_configENS1_27upper_bound_config_selectorIjlEEZNS1_14transform_implILb0ES3_S5_N6thrust23THRUST_200600_302600_NS6detail15normal_iteratorINS8_7pointerIjNS8_11hip_rocprim5par_tENS8_11use_defaultESE_EEEENSA_INSB_IlSD_SE_SE_EEEEZNS1_13binary_searchIS3_S5_NSA_INS8_10device_ptrIjEEEESG_SI_NS1_21upper_bound_search_opENS9_16wrapped_functionINS8_6system6detail7generic6detail18binary_search_lessEbEEEE10hipError_tPvRmT1_T2_T3_mmT4_T5_P12ihipStream_tbEUlRKjE_EESV_SZ_S10_mS11_S14_bEUlT_E_NS1_11comp_targetILNS1_3genE2ELNS1_11target_archE906ELNS1_3gpuE6ELNS1_3repE0EEENS1_30default_config_static_selectorELNS0_4arch9wavefront6targetE0EEEvSY_ ; -- Begin function _ZN7rocprim17ROCPRIM_400000_NS6detail17trampoline_kernelINS0_14default_configENS1_27upper_bound_config_selectorIjlEEZNS1_14transform_implILb0ES3_S5_N6thrust23THRUST_200600_302600_NS6detail15normal_iteratorINS8_7pointerIjNS8_11hip_rocprim5par_tENS8_11use_defaultESE_EEEENSA_INSB_IlSD_SE_SE_EEEEZNS1_13binary_searchIS3_S5_NSA_INS8_10device_ptrIjEEEESG_SI_NS1_21upper_bound_search_opENS9_16wrapped_functionINS8_6system6detail7generic6detail18binary_search_lessEbEEEE10hipError_tPvRmT1_T2_T3_mmT4_T5_P12ihipStream_tbEUlRKjE_EESV_SZ_S10_mS11_S14_bEUlT_E_NS1_11comp_targetILNS1_3genE2ELNS1_11target_archE906ELNS1_3gpuE6ELNS1_3repE0EEENS1_30default_config_static_selectorELNS0_4arch9wavefront6targetE0EEEvSY_
	.globl	_ZN7rocprim17ROCPRIM_400000_NS6detail17trampoline_kernelINS0_14default_configENS1_27upper_bound_config_selectorIjlEEZNS1_14transform_implILb0ES3_S5_N6thrust23THRUST_200600_302600_NS6detail15normal_iteratorINS8_7pointerIjNS8_11hip_rocprim5par_tENS8_11use_defaultESE_EEEENSA_INSB_IlSD_SE_SE_EEEEZNS1_13binary_searchIS3_S5_NSA_INS8_10device_ptrIjEEEESG_SI_NS1_21upper_bound_search_opENS9_16wrapped_functionINS8_6system6detail7generic6detail18binary_search_lessEbEEEE10hipError_tPvRmT1_T2_T3_mmT4_T5_P12ihipStream_tbEUlRKjE_EESV_SZ_S10_mS11_S14_bEUlT_E_NS1_11comp_targetILNS1_3genE2ELNS1_11target_archE906ELNS1_3gpuE6ELNS1_3repE0EEENS1_30default_config_static_selectorELNS0_4arch9wavefront6targetE0EEEvSY_
	.p2align	8
	.type	_ZN7rocprim17ROCPRIM_400000_NS6detail17trampoline_kernelINS0_14default_configENS1_27upper_bound_config_selectorIjlEEZNS1_14transform_implILb0ES3_S5_N6thrust23THRUST_200600_302600_NS6detail15normal_iteratorINS8_7pointerIjNS8_11hip_rocprim5par_tENS8_11use_defaultESE_EEEENSA_INSB_IlSD_SE_SE_EEEEZNS1_13binary_searchIS3_S5_NSA_INS8_10device_ptrIjEEEESG_SI_NS1_21upper_bound_search_opENS9_16wrapped_functionINS8_6system6detail7generic6detail18binary_search_lessEbEEEE10hipError_tPvRmT1_T2_T3_mmT4_T5_P12ihipStream_tbEUlRKjE_EESV_SZ_S10_mS11_S14_bEUlT_E_NS1_11comp_targetILNS1_3genE2ELNS1_11target_archE906ELNS1_3gpuE6ELNS1_3repE0EEENS1_30default_config_static_selectorELNS0_4arch9wavefront6targetE0EEEvSY_,@function
_ZN7rocprim17ROCPRIM_400000_NS6detail17trampoline_kernelINS0_14default_configENS1_27upper_bound_config_selectorIjlEEZNS1_14transform_implILb0ES3_S5_N6thrust23THRUST_200600_302600_NS6detail15normal_iteratorINS8_7pointerIjNS8_11hip_rocprim5par_tENS8_11use_defaultESE_EEEENSA_INSB_IlSD_SE_SE_EEEEZNS1_13binary_searchIS3_S5_NSA_INS8_10device_ptrIjEEEESG_SI_NS1_21upper_bound_search_opENS9_16wrapped_functionINS8_6system6detail7generic6detail18binary_search_lessEbEEEE10hipError_tPvRmT1_T2_T3_mmT4_T5_P12ihipStream_tbEUlRKjE_EESV_SZ_S10_mS11_S14_bEUlT_E_NS1_11comp_targetILNS1_3genE2ELNS1_11target_archE906ELNS1_3gpuE6ELNS1_3repE0EEENS1_30default_config_static_selectorELNS0_4arch9wavefront6targetE0EEEvSY_: ; @_ZN7rocprim17ROCPRIM_400000_NS6detail17trampoline_kernelINS0_14default_configENS1_27upper_bound_config_selectorIjlEEZNS1_14transform_implILb0ES3_S5_N6thrust23THRUST_200600_302600_NS6detail15normal_iteratorINS8_7pointerIjNS8_11hip_rocprim5par_tENS8_11use_defaultESE_EEEENSA_INSB_IlSD_SE_SE_EEEEZNS1_13binary_searchIS3_S5_NSA_INS8_10device_ptrIjEEEESG_SI_NS1_21upper_bound_search_opENS9_16wrapped_functionINS8_6system6detail7generic6detail18binary_search_lessEbEEEE10hipError_tPvRmT1_T2_T3_mmT4_T5_P12ihipStream_tbEUlRKjE_EESV_SZ_S10_mS11_S14_bEUlT_E_NS1_11comp_targetILNS1_3genE2ELNS1_11target_archE906ELNS1_3gpuE6ELNS1_3repE0EEENS1_30default_config_static_selectorELNS0_4arch9wavefront6targetE0EEEvSY_
; %bb.0:
	.section	.rodata,"a",@progbits
	.p2align	6, 0x0
	.amdhsa_kernel _ZN7rocprim17ROCPRIM_400000_NS6detail17trampoline_kernelINS0_14default_configENS1_27upper_bound_config_selectorIjlEEZNS1_14transform_implILb0ES3_S5_N6thrust23THRUST_200600_302600_NS6detail15normal_iteratorINS8_7pointerIjNS8_11hip_rocprim5par_tENS8_11use_defaultESE_EEEENSA_INSB_IlSD_SE_SE_EEEEZNS1_13binary_searchIS3_S5_NSA_INS8_10device_ptrIjEEEESG_SI_NS1_21upper_bound_search_opENS9_16wrapped_functionINS8_6system6detail7generic6detail18binary_search_lessEbEEEE10hipError_tPvRmT1_T2_T3_mmT4_T5_P12ihipStream_tbEUlRKjE_EESV_SZ_S10_mS11_S14_bEUlT_E_NS1_11comp_targetILNS1_3genE2ELNS1_11target_archE906ELNS1_3gpuE6ELNS1_3repE0EEENS1_30default_config_static_selectorELNS0_4arch9wavefront6targetE0EEEvSY_
		.amdhsa_group_segment_fixed_size 0
		.amdhsa_private_segment_fixed_size 0
		.amdhsa_kernarg_size 56
		.amdhsa_user_sgpr_count 6
		.amdhsa_user_sgpr_private_segment_buffer 1
		.amdhsa_user_sgpr_dispatch_ptr 0
		.amdhsa_user_sgpr_queue_ptr 0
		.amdhsa_user_sgpr_kernarg_segment_ptr 1
		.amdhsa_user_sgpr_dispatch_id 0
		.amdhsa_user_sgpr_flat_scratch_init 0
		.amdhsa_user_sgpr_private_segment_size 0
		.amdhsa_wavefront_size32 1
		.amdhsa_uses_dynamic_stack 0
		.amdhsa_system_sgpr_private_segment_wavefront_offset 0
		.amdhsa_system_sgpr_workgroup_id_x 1
		.amdhsa_system_sgpr_workgroup_id_y 0
		.amdhsa_system_sgpr_workgroup_id_z 0
		.amdhsa_system_sgpr_workgroup_info 0
		.amdhsa_system_vgpr_workitem_id 0
		.amdhsa_next_free_vgpr 1
		.amdhsa_next_free_sgpr 1
		.amdhsa_reserve_vcc 0
		.amdhsa_reserve_flat_scratch 0
		.amdhsa_float_round_mode_32 0
		.amdhsa_float_round_mode_16_64 0
		.amdhsa_float_denorm_mode_32 3
		.amdhsa_float_denorm_mode_16_64 3
		.amdhsa_dx10_clamp 1
		.amdhsa_ieee_mode 1
		.amdhsa_fp16_overflow 0
		.amdhsa_workgroup_processor_mode 1
		.amdhsa_memory_ordered 1
		.amdhsa_forward_progress 1
		.amdhsa_shared_vgpr_count 0
		.amdhsa_exception_fp_ieee_invalid_op 0
		.amdhsa_exception_fp_denorm_src 0
		.amdhsa_exception_fp_ieee_div_zero 0
		.amdhsa_exception_fp_ieee_overflow 0
		.amdhsa_exception_fp_ieee_underflow 0
		.amdhsa_exception_fp_ieee_inexact 0
		.amdhsa_exception_int_div_zero 0
	.end_amdhsa_kernel
	.section	.text._ZN7rocprim17ROCPRIM_400000_NS6detail17trampoline_kernelINS0_14default_configENS1_27upper_bound_config_selectorIjlEEZNS1_14transform_implILb0ES3_S5_N6thrust23THRUST_200600_302600_NS6detail15normal_iteratorINS8_7pointerIjNS8_11hip_rocprim5par_tENS8_11use_defaultESE_EEEENSA_INSB_IlSD_SE_SE_EEEEZNS1_13binary_searchIS3_S5_NSA_INS8_10device_ptrIjEEEESG_SI_NS1_21upper_bound_search_opENS9_16wrapped_functionINS8_6system6detail7generic6detail18binary_search_lessEbEEEE10hipError_tPvRmT1_T2_T3_mmT4_T5_P12ihipStream_tbEUlRKjE_EESV_SZ_S10_mS11_S14_bEUlT_E_NS1_11comp_targetILNS1_3genE2ELNS1_11target_archE906ELNS1_3gpuE6ELNS1_3repE0EEENS1_30default_config_static_selectorELNS0_4arch9wavefront6targetE0EEEvSY_,"axG",@progbits,_ZN7rocprim17ROCPRIM_400000_NS6detail17trampoline_kernelINS0_14default_configENS1_27upper_bound_config_selectorIjlEEZNS1_14transform_implILb0ES3_S5_N6thrust23THRUST_200600_302600_NS6detail15normal_iteratorINS8_7pointerIjNS8_11hip_rocprim5par_tENS8_11use_defaultESE_EEEENSA_INSB_IlSD_SE_SE_EEEEZNS1_13binary_searchIS3_S5_NSA_INS8_10device_ptrIjEEEESG_SI_NS1_21upper_bound_search_opENS9_16wrapped_functionINS8_6system6detail7generic6detail18binary_search_lessEbEEEE10hipError_tPvRmT1_T2_T3_mmT4_T5_P12ihipStream_tbEUlRKjE_EESV_SZ_S10_mS11_S14_bEUlT_E_NS1_11comp_targetILNS1_3genE2ELNS1_11target_archE906ELNS1_3gpuE6ELNS1_3repE0EEENS1_30default_config_static_selectorELNS0_4arch9wavefront6targetE0EEEvSY_,comdat
.Lfunc_end549:
	.size	_ZN7rocprim17ROCPRIM_400000_NS6detail17trampoline_kernelINS0_14default_configENS1_27upper_bound_config_selectorIjlEEZNS1_14transform_implILb0ES3_S5_N6thrust23THRUST_200600_302600_NS6detail15normal_iteratorINS8_7pointerIjNS8_11hip_rocprim5par_tENS8_11use_defaultESE_EEEENSA_INSB_IlSD_SE_SE_EEEEZNS1_13binary_searchIS3_S5_NSA_INS8_10device_ptrIjEEEESG_SI_NS1_21upper_bound_search_opENS9_16wrapped_functionINS8_6system6detail7generic6detail18binary_search_lessEbEEEE10hipError_tPvRmT1_T2_T3_mmT4_T5_P12ihipStream_tbEUlRKjE_EESV_SZ_S10_mS11_S14_bEUlT_E_NS1_11comp_targetILNS1_3genE2ELNS1_11target_archE906ELNS1_3gpuE6ELNS1_3repE0EEENS1_30default_config_static_selectorELNS0_4arch9wavefront6targetE0EEEvSY_, .Lfunc_end549-_ZN7rocprim17ROCPRIM_400000_NS6detail17trampoline_kernelINS0_14default_configENS1_27upper_bound_config_selectorIjlEEZNS1_14transform_implILb0ES3_S5_N6thrust23THRUST_200600_302600_NS6detail15normal_iteratorINS8_7pointerIjNS8_11hip_rocprim5par_tENS8_11use_defaultESE_EEEENSA_INSB_IlSD_SE_SE_EEEEZNS1_13binary_searchIS3_S5_NSA_INS8_10device_ptrIjEEEESG_SI_NS1_21upper_bound_search_opENS9_16wrapped_functionINS8_6system6detail7generic6detail18binary_search_lessEbEEEE10hipError_tPvRmT1_T2_T3_mmT4_T5_P12ihipStream_tbEUlRKjE_EESV_SZ_S10_mS11_S14_bEUlT_E_NS1_11comp_targetILNS1_3genE2ELNS1_11target_archE906ELNS1_3gpuE6ELNS1_3repE0EEENS1_30default_config_static_selectorELNS0_4arch9wavefront6targetE0EEEvSY_
                                        ; -- End function
	.set _ZN7rocprim17ROCPRIM_400000_NS6detail17trampoline_kernelINS0_14default_configENS1_27upper_bound_config_selectorIjlEEZNS1_14transform_implILb0ES3_S5_N6thrust23THRUST_200600_302600_NS6detail15normal_iteratorINS8_7pointerIjNS8_11hip_rocprim5par_tENS8_11use_defaultESE_EEEENSA_INSB_IlSD_SE_SE_EEEEZNS1_13binary_searchIS3_S5_NSA_INS8_10device_ptrIjEEEESG_SI_NS1_21upper_bound_search_opENS9_16wrapped_functionINS8_6system6detail7generic6detail18binary_search_lessEbEEEE10hipError_tPvRmT1_T2_T3_mmT4_T5_P12ihipStream_tbEUlRKjE_EESV_SZ_S10_mS11_S14_bEUlT_E_NS1_11comp_targetILNS1_3genE2ELNS1_11target_archE906ELNS1_3gpuE6ELNS1_3repE0EEENS1_30default_config_static_selectorELNS0_4arch9wavefront6targetE0EEEvSY_.num_vgpr, 0
	.set _ZN7rocprim17ROCPRIM_400000_NS6detail17trampoline_kernelINS0_14default_configENS1_27upper_bound_config_selectorIjlEEZNS1_14transform_implILb0ES3_S5_N6thrust23THRUST_200600_302600_NS6detail15normal_iteratorINS8_7pointerIjNS8_11hip_rocprim5par_tENS8_11use_defaultESE_EEEENSA_INSB_IlSD_SE_SE_EEEEZNS1_13binary_searchIS3_S5_NSA_INS8_10device_ptrIjEEEESG_SI_NS1_21upper_bound_search_opENS9_16wrapped_functionINS8_6system6detail7generic6detail18binary_search_lessEbEEEE10hipError_tPvRmT1_T2_T3_mmT4_T5_P12ihipStream_tbEUlRKjE_EESV_SZ_S10_mS11_S14_bEUlT_E_NS1_11comp_targetILNS1_3genE2ELNS1_11target_archE906ELNS1_3gpuE6ELNS1_3repE0EEENS1_30default_config_static_selectorELNS0_4arch9wavefront6targetE0EEEvSY_.num_agpr, 0
	.set _ZN7rocprim17ROCPRIM_400000_NS6detail17trampoline_kernelINS0_14default_configENS1_27upper_bound_config_selectorIjlEEZNS1_14transform_implILb0ES3_S5_N6thrust23THRUST_200600_302600_NS6detail15normal_iteratorINS8_7pointerIjNS8_11hip_rocprim5par_tENS8_11use_defaultESE_EEEENSA_INSB_IlSD_SE_SE_EEEEZNS1_13binary_searchIS3_S5_NSA_INS8_10device_ptrIjEEEESG_SI_NS1_21upper_bound_search_opENS9_16wrapped_functionINS8_6system6detail7generic6detail18binary_search_lessEbEEEE10hipError_tPvRmT1_T2_T3_mmT4_T5_P12ihipStream_tbEUlRKjE_EESV_SZ_S10_mS11_S14_bEUlT_E_NS1_11comp_targetILNS1_3genE2ELNS1_11target_archE906ELNS1_3gpuE6ELNS1_3repE0EEENS1_30default_config_static_selectorELNS0_4arch9wavefront6targetE0EEEvSY_.numbered_sgpr, 0
	.set _ZN7rocprim17ROCPRIM_400000_NS6detail17trampoline_kernelINS0_14default_configENS1_27upper_bound_config_selectorIjlEEZNS1_14transform_implILb0ES3_S5_N6thrust23THRUST_200600_302600_NS6detail15normal_iteratorINS8_7pointerIjNS8_11hip_rocprim5par_tENS8_11use_defaultESE_EEEENSA_INSB_IlSD_SE_SE_EEEEZNS1_13binary_searchIS3_S5_NSA_INS8_10device_ptrIjEEEESG_SI_NS1_21upper_bound_search_opENS9_16wrapped_functionINS8_6system6detail7generic6detail18binary_search_lessEbEEEE10hipError_tPvRmT1_T2_T3_mmT4_T5_P12ihipStream_tbEUlRKjE_EESV_SZ_S10_mS11_S14_bEUlT_E_NS1_11comp_targetILNS1_3genE2ELNS1_11target_archE906ELNS1_3gpuE6ELNS1_3repE0EEENS1_30default_config_static_selectorELNS0_4arch9wavefront6targetE0EEEvSY_.num_named_barrier, 0
	.set _ZN7rocprim17ROCPRIM_400000_NS6detail17trampoline_kernelINS0_14default_configENS1_27upper_bound_config_selectorIjlEEZNS1_14transform_implILb0ES3_S5_N6thrust23THRUST_200600_302600_NS6detail15normal_iteratorINS8_7pointerIjNS8_11hip_rocprim5par_tENS8_11use_defaultESE_EEEENSA_INSB_IlSD_SE_SE_EEEEZNS1_13binary_searchIS3_S5_NSA_INS8_10device_ptrIjEEEESG_SI_NS1_21upper_bound_search_opENS9_16wrapped_functionINS8_6system6detail7generic6detail18binary_search_lessEbEEEE10hipError_tPvRmT1_T2_T3_mmT4_T5_P12ihipStream_tbEUlRKjE_EESV_SZ_S10_mS11_S14_bEUlT_E_NS1_11comp_targetILNS1_3genE2ELNS1_11target_archE906ELNS1_3gpuE6ELNS1_3repE0EEENS1_30default_config_static_selectorELNS0_4arch9wavefront6targetE0EEEvSY_.private_seg_size, 0
	.set _ZN7rocprim17ROCPRIM_400000_NS6detail17trampoline_kernelINS0_14default_configENS1_27upper_bound_config_selectorIjlEEZNS1_14transform_implILb0ES3_S5_N6thrust23THRUST_200600_302600_NS6detail15normal_iteratorINS8_7pointerIjNS8_11hip_rocprim5par_tENS8_11use_defaultESE_EEEENSA_INSB_IlSD_SE_SE_EEEEZNS1_13binary_searchIS3_S5_NSA_INS8_10device_ptrIjEEEESG_SI_NS1_21upper_bound_search_opENS9_16wrapped_functionINS8_6system6detail7generic6detail18binary_search_lessEbEEEE10hipError_tPvRmT1_T2_T3_mmT4_T5_P12ihipStream_tbEUlRKjE_EESV_SZ_S10_mS11_S14_bEUlT_E_NS1_11comp_targetILNS1_3genE2ELNS1_11target_archE906ELNS1_3gpuE6ELNS1_3repE0EEENS1_30default_config_static_selectorELNS0_4arch9wavefront6targetE0EEEvSY_.uses_vcc, 0
	.set _ZN7rocprim17ROCPRIM_400000_NS6detail17trampoline_kernelINS0_14default_configENS1_27upper_bound_config_selectorIjlEEZNS1_14transform_implILb0ES3_S5_N6thrust23THRUST_200600_302600_NS6detail15normal_iteratorINS8_7pointerIjNS8_11hip_rocprim5par_tENS8_11use_defaultESE_EEEENSA_INSB_IlSD_SE_SE_EEEEZNS1_13binary_searchIS3_S5_NSA_INS8_10device_ptrIjEEEESG_SI_NS1_21upper_bound_search_opENS9_16wrapped_functionINS8_6system6detail7generic6detail18binary_search_lessEbEEEE10hipError_tPvRmT1_T2_T3_mmT4_T5_P12ihipStream_tbEUlRKjE_EESV_SZ_S10_mS11_S14_bEUlT_E_NS1_11comp_targetILNS1_3genE2ELNS1_11target_archE906ELNS1_3gpuE6ELNS1_3repE0EEENS1_30default_config_static_selectorELNS0_4arch9wavefront6targetE0EEEvSY_.uses_flat_scratch, 0
	.set _ZN7rocprim17ROCPRIM_400000_NS6detail17trampoline_kernelINS0_14default_configENS1_27upper_bound_config_selectorIjlEEZNS1_14transform_implILb0ES3_S5_N6thrust23THRUST_200600_302600_NS6detail15normal_iteratorINS8_7pointerIjNS8_11hip_rocprim5par_tENS8_11use_defaultESE_EEEENSA_INSB_IlSD_SE_SE_EEEEZNS1_13binary_searchIS3_S5_NSA_INS8_10device_ptrIjEEEESG_SI_NS1_21upper_bound_search_opENS9_16wrapped_functionINS8_6system6detail7generic6detail18binary_search_lessEbEEEE10hipError_tPvRmT1_T2_T3_mmT4_T5_P12ihipStream_tbEUlRKjE_EESV_SZ_S10_mS11_S14_bEUlT_E_NS1_11comp_targetILNS1_3genE2ELNS1_11target_archE906ELNS1_3gpuE6ELNS1_3repE0EEENS1_30default_config_static_selectorELNS0_4arch9wavefront6targetE0EEEvSY_.has_dyn_sized_stack, 0
	.set _ZN7rocprim17ROCPRIM_400000_NS6detail17trampoline_kernelINS0_14default_configENS1_27upper_bound_config_selectorIjlEEZNS1_14transform_implILb0ES3_S5_N6thrust23THRUST_200600_302600_NS6detail15normal_iteratorINS8_7pointerIjNS8_11hip_rocprim5par_tENS8_11use_defaultESE_EEEENSA_INSB_IlSD_SE_SE_EEEEZNS1_13binary_searchIS3_S5_NSA_INS8_10device_ptrIjEEEESG_SI_NS1_21upper_bound_search_opENS9_16wrapped_functionINS8_6system6detail7generic6detail18binary_search_lessEbEEEE10hipError_tPvRmT1_T2_T3_mmT4_T5_P12ihipStream_tbEUlRKjE_EESV_SZ_S10_mS11_S14_bEUlT_E_NS1_11comp_targetILNS1_3genE2ELNS1_11target_archE906ELNS1_3gpuE6ELNS1_3repE0EEENS1_30default_config_static_selectorELNS0_4arch9wavefront6targetE0EEEvSY_.has_recursion, 0
	.set _ZN7rocprim17ROCPRIM_400000_NS6detail17trampoline_kernelINS0_14default_configENS1_27upper_bound_config_selectorIjlEEZNS1_14transform_implILb0ES3_S5_N6thrust23THRUST_200600_302600_NS6detail15normal_iteratorINS8_7pointerIjNS8_11hip_rocprim5par_tENS8_11use_defaultESE_EEEENSA_INSB_IlSD_SE_SE_EEEEZNS1_13binary_searchIS3_S5_NSA_INS8_10device_ptrIjEEEESG_SI_NS1_21upper_bound_search_opENS9_16wrapped_functionINS8_6system6detail7generic6detail18binary_search_lessEbEEEE10hipError_tPvRmT1_T2_T3_mmT4_T5_P12ihipStream_tbEUlRKjE_EESV_SZ_S10_mS11_S14_bEUlT_E_NS1_11comp_targetILNS1_3genE2ELNS1_11target_archE906ELNS1_3gpuE6ELNS1_3repE0EEENS1_30default_config_static_selectorELNS0_4arch9wavefront6targetE0EEEvSY_.has_indirect_call, 0
	.section	.AMDGPU.csdata,"",@progbits
; Kernel info:
; codeLenInByte = 0
; TotalNumSgprs: 0
; NumVgprs: 0
; ScratchSize: 0
; MemoryBound: 0
; FloatMode: 240
; IeeeMode: 1
; LDSByteSize: 0 bytes/workgroup (compile time only)
; SGPRBlocks: 0
; VGPRBlocks: 0
; NumSGPRsForWavesPerEU: 1
; NumVGPRsForWavesPerEU: 1
; Occupancy: 16
; WaveLimiterHint : 0
; COMPUTE_PGM_RSRC2:SCRATCH_EN: 0
; COMPUTE_PGM_RSRC2:USER_SGPR: 6
; COMPUTE_PGM_RSRC2:TRAP_HANDLER: 0
; COMPUTE_PGM_RSRC2:TGID_X_EN: 1
; COMPUTE_PGM_RSRC2:TGID_Y_EN: 0
; COMPUTE_PGM_RSRC2:TGID_Z_EN: 0
; COMPUTE_PGM_RSRC2:TIDIG_COMP_CNT: 0
	.section	.text._ZN7rocprim17ROCPRIM_400000_NS6detail17trampoline_kernelINS0_14default_configENS1_27upper_bound_config_selectorIjlEEZNS1_14transform_implILb0ES3_S5_N6thrust23THRUST_200600_302600_NS6detail15normal_iteratorINS8_7pointerIjNS8_11hip_rocprim5par_tENS8_11use_defaultESE_EEEENSA_INSB_IlSD_SE_SE_EEEEZNS1_13binary_searchIS3_S5_NSA_INS8_10device_ptrIjEEEESG_SI_NS1_21upper_bound_search_opENS9_16wrapped_functionINS8_6system6detail7generic6detail18binary_search_lessEbEEEE10hipError_tPvRmT1_T2_T3_mmT4_T5_P12ihipStream_tbEUlRKjE_EESV_SZ_S10_mS11_S14_bEUlT_E_NS1_11comp_targetILNS1_3genE10ELNS1_11target_archE1201ELNS1_3gpuE5ELNS1_3repE0EEENS1_30default_config_static_selectorELNS0_4arch9wavefront6targetE0EEEvSY_,"axG",@progbits,_ZN7rocprim17ROCPRIM_400000_NS6detail17trampoline_kernelINS0_14default_configENS1_27upper_bound_config_selectorIjlEEZNS1_14transform_implILb0ES3_S5_N6thrust23THRUST_200600_302600_NS6detail15normal_iteratorINS8_7pointerIjNS8_11hip_rocprim5par_tENS8_11use_defaultESE_EEEENSA_INSB_IlSD_SE_SE_EEEEZNS1_13binary_searchIS3_S5_NSA_INS8_10device_ptrIjEEEESG_SI_NS1_21upper_bound_search_opENS9_16wrapped_functionINS8_6system6detail7generic6detail18binary_search_lessEbEEEE10hipError_tPvRmT1_T2_T3_mmT4_T5_P12ihipStream_tbEUlRKjE_EESV_SZ_S10_mS11_S14_bEUlT_E_NS1_11comp_targetILNS1_3genE10ELNS1_11target_archE1201ELNS1_3gpuE5ELNS1_3repE0EEENS1_30default_config_static_selectorELNS0_4arch9wavefront6targetE0EEEvSY_,comdat
	.protected	_ZN7rocprim17ROCPRIM_400000_NS6detail17trampoline_kernelINS0_14default_configENS1_27upper_bound_config_selectorIjlEEZNS1_14transform_implILb0ES3_S5_N6thrust23THRUST_200600_302600_NS6detail15normal_iteratorINS8_7pointerIjNS8_11hip_rocprim5par_tENS8_11use_defaultESE_EEEENSA_INSB_IlSD_SE_SE_EEEEZNS1_13binary_searchIS3_S5_NSA_INS8_10device_ptrIjEEEESG_SI_NS1_21upper_bound_search_opENS9_16wrapped_functionINS8_6system6detail7generic6detail18binary_search_lessEbEEEE10hipError_tPvRmT1_T2_T3_mmT4_T5_P12ihipStream_tbEUlRKjE_EESV_SZ_S10_mS11_S14_bEUlT_E_NS1_11comp_targetILNS1_3genE10ELNS1_11target_archE1201ELNS1_3gpuE5ELNS1_3repE0EEENS1_30default_config_static_selectorELNS0_4arch9wavefront6targetE0EEEvSY_ ; -- Begin function _ZN7rocprim17ROCPRIM_400000_NS6detail17trampoline_kernelINS0_14default_configENS1_27upper_bound_config_selectorIjlEEZNS1_14transform_implILb0ES3_S5_N6thrust23THRUST_200600_302600_NS6detail15normal_iteratorINS8_7pointerIjNS8_11hip_rocprim5par_tENS8_11use_defaultESE_EEEENSA_INSB_IlSD_SE_SE_EEEEZNS1_13binary_searchIS3_S5_NSA_INS8_10device_ptrIjEEEESG_SI_NS1_21upper_bound_search_opENS9_16wrapped_functionINS8_6system6detail7generic6detail18binary_search_lessEbEEEE10hipError_tPvRmT1_T2_T3_mmT4_T5_P12ihipStream_tbEUlRKjE_EESV_SZ_S10_mS11_S14_bEUlT_E_NS1_11comp_targetILNS1_3genE10ELNS1_11target_archE1201ELNS1_3gpuE5ELNS1_3repE0EEENS1_30default_config_static_selectorELNS0_4arch9wavefront6targetE0EEEvSY_
	.globl	_ZN7rocprim17ROCPRIM_400000_NS6detail17trampoline_kernelINS0_14default_configENS1_27upper_bound_config_selectorIjlEEZNS1_14transform_implILb0ES3_S5_N6thrust23THRUST_200600_302600_NS6detail15normal_iteratorINS8_7pointerIjNS8_11hip_rocprim5par_tENS8_11use_defaultESE_EEEENSA_INSB_IlSD_SE_SE_EEEEZNS1_13binary_searchIS3_S5_NSA_INS8_10device_ptrIjEEEESG_SI_NS1_21upper_bound_search_opENS9_16wrapped_functionINS8_6system6detail7generic6detail18binary_search_lessEbEEEE10hipError_tPvRmT1_T2_T3_mmT4_T5_P12ihipStream_tbEUlRKjE_EESV_SZ_S10_mS11_S14_bEUlT_E_NS1_11comp_targetILNS1_3genE10ELNS1_11target_archE1201ELNS1_3gpuE5ELNS1_3repE0EEENS1_30default_config_static_selectorELNS0_4arch9wavefront6targetE0EEEvSY_
	.p2align	8
	.type	_ZN7rocprim17ROCPRIM_400000_NS6detail17trampoline_kernelINS0_14default_configENS1_27upper_bound_config_selectorIjlEEZNS1_14transform_implILb0ES3_S5_N6thrust23THRUST_200600_302600_NS6detail15normal_iteratorINS8_7pointerIjNS8_11hip_rocprim5par_tENS8_11use_defaultESE_EEEENSA_INSB_IlSD_SE_SE_EEEEZNS1_13binary_searchIS3_S5_NSA_INS8_10device_ptrIjEEEESG_SI_NS1_21upper_bound_search_opENS9_16wrapped_functionINS8_6system6detail7generic6detail18binary_search_lessEbEEEE10hipError_tPvRmT1_T2_T3_mmT4_T5_P12ihipStream_tbEUlRKjE_EESV_SZ_S10_mS11_S14_bEUlT_E_NS1_11comp_targetILNS1_3genE10ELNS1_11target_archE1201ELNS1_3gpuE5ELNS1_3repE0EEENS1_30default_config_static_selectorELNS0_4arch9wavefront6targetE0EEEvSY_,@function
_ZN7rocprim17ROCPRIM_400000_NS6detail17trampoline_kernelINS0_14default_configENS1_27upper_bound_config_selectorIjlEEZNS1_14transform_implILb0ES3_S5_N6thrust23THRUST_200600_302600_NS6detail15normal_iteratorINS8_7pointerIjNS8_11hip_rocprim5par_tENS8_11use_defaultESE_EEEENSA_INSB_IlSD_SE_SE_EEEEZNS1_13binary_searchIS3_S5_NSA_INS8_10device_ptrIjEEEESG_SI_NS1_21upper_bound_search_opENS9_16wrapped_functionINS8_6system6detail7generic6detail18binary_search_lessEbEEEE10hipError_tPvRmT1_T2_T3_mmT4_T5_P12ihipStream_tbEUlRKjE_EESV_SZ_S10_mS11_S14_bEUlT_E_NS1_11comp_targetILNS1_3genE10ELNS1_11target_archE1201ELNS1_3gpuE5ELNS1_3repE0EEENS1_30default_config_static_selectorELNS0_4arch9wavefront6targetE0EEEvSY_: ; @_ZN7rocprim17ROCPRIM_400000_NS6detail17trampoline_kernelINS0_14default_configENS1_27upper_bound_config_selectorIjlEEZNS1_14transform_implILb0ES3_S5_N6thrust23THRUST_200600_302600_NS6detail15normal_iteratorINS8_7pointerIjNS8_11hip_rocprim5par_tENS8_11use_defaultESE_EEEENSA_INSB_IlSD_SE_SE_EEEEZNS1_13binary_searchIS3_S5_NSA_INS8_10device_ptrIjEEEESG_SI_NS1_21upper_bound_search_opENS9_16wrapped_functionINS8_6system6detail7generic6detail18binary_search_lessEbEEEE10hipError_tPvRmT1_T2_T3_mmT4_T5_P12ihipStream_tbEUlRKjE_EESV_SZ_S10_mS11_S14_bEUlT_E_NS1_11comp_targetILNS1_3genE10ELNS1_11target_archE1201ELNS1_3gpuE5ELNS1_3repE0EEENS1_30default_config_static_selectorELNS0_4arch9wavefront6targetE0EEEvSY_
; %bb.0:
	.section	.rodata,"a",@progbits
	.p2align	6, 0x0
	.amdhsa_kernel _ZN7rocprim17ROCPRIM_400000_NS6detail17trampoline_kernelINS0_14default_configENS1_27upper_bound_config_selectorIjlEEZNS1_14transform_implILb0ES3_S5_N6thrust23THRUST_200600_302600_NS6detail15normal_iteratorINS8_7pointerIjNS8_11hip_rocprim5par_tENS8_11use_defaultESE_EEEENSA_INSB_IlSD_SE_SE_EEEEZNS1_13binary_searchIS3_S5_NSA_INS8_10device_ptrIjEEEESG_SI_NS1_21upper_bound_search_opENS9_16wrapped_functionINS8_6system6detail7generic6detail18binary_search_lessEbEEEE10hipError_tPvRmT1_T2_T3_mmT4_T5_P12ihipStream_tbEUlRKjE_EESV_SZ_S10_mS11_S14_bEUlT_E_NS1_11comp_targetILNS1_3genE10ELNS1_11target_archE1201ELNS1_3gpuE5ELNS1_3repE0EEENS1_30default_config_static_selectorELNS0_4arch9wavefront6targetE0EEEvSY_
		.amdhsa_group_segment_fixed_size 0
		.amdhsa_private_segment_fixed_size 0
		.amdhsa_kernarg_size 56
		.amdhsa_user_sgpr_count 6
		.amdhsa_user_sgpr_private_segment_buffer 1
		.amdhsa_user_sgpr_dispatch_ptr 0
		.amdhsa_user_sgpr_queue_ptr 0
		.amdhsa_user_sgpr_kernarg_segment_ptr 1
		.amdhsa_user_sgpr_dispatch_id 0
		.amdhsa_user_sgpr_flat_scratch_init 0
		.amdhsa_user_sgpr_private_segment_size 0
		.amdhsa_wavefront_size32 1
		.amdhsa_uses_dynamic_stack 0
		.amdhsa_system_sgpr_private_segment_wavefront_offset 0
		.amdhsa_system_sgpr_workgroup_id_x 1
		.amdhsa_system_sgpr_workgroup_id_y 0
		.amdhsa_system_sgpr_workgroup_id_z 0
		.amdhsa_system_sgpr_workgroup_info 0
		.amdhsa_system_vgpr_workitem_id 0
		.amdhsa_next_free_vgpr 1
		.amdhsa_next_free_sgpr 1
		.amdhsa_reserve_vcc 0
		.amdhsa_reserve_flat_scratch 0
		.amdhsa_float_round_mode_32 0
		.amdhsa_float_round_mode_16_64 0
		.amdhsa_float_denorm_mode_32 3
		.amdhsa_float_denorm_mode_16_64 3
		.amdhsa_dx10_clamp 1
		.amdhsa_ieee_mode 1
		.amdhsa_fp16_overflow 0
		.amdhsa_workgroup_processor_mode 1
		.amdhsa_memory_ordered 1
		.amdhsa_forward_progress 1
		.amdhsa_shared_vgpr_count 0
		.amdhsa_exception_fp_ieee_invalid_op 0
		.amdhsa_exception_fp_denorm_src 0
		.amdhsa_exception_fp_ieee_div_zero 0
		.amdhsa_exception_fp_ieee_overflow 0
		.amdhsa_exception_fp_ieee_underflow 0
		.amdhsa_exception_fp_ieee_inexact 0
		.amdhsa_exception_int_div_zero 0
	.end_amdhsa_kernel
	.section	.text._ZN7rocprim17ROCPRIM_400000_NS6detail17trampoline_kernelINS0_14default_configENS1_27upper_bound_config_selectorIjlEEZNS1_14transform_implILb0ES3_S5_N6thrust23THRUST_200600_302600_NS6detail15normal_iteratorINS8_7pointerIjNS8_11hip_rocprim5par_tENS8_11use_defaultESE_EEEENSA_INSB_IlSD_SE_SE_EEEEZNS1_13binary_searchIS3_S5_NSA_INS8_10device_ptrIjEEEESG_SI_NS1_21upper_bound_search_opENS9_16wrapped_functionINS8_6system6detail7generic6detail18binary_search_lessEbEEEE10hipError_tPvRmT1_T2_T3_mmT4_T5_P12ihipStream_tbEUlRKjE_EESV_SZ_S10_mS11_S14_bEUlT_E_NS1_11comp_targetILNS1_3genE10ELNS1_11target_archE1201ELNS1_3gpuE5ELNS1_3repE0EEENS1_30default_config_static_selectorELNS0_4arch9wavefront6targetE0EEEvSY_,"axG",@progbits,_ZN7rocprim17ROCPRIM_400000_NS6detail17trampoline_kernelINS0_14default_configENS1_27upper_bound_config_selectorIjlEEZNS1_14transform_implILb0ES3_S5_N6thrust23THRUST_200600_302600_NS6detail15normal_iteratorINS8_7pointerIjNS8_11hip_rocprim5par_tENS8_11use_defaultESE_EEEENSA_INSB_IlSD_SE_SE_EEEEZNS1_13binary_searchIS3_S5_NSA_INS8_10device_ptrIjEEEESG_SI_NS1_21upper_bound_search_opENS9_16wrapped_functionINS8_6system6detail7generic6detail18binary_search_lessEbEEEE10hipError_tPvRmT1_T2_T3_mmT4_T5_P12ihipStream_tbEUlRKjE_EESV_SZ_S10_mS11_S14_bEUlT_E_NS1_11comp_targetILNS1_3genE10ELNS1_11target_archE1201ELNS1_3gpuE5ELNS1_3repE0EEENS1_30default_config_static_selectorELNS0_4arch9wavefront6targetE0EEEvSY_,comdat
.Lfunc_end550:
	.size	_ZN7rocprim17ROCPRIM_400000_NS6detail17trampoline_kernelINS0_14default_configENS1_27upper_bound_config_selectorIjlEEZNS1_14transform_implILb0ES3_S5_N6thrust23THRUST_200600_302600_NS6detail15normal_iteratorINS8_7pointerIjNS8_11hip_rocprim5par_tENS8_11use_defaultESE_EEEENSA_INSB_IlSD_SE_SE_EEEEZNS1_13binary_searchIS3_S5_NSA_INS8_10device_ptrIjEEEESG_SI_NS1_21upper_bound_search_opENS9_16wrapped_functionINS8_6system6detail7generic6detail18binary_search_lessEbEEEE10hipError_tPvRmT1_T2_T3_mmT4_T5_P12ihipStream_tbEUlRKjE_EESV_SZ_S10_mS11_S14_bEUlT_E_NS1_11comp_targetILNS1_3genE10ELNS1_11target_archE1201ELNS1_3gpuE5ELNS1_3repE0EEENS1_30default_config_static_selectorELNS0_4arch9wavefront6targetE0EEEvSY_, .Lfunc_end550-_ZN7rocprim17ROCPRIM_400000_NS6detail17trampoline_kernelINS0_14default_configENS1_27upper_bound_config_selectorIjlEEZNS1_14transform_implILb0ES3_S5_N6thrust23THRUST_200600_302600_NS6detail15normal_iteratorINS8_7pointerIjNS8_11hip_rocprim5par_tENS8_11use_defaultESE_EEEENSA_INSB_IlSD_SE_SE_EEEEZNS1_13binary_searchIS3_S5_NSA_INS8_10device_ptrIjEEEESG_SI_NS1_21upper_bound_search_opENS9_16wrapped_functionINS8_6system6detail7generic6detail18binary_search_lessEbEEEE10hipError_tPvRmT1_T2_T3_mmT4_T5_P12ihipStream_tbEUlRKjE_EESV_SZ_S10_mS11_S14_bEUlT_E_NS1_11comp_targetILNS1_3genE10ELNS1_11target_archE1201ELNS1_3gpuE5ELNS1_3repE0EEENS1_30default_config_static_selectorELNS0_4arch9wavefront6targetE0EEEvSY_
                                        ; -- End function
	.set _ZN7rocprim17ROCPRIM_400000_NS6detail17trampoline_kernelINS0_14default_configENS1_27upper_bound_config_selectorIjlEEZNS1_14transform_implILb0ES3_S5_N6thrust23THRUST_200600_302600_NS6detail15normal_iteratorINS8_7pointerIjNS8_11hip_rocprim5par_tENS8_11use_defaultESE_EEEENSA_INSB_IlSD_SE_SE_EEEEZNS1_13binary_searchIS3_S5_NSA_INS8_10device_ptrIjEEEESG_SI_NS1_21upper_bound_search_opENS9_16wrapped_functionINS8_6system6detail7generic6detail18binary_search_lessEbEEEE10hipError_tPvRmT1_T2_T3_mmT4_T5_P12ihipStream_tbEUlRKjE_EESV_SZ_S10_mS11_S14_bEUlT_E_NS1_11comp_targetILNS1_3genE10ELNS1_11target_archE1201ELNS1_3gpuE5ELNS1_3repE0EEENS1_30default_config_static_selectorELNS0_4arch9wavefront6targetE0EEEvSY_.num_vgpr, 0
	.set _ZN7rocprim17ROCPRIM_400000_NS6detail17trampoline_kernelINS0_14default_configENS1_27upper_bound_config_selectorIjlEEZNS1_14transform_implILb0ES3_S5_N6thrust23THRUST_200600_302600_NS6detail15normal_iteratorINS8_7pointerIjNS8_11hip_rocprim5par_tENS8_11use_defaultESE_EEEENSA_INSB_IlSD_SE_SE_EEEEZNS1_13binary_searchIS3_S5_NSA_INS8_10device_ptrIjEEEESG_SI_NS1_21upper_bound_search_opENS9_16wrapped_functionINS8_6system6detail7generic6detail18binary_search_lessEbEEEE10hipError_tPvRmT1_T2_T3_mmT4_T5_P12ihipStream_tbEUlRKjE_EESV_SZ_S10_mS11_S14_bEUlT_E_NS1_11comp_targetILNS1_3genE10ELNS1_11target_archE1201ELNS1_3gpuE5ELNS1_3repE0EEENS1_30default_config_static_selectorELNS0_4arch9wavefront6targetE0EEEvSY_.num_agpr, 0
	.set _ZN7rocprim17ROCPRIM_400000_NS6detail17trampoline_kernelINS0_14default_configENS1_27upper_bound_config_selectorIjlEEZNS1_14transform_implILb0ES3_S5_N6thrust23THRUST_200600_302600_NS6detail15normal_iteratorINS8_7pointerIjNS8_11hip_rocprim5par_tENS8_11use_defaultESE_EEEENSA_INSB_IlSD_SE_SE_EEEEZNS1_13binary_searchIS3_S5_NSA_INS8_10device_ptrIjEEEESG_SI_NS1_21upper_bound_search_opENS9_16wrapped_functionINS8_6system6detail7generic6detail18binary_search_lessEbEEEE10hipError_tPvRmT1_T2_T3_mmT4_T5_P12ihipStream_tbEUlRKjE_EESV_SZ_S10_mS11_S14_bEUlT_E_NS1_11comp_targetILNS1_3genE10ELNS1_11target_archE1201ELNS1_3gpuE5ELNS1_3repE0EEENS1_30default_config_static_selectorELNS0_4arch9wavefront6targetE0EEEvSY_.numbered_sgpr, 0
	.set _ZN7rocprim17ROCPRIM_400000_NS6detail17trampoline_kernelINS0_14default_configENS1_27upper_bound_config_selectorIjlEEZNS1_14transform_implILb0ES3_S5_N6thrust23THRUST_200600_302600_NS6detail15normal_iteratorINS8_7pointerIjNS8_11hip_rocprim5par_tENS8_11use_defaultESE_EEEENSA_INSB_IlSD_SE_SE_EEEEZNS1_13binary_searchIS3_S5_NSA_INS8_10device_ptrIjEEEESG_SI_NS1_21upper_bound_search_opENS9_16wrapped_functionINS8_6system6detail7generic6detail18binary_search_lessEbEEEE10hipError_tPvRmT1_T2_T3_mmT4_T5_P12ihipStream_tbEUlRKjE_EESV_SZ_S10_mS11_S14_bEUlT_E_NS1_11comp_targetILNS1_3genE10ELNS1_11target_archE1201ELNS1_3gpuE5ELNS1_3repE0EEENS1_30default_config_static_selectorELNS0_4arch9wavefront6targetE0EEEvSY_.num_named_barrier, 0
	.set _ZN7rocprim17ROCPRIM_400000_NS6detail17trampoline_kernelINS0_14default_configENS1_27upper_bound_config_selectorIjlEEZNS1_14transform_implILb0ES3_S5_N6thrust23THRUST_200600_302600_NS6detail15normal_iteratorINS8_7pointerIjNS8_11hip_rocprim5par_tENS8_11use_defaultESE_EEEENSA_INSB_IlSD_SE_SE_EEEEZNS1_13binary_searchIS3_S5_NSA_INS8_10device_ptrIjEEEESG_SI_NS1_21upper_bound_search_opENS9_16wrapped_functionINS8_6system6detail7generic6detail18binary_search_lessEbEEEE10hipError_tPvRmT1_T2_T3_mmT4_T5_P12ihipStream_tbEUlRKjE_EESV_SZ_S10_mS11_S14_bEUlT_E_NS1_11comp_targetILNS1_3genE10ELNS1_11target_archE1201ELNS1_3gpuE5ELNS1_3repE0EEENS1_30default_config_static_selectorELNS0_4arch9wavefront6targetE0EEEvSY_.private_seg_size, 0
	.set _ZN7rocprim17ROCPRIM_400000_NS6detail17trampoline_kernelINS0_14default_configENS1_27upper_bound_config_selectorIjlEEZNS1_14transform_implILb0ES3_S5_N6thrust23THRUST_200600_302600_NS6detail15normal_iteratorINS8_7pointerIjNS8_11hip_rocprim5par_tENS8_11use_defaultESE_EEEENSA_INSB_IlSD_SE_SE_EEEEZNS1_13binary_searchIS3_S5_NSA_INS8_10device_ptrIjEEEESG_SI_NS1_21upper_bound_search_opENS9_16wrapped_functionINS8_6system6detail7generic6detail18binary_search_lessEbEEEE10hipError_tPvRmT1_T2_T3_mmT4_T5_P12ihipStream_tbEUlRKjE_EESV_SZ_S10_mS11_S14_bEUlT_E_NS1_11comp_targetILNS1_3genE10ELNS1_11target_archE1201ELNS1_3gpuE5ELNS1_3repE0EEENS1_30default_config_static_selectorELNS0_4arch9wavefront6targetE0EEEvSY_.uses_vcc, 0
	.set _ZN7rocprim17ROCPRIM_400000_NS6detail17trampoline_kernelINS0_14default_configENS1_27upper_bound_config_selectorIjlEEZNS1_14transform_implILb0ES3_S5_N6thrust23THRUST_200600_302600_NS6detail15normal_iteratorINS8_7pointerIjNS8_11hip_rocprim5par_tENS8_11use_defaultESE_EEEENSA_INSB_IlSD_SE_SE_EEEEZNS1_13binary_searchIS3_S5_NSA_INS8_10device_ptrIjEEEESG_SI_NS1_21upper_bound_search_opENS9_16wrapped_functionINS8_6system6detail7generic6detail18binary_search_lessEbEEEE10hipError_tPvRmT1_T2_T3_mmT4_T5_P12ihipStream_tbEUlRKjE_EESV_SZ_S10_mS11_S14_bEUlT_E_NS1_11comp_targetILNS1_3genE10ELNS1_11target_archE1201ELNS1_3gpuE5ELNS1_3repE0EEENS1_30default_config_static_selectorELNS0_4arch9wavefront6targetE0EEEvSY_.uses_flat_scratch, 0
	.set _ZN7rocprim17ROCPRIM_400000_NS6detail17trampoline_kernelINS0_14default_configENS1_27upper_bound_config_selectorIjlEEZNS1_14transform_implILb0ES3_S5_N6thrust23THRUST_200600_302600_NS6detail15normal_iteratorINS8_7pointerIjNS8_11hip_rocprim5par_tENS8_11use_defaultESE_EEEENSA_INSB_IlSD_SE_SE_EEEEZNS1_13binary_searchIS3_S5_NSA_INS8_10device_ptrIjEEEESG_SI_NS1_21upper_bound_search_opENS9_16wrapped_functionINS8_6system6detail7generic6detail18binary_search_lessEbEEEE10hipError_tPvRmT1_T2_T3_mmT4_T5_P12ihipStream_tbEUlRKjE_EESV_SZ_S10_mS11_S14_bEUlT_E_NS1_11comp_targetILNS1_3genE10ELNS1_11target_archE1201ELNS1_3gpuE5ELNS1_3repE0EEENS1_30default_config_static_selectorELNS0_4arch9wavefront6targetE0EEEvSY_.has_dyn_sized_stack, 0
	.set _ZN7rocprim17ROCPRIM_400000_NS6detail17trampoline_kernelINS0_14default_configENS1_27upper_bound_config_selectorIjlEEZNS1_14transform_implILb0ES3_S5_N6thrust23THRUST_200600_302600_NS6detail15normal_iteratorINS8_7pointerIjNS8_11hip_rocprim5par_tENS8_11use_defaultESE_EEEENSA_INSB_IlSD_SE_SE_EEEEZNS1_13binary_searchIS3_S5_NSA_INS8_10device_ptrIjEEEESG_SI_NS1_21upper_bound_search_opENS9_16wrapped_functionINS8_6system6detail7generic6detail18binary_search_lessEbEEEE10hipError_tPvRmT1_T2_T3_mmT4_T5_P12ihipStream_tbEUlRKjE_EESV_SZ_S10_mS11_S14_bEUlT_E_NS1_11comp_targetILNS1_3genE10ELNS1_11target_archE1201ELNS1_3gpuE5ELNS1_3repE0EEENS1_30default_config_static_selectorELNS0_4arch9wavefront6targetE0EEEvSY_.has_recursion, 0
	.set _ZN7rocprim17ROCPRIM_400000_NS6detail17trampoline_kernelINS0_14default_configENS1_27upper_bound_config_selectorIjlEEZNS1_14transform_implILb0ES3_S5_N6thrust23THRUST_200600_302600_NS6detail15normal_iteratorINS8_7pointerIjNS8_11hip_rocprim5par_tENS8_11use_defaultESE_EEEENSA_INSB_IlSD_SE_SE_EEEEZNS1_13binary_searchIS3_S5_NSA_INS8_10device_ptrIjEEEESG_SI_NS1_21upper_bound_search_opENS9_16wrapped_functionINS8_6system6detail7generic6detail18binary_search_lessEbEEEE10hipError_tPvRmT1_T2_T3_mmT4_T5_P12ihipStream_tbEUlRKjE_EESV_SZ_S10_mS11_S14_bEUlT_E_NS1_11comp_targetILNS1_3genE10ELNS1_11target_archE1201ELNS1_3gpuE5ELNS1_3repE0EEENS1_30default_config_static_selectorELNS0_4arch9wavefront6targetE0EEEvSY_.has_indirect_call, 0
	.section	.AMDGPU.csdata,"",@progbits
; Kernel info:
; codeLenInByte = 0
; TotalNumSgprs: 0
; NumVgprs: 0
; ScratchSize: 0
; MemoryBound: 0
; FloatMode: 240
; IeeeMode: 1
; LDSByteSize: 0 bytes/workgroup (compile time only)
; SGPRBlocks: 0
; VGPRBlocks: 0
; NumSGPRsForWavesPerEU: 1
; NumVGPRsForWavesPerEU: 1
; Occupancy: 16
; WaveLimiterHint : 0
; COMPUTE_PGM_RSRC2:SCRATCH_EN: 0
; COMPUTE_PGM_RSRC2:USER_SGPR: 6
; COMPUTE_PGM_RSRC2:TRAP_HANDLER: 0
; COMPUTE_PGM_RSRC2:TGID_X_EN: 1
; COMPUTE_PGM_RSRC2:TGID_Y_EN: 0
; COMPUTE_PGM_RSRC2:TGID_Z_EN: 0
; COMPUTE_PGM_RSRC2:TIDIG_COMP_CNT: 0
	.section	.text._ZN7rocprim17ROCPRIM_400000_NS6detail17trampoline_kernelINS0_14default_configENS1_27upper_bound_config_selectorIjlEEZNS1_14transform_implILb0ES3_S5_N6thrust23THRUST_200600_302600_NS6detail15normal_iteratorINS8_7pointerIjNS8_11hip_rocprim5par_tENS8_11use_defaultESE_EEEENSA_INSB_IlSD_SE_SE_EEEEZNS1_13binary_searchIS3_S5_NSA_INS8_10device_ptrIjEEEESG_SI_NS1_21upper_bound_search_opENS9_16wrapped_functionINS8_6system6detail7generic6detail18binary_search_lessEbEEEE10hipError_tPvRmT1_T2_T3_mmT4_T5_P12ihipStream_tbEUlRKjE_EESV_SZ_S10_mS11_S14_bEUlT_E_NS1_11comp_targetILNS1_3genE10ELNS1_11target_archE1200ELNS1_3gpuE4ELNS1_3repE0EEENS1_30default_config_static_selectorELNS0_4arch9wavefront6targetE0EEEvSY_,"axG",@progbits,_ZN7rocprim17ROCPRIM_400000_NS6detail17trampoline_kernelINS0_14default_configENS1_27upper_bound_config_selectorIjlEEZNS1_14transform_implILb0ES3_S5_N6thrust23THRUST_200600_302600_NS6detail15normal_iteratorINS8_7pointerIjNS8_11hip_rocprim5par_tENS8_11use_defaultESE_EEEENSA_INSB_IlSD_SE_SE_EEEEZNS1_13binary_searchIS3_S5_NSA_INS8_10device_ptrIjEEEESG_SI_NS1_21upper_bound_search_opENS9_16wrapped_functionINS8_6system6detail7generic6detail18binary_search_lessEbEEEE10hipError_tPvRmT1_T2_T3_mmT4_T5_P12ihipStream_tbEUlRKjE_EESV_SZ_S10_mS11_S14_bEUlT_E_NS1_11comp_targetILNS1_3genE10ELNS1_11target_archE1200ELNS1_3gpuE4ELNS1_3repE0EEENS1_30default_config_static_selectorELNS0_4arch9wavefront6targetE0EEEvSY_,comdat
	.protected	_ZN7rocprim17ROCPRIM_400000_NS6detail17trampoline_kernelINS0_14default_configENS1_27upper_bound_config_selectorIjlEEZNS1_14transform_implILb0ES3_S5_N6thrust23THRUST_200600_302600_NS6detail15normal_iteratorINS8_7pointerIjNS8_11hip_rocprim5par_tENS8_11use_defaultESE_EEEENSA_INSB_IlSD_SE_SE_EEEEZNS1_13binary_searchIS3_S5_NSA_INS8_10device_ptrIjEEEESG_SI_NS1_21upper_bound_search_opENS9_16wrapped_functionINS8_6system6detail7generic6detail18binary_search_lessEbEEEE10hipError_tPvRmT1_T2_T3_mmT4_T5_P12ihipStream_tbEUlRKjE_EESV_SZ_S10_mS11_S14_bEUlT_E_NS1_11comp_targetILNS1_3genE10ELNS1_11target_archE1200ELNS1_3gpuE4ELNS1_3repE0EEENS1_30default_config_static_selectorELNS0_4arch9wavefront6targetE0EEEvSY_ ; -- Begin function _ZN7rocprim17ROCPRIM_400000_NS6detail17trampoline_kernelINS0_14default_configENS1_27upper_bound_config_selectorIjlEEZNS1_14transform_implILb0ES3_S5_N6thrust23THRUST_200600_302600_NS6detail15normal_iteratorINS8_7pointerIjNS8_11hip_rocprim5par_tENS8_11use_defaultESE_EEEENSA_INSB_IlSD_SE_SE_EEEEZNS1_13binary_searchIS3_S5_NSA_INS8_10device_ptrIjEEEESG_SI_NS1_21upper_bound_search_opENS9_16wrapped_functionINS8_6system6detail7generic6detail18binary_search_lessEbEEEE10hipError_tPvRmT1_T2_T3_mmT4_T5_P12ihipStream_tbEUlRKjE_EESV_SZ_S10_mS11_S14_bEUlT_E_NS1_11comp_targetILNS1_3genE10ELNS1_11target_archE1200ELNS1_3gpuE4ELNS1_3repE0EEENS1_30default_config_static_selectorELNS0_4arch9wavefront6targetE0EEEvSY_
	.globl	_ZN7rocprim17ROCPRIM_400000_NS6detail17trampoline_kernelINS0_14default_configENS1_27upper_bound_config_selectorIjlEEZNS1_14transform_implILb0ES3_S5_N6thrust23THRUST_200600_302600_NS6detail15normal_iteratorINS8_7pointerIjNS8_11hip_rocprim5par_tENS8_11use_defaultESE_EEEENSA_INSB_IlSD_SE_SE_EEEEZNS1_13binary_searchIS3_S5_NSA_INS8_10device_ptrIjEEEESG_SI_NS1_21upper_bound_search_opENS9_16wrapped_functionINS8_6system6detail7generic6detail18binary_search_lessEbEEEE10hipError_tPvRmT1_T2_T3_mmT4_T5_P12ihipStream_tbEUlRKjE_EESV_SZ_S10_mS11_S14_bEUlT_E_NS1_11comp_targetILNS1_3genE10ELNS1_11target_archE1200ELNS1_3gpuE4ELNS1_3repE0EEENS1_30default_config_static_selectorELNS0_4arch9wavefront6targetE0EEEvSY_
	.p2align	8
	.type	_ZN7rocprim17ROCPRIM_400000_NS6detail17trampoline_kernelINS0_14default_configENS1_27upper_bound_config_selectorIjlEEZNS1_14transform_implILb0ES3_S5_N6thrust23THRUST_200600_302600_NS6detail15normal_iteratorINS8_7pointerIjNS8_11hip_rocprim5par_tENS8_11use_defaultESE_EEEENSA_INSB_IlSD_SE_SE_EEEEZNS1_13binary_searchIS3_S5_NSA_INS8_10device_ptrIjEEEESG_SI_NS1_21upper_bound_search_opENS9_16wrapped_functionINS8_6system6detail7generic6detail18binary_search_lessEbEEEE10hipError_tPvRmT1_T2_T3_mmT4_T5_P12ihipStream_tbEUlRKjE_EESV_SZ_S10_mS11_S14_bEUlT_E_NS1_11comp_targetILNS1_3genE10ELNS1_11target_archE1200ELNS1_3gpuE4ELNS1_3repE0EEENS1_30default_config_static_selectorELNS0_4arch9wavefront6targetE0EEEvSY_,@function
_ZN7rocprim17ROCPRIM_400000_NS6detail17trampoline_kernelINS0_14default_configENS1_27upper_bound_config_selectorIjlEEZNS1_14transform_implILb0ES3_S5_N6thrust23THRUST_200600_302600_NS6detail15normal_iteratorINS8_7pointerIjNS8_11hip_rocprim5par_tENS8_11use_defaultESE_EEEENSA_INSB_IlSD_SE_SE_EEEEZNS1_13binary_searchIS3_S5_NSA_INS8_10device_ptrIjEEEESG_SI_NS1_21upper_bound_search_opENS9_16wrapped_functionINS8_6system6detail7generic6detail18binary_search_lessEbEEEE10hipError_tPvRmT1_T2_T3_mmT4_T5_P12ihipStream_tbEUlRKjE_EESV_SZ_S10_mS11_S14_bEUlT_E_NS1_11comp_targetILNS1_3genE10ELNS1_11target_archE1200ELNS1_3gpuE4ELNS1_3repE0EEENS1_30default_config_static_selectorELNS0_4arch9wavefront6targetE0EEEvSY_: ; @_ZN7rocprim17ROCPRIM_400000_NS6detail17trampoline_kernelINS0_14default_configENS1_27upper_bound_config_selectorIjlEEZNS1_14transform_implILb0ES3_S5_N6thrust23THRUST_200600_302600_NS6detail15normal_iteratorINS8_7pointerIjNS8_11hip_rocprim5par_tENS8_11use_defaultESE_EEEENSA_INSB_IlSD_SE_SE_EEEEZNS1_13binary_searchIS3_S5_NSA_INS8_10device_ptrIjEEEESG_SI_NS1_21upper_bound_search_opENS9_16wrapped_functionINS8_6system6detail7generic6detail18binary_search_lessEbEEEE10hipError_tPvRmT1_T2_T3_mmT4_T5_P12ihipStream_tbEUlRKjE_EESV_SZ_S10_mS11_S14_bEUlT_E_NS1_11comp_targetILNS1_3genE10ELNS1_11target_archE1200ELNS1_3gpuE4ELNS1_3repE0EEENS1_30default_config_static_selectorELNS0_4arch9wavefront6targetE0EEEvSY_
; %bb.0:
	.section	.rodata,"a",@progbits
	.p2align	6, 0x0
	.amdhsa_kernel _ZN7rocprim17ROCPRIM_400000_NS6detail17trampoline_kernelINS0_14default_configENS1_27upper_bound_config_selectorIjlEEZNS1_14transform_implILb0ES3_S5_N6thrust23THRUST_200600_302600_NS6detail15normal_iteratorINS8_7pointerIjNS8_11hip_rocprim5par_tENS8_11use_defaultESE_EEEENSA_INSB_IlSD_SE_SE_EEEEZNS1_13binary_searchIS3_S5_NSA_INS8_10device_ptrIjEEEESG_SI_NS1_21upper_bound_search_opENS9_16wrapped_functionINS8_6system6detail7generic6detail18binary_search_lessEbEEEE10hipError_tPvRmT1_T2_T3_mmT4_T5_P12ihipStream_tbEUlRKjE_EESV_SZ_S10_mS11_S14_bEUlT_E_NS1_11comp_targetILNS1_3genE10ELNS1_11target_archE1200ELNS1_3gpuE4ELNS1_3repE0EEENS1_30default_config_static_selectorELNS0_4arch9wavefront6targetE0EEEvSY_
		.amdhsa_group_segment_fixed_size 0
		.amdhsa_private_segment_fixed_size 0
		.amdhsa_kernarg_size 56
		.amdhsa_user_sgpr_count 6
		.amdhsa_user_sgpr_private_segment_buffer 1
		.amdhsa_user_sgpr_dispatch_ptr 0
		.amdhsa_user_sgpr_queue_ptr 0
		.amdhsa_user_sgpr_kernarg_segment_ptr 1
		.amdhsa_user_sgpr_dispatch_id 0
		.amdhsa_user_sgpr_flat_scratch_init 0
		.amdhsa_user_sgpr_private_segment_size 0
		.amdhsa_wavefront_size32 1
		.amdhsa_uses_dynamic_stack 0
		.amdhsa_system_sgpr_private_segment_wavefront_offset 0
		.amdhsa_system_sgpr_workgroup_id_x 1
		.amdhsa_system_sgpr_workgroup_id_y 0
		.amdhsa_system_sgpr_workgroup_id_z 0
		.amdhsa_system_sgpr_workgroup_info 0
		.amdhsa_system_vgpr_workitem_id 0
		.amdhsa_next_free_vgpr 1
		.amdhsa_next_free_sgpr 1
		.amdhsa_reserve_vcc 0
		.amdhsa_reserve_flat_scratch 0
		.amdhsa_float_round_mode_32 0
		.amdhsa_float_round_mode_16_64 0
		.amdhsa_float_denorm_mode_32 3
		.amdhsa_float_denorm_mode_16_64 3
		.amdhsa_dx10_clamp 1
		.amdhsa_ieee_mode 1
		.amdhsa_fp16_overflow 0
		.amdhsa_workgroup_processor_mode 1
		.amdhsa_memory_ordered 1
		.amdhsa_forward_progress 1
		.amdhsa_shared_vgpr_count 0
		.amdhsa_exception_fp_ieee_invalid_op 0
		.amdhsa_exception_fp_denorm_src 0
		.amdhsa_exception_fp_ieee_div_zero 0
		.amdhsa_exception_fp_ieee_overflow 0
		.amdhsa_exception_fp_ieee_underflow 0
		.amdhsa_exception_fp_ieee_inexact 0
		.amdhsa_exception_int_div_zero 0
	.end_amdhsa_kernel
	.section	.text._ZN7rocprim17ROCPRIM_400000_NS6detail17trampoline_kernelINS0_14default_configENS1_27upper_bound_config_selectorIjlEEZNS1_14transform_implILb0ES3_S5_N6thrust23THRUST_200600_302600_NS6detail15normal_iteratorINS8_7pointerIjNS8_11hip_rocprim5par_tENS8_11use_defaultESE_EEEENSA_INSB_IlSD_SE_SE_EEEEZNS1_13binary_searchIS3_S5_NSA_INS8_10device_ptrIjEEEESG_SI_NS1_21upper_bound_search_opENS9_16wrapped_functionINS8_6system6detail7generic6detail18binary_search_lessEbEEEE10hipError_tPvRmT1_T2_T3_mmT4_T5_P12ihipStream_tbEUlRKjE_EESV_SZ_S10_mS11_S14_bEUlT_E_NS1_11comp_targetILNS1_3genE10ELNS1_11target_archE1200ELNS1_3gpuE4ELNS1_3repE0EEENS1_30default_config_static_selectorELNS0_4arch9wavefront6targetE0EEEvSY_,"axG",@progbits,_ZN7rocprim17ROCPRIM_400000_NS6detail17trampoline_kernelINS0_14default_configENS1_27upper_bound_config_selectorIjlEEZNS1_14transform_implILb0ES3_S5_N6thrust23THRUST_200600_302600_NS6detail15normal_iteratorINS8_7pointerIjNS8_11hip_rocprim5par_tENS8_11use_defaultESE_EEEENSA_INSB_IlSD_SE_SE_EEEEZNS1_13binary_searchIS3_S5_NSA_INS8_10device_ptrIjEEEESG_SI_NS1_21upper_bound_search_opENS9_16wrapped_functionINS8_6system6detail7generic6detail18binary_search_lessEbEEEE10hipError_tPvRmT1_T2_T3_mmT4_T5_P12ihipStream_tbEUlRKjE_EESV_SZ_S10_mS11_S14_bEUlT_E_NS1_11comp_targetILNS1_3genE10ELNS1_11target_archE1200ELNS1_3gpuE4ELNS1_3repE0EEENS1_30default_config_static_selectorELNS0_4arch9wavefront6targetE0EEEvSY_,comdat
.Lfunc_end551:
	.size	_ZN7rocprim17ROCPRIM_400000_NS6detail17trampoline_kernelINS0_14default_configENS1_27upper_bound_config_selectorIjlEEZNS1_14transform_implILb0ES3_S5_N6thrust23THRUST_200600_302600_NS6detail15normal_iteratorINS8_7pointerIjNS8_11hip_rocprim5par_tENS8_11use_defaultESE_EEEENSA_INSB_IlSD_SE_SE_EEEEZNS1_13binary_searchIS3_S5_NSA_INS8_10device_ptrIjEEEESG_SI_NS1_21upper_bound_search_opENS9_16wrapped_functionINS8_6system6detail7generic6detail18binary_search_lessEbEEEE10hipError_tPvRmT1_T2_T3_mmT4_T5_P12ihipStream_tbEUlRKjE_EESV_SZ_S10_mS11_S14_bEUlT_E_NS1_11comp_targetILNS1_3genE10ELNS1_11target_archE1200ELNS1_3gpuE4ELNS1_3repE0EEENS1_30default_config_static_selectorELNS0_4arch9wavefront6targetE0EEEvSY_, .Lfunc_end551-_ZN7rocprim17ROCPRIM_400000_NS6detail17trampoline_kernelINS0_14default_configENS1_27upper_bound_config_selectorIjlEEZNS1_14transform_implILb0ES3_S5_N6thrust23THRUST_200600_302600_NS6detail15normal_iteratorINS8_7pointerIjNS8_11hip_rocprim5par_tENS8_11use_defaultESE_EEEENSA_INSB_IlSD_SE_SE_EEEEZNS1_13binary_searchIS3_S5_NSA_INS8_10device_ptrIjEEEESG_SI_NS1_21upper_bound_search_opENS9_16wrapped_functionINS8_6system6detail7generic6detail18binary_search_lessEbEEEE10hipError_tPvRmT1_T2_T3_mmT4_T5_P12ihipStream_tbEUlRKjE_EESV_SZ_S10_mS11_S14_bEUlT_E_NS1_11comp_targetILNS1_3genE10ELNS1_11target_archE1200ELNS1_3gpuE4ELNS1_3repE0EEENS1_30default_config_static_selectorELNS0_4arch9wavefront6targetE0EEEvSY_
                                        ; -- End function
	.set _ZN7rocprim17ROCPRIM_400000_NS6detail17trampoline_kernelINS0_14default_configENS1_27upper_bound_config_selectorIjlEEZNS1_14transform_implILb0ES3_S5_N6thrust23THRUST_200600_302600_NS6detail15normal_iteratorINS8_7pointerIjNS8_11hip_rocprim5par_tENS8_11use_defaultESE_EEEENSA_INSB_IlSD_SE_SE_EEEEZNS1_13binary_searchIS3_S5_NSA_INS8_10device_ptrIjEEEESG_SI_NS1_21upper_bound_search_opENS9_16wrapped_functionINS8_6system6detail7generic6detail18binary_search_lessEbEEEE10hipError_tPvRmT1_T2_T3_mmT4_T5_P12ihipStream_tbEUlRKjE_EESV_SZ_S10_mS11_S14_bEUlT_E_NS1_11comp_targetILNS1_3genE10ELNS1_11target_archE1200ELNS1_3gpuE4ELNS1_3repE0EEENS1_30default_config_static_selectorELNS0_4arch9wavefront6targetE0EEEvSY_.num_vgpr, 0
	.set _ZN7rocprim17ROCPRIM_400000_NS6detail17trampoline_kernelINS0_14default_configENS1_27upper_bound_config_selectorIjlEEZNS1_14transform_implILb0ES3_S5_N6thrust23THRUST_200600_302600_NS6detail15normal_iteratorINS8_7pointerIjNS8_11hip_rocprim5par_tENS8_11use_defaultESE_EEEENSA_INSB_IlSD_SE_SE_EEEEZNS1_13binary_searchIS3_S5_NSA_INS8_10device_ptrIjEEEESG_SI_NS1_21upper_bound_search_opENS9_16wrapped_functionINS8_6system6detail7generic6detail18binary_search_lessEbEEEE10hipError_tPvRmT1_T2_T3_mmT4_T5_P12ihipStream_tbEUlRKjE_EESV_SZ_S10_mS11_S14_bEUlT_E_NS1_11comp_targetILNS1_3genE10ELNS1_11target_archE1200ELNS1_3gpuE4ELNS1_3repE0EEENS1_30default_config_static_selectorELNS0_4arch9wavefront6targetE0EEEvSY_.num_agpr, 0
	.set _ZN7rocprim17ROCPRIM_400000_NS6detail17trampoline_kernelINS0_14default_configENS1_27upper_bound_config_selectorIjlEEZNS1_14transform_implILb0ES3_S5_N6thrust23THRUST_200600_302600_NS6detail15normal_iteratorINS8_7pointerIjNS8_11hip_rocprim5par_tENS8_11use_defaultESE_EEEENSA_INSB_IlSD_SE_SE_EEEEZNS1_13binary_searchIS3_S5_NSA_INS8_10device_ptrIjEEEESG_SI_NS1_21upper_bound_search_opENS9_16wrapped_functionINS8_6system6detail7generic6detail18binary_search_lessEbEEEE10hipError_tPvRmT1_T2_T3_mmT4_T5_P12ihipStream_tbEUlRKjE_EESV_SZ_S10_mS11_S14_bEUlT_E_NS1_11comp_targetILNS1_3genE10ELNS1_11target_archE1200ELNS1_3gpuE4ELNS1_3repE0EEENS1_30default_config_static_selectorELNS0_4arch9wavefront6targetE0EEEvSY_.numbered_sgpr, 0
	.set _ZN7rocprim17ROCPRIM_400000_NS6detail17trampoline_kernelINS0_14default_configENS1_27upper_bound_config_selectorIjlEEZNS1_14transform_implILb0ES3_S5_N6thrust23THRUST_200600_302600_NS6detail15normal_iteratorINS8_7pointerIjNS8_11hip_rocprim5par_tENS8_11use_defaultESE_EEEENSA_INSB_IlSD_SE_SE_EEEEZNS1_13binary_searchIS3_S5_NSA_INS8_10device_ptrIjEEEESG_SI_NS1_21upper_bound_search_opENS9_16wrapped_functionINS8_6system6detail7generic6detail18binary_search_lessEbEEEE10hipError_tPvRmT1_T2_T3_mmT4_T5_P12ihipStream_tbEUlRKjE_EESV_SZ_S10_mS11_S14_bEUlT_E_NS1_11comp_targetILNS1_3genE10ELNS1_11target_archE1200ELNS1_3gpuE4ELNS1_3repE0EEENS1_30default_config_static_selectorELNS0_4arch9wavefront6targetE0EEEvSY_.num_named_barrier, 0
	.set _ZN7rocprim17ROCPRIM_400000_NS6detail17trampoline_kernelINS0_14default_configENS1_27upper_bound_config_selectorIjlEEZNS1_14transform_implILb0ES3_S5_N6thrust23THRUST_200600_302600_NS6detail15normal_iteratorINS8_7pointerIjNS8_11hip_rocprim5par_tENS8_11use_defaultESE_EEEENSA_INSB_IlSD_SE_SE_EEEEZNS1_13binary_searchIS3_S5_NSA_INS8_10device_ptrIjEEEESG_SI_NS1_21upper_bound_search_opENS9_16wrapped_functionINS8_6system6detail7generic6detail18binary_search_lessEbEEEE10hipError_tPvRmT1_T2_T3_mmT4_T5_P12ihipStream_tbEUlRKjE_EESV_SZ_S10_mS11_S14_bEUlT_E_NS1_11comp_targetILNS1_3genE10ELNS1_11target_archE1200ELNS1_3gpuE4ELNS1_3repE0EEENS1_30default_config_static_selectorELNS0_4arch9wavefront6targetE0EEEvSY_.private_seg_size, 0
	.set _ZN7rocprim17ROCPRIM_400000_NS6detail17trampoline_kernelINS0_14default_configENS1_27upper_bound_config_selectorIjlEEZNS1_14transform_implILb0ES3_S5_N6thrust23THRUST_200600_302600_NS6detail15normal_iteratorINS8_7pointerIjNS8_11hip_rocprim5par_tENS8_11use_defaultESE_EEEENSA_INSB_IlSD_SE_SE_EEEEZNS1_13binary_searchIS3_S5_NSA_INS8_10device_ptrIjEEEESG_SI_NS1_21upper_bound_search_opENS9_16wrapped_functionINS8_6system6detail7generic6detail18binary_search_lessEbEEEE10hipError_tPvRmT1_T2_T3_mmT4_T5_P12ihipStream_tbEUlRKjE_EESV_SZ_S10_mS11_S14_bEUlT_E_NS1_11comp_targetILNS1_3genE10ELNS1_11target_archE1200ELNS1_3gpuE4ELNS1_3repE0EEENS1_30default_config_static_selectorELNS0_4arch9wavefront6targetE0EEEvSY_.uses_vcc, 0
	.set _ZN7rocprim17ROCPRIM_400000_NS6detail17trampoline_kernelINS0_14default_configENS1_27upper_bound_config_selectorIjlEEZNS1_14transform_implILb0ES3_S5_N6thrust23THRUST_200600_302600_NS6detail15normal_iteratorINS8_7pointerIjNS8_11hip_rocprim5par_tENS8_11use_defaultESE_EEEENSA_INSB_IlSD_SE_SE_EEEEZNS1_13binary_searchIS3_S5_NSA_INS8_10device_ptrIjEEEESG_SI_NS1_21upper_bound_search_opENS9_16wrapped_functionINS8_6system6detail7generic6detail18binary_search_lessEbEEEE10hipError_tPvRmT1_T2_T3_mmT4_T5_P12ihipStream_tbEUlRKjE_EESV_SZ_S10_mS11_S14_bEUlT_E_NS1_11comp_targetILNS1_3genE10ELNS1_11target_archE1200ELNS1_3gpuE4ELNS1_3repE0EEENS1_30default_config_static_selectorELNS0_4arch9wavefront6targetE0EEEvSY_.uses_flat_scratch, 0
	.set _ZN7rocprim17ROCPRIM_400000_NS6detail17trampoline_kernelINS0_14default_configENS1_27upper_bound_config_selectorIjlEEZNS1_14transform_implILb0ES3_S5_N6thrust23THRUST_200600_302600_NS6detail15normal_iteratorINS8_7pointerIjNS8_11hip_rocprim5par_tENS8_11use_defaultESE_EEEENSA_INSB_IlSD_SE_SE_EEEEZNS1_13binary_searchIS3_S5_NSA_INS8_10device_ptrIjEEEESG_SI_NS1_21upper_bound_search_opENS9_16wrapped_functionINS8_6system6detail7generic6detail18binary_search_lessEbEEEE10hipError_tPvRmT1_T2_T3_mmT4_T5_P12ihipStream_tbEUlRKjE_EESV_SZ_S10_mS11_S14_bEUlT_E_NS1_11comp_targetILNS1_3genE10ELNS1_11target_archE1200ELNS1_3gpuE4ELNS1_3repE0EEENS1_30default_config_static_selectorELNS0_4arch9wavefront6targetE0EEEvSY_.has_dyn_sized_stack, 0
	.set _ZN7rocprim17ROCPRIM_400000_NS6detail17trampoline_kernelINS0_14default_configENS1_27upper_bound_config_selectorIjlEEZNS1_14transform_implILb0ES3_S5_N6thrust23THRUST_200600_302600_NS6detail15normal_iteratorINS8_7pointerIjNS8_11hip_rocprim5par_tENS8_11use_defaultESE_EEEENSA_INSB_IlSD_SE_SE_EEEEZNS1_13binary_searchIS3_S5_NSA_INS8_10device_ptrIjEEEESG_SI_NS1_21upper_bound_search_opENS9_16wrapped_functionINS8_6system6detail7generic6detail18binary_search_lessEbEEEE10hipError_tPvRmT1_T2_T3_mmT4_T5_P12ihipStream_tbEUlRKjE_EESV_SZ_S10_mS11_S14_bEUlT_E_NS1_11comp_targetILNS1_3genE10ELNS1_11target_archE1200ELNS1_3gpuE4ELNS1_3repE0EEENS1_30default_config_static_selectorELNS0_4arch9wavefront6targetE0EEEvSY_.has_recursion, 0
	.set _ZN7rocprim17ROCPRIM_400000_NS6detail17trampoline_kernelINS0_14default_configENS1_27upper_bound_config_selectorIjlEEZNS1_14transform_implILb0ES3_S5_N6thrust23THRUST_200600_302600_NS6detail15normal_iteratorINS8_7pointerIjNS8_11hip_rocprim5par_tENS8_11use_defaultESE_EEEENSA_INSB_IlSD_SE_SE_EEEEZNS1_13binary_searchIS3_S5_NSA_INS8_10device_ptrIjEEEESG_SI_NS1_21upper_bound_search_opENS9_16wrapped_functionINS8_6system6detail7generic6detail18binary_search_lessEbEEEE10hipError_tPvRmT1_T2_T3_mmT4_T5_P12ihipStream_tbEUlRKjE_EESV_SZ_S10_mS11_S14_bEUlT_E_NS1_11comp_targetILNS1_3genE10ELNS1_11target_archE1200ELNS1_3gpuE4ELNS1_3repE0EEENS1_30default_config_static_selectorELNS0_4arch9wavefront6targetE0EEEvSY_.has_indirect_call, 0
	.section	.AMDGPU.csdata,"",@progbits
; Kernel info:
; codeLenInByte = 0
; TotalNumSgprs: 0
; NumVgprs: 0
; ScratchSize: 0
; MemoryBound: 0
; FloatMode: 240
; IeeeMode: 1
; LDSByteSize: 0 bytes/workgroup (compile time only)
; SGPRBlocks: 0
; VGPRBlocks: 0
; NumSGPRsForWavesPerEU: 1
; NumVGPRsForWavesPerEU: 1
; Occupancy: 16
; WaveLimiterHint : 0
; COMPUTE_PGM_RSRC2:SCRATCH_EN: 0
; COMPUTE_PGM_RSRC2:USER_SGPR: 6
; COMPUTE_PGM_RSRC2:TRAP_HANDLER: 0
; COMPUTE_PGM_RSRC2:TGID_X_EN: 1
; COMPUTE_PGM_RSRC2:TGID_Y_EN: 0
; COMPUTE_PGM_RSRC2:TGID_Z_EN: 0
; COMPUTE_PGM_RSRC2:TIDIG_COMP_CNT: 0
	.section	.text._ZN7rocprim17ROCPRIM_400000_NS6detail17trampoline_kernelINS0_14default_configENS1_27upper_bound_config_selectorIjlEEZNS1_14transform_implILb0ES3_S5_N6thrust23THRUST_200600_302600_NS6detail15normal_iteratorINS8_7pointerIjNS8_11hip_rocprim5par_tENS8_11use_defaultESE_EEEENSA_INSB_IlSD_SE_SE_EEEEZNS1_13binary_searchIS3_S5_NSA_INS8_10device_ptrIjEEEESG_SI_NS1_21upper_bound_search_opENS9_16wrapped_functionINS8_6system6detail7generic6detail18binary_search_lessEbEEEE10hipError_tPvRmT1_T2_T3_mmT4_T5_P12ihipStream_tbEUlRKjE_EESV_SZ_S10_mS11_S14_bEUlT_E_NS1_11comp_targetILNS1_3genE9ELNS1_11target_archE1100ELNS1_3gpuE3ELNS1_3repE0EEENS1_30default_config_static_selectorELNS0_4arch9wavefront6targetE0EEEvSY_,"axG",@progbits,_ZN7rocprim17ROCPRIM_400000_NS6detail17trampoline_kernelINS0_14default_configENS1_27upper_bound_config_selectorIjlEEZNS1_14transform_implILb0ES3_S5_N6thrust23THRUST_200600_302600_NS6detail15normal_iteratorINS8_7pointerIjNS8_11hip_rocprim5par_tENS8_11use_defaultESE_EEEENSA_INSB_IlSD_SE_SE_EEEEZNS1_13binary_searchIS3_S5_NSA_INS8_10device_ptrIjEEEESG_SI_NS1_21upper_bound_search_opENS9_16wrapped_functionINS8_6system6detail7generic6detail18binary_search_lessEbEEEE10hipError_tPvRmT1_T2_T3_mmT4_T5_P12ihipStream_tbEUlRKjE_EESV_SZ_S10_mS11_S14_bEUlT_E_NS1_11comp_targetILNS1_3genE9ELNS1_11target_archE1100ELNS1_3gpuE3ELNS1_3repE0EEENS1_30default_config_static_selectorELNS0_4arch9wavefront6targetE0EEEvSY_,comdat
	.protected	_ZN7rocprim17ROCPRIM_400000_NS6detail17trampoline_kernelINS0_14default_configENS1_27upper_bound_config_selectorIjlEEZNS1_14transform_implILb0ES3_S5_N6thrust23THRUST_200600_302600_NS6detail15normal_iteratorINS8_7pointerIjNS8_11hip_rocprim5par_tENS8_11use_defaultESE_EEEENSA_INSB_IlSD_SE_SE_EEEEZNS1_13binary_searchIS3_S5_NSA_INS8_10device_ptrIjEEEESG_SI_NS1_21upper_bound_search_opENS9_16wrapped_functionINS8_6system6detail7generic6detail18binary_search_lessEbEEEE10hipError_tPvRmT1_T2_T3_mmT4_T5_P12ihipStream_tbEUlRKjE_EESV_SZ_S10_mS11_S14_bEUlT_E_NS1_11comp_targetILNS1_3genE9ELNS1_11target_archE1100ELNS1_3gpuE3ELNS1_3repE0EEENS1_30default_config_static_selectorELNS0_4arch9wavefront6targetE0EEEvSY_ ; -- Begin function _ZN7rocprim17ROCPRIM_400000_NS6detail17trampoline_kernelINS0_14default_configENS1_27upper_bound_config_selectorIjlEEZNS1_14transform_implILb0ES3_S5_N6thrust23THRUST_200600_302600_NS6detail15normal_iteratorINS8_7pointerIjNS8_11hip_rocprim5par_tENS8_11use_defaultESE_EEEENSA_INSB_IlSD_SE_SE_EEEEZNS1_13binary_searchIS3_S5_NSA_INS8_10device_ptrIjEEEESG_SI_NS1_21upper_bound_search_opENS9_16wrapped_functionINS8_6system6detail7generic6detail18binary_search_lessEbEEEE10hipError_tPvRmT1_T2_T3_mmT4_T5_P12ihipStream_tbEUlRKjE_EESV_SZ_S10_mS11_S14_bEUlT_E_NS1_11comp_targetILNS1_3genE9ELNS1_11target_archE1100ELNS1_3gpuE3ELNS1_3repE0EEENS1_30default_config_static_selectorELNS0_4arch9wavefront6targetE0EEEvSY_
	.globl	_ZN7rocprim17ROCPRIM_400000_NS6detail17trampoline_kernelINS0_14default_configENS1_27upper_bound_config_selectorIjlEEZNS1_14transform_implILb0ES3_S5_N6thrust23THRUST_200600_302600_NS6detail15normal_iteratorINS8_7pointerIjNS8_11hip_rocprim5par_tENS8_11use_defaultESE_EEEENSA_INSB_IlSD_SE_SE_EEEEZNS1_13binary_searchIS3_S5_NSA_INS8_10device_ptrIjEEEESG_SI_NS1_21upper_bound_search_opENS9_16wrapped_functionINS8_6system6detail7generic6detail18binary_search_lessEbEEEE10hipError_tPvRmT1_T2_T3_mmT4_T5_P12ihipStream_tbEUlRKjE_EESV_SZ_S10_mS11_S14_bEUlT_E_NS1_11comp_targetILNS1_3genE9ELNS1_11target_archE1100ELNS1_3gpuE3ELNS1_3repE0EEENS1_30default_config_static_selectorELNS0_4arch9wavefront6targetE0EEEvSY_
	.p2align	8
	.type	_ZN7rocprim17ROCPRIM_400000_NS6detail17trampoline_kernelINS0_14default_configENS1_27upper_bound_config_selectorIjlEEZNS1_14transform_implILb0ES3_S5_N6thrust23THRUST_200600_302600_NS6detail15normal_iteratorINS8_7pointerIjNS8_11hip_rocprim5par_tENS8_11use_defaultESE_EEEENSA_INSB_IlSD_SE_SE_EEEEZNS1_13binary_searchIS3_S5_NSA_INS8_10device_ptrIjEEEESG_SI_NS1_21upper_bound_search_opENS9_16wrapped_functionINS8_6system6detail7generic6detail18binary_search_lessEbEEEE10hipError_tPvRmT1_T2_T3_mmT4_T5_P12ihipStream_tbEUlRKjE_EESV_SZ_S10_mS11_S14_bEUlT_E_NS1_11comp_targetILNS1_3genE9ELNS1_11target_archE1100ELNS1_3gpuE3ELNS1_3repE0EEENS1_30default_config_static_selectorELNS0_4arch9wavefront6targetE0EEEvSY_,@function
_ZN7rocprim17ROCPRIM_400000_NS6detail17trampoline_kernelINS0_14default_configENS1_27upper_bound_config_selectorIjlEEZNS1_14transform_implILb0ES3_S5_N6thrust23THRUST_200600_302600_NS6detail15normal_iteratorINS8_7pointerIjNS8_11hip_rocprim5par_tENS8_11use_defaultESE_EEEENSA_INSB_IlSD_SE_SE_EEEEZNS1_13binary_searchIS3_S5_NSA_INS8_10device_ptrIjEEEESG_SI_NS1_21upper_bound_search_opENS9_16wrapped_functionINS8_6system6detail7generic6detail18binary_search_lessEbEEEE10hipError_tPvRmT1_T2_T3_mmT4_T5_P12ihipStream_tbEUlRKjE_EESV_SZ_S10_mS11_S14_bEUlT_E_NS1_11comp_targetILNS1_3genE9ELNS1_11target_archE1100ELNS1_3gpuE3ELNS1_3repE0EEENS1_30default_config_static_selectorELNS0_4arch9wavefront6targetE0EEEvSY_: ; @_ZN7rocprim17ROCPRIM_400000_NS6detail17trampoline_kernelINS0_14default_configENS1_27upper_bound_config_selectorIjlEEZNS1_14transform_implILb0ES3_S5_N6thrust23THRUST_200600_302600_NS6detail15normal_iteratorINS8_7pointerIjNS8_11hip_rocprim5par_tENS8_11use_defaultESE_EEEENSA_INSB_IlSD_SE_SE_EEEEZNS1_13binary_searchIS3_S5_NSA_INS8_10device_ptrIjEEEESG_SI_NS1_21upper_bound_search_opENS9_16wrapped_functionINS8_6system6detail7generic6detail18binary_search_lessEbEEEE10hipError_tPvRmT1_T2_T3_mmT4_T5_P12ihipStream_tbEUlRKjE_EESV_SZ_S10_mS11_S14_bEUlT_E_NS1_11comp_targetILNS1_3genE9ELNS1_11target_archE1100ELNS1_3gpuE3ELNS1_3repE0EEENS1_30default_config_static_selectorELNS0_4arch9wavefront6targetE0EEEvSY_
; %bb.0:
	.section	.rodata,"a",@progbits
	.p2align	6, 0x0
	.amdhsa_kernel _ZN7rocprim17ROCPRIM_400000_NS6detail17trampoline_kernelINS0_14default_configENS1_27upper_bound_config_selectorIjlEEZNS1_14transform_implILb0ES3_S5_N6thrust23THRUST_200600_302600_NS6detail15normal_iteratorINS8_7pointerIjNS8_11hip_rocprim5par_tENS8_11use_defaultESE_EEEENSA_INSB_IlSD_SE_SE_EEEEZNS1_13binary_searchIS3_S5_NSA_INS8_10device_ptrIjEEEESG_SI_NS1_21upper_bound_search_opENS9_16wrapped_functionINS8_6system6detail7generic6detail18binary_search_lessEbEEEE10hipError_tPvRmT1_T2_T3_mmT4_T5_P12ihipStream_tbEUlRKjE_EESV_SZ_S10_mS11_S14_bEUlT_E_NS1_11comp_targetILNS1_3genE9ELNS1_11target_archE1100ELNS1_3gpuE3ELNS1_3repE0EEENS1_30default_config_static_selectorELNS0_4arch9wavefront6targetE0EEEvSY_
		.amdhsa_group_segment_fixed_size 0
		.amdhsa_private_segment_fixed_size 0
		.amdhsa_kernarg_size 56
		.amdhsa_user_sgpr_count 6
		.amdhsa_user_sgpr_private_segment_buffer 1
		.amdhsa_user_sgpr_dispatch_ptr 0
		.amdhsa_user_sgpr_queue_ptr 0
		.amdhsa_user_sgpr_kernarg_segment_ptr 1
		.amdhsa_user_sgpr_dispatch_id 0
		.amdhsa_user_sgpr_flat_scratch_init 0
		.amdhsa_user_sgpr_private_segment_size 0
		.amdhsa_wavefront_size32 1
		.amdhsa_uses_dynamic_stack 0
		.amdhsa_system_sgpr_private_segment_wavefront_offset 0
		.amdhsa_system_sgpr_workgroup_id_x 1
		.amdhsa_system_sgpr_workgroup_id_y 0
		.amdhsa_system_sgpr_workgroup_id_z 0
		.amdhsa_system_sgpr_workgroup_info 0
		.amdhsa_system_vgpr_workitem_id 0
		.amdhsa_next_free_vgpr 1
		.amdhsa_next_free_sgpr 1
		.amdhsa_reserve_vcc 0
		.amdhsa_reserve_flat_scratch 0
		.amdhsa_float_round_mode_32 0
		.amdhsa_float_round_mode_16_64 0
		.amdhsa_float_denorm_mode_32 3
		.amdhsa_float_denorm_mode_16_64 3
		.amdhsa_dx10_clamp 1
		.amdhsa_ieee_mode 1
		.amdhsa_fp16_overflow 0
		.amdhsa_workgroup_processor_mode 1
		.amdhsa_memory_ordered 1
		.amdhsa_forward_progress 1
		.amdhsa_shared_vgpr_count 0
		.amdhsa_exception_fp_ieee_invalid_op 0
		.amdhsa_exception_fp_denorm_src 0
		.amdhsa_exception_fp_ieee_div_zero 0
		.amdhsa_exception_fp_ieee_overflow 0
		.amdhsa_exception_fp_ieee_underflow 0
		.amdhsa_exception_fp_ieee_inexact 0
		.amdhsa_exception_int_div_zero 0
	.end_amdhsa_kernel
	.section	.text._ZN7rocprim17ROCPRIM_400000_NS6detail17trampoline_kernelINS0_14default_configENS1_27upper_bound_config_selectorIjlEEZNS1_14transform_implILb0ES3_S5_N6thrust23THRUST_200600_302600_NS6detail15normal_iteratorINS8_7pointerIjNS8_11hip_rocprim5par_tENS8_11use_defaultESE_EEEENSA_INSB_IlSD_SE_SE_EEEEZNS1_13binary_searchIS3_S5_NSA_INS8_10device_ptrIjEEEESG_SI_NS1_21upper_bound_search_opENS9_16wrapped_functionINS8_6system6detail7generic6detail18binary_search_lessEbEEEE10hipError_tPvRmT1_T2_T3_mmT4_T5_P12ihipStream_tbEUlRKjE_EESV_SZ_S10_mS11_S14_bEUlT_E_NS1_11comp_targetILNS1_3genE9ELNS1_11target_archE1100ELNS1_3gpuE3ELNS1_3repE0EEENS1_30default_config_static_selectorELNS0_4arch9wavefront6targetE0EEEvSY_,"axG",@progbits,_ZN7rocprim17ROCPRIM_400000_NS6detail17trampoline_kernelINS0_14default_configENS1_27upper_bound_config_selectorIjlEEZNS1_14transform_implILb0ES3_S5_N6thrust23THRUST_200600_302600_NS6detail15normal_iteratorINS8_7pointerIjNS8_11hip_rocprim5par_tENS8_11use_defaultESE_EEEENSA_INSB_IlSD_SE_SE_EEEEZNS1_13binary_searchIS3_S5_NSA_INS8_10device_ptrIjEEEESG_SI_NS1_21upper_bound_search_opENS9_16wrapped_functionINS8_6system6detail7generic6detail18binary_search_lessEbEEEE10hipError_tPvRmT1_T2_T3_mmT4_T5_P12ihipStream_tbEUlRKjE_EESV_SZ_S10_mS11_S14_bEUlT_E_NS1_11comp_targetILNS1_3genE9ELNS1_11target_archE1100ELNS1_3gpuE3ELNS1_3repE0EEENS1_30default_config_static_selectorELNS0_4arch9wavefront6targetE0EEEvSY_,comdat
.Lfunc_end552:
	.size	_ZN7rocprim17ROCPRIM_400000_NS6detail17trampoline_kernelINS0_14default_configENS1_27upper_bound_config_selectorIjlEEZNS1_14transform_implILb0ES3_S5_N6thrust23THRUST_200600_302600_NS6detail15normal_iteratorINS8_7pointerIjNS8_11hip_rocprim5par_tENS8_11use_defaultESE_EEEENSA_INSB_IlSD_SE_SE_EEEEZNS1_13binary_searchIS3_S5_NSA_INS8_10device_ptrIjEEEESG_SI_NS1_21upper_bound_search_opENS9_16wrapped_functionINS8_6system6detail7generic6detail18binary_search_lessEbEEEE10hipError_tPvRmT1_T2_T3_mmT4_T5_P12ihipStream_tbEUlRKjE_EESV_SZ_S10_mS11_S14_bEUlT_E_NS1_11comp_targetILNS1_3genE9ELNS1_11target_archE1100ELNS1_3gpuE3ELNS1_3repE0EEENS1_30default_config_static_selectorELNS0_4arch9wavefront6targetE0EEEvSY_, .Lfunc_end552-_ZN7rocprim17ROCPRIM_400000_NS6detail17trampoline_kernelINS0_14default_configENS1_27upper_bound_config_selectorIjlEEZNS1_14transform_implILb0ES3_S5_N6thrust23THRUST_200600_302600_NS6detail15normal_iteratorINS8_7pointerIjNS8_11hip_rocprim5par_tENS8_11use_defaultESE_EEEENSA_INSB_IlSD_SE_SE_EEEEZNS1_13binary_searchIS3_S5_NSA_INS8_10device_ptrIjEEEESG_SI_NS1_21upper_bound_search_opENS9_16wrapped_functionINS8_6system6detail7generic6detail18binary_search_lessEbEEEE10hipError_tPvRmT1_T2_T3_mmT4_T5_P12ihipStream_tbEUlRKjE_EESV_SZ_S10_mS11_S14_bEUlT_E_NS1_11comp_targetILNS1_3genE9ELNS1_11target_archE1100ELNS1_3gpuE3ELNS1_3repE0EEENS1_30default_config_static_selectorELNS0_4arch9wavefront6targetE0EEEvSY_
                                        ; -- End function
	.set _ZN7rocprim17ROCPRIM_400000_NS6detail17trampoline_kernelINS0_14default_configENS1_27upper_bound_config_selectorIjlEEZNS1_14transform_implILb0ES3_S5_N6thrust23THRUST_200600_302600_NS6detail15normal_iteratorINS8_7pointerIjNS8_11hip_rocprim5par_tENS8_11use_defaultESE_EEEENSA_INSB_IlSD_SE_SE_EEEEZNS1_13binary_searchIS3_S5_NSA_INS8_10device_ptrIjEEEESG_SI_NS1_21upper_bound_search_opENS9_16wrapped_functionINS8_6system6detail7generic6detail18binary_search_lessEbEEEE10hipError_tPvRmT1_T2_T3_mmT4_T5_P12ihipStream_tbEUlRKjE_EESV_SZ_S10_mS11_S14_bEUlT_E_NS1_11comp_targetILNS1_3genE9ELNS1_11target_archE1100ELNS1_3gpuE3ELNS1_3repE0EEENS1_30default_config_static_selectorELNS0_4arch9wavefront6targetE0EEEvSY_.num_vgpr, 0
	.set _ZN7rocprim17ROCPRIM_400000_NS6detail17trampoline_kernelINS0_14default_configENS1_27upper_bound_config_selectorIjlEEZNS1_14transform_implILb0ES3_S5_N6thrust23THRUST_200600_302600_NS6detail15normal_iteratorINS8_7pointerIjNS8_11hip_rocprim5par_tENS8_11use_defaultESE_EEEENSA_INSB_IlSD_SE_SE_EEEEZNS1_13binary_searchIS3_S5_NSA_INS8_10device_ptrIjEEEESG_SI_NS1_21upper_bound_search_opENS9_16wrapped_functionINS8_6system6detail7generic6detail18binary_search_lessEbEEEE10hipError_tPvRmT1_T2_T3_mmT4_T5_P12ihipStream_tbEUlRKjE_EESV_SZ_S10_mS11_S14_bEUlT_E_NS1_11comp_targetILNS1_3genE9ELNS1_11target_archE1100ELNS1_3gpuE3ELNS1_3repE0EEENS1_30default_config_static_selectorELNS0_4arch9wavefront6targetE0EEEvSY_.num_agpr, 0
	.set _ZN7rocprim17ROCPRIM_400000_NS6detail17trampoline_kernelINS0_14default_configENS1_27upper_bound_config_selectorIjlEEZNS1_14transform_implILb0ES3_S5_N6thrust23THRUST_200600_302600_NS6detail15normal_iteratorINS8_7pointerIjNS8_11hip_rocprim5par_tENS8_11use_defaultESE_EEEENSA_INSB_IlSD_SE_SE_EEEEZNS1_13binary_searchIS3_S5_NSA_INS8_10device_ptrIjEEEESG_SI_NS1_21upper_bound_search_opENS9_16wrapped_functionINS8_6system6detail7generic6detail18binary_search_lessEbEEEE10hipError_tPvRmT1_T2_T3_mmT4_T5_P12ihipStream_tbEUlRKjE_EESV_SZ_S10_mS11_S14_bEUlT_E_NS1_11comp_targetILNS1_3genE9ELNS1_11target_archE1100ELNS1_3gpuE3ELNS1_3repE0EEENS1_30default_config_static_selectorELNS0_4arch9wavefront6targetE0EEEvSY_.numbered_sgpr, 0
	.set _ZN7rocprim17ROCPRIM_400000_NS6detail17trampoline_kernelINS0_14default_configENS1_27upper_bound_config_selectorIjlEEZNS1_14transform_implILb0ES3_S5_N6thrust23THRUST_200600_302600_NS6detail15normal_iteratorINS8_7pointerIjNS8_11hip_rocprim5par_tENS8_11use_defaultESE_EEEENSA_INSB_IlSD_SE_SE_EEEEZNS1_13binary_searchIS3_S5_NSA_INS8_10device_ptrIjEEEESG_SI_NS1_21upper_bound_search_opENS9_16wrapped_functionINS8_6system6detail7generic6detail18binary_search_lessEbEEEE10hipError_tPvRmT1_T2_T3_mmT4_T5_P12ihipStream_tbEUlRKjE_EESV_SZ_S10_mS11_S14_bEUlT_E_NS1_11comp_targetILNS1_3genE9ELNS1_11target_archE1100ELNS1_3gpuE3ELNS1_3repE0EEENS1_30default_config_static_selectorELNS0_4arch9wavefront6targetE0EEEvSY_.num_named_barrier, 0
	.set _ZN7rocprim17ROCPRIM_400000_NS6detail17trampoline_kernelINS0_14default_configENS1_27upper_bound_config_selectorIjlEEZNS1_14transform_implILb0ES3_S5_N6thrust23THRUST_200600_302600_NS6detail15normal_iteratorINS8_7pointerIjNS8_11hip_rocprim5par_tENS8_11use_defaultESE_EEEENSA_INSB_IlSD_SE_SE_EEEEZNS1_13binary_searchIS3_S5_NSA_INS8_10device_ptrIjEEEESG_SI_NS1_21upper_bound_search_opENS9_16wrapped_functionINS8_6system6detail7generic6detail18binary_search_lessEbEEEE10hipError_tPvRmT1_T2_T3_mmT4_T5_P12ihipStream_tbEUlRKjE_EESV_SZ_S10_mS11_S14_bEUlT_E_NS1_11comp_targetILNS1_3genE9ELNS1_11target_archE1100ELNS1_3gpuE3ELNS1_3repE0EEENS1_30default_config_static_selectorELNS0_4arch9wavefront6targetE0EEEvSY_.private_seg_size, 0
	.set _ZN7rocprim17ROCPRIM_400000_NS6detail17trampoline_kernelINS0_14default_configENS1_27upper_bound_config_selectorIjlEEZNS1_14transform_implILb0ES3_S5_N6thrust23THRUST_200600_302600_NS6detail15normal_iteratorINS8_7pointerIjNS8_11hip_rocprim5par_tENS8_11use_defaultESE_EEEENSA_INSB_IlSD_SE_SE_EEEEZNS1_13binary_searchIS3_S5_NSA_INS8_10device_ptrIjEEEESG_SI_NS1_21upper_bound_search_opENS9_16wrapped_functionINS8_6system6detail7generic6detail18binary_search_lessEbEEEE10hipError_tPvRmT1_T2_T3_mmT4_T5_P12ihipStream_tbEUlRKjE_EESV_SZ_S10_mS11_S14_bEUlT_E_NS1_11comp_targetILNS1_3genE9ELNS1_11target_archE1100ELNS1_3gpuE3ELNS1_3repE0EEENS1_30default_config_static_selectorELNS0_4arch9wavefront6targetE0EEEvSY_.uses_vcc, 0
	.set _ZN7rocprim17ROCPRIM_400000_NS6detail17trampoline_kernelINS0_14default_configENS1_27upper_bound_config_selectorIjlEEZNS1_14transform_implILb0ES3_S5_N6thrust23THRUST_200600_302600_NS6detail15normal_iteratorINS8_7pointerIjNS8_11hip_rocprim5par_tENS8_11use_defaultESE_EEEENSA_INSB_IlSD_SE_SE_EEEEZNS1_13binary_searchIS3_S5_NSA_INS8_10device_ptrIjEEEESG_SI_NS1_21upper_bound_search_opENS9_16wrapped_functionINS8_6system6detail7generic6detail18binary_search_lessEbEEEE10hipError_tPvRmT1_T2_T3_mmT4_T5_P12ihipStream_tbEUlRKjE_EESV_SZ_S10_mS11_S14_bEUlT_E_NS1_11comp_targetILNS1_3genE9ELNS1_11target_archE1100ELNS1_3gpuE3ELNS1_3repE0EEENS1_30default_config_static_selectorELNS0_4arch9wavefront6targetE0EEEvSY_.uses_flat_scratch, 0
	.set _ZN7rocprim17ROCPRIM_400000_NS6detail17trampoline_kernelINS0_14default_configENS1_27upper_bound_config_selectorIjlEEZNS1_14transform_implILb0ES3_S5_N6thrust23THRUST_200600_302600_NS6detail15normal_iteratorINS8_7pointerIjNS8_11hip_rocprim5par_tENS8_11use_defaultESE_EEEENSA_INSB_IlSD_SE_SE_EEEEZNS1_13binary_searchIS3_S5_NSA_INS8_10device_ptrIjEEEESG_SI_NS1_21upper_bound_search_opENS9_16wrapped_functionINS8_6system6detail7generic6detail18binary_search_lessEbEEEE10hipError_tPvRmT1_T2_T3_mmT4_T5_P12ihipStream_tbEUlRKjE_EESV_SZ_S10_mS11_S14_bEUlT_E_NS1_11comp_targetILNS1_3genE9ELNS1_11target_archE1100ELNS1_3gpuE3ELNS1_3repE0EEENS1_30default_config_static_selectorELNS0_4arch9wavefront6targetE0EEEvSY_.has_dyn_sized_stack, 0
	.set _ZN7rocprim17ROCPRIM_400000_NS6detail17trampoline_kernelINS0_14default_configENS1_27upper_bound_config_selectorIjlEEZNS1_14transform_implILb0ES3_S5_N6thrust23THRUST_200600_302600_NS6detail15normal_iteratorINS8_7pointerIjNS8_11hip_rocprim5par_tENS8_11use_defaultESE_EEEENSA_INSB_IlSD_SE_SE_EEEEZNS1_13binary_searchIS3_S5_NSA_INS8_10device_ptrIjEEEESG_SI_NS1_21upper_bound_search_opENS9_16wrapped_functionINS8_6system6detail7generic6detail18binary_search_lessEbEEEE10hipError_tPvRmT1_T2_T3_mmT4_T5_P12ihipStream_tbEUlRKjE_EESV_SZ_S10_mS11_S14_bEUlT_E_NS1_11comp_targetILNS1_3genE9ELNS1_11target_archE1100ELNS1_3gpuE3ELNS1_3repE0EEENS1_30default_config_static_selectorELNS0_4arch9wavefront6targetE0EEEvSY_.has_recursion, 0
	.set _ZN7rocprim17ROCPRIM_400000_NS6detail17trampoline_kernelINS0_14default_configENS1_27upper_bound_config_selectorIjlEEZNS1_14transform_implILb0ES3_S5_N6thrust23THRUST_200600_302600_NS6detail15normal_iteratorINS8_7pointerIjNS8_11hip_rocprim5par_tENS8_11use_defaultESE_EEEENSA_INSB_IlSD_SE_SE_EEEEZNS1_13binary_searchIS3_S5_NSA_INS8_10device_ptrIjEEEESG_SI_NS1_21upper_bound_search_opENS9_16wrapped_functionINS8_6system6detail7generic6detail18binary_search_lessEbEEEE10hipError_tPvRmT1_T2_T3_mmT4_T5_P12ihipStream_tbEUlRKjE_EESV_SZ_S10_mS11_S14_bEUlT_E_NS1_11comp_targetILNS1_3genE9ELNS1_11target_archE1100ELNS1_3gpuE3ELNS1_3repE0EEENS1_30default_config_static_selectorELNS0_4arch9wavefront6targetE0EEEvSY_.has_indirect_call, 0
	.section	.AMDGPU.csdata,"",@progbits
; Kernel info:
; codeLenInByte = 0
; TotalNumSgprs: 0
; NumVgprs: 0
; ScratchSize: 0
; MemoryBound: 0
; FloatMode: 240
; IeeeMode: 1
; LDSByteSize: 0 bytes/workgroup (compile time only)
; SGPRBlocks: 0
; VGPRBlocks: 0
; NumSGPRsForWavesPerEU: 1
; NumVGPRsForWavesPerEU: 1
; Occupancy: 16
; WaveLimiterHint : 0
; COMPUTE_PGM_RSRC2:SCRATCH_EN: 0
; COMPUTE_PGM_RSRC2:USER_SGPR: 6
; COMPUTE_PGM_RSRC2:TRAP_HANDLER: 0
; COMPUTE_PGM_RSRC2:TGID_X_EN: 1
; COMPUTE_PGM_RSRC2:TGID_Y_EN: 0
; COMPUTE_PGM_RSRC2:TGID_Z_EN: 0
; COMPUTE_PGM_RSRC2:TIDIG_COMP_CNT: 0
	.section	.text._ZN7rocprim17ROCPRIM_400000_NS6detail17trampoline_kernelINS0_14default_configENS1_27upper_bound_config_selectorIjlEEZNS1_14transform_implILb0ES3_S5_N6thrust23THRUST_200600_302600_NS6detail15normal_iteratorINS8_7pointerIjNS8_11hip_rocprim5par_tENS8_11use_defaultESE_EEEENSA_INSB_IlSD_SE_SE_EEEEZNS1_13binary_searchIS3_S5_NSA_INS8_10device_ptrIjEEEESG_SI_NS1_21upper_bound_search_opENS9_16wrapped_functionINS8_6system6detail7generic6detail18binary_search_lessEbEEEE10hipError_tPvRmT1_T2_T3_mmT4_T5_P12ihipStream_tbEUlRKjE_EESV_SZ_S10_mS11_S14_bEUlT_E_NS1_11comp_targetILNS1_3genE8ELNS1_11target_archE1030ELNS1_3gpuE2ELNS1_3repE0EEENS1_30default_config_static_selectorELNS0_4arch9wavefront6targetE0EEEvSY_,"axG",@progbits,_ZN7rocprim17ROCPRIM_400000_NS6detail17trampoline_kernelINS0_14default_configENS1_27upper_bound_config_selectorIjlEEZNS1_14transform_implILb0ES3_S5_N6thrust23THRUST_200600_302600_NS6detail15normal_iteratorINS8_7pointerIjNS8_11hip_rocprim5par_tENS8_11use_defaultESE_EEEENSA_INSB_IlSD_SE_SE_EEEEZNS1_13binary_searchIS3_S5_NSA_INS8_10device_ptrIjEEEESG_SI_NS1_21upper_bound_search_opENS9_16wrapped_functionINS8_6system6detail7generic6detail18binary_search_lessEbEEEE10hipError_tPvRmT1_T2_T3_mmT4_T5_P12ihipStream_tbEUlRKjE_EESV_SZ_S10_mS11_S14_bEUlT_E_NS1_11comp_targetILNS1_3genE8ELNS1_11target_archE1030ELNS1_3gpuE2ELNS1_3repE0EEENS1_30default_config_static_selectorELNS0_4arch9wavefront6targetE0EEEvSY_,comdat
	.protected	_ZN7rocprim17ROCPRIM_400000_NS6detail17trampoline_kernelINS0_14default_configENS1_27upper_bound_config_selectorIjlEEZNS1_14transform_implILb0ES3_S5_N6thrust23THRUST_200600_302600_NS6detail15normal_iteratorINS8_7pointerIjNS8_11hip_rocprim5par_tENS8_11use_defaultESE_EEEENSA_INSB_IlSD_SE_SE_EEEEZNS1_13binary_searchIS3_S5_NSA_INS8_10device_ptrIjEEEESG_SI_NS1_21upper_bound_search_opENS9_16wrapped_functionINS8_6system6detail7generic6detail18binary_search_lessEbEEEE10hipError_tPvRmT1_T2_T3_mmT4_T5_P12ihipStream_tbEUlRKjE_EESV_SZ_S10_mS11_S14_bEUlT_E_NS1_11comp_targetILNS1_3genE8ELNS1_11target_archE1030ELNS1_3gpuE2ELNS1_3repE0EEENS1_30default_config_static_selectorELNS0_4arch9wavefront6targetE0EEEvSY_ ; -- Begin function _ZN7rocprim17ROCPRIM_400000_NS6detail17trampoline_kernelINS0_14default_configENS1_27upper_bound_config_selectorIjlEEZNS1_14transform_implILb0ES3_S5_N6thrust23THRUST_200600_302600_NS6detail15normal_iteratorINS8_7pointerIjNS8_11hip_rocprim5par_tENS8_11use_defaultESE_EEEENSA_INSB_IlSD_SE_SE_EEEEZNS1_13binary_searchIS3_S5_NSA_INS8_10device_ptrIjEEEESG_SI_NS1_21upper_bound_search_opENS9_16wrapped_functionINS8_6system6detail7generic6detail18binary_search_lessEbEEEE10hipError_tPvRmT1_T2_T3_mmT4_T5_P12ihipStream_tbEUlRKjE_EESV_SZ_S10_mS11_S14_bEUlT_E_NS1_11comp_targetILNS1_3genE8ELNS1_11target_archE1030ELNS1_3gpuE2ELNS1_3repE0EEENS1_30default_config_static_selectorELNS0_4arch9wavefront6targetE0EEEvSY_
	.globl	_ZN7rocprim17ROCPRIM_400000_NS6detail17trampoline_kernelINS0_14default_configENS1_27upper_bound_config_selectorIjlEEZNS1_14transform_implILb0ES3_S5_N6thrust23THRUST_200600_302600_NS6detail15normal_iteratorINS8_7pointerIjNS8_11hip_rocprim5par_tENS8_11use_defaultESE_EEEENSA_INSB_IlSD_SE_SE_EEEEZNS1_13binary_searchIS3_S5_NSA_INS8_10device_ptrIjEEEESG_SI_NS1_21upper_bound_search_opENS9_16wrapped_functionINS8_6system6detail7generic6detail18binary_search_lessEbEEEE10hipError_tPvRmT1_T2_T3_mmT4_T5_P12ihipStream_tbEUlRKjE_EESV_SZ_S10_mS11_S14_bEUlT_E_NS1_11comp_targetILNS1_3genE8ELNS1_11target_archE1030ELNS1_3gpuE2ELNS1_3repE0EEENS1_30default_config_static_selectorELNS0_4arch9wavefront6targetE0EEEvSY_
	.p2align	8
	.type	_ZN7rocprim17ROCPRIM_400000_NS6detail17trampoline_kernelINS0_14default_configENS1_27upper_bound_config_selectorIjlEEZNS1_14transform_implILb0ES3_S5_N6thrust23THRUST_200600_302600_NS6detail15normal_iteratorINS8_7pointerIjNS8_11hip_rocprim5par_tENS8_11use_defaultESE_EEEENSA_INSB_IlSD_SE_SE_EEEEZNS1_13binary_searchIS3_S5_NSA_INS8_10device_ptrIjEEEESG_SI_NS1_21upper_bound_search_opENS9_16wrapped_functionINS8_6system6detail7generic6detail18binary_search_lessEbEEEE10hipError_tPvRmT1_T2_T3_mmT4_T5_P12ihipStream_tbEUlRKjE_EESV_SZ_S10_mS11_S14_bEUlT_E_NS1_11comp_targetILNS1_3genE8ELNS1_11target_archE1030ELNS1_3gpuE2ELNS1_3repE0EEENS1_30default_config_static_selectorELNS0_4arch9wavefront6targetE0EEEvSY_,@function
_ZN7rocprim17ROCPRIM_400000_NS6detail17trampoline_kernelINS0_14default_configENS1_27upper_bound_config_selectorIjlEEZNS1_14transform_implILb0ES3_S5_N6thrust23THRUST_200600_302600_NS6detail15normal_iteratorINS8_7pointerIjNS8_11hip_rocprim5par_tENS8_11use_defaultESE_EEEENSA_INSB_IlSD_SE_SE_EEEEZNS1_13binary_searchIS3_S5_NSA_INS8_10device_ptrIjEEEESG_SI_NS1_21upper_bound_search_opENS9_16wrapped_functionINS8_6system6detail7generic6detail18binary_search_lessEbEEEE10hipError_tPvRmT1_T2_T3_mmT4_T5_P12ihipStream_tbEUlRKjE_EESV_SZ_S10_mS11_S14_bEUlT_E_NS1_11comp_targetILNS1_3genE8ELNS1_11target_archE1030ELNS1_3gpuE2ELNS1_3repE0EEENS1_30default_config_static_selectorELNS0_4arch9wavefront6targetE0EEEvSY_: ; @_ZN7rocprim17ROCPRIM_400000_NS6detail17trampoline_kernelINS0_14default_configENS1_27upper_bound_config_selectorIjlEEZNS1_14transform_implILb0ES3_S5_N6thrust23THRUST_200600_302600_NS6detail15normal_iteratorINS8_7pointerIjNS8_11hip_rocprim5par_tENS8_11use_defaultESE_EEEENSA_INSB_IlSD_SE_SE_EEEEZNS1_13binary_searchIS3_S5_NSA_INS8_10device_ptrIjEEEESG_SI_NS1_21upper_bound_search_opENS9_16wrapped_functionINS8_6system6detail7generic6detail18binary_search_lessEbEEEE10hipError_tPvRmT1_T2_T3_mmT4_T5_P12ihipStream_tbEUlRKjE_EESV_SZ_S10_mS11_S14_bEUlT_E_NS1_11comp_targetILNS1_3genE8ELNS1_11target_archE1030ELNS1_3gpuE2ELNS1_3repE0EEENS1_30default_config_static_selectorELNS0_4arch9wavefront6targetE0EEEvSY_
; %bb.0:
	s_clause 0x3
	s_load_dwordx4 s[12:15], s[4:5], 0x0
	s_load_dwordx4 s[0:3], s[4:5], 0x18
	s_load_dword s16, s[4:5], 0x38
	s_load_dwordx2 s[10:11], s[4:5], 0x28
	s_waitcnt lgkmcnt(0)
	s_lshl_b64 s[8:9], s[14:15], 2
	s_add_u32 s12, s12, s8
	s_addc_u32 s13, s13, s9
	s_lshl_b64 s[8:9], s[14:15], 3
	s_add_u32 s7, s0, s8
	s_addc_u32 s1, s1, s9
	s_add_i32 s16, s16, -1
	s_lshl_b32 s8, s6, 8
	s_mov_b32 s9, 0
	s_cmp_lg_u32 s6, s16
	s_mov_b32 s0, -1
	s_cbranch_scc0 .LBB553_7
; %bb.1:
	s_cmp_eq_u64 s[10:11], 0
	s_cbranch_scc1 .LBB553_5
; %bb.2:
	v_lshlrev_b32_e32 v1, 2, v0
	s_lshl_b64 s[14:15], s[8:9], 2
	v_mov_b32_e32 v3, s10
	s_add_u32 s0, s12, s14
	s_addc_u32 s6, s13, s15
	v_add_co_u32 v1, s0, s0, v1
	v_add_co_ci_u32_e64 v2, null, s6, 0, s0
	v_mov_b32_e32 v4, s11
	s_mov_b32 s0, 0
	flat_load_dword v5, v[1:2]
	v_mov_b32_e32 v1, 0
	v_mov_b32_e32 v2, 0
	s_inst_prefetch 0x1
	.p2align	6
.LBB553_3:                              ; =>This Inner Loop Header: Depth=1
	v_sub_co_u32 v6, vcc_lo, v3, v1
	v_sub_co_ci_u32_e64 v7, null, v4, v2, vcc_lo
	v_lshrrev_b64 v[8:9], 1, v[6:7]
	v_lshrrev_b64 v[6:7], 6, v[6:7]
	v_add_co_u32 v8, vcc_lo, v8, v1
	v_add_co_ci_u32_e64 v9, null, v9, v2, vcc_lo
	v_add_co_u32 v6, vcc_lo, v8, v6
	v_add_co_ci_u32_e64 v7, null, v9, v7, vcc_lo
	v_lshlrev_b64 v[8:9], 2, v[6:7]
	v_add_co_u32 v8, vcc_lo, s2, v8
	v_add_co_ci_u32_e64 v9, null, s3, v9, vcc_lo
	global_load_dword v8, v[8:9], off
	v_add_co_u32 v9, vcc_lo, v6, 1
	v_add_co_ci_u32_e64 v10, null, 0, v7, vcc_lo
	s_waitcnt vmcnt(0) lgkmcnt(0)
	v_cmp_lt_u32_e32 vcc_lo, v5, v8
	v_cndmask_b32_e32 v4, v4, v7, vcc_lo
	v_cndmask_b32_e32 v3, v3, v6, vcc_lo
	;; [unrolled: 1-line block ×4, first 2 shown]
	v_cmp_ge_u64_e32 vcc_lo, v[1:2], v[3:4]
	s_or_b32 s0, vcc_lo, s0
	s_andn2_b32 exec_lo, exec_lo, s0
	s_cbranch_execnz .LBB553_3
; %bb.4:
	s_inst_prefetch 0x2
	s_or_b32 exec_lo, exec_lo, s0
	s_branch .LBB553_6
.LBB553_5:
	v_mov_b32_e32 v1, 0
	v_mov_b32_e32 v2, 0
.LBB553_6:
	v_lshlrev_b32_e32 v3, 3, v0
	s_lshl_b64 s[14:15], s[8:9], 3
	s_add_u32 s0, s7, s14
	s_addc_u32 s6, s1, s15
	v_add_co_u32 v3, s0, s0, v3
	v_add_co_ci_u32_e64 v4, null, s6, 0, s0
	s_mov_b32 s0, 0
	flat_store_dwordx2 v[3:4], v[1:2]
.LBB553_7:
	s_and_b32 vcc_lo, exec_lo, s0
	s_cbranch_vccz .LBB553_16
; %bb.8:
	s_load_dword s0, s[4:5], 0x10
                                        ; implicit-def: $vgpr5
	s_waitcnt lgkmcnt(0)
	s_sub_i32 s4, s0, s8
	v_cmp_le_u32_e64 s0, s4, v0
	v_cmp_gt_u32_e32 vcc_lo, s4, v0
	s_and_saveexec_b32 s4, vcc_lo
	s_cbranch_execz .LBB553_10
; %bb.9:
	v_lshlrev_b32_e32 v1, 2, v0
	s_lshl_b64 s[14:15], s[8:9], 2
	s_add_u32 s5, s12, s14
	s_addc_u32 s6, s13, s15
	v_add_co_u32 v1, s5, s5, v1
	v_add_co_ci_u32_e64 v2, null, s6, 0, s5
	flat_load_dword v5, v[1:2]
.LBB553_10:
	s_or_b32 exec_lo, exec_lo, s4
	s_cmp_lg_u64 s[10:11], 0
	v_mov_b32_e32 v1, 0
	v_mov_b32_e32 v2, 0
	s_cselect_b32 s4, -1, 0
	s_xor_b32 s0, s0, -1
	s_and_b32 s0, s0, s4
	s_and_saveexec_b32 s4, s0
	s_cbranch_execz .LBB553_14
; %bb.11:
	v_mov_b32_e32 v1, 0
	v_mov_b32_e32 v3, s10
	;; [unrolled: 1-line block ×4, first 2 shown]
	s_mov_b32 s5, 0
	s_inst_prefetch 0x1
	.p2align	6
.LBB553_12:                             ; =>This Inner Loop Header: Depth=1
	v_sub_co_u32 v6, s0, v3, v1
	v_sub_co_ci_u32_e64 v7, null, v4, v2, s0
	v_lshrrev_b64 v[8:9], 1, v[6:7]
	v_lshrrev_b64 v[6:7], 6, v[6:7]
	v_add_co_u32 v8, s0, v8, v1
	v_add_co_ci_u32_e64 v9, null, v9, v2, s0
	v_add_co_u32 v6, s0, v8, v6
	v_add_co_ci_u32_e64 v7, null, v9, v7, s0
	v_lshlrev_b64 v[8:9], 2, v[6:7]
	v_add_co_u32 v8, s0, s2, v8
	v_add_co_ci_u32_e64 v9, null, s3, v9, s0
	global_load_dword v8, v[8:9], off
	v_add_co_u32 v9, s0, v6, 1
	v_add_co_ci_u32_e64 v10, null, 0, v7, s0
	s_waitcnt vmcnt(0) lgkmcnt(0)
	v_cmp_lt_u32_e64 s0, v5, v8
	v_cndmask_b32_e64 v4, v4, v7, s0
	v_cndmask_b32_e64 v3, v3, v6, s0
	;; [unrolled: 1-line block ×4, first 2 shown]
	v_cmp_ge_u64_e64 s0, v[1:2], v[3:4]
	s_or_b32 s5, s0, s5
	s_andn2_b32 exec_lo, exec_lo, s5
	s_cbranch_execnz .LBB553_12
; %bb.13:
	s_inst_prefetch 0x2
	s_or_b32 exec_lo, exec_lo, s5
.LBB553_14:
	s_or_b32 exec_lo, exec_lo, s4
	s_and_saveexec_b32 s0, vcc_lo
	s_cbranch_execz .LBB553_16
; %bb.15:
	v_lshlrev_b32_e32 v0, 3, v0
	s_lshl_b64 s[2:3], s[8:9], 3
	s_add_u32 s0, s7, s2
	s_addc_u32 s1, s1, s3
	v_add_co_u32 v3, s0, s0, v0
	v_add_co_ci_u32_e64 v4, null, s1, 0, s0
	flat_store_dwordx2 v[3:4], v[1:2]
.LBB553_16:
	s_endpgm
	.section	.rodata,"a",@progbits
	.p2align	6, 0x0
	.amdhsa_kernel _ZN7rocprim17ROCPRIM_400000_NS6detail17trampoline_kernelINS0_14default_configENS1_27upper_bound_config_selectorIjlEEZNS1_14transform_implILb0ES3_S5_N6thrust23THRUST_200600_302600_NS6detail15normal_iteratorINS8_7pointerIjNS8_11hip_rocprim5par_tENS8_11use_defaultESE_EEEENSA_INSB_IlSD_SE_SE_EEEEZNS1_13binary_searchIS3_S5_NSA_INS8_10device_ptrIjEEEESG_SI_NS1_21upper_bound_search_opENS9_16wrapped_functionINS8_6system6detail7generic6detail18binary_search_lessEbEEEE10hipError_tPvRmT1_T2_T3_mmT4_T5_P12ihipStream_tbEUlRKjE_EESV_SZ_S10_mS11_S14_bEUlT_E_NS1_11comp_targetILNS1_3genE8ELNS1_11target_archE1030ELNS1_3gpuE2ELNS1_3repE0EEENS1_30default_config_static_selectorELNS0_4arch9wavefront6targetE0EEEvSY_
		.amdhsa_group_segment_fixed_size 0
		.amdhsa_private_segment_fixed_size 0
		.amdhsa_kernarg_size 312
		.amdhsa_user_sgpr_count 6
		.amdhsa_user_sgpr_private_segment_buffer 1
		.amdhsa_user_sgpr_dispatch_ptr 0
		.amdhsa_user_sgpr_queue_ptr 0
		.amdhsa_user_sgpr_kernarg_segment_ptr 1
		.amdhsa_user_sgpr_dispatch_id 0
		.amdhsa_user_sgpr_flat_scratch_init 0
		.amdhsa_user_sgpr_private_segment_size 0
		.amdhsa_wavefront_size32 1
		.amdhsa_uses_dynamic_stack 0
		.amdhsa_system_sgpr_private_segment_wavefront_offset 0
		.amdhsa_system_sgpr_workgroup_id_x 1
		.amdhsa_system_sgpr_workgroup_id_y 0
		.amdhsa_system_sgpr_workgroup_id_z 0
		.amdhsa_system_sgpr_workgroup_info 0
		.amdhsa_system_vgpr_workitem_id 0
		.amdhsa_next_free_vgpr 11
		.amdhsa_next_free_sgpr 17
		.amdhsa_reserve_vcc 1
		.amdhsa_reserve_flat_scratch 0
		.amdhsa_float_round_mode_32 0
		.amdhsa_float_round_mode_16_64 0
		.amdhsa_float_denorm_mode_32 3
		.amdhsa_float_denorm_mode_16_64 3
		.amdhsa_dx10_clamp 1
		.amdhsa_ieee_mode 1
		.amdhsa_fp16_overflow 0
		.amdhsa_workgroup_processor_mode 1
		.amdhsa_memory_ordered 1
		.amdhsa_forward_progress 1
		.amdhsa_shared_vgpr_count 0
		.amdhsa_exception_fp_ieee_invalid_op 0
		.amdhsa_exception_fp_denorm_src 0
		.amdhsa_exception_fp_ieee_div_zero 0
		.amdhsa_exception_fp_ieee_overflow 0
		.amdhsa_exception_fp_ieee_underflow 0
		.amdhsa_exception_fp_ieee_inexact 0
		.amdhsa_exception_int_div_zero 0
	.end_amdhsa_kernel
	.section	.text._ZN7rocprim17ROCPRIM_400000_NS6detail17trampoline_kernelINS0_14default_configENS1_27upper_bound_config_selectorIjlEEZNS1_14transform_implILb0ES3_S5_N6thrust23THRUST_200600_302600_NS6detail15normal_iteratorINS8_7pointerIjNS8_11hip_rocprim5par_tENS8_11use_defaultESE_EEEENSA_INSB_IlSD_SE_SE_EEEEZNS1_13binary_searchIS3_S5_NSA_INS8_10device_ptrIjEEEESG_SI_NS1_21upper_bound_search_opENS9_16wrapped_functionINS8_6system6detail7generic6detail18binary_search_lessEbEEEE10hipError_tPvRmT1_T2_T3_mmT4_T5_P12ihipStream_tbEUlRKjE_EESV_SZ_S10_mS11_S14_bEUlT_E_NS1_11comp_targetILNS1_3genE8ELNS1_11target_archE1030ELNS1_3gpuE2ELNS1_3repE0EEENS1_30default_config_static_selectorELNS0_4arch9wavefront6targetE0EEEvSY_,"axG",@progbits,_ZN7rocprim17ROCPRIM_400000_NS6detail17trampoline_kernelINS0_14default_configENS1_27upper_bound_config_selectorIjlEEZNS1_14transform_implILb0ES3_S5_N6thrust23THRUST_200600_302600_NS6detail15normal_iteratorINS8_7pointerIjNS8_11hip_rocprim5par_tENS8_11use_defaultESE_EEEENSA_INSB_IlSD_SE_SE_EEEEZNS1_13binary_searchIS3_S5_NSA_INS8_10device_ptrIjEEEESG_SI_NS1_21upper_bound_search_opENS9_16wrapped_functionINS8_6system6detail7generic6detail18binary_search_lessEbEEEE10hipError_tPvRmT1_T2_T3_mmT4_T5_P12ihipStream_tbEUlRKjE_EESV_SZ_S10_mS11_S14_bEUlT_E_NS1_11comp_targetILNS1_3genE8ELNS1_11target_archE1030ELNS1_3gpuE2ELNS1_3repE0EEENS1_30default_config_static_selectorELNS0_4arch9wavefront6targetE0EEEvSY_,comdat
.Lfunc_end553:
	.size	_ZN7rocprim17ROCPRIM_400000_NS6detail17trampoline_kernelINS0_14default_configENS1_27upper_bound_config_selectorIjlEEZNS1_14transform_implILb0ES3_S5_N6thrust23THRUST_200600_302600_NS6detail15normal_iteratorINS8_7pointerIjNS8_11hip_rocprim5par_tENS8_11use_defaultESE_EEEENSA_INSB_IlSD_SE_SE_EEEEZNS1_13binary_searchIS3_S5_NSA_INS8_10device_ptrIjEEEESG_SI_NS1_21upper_bound_search_opENS9_16wrapped_functionINS8_6system6detail7generic6detail18binary_search_lessEbEEEE10hipError_tPvRmT1_T2_T3_mmT4_T5_P12ihipStream_tbEUlRKjE_EESV_SZ_S10_mS11_S14_bEUlT_E_NS1_11comp_targetILNS1_3genE8ELNS1_11target_archE1030ELNS1_3gpuE2ELNS1_3repE0EEENS1_30default_config_static_selectorELNS0_4arch9wavefront6targetE0EEEvSY_, .Lfunc_end553-_ZN7rocprim17ROCPRIM_400000_NS6detail17trampoline_kernelINS0_14default_configENS1_27upper_bound_config_selectorIjlEEZNS1_14transform_implILb0ES3_S5_N6thrust23THRUST_200600_302600_NS6detail15normal_iteratorINS8_7pointerIjNS8_11hip_rocprim5par_tENS8_11use_defaultESE_EEEENSA_INSB_IlSD_SE_SE_EEEEZNS1_13binary_searchIS3_S5_NSA_INS8_10device_ptrIjEEEESG_SI_NS1_21upper_bound_search_opENS9_16wrapped_functionINS8_6system6detail7generic6detail18binary_search_lessEbEEEE10hipError_tPvRmT1_T2_T3_mmT4_T5_P12ihipStream_tbEUlRKjE_EESV_SZ_S10_mS11_S14_bEUlT_E_NS1_11comp_targetILNS1_3genE8ELNS1_11target_archE1030ELNS1_3gpuE2ELNS1_3repE0EEENS1_30default_config_static_selectorELNS0_4arch9wavefront6targetE0EEEvSY_
                                        ; -- End function
	.set _ZN7rocprim17ROCPRIM_400000_NS6detail17trampoline_kernelINS0_14default_configENS1_27upper_bound_config_selectorIjlEEZNS1_14transform_implILb0ES3_S5_N6thrust23THRUST_200600_302600_NS6detail15normal_iteratorINS8_7pointerIjNS8_11hip_rocprim5par_tENS8_11use_defaultESE_EEEENSA_INSB_IlSD_SE_SE_EEEEZNS1_13binary_searchIS3_S5_NSA_INS8_10device_ptrIjEEEESG_SI_NS1_21upper_bound_search_opENS9_16wrapped_functionINS8_6system6detail7generic6detail18binary_search_lessEbEEEE10hipError_tPvRmT1_T2_T3_mmT4_T5_P12ihipStream_tbEUlRKjE_EESV_SZ_S10_mS11_S14_bEUlT_E_NS1_11comp_targetILNS1_3genE8ELNS1_11target_archE1030ELNS1_3gpuE2ELNS1_3repE0EEENS1_30default_config_static_selectorELNS0_4arch9wavefront6targetE0EEEvSY_.num_vgpr, 11
	.set _ZN7rocprim17ROCPRIM_400000_NS6detail17trampoline_kernelINS0_14default_configENS1_27upper_bound_config_selectorIjlEEZNS1_14transform_implILb0ES3_S5_N6thrust23THRUST_200600_302600_NS6detail15normal_iteratorINS8_7pointerIjNS8_11hip_rocprim5par_tENS8_11use_defaultESE_EEEENSA_INSB_IlSD_SE_SE_EEEEZNS1_13binary_searchIS3_S5_NSA_INS8_10device_ptrIjEEEESG_SI_NS1_21upper_bound_search_opENS9_16wrapped_functionINS8_6system6detail7generic6detail18binary_search_lessEbEEEE10hipError_tPvRmT1_T2_T3_mmT4_T5_P12ihipStream_tbEUlRKjE_EESV_SZ_S10_mS11_S14_bEUlT_E_NS1_11comp_targetILNS1_3genE8ELNS1_11target_archE1030ELNS1_3gpuE2ELNS1_3repE0EEENS1_30default_config_static_selectorELNS0_4arch9wavefront6targetE0EEEvSY_.num_agpr, 0
	.set _ZN7rocprim17ROCPRIM_400000_NS6detail17trampoline_kernelINS0_14default_configENS1_27upper_bound_config_selectorIjlEEZNS1_14transform_implILb0ES3_S5_N6thrust23THRUST_200600_302600_NS6detail15normal_iteratorINS8_7pointerIjNS8_11hip_rocprim5par_tENS8_11use_defaultESE_EEEENSA_INSB_IlSD_SE_SE_EEEEZNS1_13binary_searchIS3_S5_NSA_INS8_10device_ptrIjEEEESG_SI_NS1_21upper_bound_search_opENS9_16wrapped_functionINS8_6system6detail7generic6detail18binary_search_lessEbEEEE10hipError_tPvRmT1_T2_T3_mmT4_T5_P12ihipStream_tbEUlRKjE_EESV_SZ_S10_mS11_S14_bEUlT_E_NS1_11comp_targetILNS1_3genE8ELNS1_11target_archE1030ELNS1_3gpuE2ELNS1_3repE0EEENS1_30default_config_static_selectorELNS0_4arch9wavefront6targetE0EEEvSY_.numbered_sgpr, 17
	.set _ZN7rocprim17ROCPRIM_400000_NS6detail17trampoline_kernelINS0_14default_configENS1_27upper_bound_config_selectorIjlEEZNS1_14transform_implILb0ES3_S5_N6thrust23THRUST_200600_302600_NS6detail15normal_iteratorINS8_7pointerIjNS8_11hip_rocprim5par_tENS8_11use_defaultESE_EEEENSA_INSB_IlSD_SE_SE_EEEEZNS1_13binary_searchIS3_S5_NSA_INS8_10device_ptrIjEEEESG_SI_NS1_21upper_bound_search_opENS9_16wrapped_functionINS8_6system6detail7generic6detail18binary_search_lessEbEEEE10hipError_tPvRmT1_T2_T3_mmT4_T5_P12ihipStream_tbEUlRKjE_EESV_SZ_S10_mS11_S14_bEUlT_E_NS1_11comp_targetILNS1_3genE8ELNS1_11target_archE1030ELNS1_3gpuE2ELNS1_3repE0EEENS1_30default_config_static_selectorELNS0_4arch9wavefront6targetE0EEEvSY_.num_named_barrier, 0
	.set _ZN7rocprim17ROCPRIM_400000_NS6detail17trampoline_kernelINS0_14default_configENS1_27upper_bound_config_selectorIjlEEZNS1_14transform_implILb0ES3_S5_N6thrust23THRUST_200600_302600_NS6detail15normal_iteratorINS8_7pointerIjNS8_11hip_rocprim5par_tENS8_11use_defaultESE_EEEENSA_INSB_IlSD_SE_SE_EEEEZNS1_13binary_searchIS3_S5_NSA_INS8_10device_ptrIjEEEESG_SI_NS1_21upper_bound_search_opENS9_16wrapped_functionINS8_6system6detail7generic6detail18binary_search_lessEbEEEE10hipError_tPvRmT1_T2_T3_mmT4_T5_P12ihipStream_tbEUlRKjE_EESV_SZ_S10_mS11_S14_bEUlT_E_NS1_11comp_targetILNS1_3genE8ELNS1_11target_archE1030ELNS1_3gpuE2ELNS1_3repE0EEENS1_30default_config_static_selectorELNS0_4arch9wavefront6targetE0EEEvSY_.private_seg_size, 0
	.set _ZN7rocprim17ROCPRIM_400000_NS6detail17trampoline_kernelINS0_14default_configENS1_27upper_bound_config_selectorIjlEEZNS1_14transform_implILb0ES3_S5_N6thrust23THRUST_200600_302600_NS6detail15normal_iteratorINS8_7pointerIjNS8_11hip_rocprim5par_tENS8_11use_defaultESE_EEEENSA_INSB_IlSD_SE_SE_EEEEZNS1_13binary_searchIS3_S5_NSA_INS8_10device_ptrIjEEEESG_SI_NS1_21upper_bound_search_opENS9_16wrapped_functionINS8_6system6detail7generic6detail18binary_search_lessEbEEEE10hipError_tPvRmT1_T2_T3_mmT4_T5_P12ihipStream_tbEUlRKjE_EESV_SZ_S10_mS11_S14_bEUlT_E_NS1_11comp_targetILNS1_3genE8ELNS1_11target_archE1030ELNS1_3gpuE2ELNS1_3repE0EEENS1_30default_config_static_selectorELNS0_4arch9wavefront6targetE0EEEvSY_.uses_vcc, 1
	.set _ZN7rocprim17ROCPRIM_400000_NS6detail17trampoline_kernelINS0_14default_configENS1_27upper_bound_config_selectorIjlEEZNS1_14transform_implILb0ES3_S5_N6thrust23THRUST_200600_302600_NS6detail15normal_iteratorINS8_7pointerIjNS8_11hip_rocprim5par_tENS8_11use_defaultESE_EEEENSA_INSB_IlSD_SE_SE_EEEEZNS1_13binary_searchIS3_S5_NSA_INS8_10device_ptrIjEEEESG_SI_NS1_21upper_bound_search_opENS9_16wrapped_functionINS8_6system6detail7generic6detail18binary_search_lessEbEEEE10hipError_tPvRmT1_T2_T3_mmT4_T5_P12ihipStream_tbEUlRKjE_EESV_SZ_S10_mS11_S14_bEUlT_E_NS1_11comp_targetILNS1_3genE8ELNS1_11target_archE1030ELNS1_3gpuE2ELNS1_3repE0EEENS1_30default_config_static_selectorELNS0_4arch9wavefront6targetE0EEEvSY_.uses_flat_scratch, 0
	.set _ZN7rocprim17ROCPRIM_400000_NS6detail17trampoline_kernelINS0_14default_configENS1_27upper_bound_config_selectorIjlEEZNS1_14transform_implILb0ES3_S5_N6thrust23THRUST_200600_302600_NS6detail15normal_iteratorINS8_7pointerIjNS8_11hip_rocprim5par_tENS8_11use_defaultESE_EEEENSA_INSB_IlSD_SE_SE_EEEEZNS1_13binary_searchIS3_S5_NSA_INS8_10device_ptrIjEEEESG_SI_NS1_21upper_bound_search_opENS9_16wrapped_functionINS8_6system6detail7generic6detail18binary_search_lessEbEEEE10hipError_tPvRmT1_T2_T3_mmT4_T5_P12ihipStream_tbEUlRKjE_EESV_SZ_S10_mS11_S14_bEUlT_E_NS1_11comp_targetILNS1_3genE8ELNS1_11target_archE1030ELNS1_3gpuE2ELNS1_3repE0EEENS1_30default_config_static_selectorELNS0_4arch9wavefront6targetE0EEEvSY_.has_dyn_sized_stack, 0
	.set _ZN7rocprim17ROCPRIM_400000_NS6detail17trampoline_kernelINS0_14default_configENS1_27upper_bound_config_selectorIjlEEZNS1_14transform_implILb0ES3_S5_N6thrust23THRUST_200600_302600_NS6detail15normal_iteratorINS8_7pointerIjNS8_11hip_rocprim5par_tENS8_11use_defaultESE_EEEENSA_INSB_IlSD_SE_SE_EEEEZNS1_13binary_searchIS3_S5_NSA_INS8_10device_ptrIjEEEESG_SI_NS1_21upper_bound_search_opENS9_16wrapped_functionINS8_6system6detail7generic6detail18binary_search_lessEbEEEE10hipError_tPvRmT1_T2_T3_mmT4_T5_P12ihipStream_tbEUlRKjE_EESV_SZ_S10_mS11_S14_bEUlT_E_NS1_11comp_targetILNS1_3genE8ELNS1_11target_archE1030ELNS1_3gpuE2ELNS1_3repE0EEENS1_30default_config_static_selectorELNS0_4arch9wavefront6targetE0EEEvSY_.has_recursion, 0
	.set _ZN7rocprim17ROCPRIM_400000_NS6detail17trampoline_kernelINS0_14default_configENS1_27upper_bound_config_selectorIjlEEZNS1_14transform_implILb0ES3_S5_N6thrust23THRUST_200600_302600_NS6detail15normal_iteratorINS8_7pointerIjNS8_11hip_rocprim5par_tENS8_11use_defaultESE_EEEENSA_INSB_IlSD_SE_SE_EEEEZNS1_13binary_searchIS3_S5_NSA_INS8_10device_ptrIjEEEESG_SI_NS1_21upper_bound_search_opENS9_16wrapped_functionINS8_6system6detail7generic6detail18binary_search_lessEbEEEE10hipError_tPvRmT1_T2_T3_mmT4_T5_P12ihipStream_tbEUlRKjE_EESV_SZ_S10_mS11_S14_bEUlT_E_NS1_11comp_targetILNS1_3genE8ELNS1_11target_archE1030ELNS1_3gpuE2ELNS1_3repE0EEENS1_30default_config_static_selectorELNS0_4arch9wavefront6targetE0EEEvSY_.has_indirect_call, 0
	.section	.AMDGPU.csdata,"",@progbits
; Kernel info:
; codeLenInByte = 816
; TotalNumSgprs: 19
; NumVgprs: 11
; ScratchSize: 0
; MemoryBound: 0
; FloatMode: 240
; IeeeMode: 1
; LDSByteSize: 0 bytes/workgroup (compile time only)
; SGPRBlocks: 0
; VGPRBlocks: 1
; NumSGPRsForWavesPerEU: 19
; NumVGPRsForWavesPerEU: 11
; Occupancy: 16
; WaveLimiterHint : 0
; COMPUTE_PGM_RSRC2:SCRATCH_EN: 0
; COMPUTE_PGM_RSRC2:USER_SGPR: 6
; COMPUTE_PGM_RSRC2:TRAP_HANDLER: 0
; COMPUTE_PGM_RSRC2:TGID_X_EN: 1
; COMPUTE_PGM_RSRC2:TGID_Y_EN: 0
; COMPUTE_PGM_RSRC2:TGID_Z_EN: 0
; COMPUTE_PGM_RSRC2:TIDIG_COMP_CNT: 0
	.section	.text._ZN7rocprim17ROCPRIM_400000_NS6detail17trampoline_kernelINS0_14default_configENS1_27upper_bound_config_selectorItlEEZNS1_14transform_implILb0ES3_S5_N6thrust23THRUST_200600_302600_NS6detail15normal_iteratorINS8_7pointerItNS8_11hip_rocprim5par_tENS8_11use_defaultESE_EEEENSA_INSB_IlSD_SE_SE_EEEEZNS1_13binary_searchIS3_S5_NSA_INS8_10device_ptrItEEEESG_SI_NS1_21upper_bound_search_opENS9_16wrapped_functionINS8_6system6detail7generic6detail18binary_search_lessEbEEEE10hipError_tPvRmT1_T2_T3_mmT4_T5_P12ihipStream_tbEUlRKtE_EESV_SZ_S10_mS11_S14_bEUlT_E_NS1_11comp_targetILNS1_3genE0ELNS1_11target_archE4294967295ELNS1_3gpuE0ELNS1_3repE0EEENS1_30default_config_static_selectorELNS0_4arch9wavefront6targetE0EEEvSY_,"axG",@progbits,_ZN7rocprim17ROCPRIM_400000_NS6detail17trampoline_kernelINS0_14default_configENS1_27upper_bound_config_selectorItlEEZNS1_14transform_implILb0ES3_S5_N6thrust23THRUST_200600_302600_NS6detail15normal_iteratorINS8_7pointerItNS8_11hip_rocprim5par_tENS8_11use_defaultESE_EEEENSA_INSB_IlSD_SE_SE_EEEEZNS1_13binary_searchIS3_S5_NSA_INS8_10device_ptrItEEEESG_SI_NS1_21upper_bound_search_opENS9_16wrapped_functionINS8_6system6detail7generic6detail18binary_search_lessEbEEEE10hipError_tPvRmT1_T2_T3_mmT4_T5_P12ihipStream_tbEUlRKtE_EESV_SZ_S10_mS11_S14_bEUlT_E_NS1_11comp_targetILNS1_3genE0ELNS1_11target_archE4294967295ELNS1_3gpuE0ELNS1_3repE0EEENS1_30default_config_static_selectorELNS0_4arch9wavefront6targetE0EEEvSY_,comdat
	.protected	_ZN7rocprim17ROCPRIM_400000_NS6detail17trampoline_kernelINS0_14default_configENS1_27upper_bound_config_selectorItlEEZNS1_14transform_implILb0ES3_S5_N6thrust23THRUST_200600_302600_NS6detail15normal_iteratorINS8_7pointerItNS8_11hip_rocprim5par_tENS8_11use_defaultESE_EEEENSA_INSB_IlSD_SE_SE_EEEEZNS1_13binary_searchIS3_S5_NSA_INS8_10device_ptrItEEEESG_SI_NS1_21upper_bound_search_opENS9_16wrapped_functionINS8_6system6detail7generic6detail18binary_search_lessEbEEEE10hipError_tPvRmT1_T2_T3_mmT4_T5_P12ihipStream_tbEUlRKtE_EESV_SZ_S10_mS11_S14_bEUlT_E_NS1_11comp_targetILNS1_3genE0ELNS1_11target_archE4294967295ELNS1_3gpuE0ELNS1_3repE0EEENS1_30default_config_static_selectorELNS0_4arch9wavefront6targetE0EEEvSY_ ; -- Begin function _ZN7rocprim17ROCPRIM_400000_NS6detail17trampoline_kernelINS0_14default_configENS1_27upper_bound_config_selectorItlEEZNS1_14transform_implILb0ES3_S5_N6thrust23THRUST_200600_302600_NS6detail15normal_iteratorINS8_7pointerItNS8_11hip_rocprim5par_tENS8_11use_defaultESE_EEEENSA_INSB_IlSD_SE_SE_EEEEZNS1_13binary_searchIS3_S5_NSA_INS8_10device_ptrItEEEESG_SI_NS1_21upper_bound_search_opENS9_16wrapped_functionINS8_6system6detail7generic6detail18binary_search_lessEbEEEE10hipError_tPvRmT1_T2_T3_mmT4_T5_P12ihipStream_tbEUlRKtE_EESV_SZ_S10_mS11_S14_bEUlT_E_NS1_11comp_targetILNS1_3genE0ELNS1_11target_archE4294967295ELNS1_3gpuE0ELNS1_3repE0EEENS1_30default_config_static_selectorELNS0_4arch9wavefront6targetE0EEEvSY_
	.globl	_ZN7rocprim17ROCPRIM_400000_NS6detail17trampoline_kernelINS0_14default_configENS1_27upper_bound_config_selectorItlEEZNS1_14transform_implILb0ES3_S5_N6thrust23THRUST_200600_302600_NS6detail15normal_iteratorINS8_7pointerItNS8_11hip_rocprim5par_tENS8_11use_defaultESE_EEEENSA_INSB_IlSD_SE_SE_EEEEZNS1_13binary_searchIS3_S5_NSA_INS8_10device_ptrItEEEESG_SI_NS1_21upper_bound_search_opENS9_16wrapped_functionINS8_6system6detail7generic6detail18binary_search_lessEbEEEE10hipError_tPvRmT1_T2_T3_mmT4_T5_P12ihipStream_tbEUlRKtE_EESV_SZ_S10_mS11_S14_bEUlT_E_NS1_11comp_targetILNS1_3genE0ELNS1_11target_archE4294967295ELNS1_3gpuE0ELNS1_3repE0EEENS1_30default_config_static_selectorELNS0_4arch9wavefront6targetE0EEEvSY_
	.p2align	8
	.type	_ZN7rocprim17ROCPRIM_400000_NS6detail17trampoline_kernelINS0_14default_configENS1_27upper_bound_config_selectorItlEEZNS1_14transform_implILb0ES3_S5_N6thrust23THRUST_200600_302600_NS6detail15normal_iteratorINS8_7pointerItNS8_11hip_rocprim5par_tENS8_11use_defaultESE_EEEENSA_INSB_IlSD_SE_SE_EEEEZNS1_13binary_searchIS3_S5_NSA_INS8_10device_ptrItEEEESG_SI_NS1_21upper_bound_search_opENS9_16wrapped_functionINS8_6system6detail7generic6detail18binary_search_lessEbEEEE10hipError_tPvRmT1_T2_T3_mmT4_T5_P12ihipStream_tbEUlRKtE_EESV_SZ_S10_mS11_S14_bEUlT_E_NS1_11comp_targetILNS1_3genE0ELNS1_11target_archE4294967295ELNS1_3gpuE0ELNS1_3repE0EEENS1_30default_config_static_selectorELNS0_4arch9wavefront6targetE0EEEvSY_,@function
_ZN7rocprim17ROCPRIM_400000_NS6detail17trampoline_kernelINS0_14default_configENS1_27upper_bound_config_selectorItlEEZNS1_14transform_implILb0ES3_S5_N6thrust23THRUST_200600_302600_NS6detail15normal_iteratorINS8_7pointerItNS8_11hip_rocprim5par_tENS8_11use_defaultESE_EEEENSA_INSB_IlSD_SE_SE_EEEEZNS1_13binary_searchIS3_S5_NSA_INS8_10device_ptrItEEEESG_SI_NS1_21upper_bound_search_opENS9_16wrapped_functionINS8_6system6detail7generic6detail18binary_search_lessEbEEEE10hipError_tPvRmT1_T2_T3_mmT4_T5_P12ihipStream_tbEUlRKtE_EESV_SZ_S10_mS11_S14_bEUlT_E_NS1_11comp_targetILNS1_3genE0ELNS1_11target_archE4294967295ELNS1_3gpuE0ELNS1_3repE0EEENS1_30default_config_static_selectorELNS0_4arch9wavefront6targetE0EEEvSY_: ; @_ZN7rocprim17ROCPRIM_400000_NS6detail17trampoline_kernelINS0_14default_configENS1_27upper_bound_config_selectorItlEEZNS1_14transform_implILb0ES3_S5_N6thrust23THRUST_200600_302600_NS6detail15normal_iteratorINS8_7pointerItNS8_11hip_rocprim5par_tENS8_11use_defaultESE_EEEENSA_INSB_IlSD_SE_SE_EEEEZNS1_13binary_searchIS3_S5_NSA_INS8_10device_ptrItEEEESG_SI_NS1_21upper_bound_search_opENS9_16wrapped_functionINS8_6system6detail7generic6detail18binary_search_lessEbEEEE10hipError_tPvRmT1_T2_T3_mmT4_T5_P12ihipStream_tbEUlRKtE_EESV_SZ_S10_mS11_S14_bEUlT_E_NS1_11comp_targetILNS1_3genE0ELNS1_11target_archE4294967295ELNS1_3gpuE0ELNS1_3repE0EEENS1_30default_config_static_selectorELNS0_4arch9wavefront6targetE0EEEvSY_
; %bb.0:
	.section	.rodata,"a",@progbits
	.p2align	6, 0x0
	.amdhsa_kernel _ZN7rocprim17ROCPRIM_400000_NS6detail17trampoline_kernelINS0_14default_configENS1_27upper_bound_config_selectorItlEEZNS1_14transform_implILb0ES3_S5_N6thrust23THRUST_200600_302600_NS6detail15normal_iteratorINS8_7pointerItNS8_11hip_rocprim5par_tENS8_11use_defaultESE_EEEENSA_INSB_IlSD_SE_SE_EEEEZNS1_13binary_searchIS3_S5_NSA_INS8_10device_ptrItEEEESG_SI_NS1_21upper_bound_search_opENS9_16wrapped_functionINS8_6system6detail7generic6detail18binary_search_lessEbEEEE10hipError_tPvRmT1_T2_T3_mmT4_T5_P12ihipStream_tbEUlRKtE_EESV_SZ_S10_mS11_S14_bEUlT_E_NS1_11comp_targetILNS1_3genE0ELNS1_11target_archE4294967295ELNS1_3gpuE0ELNS1_3repE0EEENS1_30default_config_static_selectorELNS0_4arch9wavefront6targetE0EEEvSY_
		.amdhsa_group_segment_fixed_size 0
		.amdhsa_private_segment_fixed_size 0
		.amdhsa_kernarg_size 56
		.amdhsa_user_sgpr_count 6
		.amdhsa_user_sgpr_private_segment_buffer 1
		.amdhsa_user_sgpr_dispatch_ptr 0
		.amdhsa_user_sgpr_queue_ptr 0
		.amdhsa_user_sgpr_kernarg_segment_ptr 1
		.amdhsa_user_sgpr_dispatch_id 0
		.amdhsa_user_sgpr_flat_scratch_init 0
		.amdhsa_user_sgpr_private_segment_size 0
		.amdhsa_wavefront_size32 1
		.amdhsa_uses_dynamic_stack 0
		.amdhsa_system_sgpr_private_segment_wavefront_offset 0
		.amdhsa_system_sgpr_workgroup_id_x 1
		.amdhsa_system_sgpr_workgroup_id_y 0
		.amdhsa_system_sgpr_workgroup_id_z 0
		.amdhsa_system_sgpr_workgroup_info 0
		.amdhsa_system_vgpr_workitem_id 0
		.amdhsa_next_free_vgpr 1
		.amdhsa_next_free_sgpr 1
		.amdhsa_reserve_vcc 0
		.amdhsa_reserve_flat_scratch 0
		.amdhsa_float_round_mode_32 0
		.amdhsa_float_round_mode_16_64 0
		.amdhsa_float_denorm_mode_32 3
		.amdhsa_float_denorm_mode_16_64 3
		.amdhsa_dx10_clamp 1
		.amdhsa_ieee_mode 1
		.amdhsa_fp16_overflow 0
		.amdhsa_workgroup_processor_mode 1
		.amdhsa_memory_ordered 1
		.amdhsa_forward_progress 1
		.amdhsa_shared_vgpr_count 0
		.amdhsa_exception_fp_ieee_invalid_op 0
		.amdhsa_exception_fp_denorm_src 0
		.amdhsa_exception_fp_ieee_div_zero 0
		.amdhsa_exception_fp_ieee_overflow 0
		.amdhsa_exception_fp_ieee_underflow 0
		.amdhsa_exception_fp_ieee_inexact 0
		.amdhsa_exception_int_div_zero 0
	.end_amdhsa_kernel
	.section	.text._ZN7rocprim17ROCPRIM_400000_NS6detail17trampoline_kernelINS0_14default_configENS1_27upper_bound_config_selectorItlEEZNS1_14transform_implILb0ES3_S5_N6thrust23THRUST_200600_302600_NS6detail15normal_iteratorINS8_7pointerItNS8_11hip_rocprim5par_tENS8_11use_defaultESE_EEEENSA_INSB_IlSD_SE_SE_EEEEZNS1_13binary_searchIS3_S5_NSA_INS8_10device_ptrItEEEESG_SI_NS1_21upper_bound_search_opENS9_16wrapped_functionINS8_6system6detail7generic6detail18binary_search_lessEbEEEE10hipError_tPvRmT1_T2_T3_mmT4_T5_P12ihipStream_tbEUlRKtE_EESV_SZ_S10_mS11_S14_bEUlT_E_NS1_11comp_targetILNS1_3genE0ELNS1_11target_archE4294967295ELNS1_3gpuE0ELNS1_3repE0EEENS1_30default_config_static_selectorELNS0_4arch9wavefront6targetE0EEEvSY_,"axG",@progbits,_ZN7rocprim17ROCPRIM_400000_NS6detail17trampoline_kernelINS0_14default_configENS1_27upper_bound_config_selectorItlEEZNS1_14transform_implILb0ES3_S5_N6thrust23THRUST_200600_302600_NS6detail15normal_iteratorINS8_7pointerItNS8_11hip_rocprim5par_tENS8_11use_defaultESE_EEEENSA_INSB_IlSD_SE_SE_EEEEZNS1_13binary_searchIS3_S5_NSA_INS8_10device_ptrItEEEESG_SI_NS1_21upper_bound_search_opENS9_16wrapped_functionINS8_6system6detail7generic6detail18binary_search_lessEbEEEE10hipError_tPvRmT1_T2_T3_mmT4_T5_P12ihipStream_tbEUlRKtE_EESV_SZ_S10_mS11_S14_bEUlT_E_NS1_11comp_targetILNS1_3genE0ELNS1_11target_archE4294967295ELNS1_3gpuE0ELNS1_3repE0EEENS1_30default_config_static_selectorELNS0_4arch9wavefront6targetE0EEEvSY_,comdat
.Lfunc_end554:
	.size	_ZN7rocprim17ROCPRIM_400000_NS6detail17trampoline_kernelINS0_14default_configENS1_27upper_bound_config_selectorItlEEZNS1_14transform_implILb0ES3_S5_N6thrust23THRUST_200600_302600_NS6detail15normal_iteratorINS8_7pointerItNS8_11hip_rocprim5par_tENS8_11use_defaultESE_EEEENSA_INSB_IlSD_SE_SE_EEEEZNS1_13binary_searchIS3_S5_NSA_INS8_10device_ptrItEEEESG_SI_NS1_21upper_bound_search_opENS9_16wrapped_functionINS8_6system6detail7generic6detail18binary_search_lessEbEEEE10hipError_tPvRmT1_T2_T3_mmT4_T5_P12ihipStream_tbEUlRKtE_EESV_SZ_S10_mS11_S14_bEUlT_E_NS1_11comp_targetILNS1_3genE0ELNS1_11target_archE4294967295ELNS1_3gpuE0ELNS1_3repE0EEENS1_30default_config_static_selectorELNS0_4arch9wavefront6targetE0EEEvSY_, .Lfunc_end554-_ZN7rocprim17ROCPRIM_400000_NS6detail17trampoline_kernelINS0_14default_configENS1_27upper_bound_config_selectorItlEEZNS1_14transform_implILb0ES3_S5_N6thrust23THRUST_200600_302600_NS6detail15normal_iteratorINS8_7pointerItNS8_11hip_rocprim5par_tENS8_11use_defaultESE_EEEENSA_INSB_IlSD_SE_SE_EEEEZNS1_13binary_searchIS3_S5_NSA_INS8_10device_ptrItEEEESG_SI_NS1_21upper_bound_search_opENS9_16wrapped_functionINS8_6system6detail7generic6detail18binary_search_lessEbEEEE10hipError_tPvRmT1_T2_T3_mmT4_T5_P12ihipStream_tbEUlRKtE_EESV_SZ_S10_mS11_S14_bEUlT_E_NS1_11comp_targetILNS1_3genE0ELNS1_11target_archE4294967295ELNS1_3gpuE0ELNS1_3repE0EEENS1_30default_config_static_selectorELNS0_4arch9wavefront6targetE0EEEvSY_
                                        ; -- End function
	.set _ZN7rocprim17ROCPRIM_400000_NS6detail17trampoline_kernelINS0_14default_configENS1_27upper_bound_config_selectorItlEEZNS1_14transform_implILb0ES3_S5_N6thrust23THRUST_200600_302600_NS6detail15normal_iteratorINS8_7pointerItNS8_11hip_rocprim5par_tENS8_11use_defaultESE_EEEENSA_INSB_IlSD_SE_SE_EEEEZNS1_13binary_searchIS3_S5_NSA_INS8_10device_ptrItEEEESG_SI_NS1_21upper_bound_search_opENS9_16wrapped_functionINS8_6system6detail7generic6detail18binary_search_lessEbEEEE10hipError_tPvRmT1_T2_T3_mmT4_T5_P12ihipStream_tbEUlRKtE_EESV_SZ_S10_mS11_S14_bEUlT_E_NS1_11comp_targetILNS1_3genE0ELNS1_11target_archE4294967295ELNS1_3gpuE0ELNS1_3repE0EEENS1_30default_config_static_selectorELNS0_4arch9wavefront6targetE0EEEvSY_.num_vgpr, 0
	.set _ZN7rocprim17ROCPRIM_400000_NS6detail17trampoline_kernelINS0_14default_configENS1_27upper_bound_config_selectorItlEEZNS1_14transform_implILb0ES3_S5_N6thrust23THRUST_200600_302600_NS6detail15normal_iteratorINS8_7pointerItNS8_11hip_rocprim5par_tENS8_11use_defaultESE_EEEENSA_INSB_IlSD_SE_SE_EEEEZNS1_13binary_searchIS3_S5_NSA_INS8_10device_ptrItEEEESG_SI_NS1_21upper_bound_search_opENS9_16wrapped_functionINS8_6system6detail7generic6detail18binary_search_lessEbEEEE10hipError_tPvRmT1_T2_T3_mmT4_T5_P12ihipStream_tbEUlRKtE_EESV_SZ_S10_mS11_S14_bEUlT_E_NS1_11comp_targetILNS1_3genE0ELNS1_11target_archE4294967295ELNS1_3gpuE0ELNS1_3repE0EEENS1_30default_config_static_selectorELNS0_4arch9wavefront6targetE0EEEvSY_.num_agpr, 0
	.set _ZN7rocprim17ROCPRIM_400000_NS6detail17trampoline_kernelINS0_14default_configENS1_27upper_bound_config_selectorItlEEZNS1_14transform_implILb0ES3_S5_N6thrust23THRUST_200600_302600_NS6detail15normal_iteratorINS8_7pointerItNS8_11hip_rocprim5par_tENS8_11use_defaultESE_EEEENSA_INSB_IlSD_SE_SE_EEEEZNS1_13binary_searchIS3_S5_NSA_INS8_10device_ptrItEEEESG_SI_NS1_21upper_bound_search_opENS9_16wrapped_functionINS8_6system6detail7generic6detail18binary_search_lessEbEEEE10hipError_tPvRmT1_T2_T3_mmT4_T5_P12ihipStream_tbEUlRKtE_EESV_SZ_S10_mS11_S14_bEUlT_E_NS1_11comp_targetILNS1_3genE0ELNS1_11target_archE4294967295ELNS1_3gpuE0ELNS1_3repE0EEENS1_30default_config_static_selectorELNS0_4arch9wavefront6targetE0EEEvSY_.numbered_sgpr, 0
	.set _ZN7rocprim17ROCPRIM_400000_NS6detail17trampoline_kernelINS0_14default_configENS1_27upper_bound_config_selectorItlEEZNS1_14transform_implILb0ES3_S5_N6thrust23THRUST_200600_302600_NS6detail15normal_iteratorINS8_7pointerItNS8_11hip_rocprim5par_tENS8_11use_defaultESE_EEEENSA_INSB_IlSD_SE_SE_EEEEZNS1_13binary_searchIS3_S5_NSA_INS8_10device_ptrItEEEESG_SI_NS1_21upper_bound_search_opENS9_16wrapped_functionINS8_6system6detail7generic6detail18binary_search_lessEbEEEE10hipError_tPvRmT1_T2_T3_mmT4_T5_P12ihipStream_tbEUlRKtE_EESV_SZ_S10_mS11_S14_bEUlT_E_NS1_11comp_targetILNS1_3genE0ELNS1_11target_archE4294967295ELNS1_3gpuE0ELNS1_3repE0EEENS1_30default_config_static_selectorELNS0_4arch9wavefront6targetE0EEEvSY_.num_named_barrier, 0
	.set _ZN7rocprim17ROCPRIM_400000_NS6detail17trampoline_kernelINS0_14default_configENS1_27upper_bound_config_selectorItlEEZNS1_14transform_implILb0ES3_S5_N6thrust23THRUST_200600_302600_NS6detail15normal_iteratorINS8_7pointerItNS8_11hip_rocprim5par_tENS8_11use_defaultESE_EEEENSA_INSB_IlSD_SE_SE_EEEEZNS1_13binary_searchIS3_S5_NSA_INS8_10device_ptrItEEEESG_SI_NS1_21upper_bound_search_opENS9_16wrapped_functionINS8_6system6detail7generic6detail18binary_search_lessEbEEEE10hipError_tPvRmT1_T2_T3_mmT4_T5_P12ihipStream_tbEUlRKtE_EESV_SZ_S10_mS11_S14_bEUlT_E_NS1_11comp_targetILNS1_3genE0ELNS1_11target_archE4294967295ELNS1_3gpuE0ELNS1_3repE0EEENS1_30default_config_static_selectorELNS0_4arch9wavefront6targetE0EEEvSY_.private_seg_size, 0
	.set _ZN7rocprim17ROCPRIM_400000_NS6detail17trampoline_kernelINS0_14default_configENS1_27upper_bound_config_selectorItlEEZNS1_14transform_implILb0ES3_S5_N6thrust23THRUST_200600_302600_NS6detail15normal_iteratorINS8_7pointerItNS8_11hip_rocprim5par_tENS8_11use_defaultESE_EEEENSA_INSB_IlSD_SE_SE_EEEEZNS1_13binary_searchIS3_S5_NSA_INS8_10device_ptrItEEEESG_SI_NS1_21upper_bound_search_opENS9_16wrapped_functionINS8_6system6detail7generic6detail18binary_search_lessEbEEEE10hipError_tPvRmT1_T2_T3_mmT4_T5_P12ihipStream_tbEUlRKtE_EESV_SZ_S10_mS11_S14_bEUlT_E_NS1_11comp_targetILNS1_3genE0ELNS1_11target_archE4294967295ELNS1_3gpuE0ELNS1_3repE0EEENS1_30default_config_static_selectorELNS0_4arch9wavefront6targetE0EEEvSY_.uses_vcc, 0
	.set _ZN7rocprim17ROCPRIM_400000_NS6detail17trampoline_kernelINS0_14default_configENS1_27upper_bound_config_selectorItlEEZNS1_14transform_implILb0ES3_S5_N6thrust23THRUST_200600_302600_NS6detail15normal_iteratorINS8_7pointerItNS8_11hip_rocprim5par_tENS8_11use_defaultESE_EEEENSA_INSB_IlSD_SE_SE_EEEEZNS1_13binary_searchIS3_S5_NSA_INS8_10device_ptrItEEEESG_SI_NS1_21upper_bound_search_opENS9_16wrapped_functionINS8_6system6detail7generic6detail18binary_search_lessEbEEEE10hipError_tPvRmT1_T2_T3_mmT4_T5_P12ihipStream_tbEUlRKtE_EESV_SZ_S10_mS11_S14_bEUlT_E_NS1_11comp_targetILNS1_3genE0ELNS1_11target_archE4294967295ELNS1_3gpuE0ELNS1_3repE0EEENS1_30default_config_static_selectorELNS0_4arch9wavefront6targetE0EEEvSY_.uses_flat_scratch, 0
	.set _ZN7rocprim17ROCPRIM_400000_NS6detail17trampoline_kernelINS0_14default_configENS1_27upper_bound_config_selectorItlEEZNS1_14transform_implILb0ES3_S5_N6thrust23THRUST_200600_302600_NS6detail15normal_iteratorINS8_7pointerItNS8_11hip_rocprim5par_tENS8_11use_defaultESE_EEEENSA_INSB_IlSD_SE_SE_EEEEZNS1_13binary_searchIS3_S5_NSA_INS8_10device_ptrItEEEESG_SI_NS1_21upper_bound_search_opENS9_16wrapped_functionINS8_6system6detail7generic6detail18binary_search_lessEbEEEE10hipError_tPvRmT1_T2_T3_mmT4_T5_P12ihipStream_tbEUlRKtE_EESV_SZ_S10_mS11_S14_bEUlT_E_NS1_11comp_targetILNS1_3genE0ELNS1_11target_archE4294967295ELNS1_3gpuE0ELNS1_3repE0EEENS1_30default_config_static_selectorELNS0_4arch9wavefront6targetE0EEEvSY_.has_dyn_sized_stack, 0
	.set _ZN7rocprim17ROCPRIM_400000_NS6detail17trampoline_kernelINS0_14default_configENS1_27upper_bound_config_selectorItlEEZNS1_14transform_implILb0ES3_S5_N6thrust23THRUST_200600_302600_NS6detail15normal_iteratorINS8_7pointerItNS8_11hip_rocprim5par_tENS8_11use_defaultESE_EEEENSA_INSB_IlSD_SE_SE_EEEEZNS1_13binary_searchIS3_S5_NSA_INS8_10device_ptrItEEEESG_SI_NS1_21upper_bound_search_opENS9_16wrapped_functionINS8_6system6detail7generic6detail18binary_search_lessEbEEEE10hipError_tPvRmT1_T2_T3_mmT4_T5_P12ihipStream_tbEUlRKtE_EESV_SZ_S10_mS11_S14_bEUlT_E_NS1_11comp_targetILNS1_3genE0ELNS1_11target_archE4294967295ELNS1_3gpuE0ELNS1_3repE0EEENS1_30default_config_static_selectorELNS0_4arch9wavefront6targetE0EEEvSY_.has_recursion, 0
	.set _ZN7rocprim17ROCPRIM_400000_NS6detail17trampoline_kernelINS0_14default_configENS1_27upper_bound_config_selectorItlEEZNS1_14transform_implILb0ES3_S5_N6thrust23THRUST_200600_302600_NS6detail15normal_iteratorINS8_7pointerItNS8_11hip_rocprim5par_tENS8_11use_defaultESE_EEEENSA_INSB_IlSD_SE_SE_EEEEZNS1_13binary_searchIS3_S5_NSA_INS8_10device_ptrItEEEESG_SI_NS1_21upper_bound_search_opENS9_16wrapped_functionINS8_6system6detail7generic6detail18binary_search_lessEbEEEE10hipError_tPvRmT1_T2_T3_mmT4_T5_P12ihipStream_tbEUlRKtE_EESV_SZ_S10_mS11_S14_bEUlT_E_NS1_11comp_targetILNS1_3genE0ELNS1_11target_archE4294967295ELNS1_3gpuE0ELNS1_3repE0EEENS1_30default_config_static_selectorELNS0_4arch9wavefront6targetE0EEEvSY_.has_indirect_call, 0
	.section	.AMDGPU.csdata,"",@progbits
; Kernel info:
; codeLenInByte = 0
; TotalNumSgprs: 0
; NumVgprs: 0
; ScratchSize: 0
; MemoryBound: 0
; FloatMode: 240
; IeeeMode: 1
; LDSByteSize: 0 bytes/workgroup (compile time only)
; SGPRBlocks: 0
; VGPRBlocks: 0
; NumSGPRsForWavesPerEU: 1
; NumVGPRsForWavesPerEU: 1
; Occupancy: 16
; WaveLimiterHint : 0
; COMPUTE_PGM_RSRC2:SCRATCH_EN: 0
; COMPUTE_PGM_RSRC2:USER_SGPR: 6
; COMPUTE_PGM_RSRC2:TRAP_HANDLER: 0
; COMPUTE_PGM_RSRC2:TGID_X_EN: 1
; COMPUTE_PGM_RSRC2:TGID_Y_EN: 0
; COMPUTE_PGM_RSRC2:TGID_Z_EN: 0
; COMPUTE_PGM_RSRC2:TIDIG_COMP_CNT: 0
	.section	.text._ZN7rocprim17ROCPRIM_400000_NS6detail17trampoline_kernelINS0_14default_configENS1_27upper_bound_config_selectorItlEEZNS1_14transform_implILb0ES3_S5_N6thrust23THRUST_200600_302600_NS6detail15normal_iteratorINS8_7pointerItNS8_11hip_rocprim5par_tENS8_11use_defaultESE_EEEENSA_INSB_IlSD_SE_SE_EEEEZNS1_13binary_searchIS3_S5_NSA_INS8_10device_ptrItEEEESG_SI_NS1_21upper_bound_search_opENS9_16wrapped_functionINS8_6system6detail7generic6detail18binary_search_lessEbEEEE10hipError_tPvRmT1_T2_T3_mmT4_T5_P12ihipStream_tbEUlRKtE_EESV_SZ_S10_mS11_S14_bEUlT_E_NS1_11comp_targetILNS1_3genE5ELNS1_11target_archE942ELNS1_3gpuE9ELNS1_3repE0EEENS1_30default_config_static_selectorELNS0_4arch9wavefront6targetE0EEEvSY_,"axG",@progbits,_ZN7rocprim17ROCPRIM_400000_NS6detail17trampoline_kernelINS0_14default_configENS1_27upper_bound_config_selectorItlEEZNS1_14transform_implILb0ES3_S5_N6thrust23THRUST_200600_302600_NS6detail15normal_iteratorINS8_7pointerItNS8_11hip_rocprim5par_tENS8_11use_defaultESE_EEEENSA_INSB_IlSD_SE_SE_EEEEZNS1_13binary_searchIS3_S5_NSA_INS8_10device_ptrItEEEESG_SI_NS1_21upper_bound_search_opENS9_16wrapped_functionINS8_6system6detail7generic6detail18binary_search_lessEbEEEE10hipError_tPvRmT1_T2_T3_mmT4_T5_P12ihipStream_tbEUlRKtE_EESV_SZ_S10_mS11_S14_bEUlT_E_NS1_11comp_targetILNS1_3genE5ELNS1_11target_archE942ELNS1_3gpuE9ELNS1_3repE0EEENS1_30default_config_static_selectorELNS0_4arch9wavefront6targetE0EEEvSY_,comdat
	.protected	_ZN7rocprim17ROCPRIM_400000_NS6detail17trampoline_kernelINS0_14default_configENS1_27upper_bound_config_selectorItlEEZNS1_14transform_implILb0ES3_S5_N6thrust23THRUST_200600_302600_NS6detail15normal_iteratorINS8_7pointerItNS8_11hip_rocprim5par_tENS8_11use_defaultESE_EEEENSA_INSB_IlSD_SE_SE_EEEEZNS1_13binary_searchIS3_S5_NSA_INS8_10device_ptrItEEEESG_SI_NS1_21upper_bound_search_opENS9_16wrapped_functionINS8_6system6detail7generic6detail18binary_search_lessEbEEEE10hipError_tPvRmT1_T2_T3_mmT4_T5_P12ihipStream_tbEUlRKtE_EESV_SZ_S10_mS11_S14_bEUlT_E_NS1_11comp_targetILNS1_3genE5ELNS1_11target_archE942ELNS1_3gpuE9ELNS1_3repE0EEENS1_30default_config_static_selectorELNS0_4arch9wavefront6targetE0EEEvSY_ ; -- Begin function _ZN7rocprim17ROCPRIM_400000_NS6detail17trampoline_kernelINS0_14default_configENS1_27upper_bound_config_selectorItlEEZNS1_14transform_implILb0ES3_S5_N6thrust23THRUST_200600_302600_NS6detail15normal_iteratorINS8_7pointerItNS8_11hip_rocprim5par_tENS8_11use_defaultESE_EEEENSA_INSB_IlSD_SE_SE_EEEEZNS1_13binary_searchIS3_S5_NSA_INS8_10device_ptrItEEEESG_SI_NS1_21upper_bound_search_opENS9_16wrapped_functionINS8_6system6detail7generic6detail18binary_search_lessEbEEEE10hipError_tPvRmT1_T2_T3_mmT4_T5_P12ihipStream_tbEUlRKtE_EESV_SZ_S10_mS11_S14_bEUlT_E_NS1_11comp_targetILNS1_3genE5ELNS1_11target_archE942ELNS1_3gpuE9ELNS1_3repE0EEENS1_30default_config_static_selectorELNS0_4arch9wavefront6targetE0EEEvSY_
	.globl	_ZN7rocprim17ROCPRIM_400000_NS6detail17trampoline_kernelINS0_14default_configENS1_27upper_bound_config_selectorItlEEZNS1_14transform_implILb0ES3_S5_N6thrust23THRUST_200600_302600_NS6detail15normal_iteratorINS8_7pointerItNS8_11hip_rocprim5par_tENS8_11use_defaultESE_EEEENSA_INSB_IlSD_SE_SE_EEEEZNS1_13binary_searchIS3_S5_NSA_INS8_10device_ptrItEEEESG_SI_NS1_21upper_bound_search_opENS9_16wrapped_functionINS8_6system6detail7generic6detail18binary_search_lessEbEEEE10hipError_tPvRmT1_T2_T3_mmT4_T5_P12ihipStream_tbEUlRKtE_EESV_SZ_S10_mS11_S14_bEUlT_E_NS1_11comp_targetILNS1_3genE5ELNS1_11target_archE942ELNS1_3gpuE9ELNS1_3repE0EEENS1_30default_config_static_selectorELNS0_4arch9wavefront6targetE0EEEvSY_
	.p2align	8
	.type	_ZN7rocprim17ROCPRIM_400000_NS6detail17trampoline_kernelINS0_14default_configENS1_27upper_bound_config_selectorItlEEZNS1_14transform_implILb0ES3_S5_N6thrust23THRUST_200600_302600_NS6detail15normal_iteratorINS8_7pointerItNS8_11hip_rocprim5par_tENS8_11use_defaultESE_EEEENSA_INSB_IlSD_SE_SE_EEEEZNS1_13binary_searchIS3_S5_NSA_INS8_10device_ptrItEEEESG_SI_NS1_21upper_bound_search_opENS9_16wrapped_functionINS8_6system6detail7generic6detail18binary_search_lessEbEEEE10hipError_tPvRmT1_T2_T3_mmT4_T5_P12ihipStream_tbEUlRKtE_EESV_SZ_S10_mS11_S14_bEUlT_E_NS1_11comp_targetILNS1_3genE5ELNS1_11target_archE942ELNS1_3gpuE9ELNS1_3repE0EEENS1_30default_config_static_selectorELNS0_4arch9wavefront6targetE0EEEvSY_,@function
_ZN7rocprim17ROCPRIM_400000_NS6detail17trampoline_kernelINS0_14default_configENS1_27upper_bound_config_selectorItlEEZNS1_14transform_implILb0ES3_S5_N6thrust23THRUST_200600_302600_NS6detail15normal_iteratorINS8_7pointerItNS8_11hip_rocprim5par_tENS8_11use_defaultESE_EEEENSA_INSB_IlSD_SE_SE_EEEEZNS1_13binary_searchIS3_S5_NSA_INS8_10device_ptrItEEEESG_SI_NS1_21upper_bound_search_opENS9_16wrapped_functionINS8_6system6detail7generic6detail18binary_search_lessEbEEEE10hipError_tPvRmT1_T2_T3_mmT4_T5_P12ihipStream_tbEUlRKtE_EESV_SZ_S10_mS11_S14_bEUlT_E_NS1_11comp_targetILNS1_3genE5ELNS1_11target_archE942ELNS1_3gpuE9ELNS1_3repE0EEENS1_30default_config_static_selectorELNS0_4arch9wavefront6targetE0EEEvSY_: ; @_ZN7rocprim17ROCPRIM_400000_NS6detail17trampoline_kernelINS0_14default_configENS1_27upper_bound_config_selectorItlEEZNS1_14transform_implILb0ES3_S5_N6thrust23THRUST_200600_302600_NS6detail15normal_iteratorINS8_7pointerItNS8_11hip_rocprim5par_tENS8_11use_defaultESE_EEEENSA_INSB_IlSD_SE_SE_EEEEZNS1_13binary_searchIS3_S5_NSA_INS8_10device_ptrItEEEESG_SI_NS1_21upper_bound_search_opENS9_16wrapped_functionINS8_6system6detail7generic6detail18binary_search_lessEbEEEE10hipError_tPvRmT1_T2_T3_mmT4_T5_P12ihipStream_tbEUlRKtE_EESV_SZ_S10_mS11_S14_bEUlT_E_NS1_11comp_targetILNS1_3genE5ELNS1_11target_archE942ELNS1_3gpuE9ELNS1_3repE0EEENS1_30default_config_static_selectorELNS0_4arch9wavefront6targetE0EEEvSY_
; %bb.0:
	.section	.rodata,"a",@progbits
	.p2align	6, 0x0
	.amdhsa_kernel _ZN7rocprim17ROCPRIM_400000_NS6detail17trampoline_kernelINS0_14default_configENS1_27upper_bound_config_selectorItlEEZNS1_14transform_implILb0ES3_S5_N6thrust23THRUST_200600_302600_NS6detail15normal_iteratorINS8_7pointerItNS8_11hip_rocprim5par_tENS8_11use_defaultESE_EEEENSA_INSB_IlSD_SE_SE_EEEEZNS1_13binary_searchIS3_S5_NSA_INS8_10device_ptrItEEEESG_SI_NS1_21upper_bound_search_opENS9_16wrapped_functionINS8_6system6detail7generic6detail18binary_search_lessEbEEEE10hipError_tPvRmT1_T2_T3_mmT4_T5_P12ihipStream_tbEUlRKtE_EESV_SZ_S10_mS11_S14_bEUlT_E_NS1_11comp_targetILNS1_3genE5ELNS1_11target_archE942ELNS1_3gpuE9ELNS1_3repE0EEENS1_30default_config_static_selectorELNS0_4arch9wavefront6targetE0EEEvSY_
		.amdhsa_group_segment_fixed_size 0
		.amdhsa_private_segment_fixed_size 0
		.amdhsa_kernarg_size 56
		.amdhsa_user_sgpr_count 6
		.amdhsa_user_sgpr_private_segment_buffer 1
		.amdhsa_user_sgpr_dispatch_ptr 0
		.amdhsa_user_sgpr_queue_ptr 0
		.amdhsa_user_sgpr_kernarg_segment_ptr 1
		.amdhsa_user_sgpr_dispatch_id 0
		.amdhsa_user_sgpr_flat_scratch_init 0
		.amdhsa_user_sgpr_private_segment_size 0
		.amdhsa_wavefront_size32 1
		.amdhsa_uses_dynamic_stack 0
		.amdhsa_system_sgpr_private_segment_wavefront_offset 0
		.amdhsa_system_sgpr_workgroup_id_x 1
		.amdhsa_system_sgpr_workgroup_id_y 0
		.amdhsa_system_sgpr_workgroup_id_z 0
		.amdhsa_system_sgpr_workgroup_info 0
		.amdhsa_system_vgpr_workitem_id 0
		.amdhsa_next_free_vgpr 1
		.amdhsa_next_free_sgpr 1
		.amdhsa_reserve_vcc 0
		.amdhsa_reserve_flat_scratch 0
		.amdhsa_float_round_mode_32 0
		.amdhsa_float_round_mode_16_64 0
		.amdhsa_float_denorm_mode_32 3
		.amdhsa_float_denorm_mode_16_64 3
		.amdhsa_dx10_clamp 1
		.amdhsa_ieee_mode 1
		.amdhsa_fp16_overflow 0
		.amdhsa_workgroup_processor_mode 1
		.amdhsa_memory_ordered 1
		.amdhsa_forward_progress 1
		.amdhsa_shared_vgpr_count 0
		.amdhsa_exception_fp_ieee_invalid_op 0
		.amdhsa_exception_fp_denorm_src 0
		.amdhsa_exception_fp_ieee_div_zero 0
		.amdhsa_exception_fp_ieee_overflow 0
		.amdhsa_exception_fp_ieee_underflow 0
		.amdhsa_exception_fp_ieee_inexact 0
		.amdhsa_exception_int_div_zero 0
	.end_amdhsa_kernel
	.section	.text._ZN7rocprim17ROCPRIM_400000_NS6detail17trampoline_kernelINS0_14default_configENS1_27upper_bound_config_selectorItlEEZNS1_14transform_implILb0ES3_S5_N6thrust23THRUST_200600_302600_NS6detail15normal_iteratorINS8_7pointerItNS8_11hip_rocprim5par_tENS8_11use_defaultESE_EEEENSA_INSB_IlSD_SE_SE_EEEEZNS1_13binary_searchIS3_S5_NSA_INS8_10device_ptrItEEEESG_SI_NS1_21upper_bound_search_opENS9_16wrapped_functionINS8_6system6detail7generic6detail18binary_search_lessEbEEEE10hipError_tPvRmT1_T2_T3_mmT4_T5_P12ihipStream_tbEUlRKtE_EESV_SZ_S10_mS11_S14_bEUlT_E_NS1_11comp_targetILNS1_3genE5ELNS1_11target_archE942ELNS1_3gpuE9ELNS1_3repE0EEENS1_30default_config_static_selectorELNS0_4arch9wavefront6targetE0EEEvSY_,"axG",@progbits,_ZN7rocprim17ROCPRIM_400000_NS6detail17trampoline_kernelINS0_14default_configENS1_27upper_bound_config_selectorItlEEZNS1_14transform_implILb0ES3_S5_N6thrust23THRUST_200600_302600_NS6detail15normal_iteratorINS8_7pointerItNS8_11hip_rocprim5par_tENS8_11use_defaultESE_EEEENSA_INSB_IlSD_SE_SE_EEEEZNS1_13binary_searchIS3_S5_NSA_INS8_10device_ptrItEEEESG_SI_NS1_21upper_bound_search_opENS9_16wrapped_functionINS8_6system6detail7generic6detail18binary_search_lessEbEEEE10hipError_tPvRmT1_T2_T3_mmT4_T5_P12ihipStream_tbEUlRKtE_EESV_SZ_S10_mS11_S14_bEUlT_E_NS1_11comp_targetILNS1_3genE5ELNS1_11target_archE942ELNS1_3gpuE9ELNS1_3repE0EEENS1_30default_config_static_selectorELNS0_4arch9wavefront6targetE0EEEvSY_,comdat
.Lfunc_end555:
	.size	_ZN7rocprim17ROCPRIM_400000_NS6detail17trampoline_kernelINS0_14default_configENS1_27upper_bound_config_selectorItlEEZNS1_14transform_implILb0ES3_S5_N6thrust23THRUST_200600_302600_NS6detail15normal_iteratorINS8_7pointerItNS8_11hip_rocprim5par_tENS8_11use_defaultESE_EEEENSA_INSB_IlSD_SE_SE_EEEEZNS1_13binary_searchIS3_S5_NSA_INS8_10device_ptrItEEEESG_SI_NS1_21upper_bound_search_opENS9_16wrapped_functionINS8_6system6detail7generic6detail18binary_search_lessEbEEEE10hipError_tPvRmT1_T2_T3_mmT4_T5_P12ihipStream_tbEUlRKtE_EESV_SZ_S10_mS11_S14_bEUlT_E_NS1_11comp_targetILNS1_3genE5ELNS1_11target_archE942ELNS1_3gpuE9ELNS1_3repE0EEENS1_30default_config_static_selectorELNS0_4arch9wavefront6targetE0EEEvSY_, .Lfunc_end555-_ZN7rocprim17ROCPRIM_400000_NS6detail17trampoline_kernelINS0_14default_configENS1_27upper_bound_config_selectorItlEEZNS1_14transform_implILb0ES3_S5_N6thrust23THRUST_200600_302600_NS6detail15normal_iteratorINS8_7pointerItNS8_11hip_rocprim5par_tENS8_11use_defaultESE_EEEENSA_INSB_IlSD_SE_SE_EEEEZNS1_13binary_searchIS3_S5_NSA_INS8_10device_ptrItEEEESG_SI_NS1_21upper_bound_search_opENS9_16wrapped_functionINS8_6system6detail7generic6detail18binary_search_lessEbEEEE10hipError_tPvRmT1_T2_T3_mmT4_T5_P12ihipStream_tbEUlRKtE_EESV_SZ_S10_mS11_S14_bEUlT_E_NS1_11comp_targetILNS1_3genE5ELNS1_11target_archE942ELNS1_3gpuE9ELNS1_3repE0EEENS1_30default_config_static_selectorELNS0_4arch9wavefront6targetE0EEEvSY_
                                        ; -- End function
	.set _ZN7rocprim17ROCPRIM_400000_NS6detail17trampoline_kernelINS0_14default_configENS1_27upper_bound_config_selectorItlEEZNS1_14transform_implILb0ES3_S5_N6thrust23THRUST_200600_302600_NS6detail15normal_iteratorINS8_7pointerItNS8_11hip_rocprim5par_tENS8_11use_defaultESE_EEEENSA_INSB_IlSD_SE_SE_EEEEZNS1_13binary_searchIS3_S5_NSA_INS8_10device_ptrItEEEESG_SI_NS1_21upper_bound_search_opENS9_16wrapped_functionINS8_6system6detail7generic6detail18binary_search_lessEbEEEE10hipError_tPvRmT1_T2_T3_mmT4_T5_P12ihipStream_tbEUlRKtE_EESV_SZ_S10_mS11_S14_bEUlT_E_NS1_11comp_targetILNS1_3genE5ELNS1_11target_archE942ELNS1_3gpuE9ELNS1_3repE0EEENS1_30default_config_static_selectorELNS0_4arch9wavefront6targetE0EEEvSY_.num_vgpr, 0
	.set _ZN7rocprim17ROCPRIM_400000_NS6detail17trampoline_kernelINS0_14default_configENS1_27upper_bound_config_selectorItlEEZNS1_14transform_implILb0ES3_S5_N6thrust23THRUST_200600_302600_NS6detail15normal_iteratorINS8_7pointerItNS8_11hip_rocprim5par_tENS8_11use_defaultESE_EEEENSA_INSB_IlSD_SE_SE_EEEEZNS1_13binary_searchIS3_S5_NSA_INS8_10device_ptrItEEEESG_SI_NS1_21upper_bound_search_opENS9_16wrapped_functionINS8_6system6detail7generic6detail18binary_search_lessEbEEEE10hipError_tPvRmT1_T2_T3_mmT4_T5_P12ihipStream_tbEUlRKtE_EESV_SZ_S10_mS11_S14_bEUlT_E_NS1_11comp_targetILNS1_3genE5ELNS1_11target_archE942ELNS1_3gpuE9ELNS1_3repE0EEENS1_30default_config_static_selectorELNS0_4arch9wavefront6targetE0EEEvSY_.num_agpr, 0
	.set _ZN7rocprim17ROCPRIM_400000_NS6detail17trampoline_kernelINS0_14default_configENS1_27upper_bound_config_selectorItlEEZNS1_14transform_implILb0ES3_S5_N6thrust23THRUST_200600_302600_NS6detail15normal_iteratorINS8_7pointerItNS8_11hip_rocprim5par_tENS8_11use_defaultESE_EEEENSA_INSB_IlSD_SE_SE_EEEEZNS1_13binary_searchIS3_S5_NSA_INS8_10device_ptrItEEEESG_SI_NS1_21upper_bound_search_opENS9_16wrapped_functionINS8_6system6detail7generic6detail18binary_search_lessEbEEEE10hipError_tPvRmT1_T2_T3_mmT4_T5_P12ihipStream_tbEUlRKtE_EESV_SZ_S10_mS11_S14_bEUlT_E_NS1_11comp_targetILNS1_3genE5ELNS1_11target_archE942ELNS1_3gpuE9ELNS1_3repE0EEENS1_30default_config_static_selectorELNS0_4arch9wavefront6targetE0EEEvSY_.numbered_sgpr, 0
	.set _ZN7rocprim17ROCPRIM_400000_NS6detail17trampoline_kernelINS0_14default_configENS1_27upper_bound_config_selectorItlEEZNS1_14transform_implILb0ES3_S5_N6thrust23THRUST_200600_302600_NS6detail15normal_iteratorINS8_7pointerItNS8_11hip_rocprim5par_tENS8_11use_defaultESE_EEEENSA_INSB_IlSD_SE_SE_EEEEZNS1_13binary_searchIS3_S5_NSA_INS8_10device_ptrItEEEESG_SI_NS1_21upper_bound_search_opENS9_16wrapped_functionINS8_6system6detail7generic6detail18binary_search_lessEbEEEE10hipError_tPvRmT1_T2_T3_mmT4_T5_P12ihipStream_tbEUlRKtE_EESV_SZ_S10_mS11_S14_bEUlT_E_NS1_11comp_targetILNS1_3genE5ELNS1_11target_archE942ELNS1_3gpuE9ELNS1_3repE0EEENS1_30default_config_static_selectorELNS0_4arch9wavefront6targetE0EEEvSY_.num_named_barrier, 0
	.set _ZN7rocprim17ROCPRIM_400000_NS6detail17trampoline_kernelINS0_14default_configENS1_27upper_bound_config_selectorItlEEZNS1_14transform_implILb0ES3_S5_N6thrust23THRUST_200600_302600_NS6detail15normal_iteratorINS8_7pointerItNS8_11hip_rocprim5par_tENS8_11use_defaultESE_EEEENSA_INSB_IlSD_SE_SE_EEEEZNS1_13binary_searchIS3_S5_NSA_INS8_10device_ptrItEEEESG_SI_NS1_21upper_bound_search_opENS9_16wrapped_functionINS8_6system6detail7generic6detail18binary_search_lessEbEEEE10hipError_tPvRmT1_T2_T3_mmT4_T5_P12ihipStream_tbEUlRKtE_EESV_SZ_S10_mS11_S14_bEUlT_E_NS1_11comp_targetILNS1_3genE5ELNS1_11target_archE942ELNS1_3gpuE9ELNS1_3repE0EEENS1_30default_config_static_selectorELNS0_4arch9wavefront6targetE0EEEvSY_.private_seg_size, 0
	.set _ZN7rocprim17ROCPRIM_400000_NS6detail17trampoline_kernelINS0_14default_configENS1_27upper_bound_config_selectorItlEEZNS1_14transform_implILb0ES3_S5_N6thrust23THRUST_200600_302600_NS6detail15normal_iteratorINS8_7pointerItNS8_11hip_rocprim5par_tENS8_11use_defaultESE_EEEENSA_INSB_IlSD_SE_SE_EEEEZNS1_13binary_searchIS3_S5_NSA_INS8_10device_ptrItEEEESG_SI_NS1_21upper_bound_search_opENS9_16wrapped_functionINS8_6system6detail7generic6detail18binary_search_lessEbEEEE10hipError_tPvRmT1_T2_T3_mmT4_T5_P12ihipStream_tbEUlRKtE_EESV_SZ_S10_mS11_S14_bEUlT_E_NS1_11comp_targetILNS1_3genE5ELNS1_11target_archE942ELNS1_3gpuE9ELNS1_3repE0EEENS1_30default_config_static_selectorELNS0_4arch9wavefront6targetE0EEEvSY_.uses_vcc, 0
	.set _ZN7rocprim17ROCPRIM_400000_NS6detail17trampoline_kernelINS0_14default_configENS1_27upper_bound_config_selectorItlEEZNS1_14transform_implILb0ES3_S5_N6thrust23THRUST_200600_302600_NS6detail15normal_iteratorINS8_7pointerItNS8_11hip_rocprim5par_tENS8_11use_defaultESE_EEEENSA_INSB_IlSD_SE_SE_EEEEZNS1_13binary_searchIS3_S5_NSA_INS8_10device_ptrItEEEESG_SI_NS1_21upper_bound_search_opENS9_16wrapped_functionINS8_6system6detail7generic6detail18binary_search_lessEbEEEE10hipError_tPvRmT1_T2_T3_mmT4_T5_P12ihipStream_tbEUlRKtE_EESV_SZ_S10_mS11_S14_bEUlT_E_NS1_11comp_targetILNS1_3genE5ELNS1_11target_archE942ELNS1_3gpuE9ELNS1_3repE0EEENS1_30default_config_static_selectorELNS0_4arch9wavefront6targetE0EEEvSY_.uses_flat_scratch, 0
	.set _ZN7rocprim17ROCPRIM_400000_NS6detail17trampoline_kernelINS0_14default_configENS1_27upper_bound_config_selectorItlEEZNS1_14transform_implILb0ES3_S5_N6thrust23THRUST_200600_302600_NS6detail15normal_iteratorINS8_7pointerItNS8_11hip_rocprim5par_tENS8_11use_defaultESE_EEEENSA_INSB_IlSD_SE_SE_EEEEZNS1_13binary_searchIS3_S5_NSA_INS8_10device_ptrItEEEESG_SI_NS1_21upper_bound_search_opENS9_16wrapped_functionINS8_6system6detail7generic6detail18binary_search_lessEbEEEE10hipError_tPvRmT1_T2_T3_mmT4_T5_P12ihipStream_tbEUlRKtE_EESV_SZ_S10_mS11_S14_bEUlT_E_NS1_11comp_targetILNS1_3genE5ELNS1_11target_archE942ELNS1_3gpuE9ELNS1_3repE0EEENS1_30default_config_static_selectorELNS0_4arch9wavefront6targetE0EEEvSY_.has_dyn_sized_stack, 0
	.set _ZN7rocprim17ROCPRIM_400000_NS6detail17trampoline_kernelINS0_14default_configENS1_27upper_bound_config_selectorItlEEZNS1_14transform_implILb0ES3_S5_N6thrust23THRUST_200600_302600_NS6detail15normal_iteratorINS8_7pointerItNS8_11hip_rocprim5par_tENS8_11use_defaultESE_EEEENSA_INSB_IlSD_SE_SE_EEEEZNS1_13binary_searchIS3_S5_NSA_INS8_10device_ptrItEEEESG_SI_NS1_21upper_bound_search_opENS9_16wrapped_functionINS8_6system6detail7generic6detail18binary_search_lessEbEEEE10hipError_tPvRmT1_T2_T3_mmT4_T5_P12ihipStream_tbEUlRKtE_EESV_SZ_S10_mS11_S14_bEUlT_E_NS1_11comp_targetILNS1_3genE5ELNS1_11target_archE942ELNS1_3gpuE9ELNS1_3repE0EEENS1_30default_config_static_selectorELNS0_4arch9wavefront6targetE0EEEvSY_.has_recursion, 0
	.set _ZN7rocprim17ROCPRIM_400000_NS6detail17trampoline_kernelINS0_14default_configENS1_27upper_bound_config_selectorItlEEZNS1_14transform_implILb0ES3_S5_N6thrust23THRUST_200600_302600_NS6detail15normal_iteratorINS8_7pointerItNS8_11hip_rocprim5par_tENS8_11use_defaultESE_EEEENSA_INSB_IlSD_SE_SE_EEEEZNS1_13binary_searchIS3_S5_NSA_INS8_10device_ptrItEEEESG_SI_NS1_21upper_bound_search_opENS9_16wrapped_functionINS8_6system6detail7generic6detail18binary_search_lessEbEEEE10hipError_tPvRmT1_T2_T3_mmT4_T5_P12ihipStream_tbEUlRKtE_EESV_SZ_S10_mS11_S14_bEUlT_E_NS1_11comp_targetILNS1_3genE5ELNS1_11target_archE942ELNS1_3gpuE9ELNS1_3repE0EEENS1_30default_config_static_selectorELNS0_4arch9wavefront6targetE0EEEvSY_.has_indirect_call, 0
	.section	.AMDGPU.csdata,"",@progbits
; Kernel info:
; codeLenInByte = 0
; TotalNumSgprs: 0
; NumVgprs: 0
; ScratchSize: 0
; MemoryBound: 0
; FloatMode: 240
; IeeeMode: 1
; LDSByteSize: 0 bytes/workgroup (compile time only)
; SGPRBlocks: 0
; VGPRBlocks: 0
; NumSGPRsForWavesPerEU: 1
; NumVGPRsForWavesPerEU: 1
; Occupancy: 16
; WaveLimiterHint : 0
; COMPUTE_PGM_RSRC2:SCRATCH_EN: 0
; COMPUTE_PGM_RSRC2:USER_SGPR: 6
; COMPUTE_PGM_RSRC2:TRAP_HANDLER: 0
; COMPUTE_PGM_RSRC2:TGID_X_EN: 1
; COMPUTE_PGM_RSRC2:TGID_Y_EN: 0
; COMPUTE_PGM_RSRC2:TGID_Z_EN: 0
; COMPUTE_PGM_RSRC2:TIDIG_COMP_CNT: 0
	.section	.text._ZN7rocprim17ROCPRIM_400000_NS6detail17trampoline_kernelINS0_14default_configENS1_27upper_bound_config_selectorItlEEZNS1_14transform_implILb0ES3_S5_N6thrust23THRUST_200600_302600_NS6detail15normal_iteratorINS8_7pointerItNS8_11hip_rocprim5par_tENS8_11use_defaultESE_EEEENSA_INSB_IlSD_SE_SE_EEEEZNS1_13binary_searchIS3_S5_NSA_INS8_10device_ptrItEEEESG_SI_NS1_21upper_bound_search_opENS9_16wrapped_functionINS8_6system6detail7generic6detail18binary_search_lessEbEEEE10hipError_tPvRmT1_T2_T3_mmT4_T5_P12ihipStream_tbEUlRKtE_EESV_SZ_S10_mS11_S14_bEUlT_E_NS1_11comp_targetILNS1_3genE4ELNS1_11target_archE910ELNS1_3gpuE8ELNS1_3repE0EEENS1_30default_config_static_selectorELNS0_4arch9wavefront6targetE0EEEvSY_,"axG",@progbits,_ZN7rocprim17ROCPRIM_400000_NS6detail17trampoline_kernelINS0_14default_configENS1_27upper_bound_config_selectorItlEEZNS1_14transform_implILb0ES3_S5_N6thrust23THRUST_200600_302600_NS6detail15normal_iteratorINS8_7pointerItNS8_11hip_rocprim5par_tENS8_11use_defaultESE_EEEENSA_INSB_IlSD_SE_SE_EEEEZNS1_13binary_searchIS3_S5_NSA_INS8_10device_ptrItEEEESG_SI_NS1_21upper_bound_search_opENS9_16wrapped_functionINS8_6system6detail7generic6detail18binary_search_lessEbEEEE10hipError_tPvRmT1_T2_T3_mmT4_T5_P12ihipStream_tbEUlRKtE_EESV_SZ_S10_mS11_S14_bEUlT_E_NS1_11comp_targetILNS1_3genE4ELNS1_11target_archE910ELNS1_3gpuE8ELNS1_3repE0EEENS1_30default_config_static_selectorELNS0_4arch9wavefront6targetE0EEEvSY_,comdat
	.protected	_ZN7rocprim17ROCPRIM_400000_NS6detail17trampoline_kernelINS0_14default_configENS1_27upper_bound_config_selectorItlEEZNS1_14transform_implILb0ES3_S5_N6thrust23THRUST_200600_302600_NS6detail15normal_iteratorINS8_7pointerItNS8_11hip_rocprim5par_tENS8_11use_defaultESE_EEEENSA_INSB_IlSD_SE_SE_EEEEZNS1_13binary_searchIS3_S5_NSA_INS8_10device_ptrItEEEESG_SI_NS1_21upper_bound_search_opENS9_16wrapped_functionINS8_6system6detail7generic6detail18binary_search_lessEbEEEE10hipError_tPvRmT1_T2_T3_mmT4_T5_P12ihipStream_tbEUlRKtE_EESV_SZ_S10_mS11_S14_bEUlT_E_NS1_11comp_targetILNS1_3genE4ELNS1_11target_archE910ELNS1_3gpuE8ELNS1_3repE0EEENS1_30default_config_static_selectorELNS0_4arch9wavefront6targetE0EEEvSY_ ; -- Begin function _ZN7rocprim17ROCPRIM_400000_NS6detail17trampoline_kernelINS0_14default_configENS1_27upper_bound_config_selectorItlEEZNS1_14transform_implILb0ES3_S5_N6thrust23THRUST_200600_302600_NS6detail15normal_iteratorINS8_7pointerItNS8_11hip_rocprim5par_tENS8_11use_defaultESE_EEEENSA_INSB_IlSD_SE_SE_EEEEZNS1_13binary_searchIS3_S5_NSA_INS8_10device_ptrItEEEESG_SI_NS1_21upper_bound_search_opENS9_16wrapped_functionINS8_6system6detail7generic6detail18binary_search_lessEbEEEE10hipError_tPvRmT1_T2_T3_mmT4_T5_P12ihipStream_tbEUlRKtE_EESV_SZ_S10_mS11_S14_bEUlT_E_NS1_11comp_targetILNS1_3genE4ELNS1_11target_archE910ELNS1_3gpuE8ELNS1_3repE0EEENS1_30default_config_static_selectorELNS0_4arch9wavefront6targetE0EEEvSY_
	.globl	_ZN7rocprim17ROCPRIM_400000_NS6detail17trampoline_kernelINS0_14default_configENS1_27upper_bound_config_selectorItlEEZNS1_14transform_implILb0ES3_S5_N6thrust23THRUST_200600_302600_NS6detail15normal_iteratorINS8_7pointerItNS8_11hip_rocprim5par_tENS8_11use_defaultESE_EEEENSA_INSB_IlSD_SE_SE_EEEEZNS1_13binary_searchIS3_S5_NSA_INS8_10device_ptrItEEEESG_SI_NS1_21upper_bound_search_opENS9_16wrapped_functionINS8_6system6detail7generic6detail18binary_search_lessEbEEEE10hipError_tPvRmT1_T2_T3_mmT4_T5_P12ihipStream_tbEUlRKtE_EESV_SZ_S10_mS11_S14_bEUlT_E_NS1_11comp_targetILNS1_3genE4ELNS1_11target_archE910ELNS1_3gpuE8ELNS1_3repE0EEENS1_30default_config_static_selectorELNS0_4arch9wavefront6targetE0EEEvSY_
	.p2align	8
	.type	_ZN7rocprim17ROCPRIM_400000_NS6detail17trampoline_kernelINS0_14default_configENS1_27upper_bound_config_selectorItlEEZNS1_14transform_implILb0ES3_S5_N6thrust23THRUST_200600_302600_NS6detail15normal_iteratorINS8_7pointerItNS8_11hip_rocprim5par_tENS8_11use_defaultESE_EEEENSA_INSB_IlSD_SE_SE_EEEEZNS1_13binary_searchIS3_S5_NSA_INS8_10device_ptrItEEEESG_SI_NS1_21upper_bound_search_opENS9_16wrapped_functionINS8_6system6detail7generic6detail18binary_search_lessEbEEEE10hipError_tPvRmT1_T2_T3_mmT4_T5_P12ihipStream_tbEUlRKtE_EESV_SZ_S10_mS11_S14_bEUlT_E_NS1_11comp_targetILNS1_3genE4ELNS1_11target_archE910ELNS1_3gpuE8ELNS1_3repE0EEENS1_30default_config_static_selectorELNS0_4arch9wavefront6targetE0EEEvSY_,@function
_ZN7rocprim17ROCPRIM_400000_NS6detail17trampoline_kernelINS0_14default_configENS1_27upper_bound_config_selectorItlEEZNS1_14transform_implILb0ES3_S5_N6thrust23THRUST_200600_302600_NS6detail15normal_iteratorINS8_7pointerItNS8_11hip_rocprim5par_tENS8_11use_defaultESE_EEEENSA_INSB_IlSD_SE_SE_EEEEZNS1_13binary_searchIS3_S5_NSA_INS8_10device_ptrItEEEESG_SI_NS1_21upper_bound_search_opENS9_16wrapped_functionINS8_6system6detail7generic6detail18binary_search_lessEbEEEE10hipError_tPvRmT1_T2_T3_mmT4_T5_P12ihipStream_tbEUlRKtE_EESV_SZ_S10_mS11_S14_bEUlT_E_NS1_11comp_targetILNS1_3genE4ELNS1_11target_archE910ELNS1_3gpuE8ELNS1_3repE0EEENS1_30default_config_static_selectorELNS0_4arch9wavefront6targetE0EEEvSY_: ; @_ZN7rocprim17ROCPRIM_400000_NS6detail17trampoline_kernelINS0_14default_configENS1_27upper_bound_config_selectorItlEEZNS1_14transform_implILb0ES3_S5_N6thrust23THRUST_200600_302600_NS6detail15normal_iteratorINS8_7pointerItNS8_11hip_rocprim5par_tENS8_11use_defaultESE_EEEENSA_INSB_IlSD_SE_SE_EEEEZNS1_13binary_searchIS3_S5_NSA_INS8_10device_ptrItEEEESG_SI_NS1_21upper_bound_search_opENS9_16wrapped_functionINS8_6system6detail7generic6detail18binary_search_lessEbEEEE10hipError_tPvRmT1_T2_T3_mmT4_T5_P12ihipStream_tbEUlRKtE_EESV_SZ_S10_mS11_S14_bEUlT_E_NS1_11comp_targetILNS1_3genE4ELNS1_11target_archE910ELNS1_3gpuE8ELNS1_3repE0EEENS1_30default_config_static_selectorELNS0_4arch9wavefront6targetE0EEEvSY_
; %bb.0:
	.section	.rodata,"a",@progbits
	.p2align	6, 0x0
	.amdhsa_kernel _ZN7rocprim17ROCPRIM_400000_NS6detail17trampoline_kernelINS0_14default_configENS1_27upper_bound_config_selectorItlEEZNS1_14transform_implILb0ES3_S5_N6thrust23THRUST_200600_302600_NS6detail15normal_iteratorINS8_7pointerItNS8_11hip_rocprim5par_tENS8_11use_defaultESE_EEEENSA_INSB_IlSD_SE_SE_EEEEZNS1_13binary_searchIS3_S5_NSA_INS8_10device_ptrItEEEESG_SI_NS1_21upper_bound_search_opENS9_16wrapped_functionINS8_6system6detail7generic6detail18binary_search_lessEbEEEE10hipError_tPvRmT1_T2_T3_mmT4_T5_P12ihipStream_tbEUlRKtE_EESV_SZ_S10_mS11_S14_bEUlT_E_NS1_11comp_targetILNS1_3genE4ELNS1_11target_archE910ELNS1_3gpuE8ELNS1_3repE0EEENS1_30default_config_static_selectorELNS0_4arch9wavefront6targetE0EEEvSY_
		.amdhsa_group_segment_fixed_size 0
		.amdhsa_private_segment_fixed_size 0
		.amdhsa_kernarg_size 56
		.amdhsa_user_sgpr_count 6
		.amdhsa_user_sgpr_private_segment_buffer 1
		.amdhsa_user_sgpr_dispatch_ptr 0
		.amdhsa_user_sgpr_queue_ptr 0
		.amdhsa_user_sgpr_kernarg_segment_ptr 1
		.amdhsa_user_sgpr_dispatch_id 0
		.amdhsa_user_sgpr_flat_scratch_init 0
		.amdhsa_user_sgpr_private_segment_size 0
		.amdhsa_wavefront_size32 1
		.amdhsa_uses_dynamic_stack 0
		.amdhsa_system_sgpr_private_segment_wavefront_offset 0
		.amdhsa_system_sgpr_workgroup_id_x 1
		.amdhsa_system_sgpr_workgroup_id_y 0
		.amdhsa_system_sgpr_workgroup_id_z 0
		.amdhsa_system_sgpr_workgroup_info 0
		.amdhsa_system_vgpr_workitem_id 0
		.amdhsa_next_free_vgpr 1
		.amdhsa_next_free_sgpr 1
		.amdhsa_reserve_vcc 0
		.amdhsa_reserve_flat_scratch 0
		.amdhsa_float_round_mode_32 0
		.amdhsa_float_round_mode_16_64 0
		.amdhsa_float_denorm_mode_32 3
		.amdhsa_float_denorm_mode_16_64 3
		.amdhsa_dx10_clamp 1
		.amdhsa_ieee_mode 1
		.amdhsa_fp16_overflow 0
		.amdhsa_workgroup_processor_mode 1
		.amdhsa_memory_ordered 1
		.amdhsa_forward_progress 1
		.amdhsa_shared_vgpr_count 0
		.amdhsa_exception_fp_ieee_invalid_op 0
		.amdhsa_exception_fp_denorm_src 0
		.amdhsa_exception_fp_ieee_div_zero 0
		.amdhsa_exception_fp_ieee_overflow 0
		.amdhsa_exception_fp_ieee_underflow 0
		.amdhsa_exception_fp_ieee_inexact 0
		.amdhsa_exception_int_div_zero 0
	.end_amdhsa_kernel
	.section	.text._ZN7rocprim17ROCPRIM_400000_NS6detail17trampoline_kernelINS0_14default_configENS1_27upper_bound_config_selectorItlEEZNS1_14transform_implILb0ES3_S5_N6thrust23THRUST_200600_302600_NS6detail15normal_iteratorINS8_7pointerItNS8_11hip_rocprim5par_tENS8_11use_defaultESE_EEEENSA_INSB_IlSD_SE_SE_EEEEZNS1_13binary_searchIS3_S5_NSA_INS8_10device_ptrItEEEESG_SI_NS1_21upper_bound_search_opENS9_16wrapped_functionINS8_6system6detail7generic6detail18binary_search_lessEbEEEE10hipError_tPvRmT1_T2_T3_mmT4_T5_P12ihipStream_tbEUlRKtE_EESV_SZ_S10_mS11_S14_bEUlT_E_NS1_11comp_targetILNS1_3genE4ELNS1_11target_archE910ELNS1_3gpuE8ELNS1_3repE0EEENS1_30default_config_static_selectorELNS0_4arch9wavefront6targetE0EEEvSY_,"axG",@progbits,_ZN7rocprim17ROCPRIM_400000_NS6detail17trampoline_kernelINS0_14default_configENS1_27upper_bound_config_selectorItlEEZNS1_14transform_implILb0ES3_S5_N6thrust23THRUST_200600_302600_NS6detail15normal_iteratorINS8_7pointerItNS8_11hip_rocprim5par_tENS8_11use_defaultESE_EEEENSA_INSB_IlSD_SE_SE_EEEEZNS1_13binary_searchIS3_S5_NSA_INS8_10device_ptrItEEEESG_SI_NS1_21upper_bound_search_opENS9_16wrapped_functionINS8_6system6detail7generic6detail18binary_search_lessEbEEEE10hipError_tPvRmT1_T2_T3_mmT4_T5_P12ihipStream_tbEUlRKtE_EESV_SZ_S10_mS11_S14_bEUlT_E_NS1_11comp_targetILNS1_3genE4ELNS1_11target_archE910ELNS1_3gpuE8ELNS1_3repE0EEENS1_30default_config_static_selectorELNS0_4arch9wavefront6targetE0EEEvSY_,comdat
.Lfunc_end556:
	.size	_ZN7rocprim17ROCPRIM_400000_NS6detail17trampoline_kernelINS0_14default_configENS1_27upper_bound_config_selectorItlEEZNS1_14transform_implILb0ES3_S5_N6thrust23THRUST_200600_302600_NS6detail15normal_iteratorINS8_7pointerItNS8_11hip_rocprim5par_tENS8_11use_defaultESE_EEEENSA_INSB_IlSD_SE_SE_EEEEZNS1_13binary_searchIS3_S5_NSA_INS8_10device_ptrItEEEESG_SI_NS1_21upper_bound_search_opENS9_16wrapped_functionINS8_6system6detail7generic6detail18binary_search_lessEbEEEE10hipError_tPvRmT1_T2_T3_mmT4_T5_P12ihipStream_tbEUlRKtE_EESV_SZ_S10_mS11_S14_bEUlT_E_NS1_11comp_targetILNS1_3genE4ELNS1_11target_archE910ELNS1_3gpuE8ELNS1_3repE0EEENS1_30default_config_static_selectorELNS0_4arch9wavefront6targetE0EEEvSY_, .Lfunc_end556-_ZN7rocprim17ROCPRIM_400000_NS6detail17trampoline_kernelINS0_14default_configENS1_27upper_bound_config_selectorItlEEZNS1_14transform_implILb0ES3_S5_N6thrust23THRUST_200600_302600_NS6detail15normal_iteratorINS8_7pointerItNS8_11hip_rocprim5par_tENS8_11use_defaultESE_EEEENSA_INSB_IlSD_SE_SE_EEEEZNS1_13binary_searchIS3_S5_NSA_INS8_10device_ptrItEEEESG_SI_NS1_21upper_bound_search_opENS9_16wrapped_functionINS8_6system6detail7generic6detail18binary_search_lessEbEEEE10hipError_tPvRmT1_T2_T3_mmT4_T5_P12ihipStream_tbEUlRKtE_EESV_SZ_S10_mS11_S14_bEUlT_E_NS1_11comp_targetILNS1_3genE4ELNS1_11target_archE910ELNS1_3gpuE8ELNS1_3repE0EEENS1_30default_config_static_selectorELNS0_4arch9wavefront6targetE0EEEvSY_
                                        ; -- End function
	.set _ZN7rocprim17ROCPRIM_400000_NS6detail17trampoline_kernelINS0_14default_configENS1_27upper_bound_config_selectorItlEEZNS1_14transform_implILb0ES3_S5_N6thrust23THRUST_200600_302600_NS6detail15normal_iteratorINS8_7pointerItNS8_11hip_rocprim5par_tENS8_11use_defaultESE_EEEENSA_INSB_IlSD_SE_SE_EEEEZNS1_13binary_searchIS3_S5_NSA_INS8_10device_ptrItEEEESG_SI_NS1_21upper_bound_search_opENS9_16wrapped_functionINS8_6system6detail7generic6detail18binary_search_lessEbEEEE10hipError_tPvRmT1_T2_T3_mmT4_T5_P12ihipStream_tbEUlRKtE_EESV_SZ_S10_mS11_S14_bEUlT_E_NS1_11comp_targetILNS1_3genE4ELNS1_11target_archE910ELNS1_3gpuE8ELNS1_3repE0EEENS1_30default_config_static_selectorELNS0_4arch9wavefront6targetE0EEEvSY_.num_vgpr, 0
	.set _ZN7rocprim17ROCPRIM_400000_NS6detail17trampoline_kernelINS0_14default_configENS1_27upper_bound_config_selectorItlEEZNS1_14transform_implILb0ES3_S5_N6thrust23THRUST_200600_302600_NS6detail15normal_iteratorINS8_7pointerItNS8_11hip_rocprim5par_tENS8_11use_defaultESE_EEEENSA_INSB_IlSD_SE_SE_EEEEZNS1_13binary_searchIS3_S5_NSA_INS8_10device_ptrItEEEESG_SI_NS1_21upper_bound_search_opENS9_16wrapped_functionINS8_6system6detail7generic6detail18binary_search_lessEbEEEE10hipError_tPvRmT1_T2_T3_mmT4_T5_P12ihipStream_tbEUlRKtE_EESV_SZ_S10_mS11_S14_bEUlT_E_NS1_11comp_targetILNS1_3genE4ELNS1_11target_archE910ELNS1_3gpuE8ELNS1_3repE0EEENS1_30default_config_static_selectorELNS0_4arch9wavefront6targetE0EEEvSY_.num_agpr, 0
	.set _ZN7rocprim17ROCPRIM_400000_NS6detail17trampoline_kernelINS0_14default_configENS1_27upper_bound_config_selectorItlEEZNS1_14transform_implILb0ES3_S5_N6thrust23THRUST_200600_302600_NS6detail15normal_iteratorINS8_7pointerItNS8_11hip_rocprim5par_tENS8_11use_defaultESE_EEEENSA_INSB_IlSD_SE_SE_EEEEZNS1_13binary_searchIS3_S5_NSA_INS8_10device_ptrItEEEESG_SI_NS1_21upper_bound_search_opENS9_16wrapped_functionINS8_6system6detail7generic6detail18binary_search_lessEbEEEE10hipError_tPvRmT1_T2_T3_mmT4_T5_P12ihipStream_tbEUlRKtE_EESV_SZ_S10_mS11_S14_bEUlT_E_NS1_11comp_targetILNS1_3genE4ELNS1_11target_archE910ELNS1_3gpuE8ELNS1_3repE0EEENS1_30default_config_static_selectorELNS0_4arch9wavefront6targetE0EEEvSY_.numbered_sgpr, 0
	.set _ZN7rocprim17ROCPRIM_400000_NS6detail17trampoline_kernelINS0_14default_configENS1_27upper_bound_config_selectorItlEEZNS1_14transform_implILb0ES3_S5_N6thrust23THRUST_200600_302600_NS6detail15normal_iteratorINS8_7pointerItNS8_11hip_rocprim5par_tENS8_11use_defaultESE_EEEENSA_INSB_IlSD_SE_SE_EEEEZNS1_13binary_searchIS3_S5_NSA_INS8_10device_ptrItEEEESG_SI_NS1_21upper_bound_search_opENS9_16wrapped_functionINS8_6system6detail7generic6detail18binary_search_lessEbEEEE10hipError_tPvRmT1_T2_T3_mmT4_T5_P12ihipStream_tbEUlRKtE_EESV_SZ_S10_mS11_S14_bEUlT_E_NS1_11comp_targetILNS1_3genE4ELNS1_11target_archE910ELNS1_3gpuE8ELNS1_3repE0EEENS1_30default_config_static_selectorELNS0_4arch9wavefront6targetE0EEEvSY_.num_named_barrier, 0
	.set _ZN7rocprim17ROCPRIM_400000_NS6detail17trampoline_kernelINS0_14default_configENS1_27upper_bound_config_selectorItlEEZNS1_14transform_implILb0ES3_S5_N6thrust23THRUST_200600_302600_NS6detail15normal_iteratorINS8_7pointerItNS8_11hip_rocprim5par_tENS8_11use_defaultESE_EEEENSA_INSB_IlSD_SE_SE_EEEEZNS1_13binary_searchIS3_S5_NSA_INS8_10device_ptrItEEEESG_SI_NS1_21upper_bound_search_opENS9_16wrapped_functionINS8_6system6detail7generic6detail18binary_search_lessEbEEEE10hipError_tPvRmT1_T2_T3_mmT4_T5_P12ihipStream_tbEUlRKtE_EESV_SZ_S10_mS11_S14_bEUlT_E_NS1_11comp_targetILNS1_3genE4ELNS1_11target_archE910ELNS1_3gpuE8ELNS1_3repE0EEENS1_30default_config_static_selectorELNS0_4arch9wavefront6targetE0EEEvSY_.private_seg_size, 0
	.set _ZN7rocprim17ROCPRIM_400000_NS6detail17trampoline_kernelINS0_14default_configENS1_27upper_bound_config_selectorItlEEZNS1_14transform_implILb0ES3_S5_N6thrust23THRUST_200600_302600_NS6detail15normal_iteratorINS8_7pointerItNS8_11hip_rocprim5par_tENS8_11use_defaultESE_EEEENSA_INSB_IlSD_SE_SE_EEEEZNS1_13binary_searchIS3_S5_NSA_INS8_10device_ptrItEEEESG_SI_NS1_21upper_bound_search_opENS9_16wrapped_functionINS8_6system6detail7generic6detail18binary_search_lessEbEEEE10hipError_tPvRmT1_T2_T3_mmT4_T5_P12ihipStream_tbEUlRKtE_EESV_SZ_S10_mS11_S14_bEUlT_E_NS1_11comp_targetILNS1_3genE4ELNS1_11target_archE910ELNS1_3gpuE8ELNS1_3repE0EEENS1_30default_config_static_selectorELNS0_4arch9wavefront6targetE0EEEvSY_.uses_vcc, 0
	.set _ZN7rocprim17ROCPRIM_400000_NS6detail17trampoline_kernelINS0_14default_configENS1_27upper_bound_config_selectorItlEEZNS1_14transform_implILb0ES3_S5_N6thrust23THRUST_200600_302600_NS6detail15normal_iteratorINS8_7pointerItNS8_11hip_rocprim5par_tENS8_11use_defaultESE_EEEENSA_INSB_IlSD_SE_SE_EEEEZNS1_13binary_searchIS3_S5_NSA_INS8_10device_ptrItEEEESG_SI_NS1_21upper_bound_search_opENS9_16wrapped_functionINS8_6system6detail7generic6detail18binary_search_lessEbEEEE10hipError_tPvRmT1_T2_T3_mmT4_T5_P12ihipStream_tbEUlRKtE_EESV_SZ_S10_mS11_S14_bEUlT_E_NS1_11comp_targetILNS1_3genE4ELNS1_11target_archE910ELNS1_3gpuE8ELNS1_3repE0EEENS1_30default_config_static_selectorELNS0_4arch9wavefront6targetE0EEEvSY_.uses_flat_scratch, 0
	.set _ZN7rocprim17ROCPRIM_400000_NS6detail17trampoline_kernelINS0_14default_configENS1_27upper_bound_config_selectorItlEEZNS1_14transform_implILb0ES3_S5_N6thrust23THRUST_200600_302600_NS6detail15normal_iteratorINS8_7pointerItNS8_11hip_rocprim5par_tENS8_11use_defaultESE_EEEENSA_INSB_IlSD_SE_SE_EEEEZNS1_13binary_searchIS3_S5_NSA_INS8_10device_ptrItEEEESG_SI_NS1_21upper_bound_search_opENS9_16wrapped_functionINS8_6system6detail7generic6detail18binary_search_lessEbEEEE10hipError_tPvRmT1_T2_T3_mmT4_T5_P12ihipStream_tbEUlRKtE_EESV_SZ_S10_mS11_S14_bEUlT_E_NS1_11comp_targetILNS1_3genE4ELNS1_11target_archE910ELNS1_3gpuE8ELNS1_3repE0EEENS1_30default_config_static_selectorELNS0_4arch9wavefront6targetE0EEEvSY_.has_dyn_sized_stack, 0
	.set _ZN7rocprim17ROCPRIM_400000_NS6detail17trampoline_kernelINS0_14default_configENS1_27upper_bound_config_selectorItlEEZNS1_14transform_implILb0ES3_S5_N6thrust23THRUST_200600_302600_NS6detail15normal_iteratorINS8_7pointerItNS8_11hip_rocprim5par_tENS8_11use_defaultESE_EEEENSA_INSB_IlSD_SE_SE_EEEEZNS1_13binary_searchIS3_S5_NSA_INS8_10device_ptrItEEEESG_SI_NS1_21upper_bound_search_opENS9_16wrapped_functionINS8_6system6detail7generic6detail18binary_search_lessEbEEEE10hipError_tPvRmT1_T2_T3_mmT4_T5_P12ihipStream_tbEUlRKtE_EESV_SZ_S10_mS11_S14_bEUlT_E_NS1_11comp_targetILNS1_3genE4ELNS1_11target_archE910ELNS1_3gpuE8ELNS1_3repE0EEENS1_30default_config_static_selectorELNS0_4arch9wavefront6targetE0EEEvSY_.has_recursion, 0
	.set _ZN7rocprim17ROCPRIM_400000_NS6detail17trampoline_kernelINS0_14default_configENS1_27upper_bound_config_selectorItlEEZNS1_14transform_implILb0ES3_S5_N6thrust23THRUST_200600_302600_NS6detail15normal_iteratorINS8_7pointerItNS8_11hip_rocprim5par_tENS8_11use_defaultESE_EEEENSA_INSB_IlSD_SE_SE_EEEEZNS1_13binary_searchIS3_S5_NSA_INS8_10device_ptrItEEEESG_SI_NS1_21upper_bound_search_opENS9_16wrapped_functionINS8_6system6detail7generic6detail18binary_search_lessEbEEEE10hipError_tPvRmT1_T2_T3_mmT4_T5_P12ihipStream_tbEUlRKtE_EESV_SZ_S10_mS11_S14_bEUlT_E_NS1_11comp_targetILNS1_3genE4ELNS1_11target_archE910ELNS1_3gpuE8ELNS1_3repE0EEENS1_30default_config_static_selectorELNS0_4arch9wavefront6targetE0EEEvSY_.has_indirect_call, 0
	.section	.AMDGPU.csdata,"",@progbits
; Kernel info:
; codeLenInByte = 0
; TotalNumSgprs: 0
; NumVgprs: 0
; ScratchSize: 0
; MemoryBound: 0
; FloatMode: 240
; IeeeMode: 1
; LDSByteSize: 0 bytes/workgroup (compile time only)
; SGPRBlocks: 0
; VGPRBlocks: 0
; NumSGPRsForWavesPerEU: 1
; NumVGPRsForWavesPerEU: 1
; Occupancy: 16
; WaveLimiterHint : 0
; COMPUTE_PGM_RSRC2:SCRATCH_EN: 0
; COMPUTE_PGM_RSRC2:USER_SGPR: 6
; COMPUTE_PGM_RSRC2:TRAP_HANDLER: 0
; COMPUTE_PGM_RSRC2:TGID_X_EN: 1
; COMPUTE_PGM_RSRC2:TGID_Y_EN: 0
; COMPUTE_PGM_RSRC2:TGID_Z_EN: 0
; COMPUTE_PGM_RSRC2:TIDIG_COMP_CNT: 0
	.section	.text._ZN7rocprim17ROCPRIM_400000_NS6detail17trampoline_kernelINS0_14default_configENS1_27upper_bound_config_selectorItlEEZNS1_14transform_implILb0ES3_S5_N6thrust23THRUST_200600_302600_NS6detail15normal_iteratorINS8_7pointerItNS8_11hip_rocprim5par_tENS8_11use_defaultESE_EEEENSA_INSB_IlSD_SE_SE_EEEEZNS1_13binary_searchIS3_S5_NSA_INS8_10device_ptrItEEEESG_SI_NS1_21upper_bound_search_opENS9_16wrapped_functionINS8_6system6detail7generic6detail18binary_search_lessEbEEEE10hipError_tPvRmT1_T2_T3_mmT4_T5_P12ihipStream_tbEUlRKtE_EESV_SZ_S10_mS11_S14_bEUlT_E_NS1_11comp_targetILNS1_3genE3ELNS1_11target_archE908ELNS1_3gpuE7ELNS1_3repE0EEENS1_30default_config_static_selectorELNS0_4arch9wavefront6targetE0EEEvSY_,"axG",@progbits,_ZN7rocprim17ROCPRIM_400000_NS6detail17trampoline_kernelINS0_14default_configENS1_27upper_bound_config_selectorItlEEZNS1_14transform_implILb0ES3_S5_N6thrust23THRUST_200600_302600_NS6detail15normal_iteratorINS8_7pointerItNS8_11hip_rocprim5par_tENS8_11use_defaultESE_EEEENSA_INSB_IlSD_SE_SE_EEEEZNS1_13binary_searchIS3_S5_NSA_INS8_10device_ptrItEEEESG_SI_NS1_21upper_bound_search_opENS9_16wrapped_functionINS8_6system6detail7generic6detail18binary_search_lessEbEEEE10hipError_tPvRmT1_T2_T3_mmT4_T5_P12ihipStream_tbEUlRKtE_EESV_SZ_S10_mS11_S14_bEUlT_E_NS1_11comp_targetILNS1_3genE3ELNS1_11target_archE908ELNS1_3gpuE7ELNS1_3repE0EEENS1_30default_config_static_selectorELNS0_4arch9wavefront6targetE0EEEvSY_,comdat
	.protected	_ZN7rocprim17ROCPRIM_400000_NS6detail17trampoline_kernelINS0_14default_configENS1_27upper_bound_config_selectorItlEEZNS1_14transform_implILb0ES3_S5_N6thrust23THRUST_200600_302600_NS6detail15normal_iteratorINS8_7pointerItNS8_11hip_rocprim5par_tENS8_11use_defaultESE_EEEENSA_INSB_IlSD_SE_SE_EEEEZNS1_13binary_searchIS3_S5_NSA_INS8_10device_ptrItEEEESG_SI_NS1_21upper_bound_search_opENS9_16wrapped_functionINS8_6system6detail7generic6detail18binary_search_lessEbEEEE10hipError_tPvRmT1_T2_T3_mmT4_T5_P12ihipStream_tbEUlRKtE_EESV_SZ_S10_mS11_S14_bEUlT_E_NS1_11comp_targetILNS1_3genE3ELNS1_11target_archE908ELNS1_3gpuE7ELNS1_3repE0EEENS1_30default_config_static_selectorELNS0_4arch9wavefront6targetE0EEEvSY_ ; -- Begin function _ZN7rocprim17ROCPRIM_400000_NS6detail17trampoline_kernelINS0_14default_configENS1_27upper_bound_config_selectorItlEEZNS1_14transform_implILb0ES3_S5_N6thrust23THRUST_200600_302600_NS6detail15normal_iteratorINS8_7pointerItNS8_11hip_rocprim5par_tENS8_11use_defaultESE_EEEENSA_INSB_IlSD_SE_SE_EEEEZNS1_13binary_searchIS3_S5_NSA_INS8_10device_ptrItEEEESG_SI_NS1_21upper_bound_search_opENS9_16wrapped_functionINS8_6system6detail7generic6detail18binary_search_lessEbEEEE10hipError_tPvRmT1_T2_T3_mmT4_T5_P12ihipStream_tbEUlRKtE_EESV_SZ_S10_mS11_S14_bEUlT_E_NS1_11comp_targetILNS1_3genE3ELNS1_11target_archE908ELNS1_3gpuE7ELNS1_3repE0EEENS1_30default_config_static_selectorELNS0_4arch9wavefront6targetE0EEEvSY_
	.globl	_ZN7rocprim17ROCPRIM_400000_NS6detail17trampoline_kernelINS0_14default_configENS1_27upper_bound_config_selectorItlEEZNS1_14transform_implILb0ES3_S5_N6thrust23THRUST_200600_302600_NS6detail15normal_iteratorINS8_7pointerItNS8_11hip_rocprim5par_tENS8_11use_defaultESE_EEEENSA_INSB_IlSD_SE_SE_EEEEZNS1_13binary_searchIS3_S5_NSA_INS8_10device_ptrItEEEESG_SI_NS1_21upper_bound_search_opENS9_16wrapped_functionINS8_6system6detail7generic6detail18binary_search_lessEbEEEE10hipError_tPvRmT1_T2_T3_mmT4_T5_P12ihipStream_tbEUlRKtE_EESV_SZ_S10_mS11_S14_bEUlT_E_NS1_11comp_targetILNS1_3genE3ELNS1_11target_archE908ELNS1_3gpuE7ELNS1_3repE0EEENS1_30default_config_static_selectorELNS0_4arch9wavefront6targetE0EEEvSY_
	.p2align	8
	.type	_ZN7rocprim17ROCPRIM_400000_NS6detail17trampoline_kernelINS0_14default_configENS1_27upper_bound_config_selectorItlEEZNS1_14transform_implILb0ES3_S5_N6thrust23THRUST_200600_302600_NS6detail15normal_iteratorINS8_7pointerItNS8_11hip_rocprim5par_tENS8_11use_defaultESE_EEEENSA_INSB_IlSD_SE_SE_EEEEZNS1_13binary_searchIS3_S5_NSA_INS8_10device_ptrItEEEESG_SI_NS1_21upper_bound_search_opENS9_16wrapped_functionINS8_6system6detail7generic6detail18binary_search_lessEbEEEE10hipError_tPvRmT1_T2_T3_mmT4_T5_P12ihipStream_tbEUlRKtE_EESV_SZ_S10_mS11_S14_bEUlT_E_NS1_11comp_targetILNS1_3genE3ELNS1_11target_archE908ELNS1_3gpuE7ELNS1_3repE0EEENS1_30default_config_static_selectorELNS0_4arch9wavefront6targetE0EEEvSY_,@function
_ZN7rocprim17ROCPRIM_400000_NS6detail17trampoline_kernelINS0_14default_configENS1_27upper_bound_config_selectorItlEEZNS1_14transform_implILb0ES3_S5_N6thrust23THRUST_200600_302600_NS6detail15normal_iteratorINS8_7pointerItNS8_11hip_rocprim5par_tENS8_11use_defaultESE_EEEENSA_INSB_IlSD_SE_SE_EEEEZNS1_13binary_searchIS3_S5_NSA_INS8_10device_ptrItEEEESG_SI_NS1_21upper_bound_search_opENS9_16wrapped_functionINS8_6system6detail7generic6detail18binary_search_lessEbEEEE10hipError_tPvRmT1_T2_T3_mmT4_T5_P12ihipStream_tbEUlRKtE_EESV_SZ_S10_mS11_S14_bEUlT_E_NS1_11comp_targetILNS1_3genE3ELNS1_11target_archE908ELNS1_3gpuE7ELNS1_3repE0EEENS1_30default_config_static_selectorELNS0_4arch9wavefront6targetE0EEEvSY_: ; @_ZN7rocprim17ROCPRIM_400000_NS6detail17trampoline_kernelINS0_14default_configENS1_27upper_bound_config_selectorItlEEZNS1_14transform_implILb0ES3_S5_N6thrust23THRUST_200600_302600_NS6detail15normal_iteratorINS8_7pointerItNS8_11hip_rocprim5par_tENS8_11use_defaultESE_EEEENSA_INSB_IlSD_SE_SE_EEEEZNS1_13binary_searchIS3_S5_NSA_INS8_10device_ptrItEEEESG_SI_NS1_21upper_bound_search_opENS9_16wrapped_functionINS8_6system6detail7generic6detail18binary_search_lessEbEEEE10hipError_tPvRmT1_T2_T3_mmT4_T5_P12ihipStream_tbEUlRKtE_EESV_SZ_S10_mS11_S14_bEUlT_E_NS1_11comp_targetILNS1_3genE3ELNS1_11target_archE908ELNS1_3gpuE7ELNS1_3repE0EEENS1_30default_config_static_selectorELNS0_4arch9wavefront6targetE0EEEvSY_
; %bb.0:
	.section	.rodata,"a",@progbits
	.p2align	6, 0x0
	.amdhsa_kernel _ZN7rocprim17ROCPRIM_400000_NS6detail17trampoline_kernelINS0_14default_configENS1_27upper_bound_config_selectorItlEEZNS1_14transform_implILb0ES3_S5_N6thrust23THRUST_200600_302600_NS6detail15normal_iteratorINS8_7pointerItNS8_11hip_rocprim5par_tENS8_11use_defaultESE_EEEENSA_INSB_IlSD_SE_SE_EEEEZNS1_13binary_searchIS3_S5_NSA_INS8_10device_ptrItEEEESG_SI_NS1_21upper_bound_search_opENS9_16wrapped_functionINS8_6system6detail7generic6detail18binary_search_lessEbEEEE10hipError_tPvRmT1_T2_T3_mmT4_T5_P12ihipStream_tbEUlRKtE_EESV_SZ_S10_mS11_S14_bEUlT_E_NS1_11comp_targetILNS1_3genE3ELNS1_11target_archE908ELNS1_3gpuE7ELNS1_3repE0EEENS1_30default_config_static_selectorELNS0_4arch9wavefront6targetE0EEEvSY_
		.amdhsa_group_segment_fixed_size 0
		.amdhsa_private_segment_fixed_size 0
		.amdhsa_kernarg_size 56
		.amdhsa_user_sgpr_count 6
		.amdhsa_user_sgpr_private_segment_buffer 1
		.amdhsa_user_sgpr_dispatch_ptr 0
		.amdhsa_user_sgpr_queue_ptr 0
		.amdhsa_user_sgpr_kernarg_segment_ptr 1
		.amdhsa_user_sgpr_dispatch_id 0
		.amdhsa_user_sgpr_flat_scratch_init 0
		.amdhsa_user_sgpr_private_segment_size 0
		.amdhsa_wavefront_size32 1
		.amdhsa_uses_dynamic_stack 0
		.amdhsa_system_sgpr_private_segment_wavefront_offset 0
		.amdhsa_system_sgpr_workgroup_id_x 1
		.amdhsa_system_sgpr_workgroup_id_y 0
		.amdhsa_system_sgpr_workgroup_id_z 0
		.amdhsa_system_sgpr_workgroup_info 0
		.amdhsa_system_vgpr_workitem_id 0
		.amdhsa_next_free_vgpr 1
		.amdhsa_next_free_sgpr 1
		.amdhsa_reserve_vcc 0
		.amdhsa_reserve_flat_scratch 0
		.amdhsa_float_round_mode_32 0
		.amdhsa_float_round_mode_16_64 0
		.amdhsa_float_denorm_mode_32 3
		.amdhsa_float_denorm_mode_16_64 3
		.amdhsa_dx10_clamp 1
		.amdhsa_ieee_mode 1
		.amdhsa_fp16_overflow 0
		.amdhsa_workgroup_processor_mode 1
		.amdhsa_memory_ordered 1
		.amdhsa_forward_progress 1
		.amdhsa_shared_vgpr_count 0
		.amdhsa_exception_fp_ieee_invalid_op 0
		.amdhsa_exception_fp_denorm_src 0
		.amdhsa_exception_fp_ieee_div_zero 0
		.amdhsa_exception_fp_ieee_overflow 0
		.amdhsa_exception_fp_ieee_underflow 0
		.amdhsa_exception_fp_ieee_inexact 0
		.amdhsa_exception_int_div_zero 0
	.end_amdhsa_kernel
	.section	.text._ZN7rocprim17ROCPRIM_400000_NS6detail17trampoline_kernelINS0_14default_configENS1_27upper_bound_config_selectorItlEEZNS1_14transform_implILb0ES3_S5_N6thrust23THRUST_200600_302600_NS6detail15normal_iteratorINS8_7pointerItNS8_11hip_rocprim5par_tENS8_11use_defaultESE_EEEENSA_INSB_IlSD_SE_SE_EEEEZNS1_13binary_searchIS3_S5_NSA_INS8_10device_ptrItEEEESG_SI_NS1_21upper_bound_search_opENS9_16wrapped_functionINS8_6system6detail7generic6detail18binary_search_lessEbEEEE10hipError_tPvRmT1_T2_T3_mmT4_T5_P12ihipStream_tbEUlRKtE_EESV_SZ_S10_mS11_S14_bEUlT_E_NS1_11comp_targetILNS1_3genE3ELNS1_11target_archE908ELNS1_3gpuE7ELNS1_3repE0EEENS1_30default_config_static_selectorELNS0_4arch9wavefront6targetE0EEEvSY_,"axG",@progbits,_ZN7rocprim17ROCPRIM_400000_NS6detail17trampoline_kernelINS0_14default_configENS1_27upper_bound_config_selectorItlEEZNS1_14transform_implILb0ES3_S5_N6thrust23THRUST_200600_302600_NS6detail15normal_iteratorINS8_7pointerItNS8_11hip_rocprim5par_tENS8_11use_defaultESE_EEEENSA_INSB_IlSD_SE_SE_EEEEZNS1_13binary_searchIS3_S5_NSA_INS8_10device_ptrItEEEESG_SI_NS1_21upper_bound_search_opENS9_16wrapped_functionINS8_6system6detail7generic6detail18binary_search_lessEbEEEE10hipError_tPvRmT1_T2_T3_mmT4_T5_P12ihipStream_tbEUlRKtE_EESV_SZ_S10_mS11_S14_bEUlT_E_NS1_11comp_targetILNS1_3genE3ELNS1_11target_archE908ELNS1_3gpuE7ELNS1_3repE0EEENS1_30default_config_static_selectorELNS0_4arch9wavefront6targetE0EEEvSY_,comdat
.Lfunc_end557:
	.size	_ZN7rocprim17ROCPRIM_400000_NS6detail17trampoline_kernelINS0_14default_configENS1_27upper_bound_config_selectorItlEEZNS1_14transform_implILb0ES3_S5_N6thrust23THRUST_200600_302600_NS6detail15normal_iteratorINS8_7pointerItNS8_11hip_rocprim5par_tENS8_11use_defaultESE_EEEENSA_INSB_IlSD_SE_SE_EEEEZNS1_13binary_searchIS3_S5_NSA_INS8_10device_ptrItEEEESG_SI_NS1_21upper_bound_search_opENS9_16wrapped_functionINS8_6system6detail7generic6detail18binary_search_lessEbEEEE10hipError_tPvRmT1_T2_T3_mmT4_T5_P12ihipStream_tbEUlRKtE_EESV_SZ_S10_mS11_S14_bEUlT_E_NS1_11comp_targetILNS1_3genE3ELNS1_11target_archE908ELNS1_3gpuE7ELNS1_3repE0EEENS1_30default_config_static_selectorELNS0_4arch9wavefront6targetE0EEEvSY_, .Lfunc_end557-_ZN7rocprim17ROCPRIM_400000_NS6detail17trampoline_kernelINS0_14default_configENS1_27upper_bound_config_selectorItlEEZNS1_14transform_implILb0ES3_S5_N6thrust23THRUST_200600_302600_NS6detail15normal_iteratorINS8_7pointerItNS8_11hip_rocprim5par_tENS8_11use_defaultESE_EEEENSA_INSB_IlSD_SE_SE_EEEEZNS1_13binary_searchIS3_S5_NSA_INS8_10device_ptrItEEEESG_SI_NS1_21upper_bound_search_opENS9_16wrapped_functionINS8_6system6detail7generic6detail18binary_search_lessEbEEEE10hipError_tPvRmT1_T2_T3_mmT4_T5_P12ihipStream_tbEUlRKtE_EESV_SZ_S10_mS11_S14_bEUlT_E_NS1_11comp_targetILNS1_3genE3ELNS1_11target_archE908ELNS1_3gpuE7ELNS1_3repE0EEENS1_30default_config_static_selectorELNS0_4arch9wavefront6targetE0EEEvSY_
                                        ; -- End function
	.set _ZN7rocprim17ROCPRIM_400000_NS6detail17trampoline_kernelINS0_14default_configENS1_27upper_bound_config_selectorItlEEZNS1_14transform_implILb0ES3_S5_N6thrust23THRUST_200600_302600_NS6detail15normal_iteratorINS8_7pointerItNS8_11hip_rocprim5par_tENS8_11use_defaultESE_EEEENSA_INSB_IlSD_SE_SE_EEEEZNS1_13binary_searchIS3_S5_NSA_INS8_10device_ptrItEEEESG_SI_NS1_21upper_bound_search_opENS9_16wrapped_functionINS8_6system6detail7generic6detail18binary_search_lessEbEEEE10hipError_tPvRmT1_T2_T3_mmT4_T5_P12ihipStream_tbEUlRKtE_EESV_SZ_S10_mS11_S14_bEUlT_E_NS1_11comp_targetILNS1_3genE3ELNS1_11target_archE908ELNS1_3gpuE7ELNS1_3repE0EEENS1_30default_config_static_selectorELNS0_4arch9wavefront6targetE0EEEvSY_.num_vgpr, 0
	.set _ZN7rocprim17ROCPRIM_400000_NS6detail17trampoline_kernelINS0_14default_configENS1_27upper_bound_config_selectorItlEEZNS1_14transform_implILb0ES3_S5_N6thrust23THRUST_200600_302600_NS6detail15normal_iteratorINS8_7pointerItNS8_11hip_rocprim5par_tENS8_11use_defaultESE_EEEENSA_INSB_IlSD_SE_SE_EEEEZNS1_13binary_searchIS3_S5_NSA_INS8_10device_ptrItEEEESG_SI_NS1_21upper_bound_search_opENS9_16wrapped_functionINS8_6system6detail7generic6detail18binary_search_lessEbEEEE10hipError_tPvRmT1_T2_T3_mmT4_T5_P12ihipStream_tbEUlRKtE_EESV_SZ_S10_mS11_S14_bEUlT_E_NS1_11comp_targetILNS1_3genE3ELNS1_11target_archE908ELNS1_3gpuE7ELNS1_3repE0EEENS1_30default_config_static_selectorELNS0_4arch9wavefront6targetE0EEEvSY_.num_agpr, 0
	.set _ZN7rocprim17ROCPRIM_400000_NS6detail17trampoline_kernelINS0_14default_configENS1_27upper_bound_config_selectorItlEEZNS1_14transform_implILb0ES3_S5_N6thrust23THRUST_200600_302600_NS6detail15normal_iteratorINS8_7pointerItNS8_11hip_rocprim5par_tENS8_11use_defaultESE_EEEENSA_INSB_IlSD_SE_SE_EEEEZNS1_13binary_searchIS3_S5_NSA_INS8_10device_ptrItEEEESG_SI_NS1_21upper_bound_search_opENS9_16wrapped_functionINS8_6system6detail7generic6detail18binary_search_lessEbEEEE10hipError_tPvRmT1_T2_T3_mmT4_T5_P12ihipStream_tbEUlRKtE_EESV_SZ_S10_mS11_S14_bEUlT_E_NS1_11comp_targetILNS1_3genE3ELNS1_11target_archE908ELNS1_3gpuE7ELNS1_3repE0EEENS1_30default_config_static_selectorELNS0_4arch9wavefront6targetE0EEEvSY_.numbered_sgpr, 0
	.set _ZN7rocprim17ROCPRIM_400000_NS6detail17trampoline_kernelINS0_14default_configENS1_27upper_bound_config_selectorItlEEZNS1_14transform_implILb0ES3_S5_N6thrust23THRUST_200600_302600_NS6detail15normal_iteratorINS8_7pointerItNS8_11hip_rocprim5par_tENS8_11use_defaultESE_EEEENSA_INSB_IlSD_SE_SE_EEEEZNS1_13binary_searchIS3_S5_NSA_INS8_10device_ptrItEEEESG_SI_NS1_21upper_bound_search_opENS9_16wrapped_functionINS8_6system6detail7generic6detail18binary_search_lessEbEEEE10hipError_tPvRmT1_T2_T3_mmT4_T5_P12ihipStream_tbEUlRKtE_EESV_SZ_S10_mS11_S14_bEUlT_E_NS1_11comp_targetILNS1_3genE3ELNS1_11target_archE908ELNS1_3gpuE7ELNS1_3repE0EEENS1_30default_config_static_selectorELNS0_4arch9wavefront6targetE0EEEvSY_.num_named_barrier, 0
	.set _ZN7rocprim17ROCPRIM_400000_NS6detail17trampoline_kernelINS0_14default_configENS1_27upper_bound_config_selectorItlEEZNS1_14transform_implILb0ES3_S5_N6thrust23THRUST_200600_302600_NS6detail15normal_iteratorINS8_7pointerItNS8_11hip_rocprim5par_tENS8_11use_defaultESE_EEEENSA_INSB_IlSD_SE_SE_EEEEZNS1_13binary_searchIS3_S5_NSA_INS8_10device_ptrItEEEESG_SI_NS1_21upper_bound_search_opENS9_16wrapped_functionINS8_6system6detail7generic6detail18binary_search_lessEbEEEE10hipError_tPvRmT1_T2_T3_mmT4_T5_P12ihipStream_tbEUlRKtE_EESV_SZ_S10_mS11_S14_bEUlT_E_NS1_11comp_targetILNS1_3genE3ELNS1_11target_archE908ELNS1_3gpuE7ELNS1_3repE0EEENS1_30default_config_static_selectorELNS0_4arch9wavefront6targetE0EEEvSY_.private_seg_size, 0
	.set _ZN7rocprim17ROCPRIM_400000_NS6detail17trampoline_kernelINS0_14default_configENS1_27upper_bound_config_selectorItlEEZNS1_14transform_implILb0ES3_S5_N6thrust23THRUST_200600_302600_NS6detail15normal_iteratorINS8_7pointerItNS8_11hip_rocprim5par_tENS8_11use_defaultESE_EEEENSA_INSB_IlSD_SE_SE_EEEEZNS1_13binary_searchIS3_S5_NSA_INS8_10device_ptrItEEEESG_SI_NS1_21upper_bound_search_opENS9_16wrapped_functionINS8_6system6detail7generic6detail18binary_search_lessEbEEEE10hipError_tPvRmT1_T2_T3_mmT4_T5_P12ihipStream_tbEUlRKtE_EESV_SZ_S10_mS11_S14_bEUlT_E_NS1_11comp_targetILNS1_3genE3ELNS1_11target_archE908ELNS1_3gpuE7ELNS1_3repE0EEENS1_30default_config_static_selectorELNS0_4arch9wavefront6targetE0EEEvSY_.uses_vcc, 0
	.set _ZN7rocprim17ROCPRIM_400000_NS6detail17trampoline_kernelINS0_14default_configENS1_27upper_bound_config_selectorItlEEZNS1_14transform_implILb0ES3_S5_N6thrust23THRUST_200600_302600_NS6detail15normal_iteratorINS8_7pointerItNS8_11hip_rocprim5par_tENS8_11use_defaultESE_EEEENSA_INSB_IlSD_SE_SE_EEEEZNS1_13binary_searchIS3_S5_NSA_INS8_10device_ptrItEEEESG_SI_NS1_21upper_bound_search_opENS9_16wrapped_functionINS8_6system6detail7generic6detail18binary_search_lessEbEEEE10hipError_tPvRmT1_T2_T3_mmT4_T5_P12ihipStream_tbEUlRKtE_EESV_SZ_S10_mS11_S14_bEUlT_E_NS1_11comp_targetILNS1_3genE3ELNS1_11target_archE908ELNS1_3gpuE7ELNS1_3repE0EEENS1_30default_config_static_selectorELNS0_4arch9wavefront6targetE0EEEvSY_.uses_flat_scratch, 0
	.set _ZN7rocprim17ROCPRIM_400000_NS6detail17trampoline_kernelINS0_14default_configENS1_27upper_bound_config_selectorItlEEZNS1_14transform_implILb0ES3_S5_N6thrust23THRUST_200600_302600_NS6detail15normal_iteratorINS8_7pointerItNS8_11hip_rocprim5par_tENS8_11use_defaultESE_EEEENSA_INSB_IlSD_SE_SE_EEEEZNS1_13binary_searchIS3_S5_NSA_INS8_10device_ptrItEEEESG_SI_NS1_21upper_bound_search_opENS9_16wrapped_functionINS8_6system6detail7generic6detail18binary_search_lessEbEEEE10hipError_tPvRmT1_T2_T3_mmT4_T5_P12ihipStream_tbEUlRKtE_EESV_SZ_S10_mS11_S14_bEUlT_E_NS1_11comp_targetILNS1_3genE3ELNS1_11target_archE908ELNS1_3gpuE7ELNS1_3repE0EEENS1_30default_config_static_selectorELNS0_4arch9wavefront6targetE0EEEvSY_.has_dyn_sized_stack, 0
	.set _ZN7rocprim17ROCPRIM_400000_NS6detail17trampoline_kernelINS0_14default_configENS1_27upper_bound_config_selectorItlEEZNS1_14transform_implILb0ES3_S5_N6thrust23THRUST_200600_302600_NS6detail15normal_iteratorINS8_7pointerItNS8_11hip_rocprim5par_tENS8_11use_defaultESE_EEEENSA_INSB_IlSD_SE_SE_EEEEZNS1_13binary_searchIS3_S5_NSA_INS8_10device_ptrItEEEESG_SI_NS1_21upper_bound_search_opENS9_16wrapped_functionINS8_6system6detail7generic6detail18binary_search_lessEbEEEE10hipError_tPvRmT1_T2_T3_mmT4_T5_P12ihipStream_tbEUlRKtE_EESV_SZ_S10_mS11_S14_bEUlT_E_NS1_11comp_targetILNS1_3genE3ELNS1_11target_archE908ELNS1_3gpuE7ELNS1_3repE0EEENS1_30default_config_static_selectorELNS0_4arch9wavefront6targetE0EEEvSY_.has_recursion, 0
	.set _ZN7rocprim17ROCPRIM_400000_NS6detail17trampoline_kernelINS0_14default_configENS1_27upper_bound_config_selectorItlEEZNS1_14transform_implILb0ES3_S5_N6thrust23THRUST_200600_302600_NS6detail15normal_iteratorINS8_7pointerItNS8_11hip_rocprim5par_tENS8_11use_defaultESE_EEEENSA_INSB_IlSD_SE_SE_EEEEZNS1_13binary_searchIS3_S5_NSA_INS8_10device_ptrItEEEESG_SI_NS1_21upper_bound_search_opENS9_16wrapped_functionINS8_6system6detail7generic6detail18binary_search_lessEbEEEE10hipError_tPvRmT1_T2_T3_mmT4_T5_P12ihipStream_tbEUlRKtE_EESV_SZ_S10_mS11_S14_bEUlT_E_NS1_11comp_targetILNS1_3genE3ELNS1_11target_archE908ELNS1_3gpuE7ELNS1_3repE0EEENS1_30default_config_static_selectorELNS0_4arch9wavefront6targetE0EEEvSY_.has_indirect_call, 0
	.section	.AMDGPU.csdata,"",@progbits
; Kernel info:
; codeLenInByte = 0
; TotalNumSgprs: 0
; NumVgprs: 0
; ScratchSize: 0
; MemoryBound: 0
; FloatMode: 240
; IeeeMode: 1
; LDSByteSize: 0 bytes/workgroup (compile time only)
; SGPRBlocks: 0
; VGPRBlocks: 0
; NumSGPRsForWavesPerEU: 1
; NumVGPRsForWavesPerEU: 1
; Occupancy: 16
; WaveLimiterHint : 0
; COMPUTE_PGM_RSRC2:SCRATCH_EN: 0
; COMPUTE_PGM_RSRC2:USER_SGPR: 6
; COMPUTE_PGM_RSRC2:TRAP_HANDLER: 0
; COMPUTE_PGM_RSRC2:TGID_X_EN: 1
; COMPUTE_PGM_RSRC2:TGID_Y_EN: 0
; COMPUTE_PGM_RSRC2:TGID_Z_EN: 0
; COMPUTE_PGM_RSRC2:TIDIG_COMP_CNT: 0
	.section	.text._ZN7rocprim17ROCPRIM_400000_NS6detail17trampoline_kernelINS0_14default_configENS1_27upper_bound_config_selectorItlEEZNS1_14transform_implILb0ES3_S5_N6thrust23THRUST_200600_302600_NS6detail15normal_iteratorINS8_7pointerItNS8_11hip_rocprim5par_tENS8_11use_defaultESE_EEEENSA_INSB_IlSD_SE_SE_EEEEZNS1_13binary_searchIS3_S5_NSA_INS8_10device_ptrItEEEESG_SI_NS1_21upper_bound_search_opENS9_16wrapped_functionINS8_6system6detail7generic6detail18binary_search_lessEbEEEE10hipError_tPvRmT1_T2_T3_mmT4_T5_P12ihipStream_tbEUlRKtE_EESV_SZ_S10_mS11_S14_bEUlT_E_NS1_11comp_targetILNS1_3genE2ELNS1_11target_archE906ELNS1_3gpuE6ELNS1_3repE0EEENS1_30default_config_static_selectorELNS0_4arch9wavefront6targetE0EEEvSY_,"axG",@progbits,_ZN7rocprim17ROCPRIM_400000_NS6detail17trampoline_kernelINS0_14default_configENS1_27upper_bound_config_selectorItlEEZNS1_14transform_implILb0ES3_S5_N6thrust23THRUST_200600_302600_NS6detail15normal_iteratorINS8_7pointerItNS8_11hip_rocprim5par_tENS8_11use_defaultESE_EEEENSA_INSB_IlSD_SE_SE_EEEEZNS1_13binary_searchIS3_S5_NSA_INS8_10device_ptrItEEEESG_SI_NS1_21upper_bound_search_opENS9_16wrapped_functionINS8_6system6detail7generic6detail18binary_search_lessEbEEEE10hipError_tPvRmT1_T2_T3_mmT4_T5_P12ihipStream_tbEUlRKtE_EESV_SZ_S10_mS11_S14_bEUlT_E_NS1_11comp_targetILNS1_3genE2ELNS1_11target_archE906ELNS1_3gpuE6ELNS1_3repE0EEENS1_30default_config_static_selectorELNS0_4arch9wavefront6targetE0EEEvSY_,comdat
	.protected	_ZN7rocprim17ROCPRIM_400000_NS6detail17trampoline_kernelINS0_14default_configENS1_27upper_bound_config_selectorItlEEZNS1_14transform_implILb0ES3_S5_N6thrust23THRUST_200600_302600_NS6detail15normal_iteratorINS8_7pointerItNS8_11hip_rocprim5par_tENS8_11use_defaultESE_EEEENSA_INSB_IlSD_SE_SE_EEEEZNS1_13binary_searchIS3_S5_NSA_INS8_10device_ptrItEEEESG_SI_NS1_21upper_bound_search_opENS9_16wrapped_functionINS8_6system6detail7generic6detail18binary_search_lessEbEEEE10hipError_tPvRmT1_T2_T3_mmT4_T5_P12ihipStream_tbEUlRKtE_EESV_SZ_S10_mS11_S14_bEUlT_E_NS1_11comp_targetILNS1_3genE2ELNS1_11target_archE906ELNS1_3gpuE6ELNS1_3repE0EEENS1_30default_config_static_selectorELNS0_4arch9wavefront6targetE0EEEvSY_ ; -- Begin function _ZN7rocprim17ROCPRIM_400000_NS6detail17trampoline_kernelINS0_14default_configENS1_27upper_bound_config_selectorItlEEZNS1_14transform_implILb0ES3_S5_N6thrust23THRUST_200600_302600_NS6detail15normal_iteratorINS8_7pointerItNS8_11hip_rocprim5par_tENS8_11use_defaultESE_EEEENSA_INSB_IlSD_SE_SE_EEEEZNS1_13binary_searchIS3_S5_NSA_INS8_10device_ptrItEEEESG_SI_NS1_21upper_bound_search_opENS9_16wrapped_functionINS8_6system6detail7generic6detail18binary_search_lessEbEEEE10hipError_tPvRmT1_T2_T3_mmT4_T5_P12ihipStream_tbEUlRKtE_EESV_SZ_S10_mS11_S14_bEUlT_E_NS1_11comp_targetILNS1_3genE2ELNS1_11target_archE906ELNS1_3gpuE6ELNS1_3repE0EEENS1_30default_config_static_selectorELNS0_4arch9wavefront6targetE0EEEvSY_
	.globl	_ZN7rocprim17ROCPRIM_400000_NS6detail17trampoline_kernelINS0_14default_configENS1_27upper_bound_config_selectorItlEEZNS1_14transform_implILb0ES3_S5_N6thrust23THRUST_200600_302600_NS6detail15normal_iteratorINS8_7pointerItNS8_11hip_rocprim5par_tENS8_11use_defaultESE_EEEENSA_INSB_IlSD_SE_SE_EEEEZNS1_13binary_searchIS3_S5_NSA_INS8_10device_ptrItEEEESG_SI_NS1_21upper_bound_search_opENS9_16wrapped_functionINS8_6system6detail7generic6detail18binary_search_lessEbEEEE10hipError_tPvRmT1_T2_T3_mmT4_T5_P12ihipStream_tbEUlRKtE_EESV_SZ_S10_mS11_S14_bEUlT_E_NS1_11comp_targetILNS1_3genE2ELNS1_11target_archE906ELNS1_3gpuE6ELNS1_3repE0EEENS1_30default_config_static_selectorELNS0_4arch9wavefront6targetE0EEEvSY_
	.p2align	8
	.type	_ZN7rocprim17ROCPRIM_400000_NS6detail17trampoline_kernelINS0_14default_configENS1_27upper_bound_config_selectorItlEEZNS1_14transform_implILb0ES3_S5_N6thrust23THRUST_200600_302600_NS6detail15normal_iteratorINS8_7pointerItNS8_11hip_rocprim5par_tENS8_11use_defaultESE_EEEENSA_INSB_IlSD_SE_SE_EEEEZNS1_13binary_searchIS3_S5_NSA_INS8_10device_ptrItEEEESG_SI_NS1_21upper_bound_search_opENS9_16wrapped_functionINS8_6system6detail7generic6detail18binary_search_lessEbEEEE10hipError_tPvRmT1_T2_T3_mmT4_T5_P12ihipStream_tbEUlRKtE_EESV_SZ_S10_mS11_S14_bEUlT_E_NS1_11comp_targetILNS1_3genE2ELNS1_11target_archE906ELNS1_3gpuE6ELNS1_3repE0EEENS1_30default_config_static_selectorELNS0_4arch9wavefront6targetE0EEEvSY_,@function
_ZN7rocprim17ROCPRIM_400000_NS6detail17trampoline_kernelINS0_14default_configENS1_27upper_bound_config_selectorItlEEZNS1_14transform_implILb0ES3_S5_N6thrust23THRUST_200600_302600_NS6detail15normal_iteratorINS8_7pointerItNS8_11hip_rocprim5par_tENS8_11use_defaultESE_EEEENSA_INSB_IlSD_SE_SE_EEEEZNS1_13binary_searchIS3_S5_NSA_INS8_10device_ptrItEEEESG_SI_NS1_21upper_bound_search_opENS9_16wrapped_functionINS8_6system6detail7generic6detail18binary_search_lessEbEEEE10hipError_tPvRmT1_T2_T3_mmT4_T5_P12ihipStream_tbEUlRKtE_EESV_SZ_S10_mS11_S14_bEUlT_E_NS1_11comp_targetILNS1_3genE2ELNS1_11target_archE906ELNS1_3gpuE6ELNS1_3repE0EEENS1_30default_config_static_selectorELNS0_4arch9wavefront6targetE0EEEvSY_: ; @_ZN7rocprim17ROCPRIM_400000_NS6detail17trampoline_kernelINS0_14default_configENS1_27upper_bound_config_selectorItlEEZNS1_14transform_implILb0ES3_S5_N6thrust23THRUST_200600_302600_NS6detail15normal_iteratorINS8_7pointerItNS8_11hip_rocprim5par_tENS8_11use_defaultESE_EEEENSA_INSB_IlSD_SE_SE_EEEEZNS1_13binary_searchIS3_S5_NSA_INS8_10device_ptrItEEEESG_SI_NS1_21upper_bound_search_opENS9_16wrapped_functionINS8_6system6detail7generic6detail18binary_search_lessEbEEEE10hipError_tPvRmT1_T2_T3_mmT4_T5_P12ihipStream_tbEUlRKtE_EESV_SZ_S10_mS11_S14_bEUlT_E_NS1_11comp_targetILNS1_3genE2ELNS1_11target_archE906ELNS1_3gpuE6ELNS1_3repE0EEENS1_30default_config_static_selectorELNS0_4arch9wavefront6targetE0EEEvSY_
; %bb.0:
	.section	.rodata,"a",@progbits
	.p2align	6, 0x0
	.amdhsa_kernel _ZN7rocprim17ROCPRIM_400000_NS6detail17trampoline_kernelINS0_14default_configENS1_27upper_bound_config_selectorItlEEZNS1_14transform_implILb0ES3_S5_N6thrust23THRUST_200600_302600_NS6detail15normal_iteratorINS8_7pointerItNS8_11hip_rocprim5par_tENS8_11use_defaultESE_EEEENSA_INSB_IlSD_SE_SE_EEEEZNS1_13binary_searchIS3_S5_NSA_INS8_10device_ptrItEEEESG_SI_NS1_21upper_bound_search_opENS9_16wrapped_functionINS8_6system6detail7generic6detail18binary_search_lessEbEEEE10hipError_tPvRmT1_T2_T3_mmT4_T5_P12ihipStream_tbEUlRKtE_EESV_SZ_S10_mS11_S14_bEUlT_E_NS1_11comp_targetILNS1_3genE2ELNS1_11target_archE906ELNS1_3gpuE6ELNS1_3repE0EEENS1_30default_config_static_selectorELNS0_4arch9wavefront6targetE0EEEvSY_
		.amdhsa_group_segment_fixed_size 0
		.amdhsa_private_segment_fixed_size 0
		.amdhsa_kernarg_size 56
		.amdhsa_user_sgpr_count 6
		.amdhsa_user_sgpr_private_segment_buffer 1
		.amdhsa_user_sgpr_dispatch_ptr 0
		.amdhsa_user_sgpr_queue_ptr 0
		.amdhsa_user_sgpr_kernarg_segment_ptr 1
		.amdhsa_user_sgpr_dispatch_id 0
		.amdhsa_user_sgpr_flat_scratch_init 0
		.amdhsa_user_sgpr_private_segment_size 0
		.amdhsa_wavefront_size32 1
		.amdhsa_uses_dynamic_stack 0
		.amdhsa_system_sgpr_private_segment_wavefront_offset 0
		.amdhsa_system_sgpr_workgroup_id_x 1
		.amdhsa_system_sgpr_workgroup_id_y 0
		.amdhsa_system_sgpr_workgroup_id_z 0
		.amdhsa_system_sgpr_workgroup_info 0
		.amdhsa_system_vgpr_workitem_id 0
		.amdhsa_next_free_vgpr 1
		.amdhsa_next_free_sgpr 1
		.amdhsa_reserve_vcc 0
		.amdhsa_reserve_flat_scratch 0
		.amdhsa_float_round_mode_32 0
		.amdhsa_float_round_mode_16_64 0
		.amdhsa_float_denorm_mode_32 3
		.amdhsa_float_denorm_mode_16_64 3
		.amdhsa_dx10_clamp 1
		.amdhsa_ieee_mode 1
		.amdhsa_fp16_overflow 0
		.amdhsa_workgroup_processor_mode 1
		.amdhsa_memory_ordered 1
		.amdhsa_forward_progress 1
		.amdhsa_shared_vgpr_count 0
		.amdhsa_exception_fp_ieee_invalid_op 0
		.amdhsa_exception_fp_denorm_src 0
		.amdhsa_exception_fp_ieee_div_zero 0
		.amdhsa_exception_fp_ieee_overflow 0
		.amdhsa_exception_fp_ieee_underflow 0
		.amdhsa_exception_fp_ieee_inexact 0
		.amdhsa_exception_int_div_zero 0
	.end_amdhsa_kernel
	.section	.text._ZN7rocprim17ROCPRIM_400000_NS6detail17trampoline_kernelINS0_14default_configENS1_27upper_bound_config_selectorItlEEZNS1_14transform_implILb0ES3_S5_N6thrust23THRUST_200600_302600_NS6detail15normal_iteratorINS8_7pointerItNS8_11hip_rocprim5par_tENS8_11use_defaultESE_EEEENSA_INSB_IlSD_SE_SE_EEEEZNS1_13binary_searchIS3_S5_NSA_INS8_10device_ptrItEEEESG_SI_NS1_21upper_bound_search_opENS9_16wrapped_functionINS8_6system6detail7generic6detail18binary_search_lessEbEEEE10hipError_tPvRmT1_T2_T3_mmT4_T5_P12ihipStream_tbEUlRKtE_EESV_SZ_S10_mS11_S14_bEUlT_E_NS1_11comp_targetILNS1_3genE2ELNS1_11target_archE906ELNS1_3gpuE6ELNS1_3repE0EEENS1_30default_config_static_selectorELNS0_4arch9wavefront6targetE0EEEvSY_,"axG",@progbits,_ZN7rocprim17ROCPRIM_400000_NS6detail17trampoline_kernelINS0_14default_configENS1_27upper_bound_config_selectorItlEEZNS1_14transform_implILb0ES3_S5_N6thrust23THRUST_200600_302600_NS6detail15normal_iteratorINS8_7pointerItNS8_11hip_rocprim5par_tENS8_11use_defaultESE_EEEENSA_INSB_IlSD_SE_SE_EEEEZNS1_13binary_searchIS3_S5_NSA_INS8_10device_ptrItEEEESG_SI_NS1_21upper_bound_search_opENS9_16wrapped_functionINS8_6system6detail7generic6detail18binary_search_lessEbEEEE10hipError_tPvRmT1_T2_T3_mmT4_T5_P12ihipStream_tbEUlRKtE_EESV_SZ_S10_mS11_S14_bEUlT_E_NS1_11comp_targetILNS1_3genE2ELNS1_11target_archE906ELNS1_3gpuE6ELNS1_3repE0EEENS1_30default_config_static_selectorELNS0_4arch9wavefront6targetE0EEEvSY_,comdat
.Lfunc_end558:
	.size	_ZN7rocprim17ROCPRIM_400000_NS6detail17trampoline_kernelINS0_14default_configENS1_27upper_bound_config_selectorItlEEZNS1_14transform_implILb0ES3_S5_N6thrust23THRUST_200600_302600_NS6detail15normal_iteratorINS8_7pointerItNS8_11hip_rocprim5par_tENS8_11use_defaultESE_EEEENSA_INSB_IlSD_SE_SE_EEEEZNS1_13binary_searchIS3_S5_NSA_INS8_10device_ptrItEEEESG_SI_NS1_21upper_bound_search_opENS9_16wrapped_functionINS8_6system6detail7generic6detail18binary_search_lessEbEEEE10hipError_tPvRmT1_T2_T3_mmT4_T5_P12ihipStream_tbEUlRKtE_EESV_SZ_S10_mS11_S14_bEUlT_E_NS1_11comp_targetILNS1_3genE2ELNS1_11target_archE906ELNS1_3gpuE6ELNS1_3repE0EEENS1_30default_config_static_selectorELNS0_4arch9wavefront6targetE0EEEvSY_, .Lfunc_end558-_ZN7rocprim17ROCPRIM_400000_NS6detail17trampoline_kernelINS0_14default_configENS1_27upper_bound_config_selectorItlEEZNS1_14transform_implILb0ES3_S5_N6thrust23THRUST_200600_302600_NS6detail15normal_iteratorINS8_7pointerItNS8_11hip_rocprim5par_tENS8_11use_defaultESE_EEEENSA_INSB_IlSD_SE_SE_EEEEZNS1_13binary_searchIS3_S5_NSA_INS8_10device_ptrItEEEESG_SI_NS1_21upper_bound_search_opENS9_16wrapped_functionINS8_6system6detail7generic6detail18binary_search_lessEbEEEE10hipError_tPvRmT1_T2_T3_mmT4_T5_P12ihipStream_tbEUlRKtE_EESV_SZ_S10_mS11_S14_bEUlT_E_NS1_11comp_targetILNS1_3genE2ELNS1_11target_archE906ELNS1_3gpuE6ELNS1_3repE0EEENS1_30default_config_static_selectorELNS0_4arch9wavefront6targetE0EEEvSY_
                                        ; -- End function
	.set _ZN7rocprim17ROCPRIM_400000_NS6detail17trampoline_kernelINS0_14default_configENS1_27upper_bound_config_selectorItlEEZNS1_14transform_implILb0ES3_S5_N6thrust23THRUST_200600_302600_NS6detail15normal_iteratorINS8_7pointerItNS8_11hip_rocprim5par_tENS8_11use_defaultESE_EEEENSA_INSB_IlSD_SE_SE_EEEEZNS1_13binary_searchIS3_S5_NSA_INS8_10device_ptrItEEEESG_SI_NS1_21upper_bound_search_opENS9_16wrapped_functionINS8_6system6detail7generic6detail18binary_search_lessEbEEEE10hipError_tPvRmT1_T2_T3_mmT4_T5_P12ihipStream_tbEUlRKtE_EESV_SZ_S10_mS11_S14_bEUlT_E_NS1_11comp_targetILNS1_3genE2ELNS1_11target_archE906ELNS1_3gpuE6ELNS1_3repE0EEENS1_30default_config_static_selectorELNS0_4arch9wavefront6targetE0EEEvSY_.num_vgpr, 0
	.set _ZN7rocprim17ROCPRIM_400000_NS6detail17trampoline_kernelINS0_14default_configENS1_27upper_bound_config_selectorItlEEZNS1_14transform_implILb0ES3_S5_N6thrust23THRUST_200600_302600_NS6detail15normal_iteratorINS8_7pointerItNS8_11hip_rocprim5par_tENS8_11use_defaultESE_EEEENSA_INSB_IlSD_SE_SE_EEEEZNS1_13binary_searchIS3_S5_NSA_INS8_10device_ptrItEEEESG_SI_NS1_21upper_bound_search_opENS9_16wrapped_functionINS8_6system6detail7generic6detail18binary_search_lessEbEEEE10hipError_tPvRmT1_T2_T3_mmT4_T5_P12ihipStream_tbEUlRKtE_EESV_SZ_S10_mS11_S14_bEUlT_E_NS1_11comp_targetILNS1_3genE2ELNS1_11target_archE906ELNS1_3gpuE6ELNS1_3repE0EEENS1_30default_config_static_selectorELNS0_4arch9wavefront6targetE0EEEvSY_.num_agpr, 0
	.set _ZN7rocprim17ROCPRIM_400000_NS6detail17trampoline_kernelINS0_14default_configENS1_27upper_bound_config_selectorItlEEZNS1_14transform_implILb0ES3_S5_N6thrust23THRUST_200600_302600_NS6detail15normal_iteratorINS8_7pointerItNS8_11hip_rocprim5par_tENS8_11use_defaultESE_EEEENSA_INSB_IlSD_SE_SE_EEEEZNS1_13binary_searchIS3_S5_NSA_INS8_10device_ptrItEEEESG_SI_NS1_21upper_bound_search_opENS9_16wrapped_functionINS8_6system6detail7generic6detail18binary_search_lessEbEEEE10hipError_tPvRmT1_T2_T3_mmT4_T5_P12ihipStream_tbEUlRKtE_EESV_SZ_S10_mS11_S14_bEUlT_E_NS1_11comp_targetILNS1_3genE2ELNS1_11target_archE906ELNS1_3gpuE6ELNS1_3repE0EEENS1_30default_config_static_selectorELNS0_4arch9wavefront6targetE0EEEvSY_.numbered_sgpr, 0
	.set _ZN7rocprim17ROCPRIM_400000_NS6detail17trampoline_kernelINS0_14default_configENS1_27upper_bound_config_selectorItlEEZNS1_14transform_implILb0ES3_S5_N6thrust23THRUST_200600_302600_NS6detail15normal_iteratorINS8_7pointerItNS8_11hip_rocprim5par_tENS8_11use_defaultESE_EEEENSA_INSB_IlSD_SE_SE_EEEEZNS1_13binary_searchIS3_S5_NSA_INS8_10device_ptrItEEEESG_SI_NS1_21upper_bound_search_opENS9_16wrapped_functionINS8_6system6detail7generic6detail18binary_search_lessEbEEEE10hipError_tPvRmT1_T2_T3_mmT4_T5_P12ihipStream_tbEUlRKtE_EESV_SZ_S10_mS11_S14_bEUlT_E_NS1_11comp_targetILNS1_3genE2ELNS1_11target_archE906ELNS1_3gpuE6ELNS1_3repE0EEENS1_30default_config_static_selectorELNS0_4arch9wavefront6targetE0EEEvSY_.num_named_barrier, 0
	.set _ZN7rocprim17ROCPRIM_400000_NS6detail17trampoline_kernelINS0_14default_configENS1_27upper_bound_config_selectorItlEEZNS1_14transform_implILb0ES3_S5_N6thrust23THRUST_200600_302600_NS6detail15normal_iteratorINS8_7pointerItNS8_11hip_rocprim5par_tENS8_11use_defaultESE_EEEENSA_INSB_IlSD_SE_SE_EEEEZNS1_13binary_searchIS3_S5_NSA_INS8_10device_ptrItEEEESG_SI_NS1_21upper_bound_search_opENS9_16wrapped_functionINS8_6system6detail7generic6detail18binary_search_lessEbEEEE10hipError_tPvRmT1_T2_T3_mmT4_T5_P12ihipStream_tbEUlRKtE_EESV_SZ_S10_mS11_S14_bEUlT_E_NS1_11comp_targetILNS1_3genE2ELNS1_11target_archE906ELNS1_3gpuE6ELNS1_3repE0EEENS1_30default_config_static_selectorELNS0_4arch9wavefront6targetE0EEEvSY_.private_seg_size, 0
	.set _ZN7rocprim17ROCPRIM_400000_NS6detail17trampoline_kernelINS0_14default_configENS1_27upper_bound_config_selectorItlEEZNS1_14transform_implILb0ES3_S5_N6thrust23THRUST_200600_302600_NS6detail15normal_iteratorINS8_7pointerItNS8_11hip_rocprim5par_tENS8_11use_defaultESE_EEEENSA_INSB_IlSD_SE_SE_EEEEZNS1_13binary_searchIS3_S5_NSA_INS8_10device_ptrItEEEESG_SI_NS1_21upper_bound_search_opENS9_16wrapped_functionINS8_6system6detail7generic6detail18binary_search_lessEbEEEE10hipError_tPvRmT1_T2_T3_mmT4_T5_P12ihipStream_tbEUlRKtE_EESV_SZ_S10_mS11_S14_bEUlT_E_NS1_11comp_targetILNS1_3genE2ELNS1_11target_archE906ELNS1_3gpuE6ELNS1_3repE0EEENS1_30default_config_static_selectorELNS0_4arch9wavefront6targetE0EEEvSY_.uses_vcc, 0
	.set _ZN7rocprim17ROCPRIM_400000_NS6detail17trampoline_kernelINS0_14default_configENS1_27upper_bound_config_selectorItlEEZNS1_14transform_implILb0ES3_S5_N6thrust23THRUST_200600_302600_NS6detail15normal_iteratorINS8_7pointerItNS8_11hip_rocprim5par_tENS8_11use_defaultESE_EEEENSA_INSB_IlSD_SE_SE_EEEEZNS1_13binary_searchIS3_S5_NSA_INS8_10device_ptrItEEEESG_SI_NS1_21upper_bound_search_opENS9_16wrapped_functionINS8_6system6detail7generic6detail18binary_search_lessEbEEEE10hipError_tPvRmT1_T2_T3_mmT4_T5_P12ihipStream_tbEUlRKtE_EESV_SZ_S10_mS11_S14_bEUlT_E_NS1_11comp_targetILNS1_3genE2ELNS1_11target_archE906ELNS1_3gpuE6ELNS1_3repE0EEENS1_30default_config_static_selectorELNS0_4arch9wavefront6targetE0EEEvSY_.uses_flat_scratch, 0
	.set _ZN7rocprim17ROCPRIM_400000_NS6detail17trampoline_kernelINS0_14default_configENS1_27upper_bound_config_selectorItlEEZNS1_14transform_implILb0ES3_S5_N6thrust23THRUST_200600_302600_NS6detail15normal_iteratorINS8_7pointerItNS8_11hip_rocprim5par_tENS8_11use_defaultESE_EEEENSA_INSB_IlSD_SE_SE_EEEEZNS1_13binary_searchIS3_S5_NSA_INS8_10device_ptrItEEEESG_SI_NS1_21upper_bound_search_opENS9_16wrapped_functionINS8_6system6detail7generic6detail18binary_search_lessEbEEEE10hipError_tPvRmT1_T2_T3_mmT4_T5_P12ihipStream_tbEUlRKtE_EESV_SZ_S10_mS11_S14_bEUlT_E_NS1_11comp_targetILNS1_3genE2ELNS1_11target_archE906ELNS1_3gpuE6ELNS1_3repE0EEENS1_30default_config_static_selectorELNS0_4arch9wavefront6targetE0EEEvSY_.has_dyn_sized_stack, 0
	.set _ZN7rocprim17ROCPRIM_400000_NS6detail17trampoline_kernelINS0_14default_configENS1_27upper_bound_config_selectorItlEEZNS1_14transform_implILb0ES3_S5_N6thrust23THRUST_200600_302600_NS6detail15normal_iteratorINS8_7pointerItNS8_11hip_rocprim5par_tENS8_11use_defaultESE_EEEENSA_INSB_IlSD_SE_SE_EEEEZNS1_13binary_searchIS3_S5_NSA_INS8_10device_ptrItEEEESG_SI_NS1_21upper_bound_search_opENS9_16wrapped_functionINS8_6system6detail7generic6detail18binary_search_lessEbEEEE10hipError_tPvRmT1_T2_T3_mmT4_T5_P12ihipStream_tbEUlRKtE_EESV_SZ_S10_mS11_S14_bEUlT_E_NS1_11comp_targetILNS1_3genE2ELNS1_11target_archE906ELNS1_3gpuE6ELNS1_3repE0EEENS1_30default_config_static_selectorELNS0_4arch9wavefront6targetE0EEEvSY_.has_recursion, 0
	.set _ZN7rocprim17ROCPRIM_400000_NS6detail17trampoline_kernelINS0_14default_configENS1_27upper_bound_config_selectorItlEEZNS1_14transform_implILb0ES3_S5_N6thrust23THRUST_200600_302600_NS6detail15normal_iteratorINS8_7pointerItNS8_11hip_rocprim5par_tENS8_11use_defaultESE_EEEENSA_INSB_IlSD_SE_SE_EEEEZNS1_13binary_searchIS3_S5_NSA_INS8_10device_ptrItEEEESG_SI_NS1_21upper_bound_search_opENS9_16wrapped_functionINS8_6system6detail7generic6detail18binary_search_lessEbEEEE10hipError_tPvRmT1_T2_T3_mmT4_T5_P12ihipStream_tbEUlRKtE_EESV_SZ_S10_mS11_S14_bEUlT_E_NS1_11comp_targetILNS1_3genE2ELNS1_11target_archE906ELNS1_3gpuE6ELNS1_3repE0EEENS1_30default_config_static_selectorELNS0_4arch9wavefront6targetE0EEEvSY_.has_indirect_call, 0
	.section	.AMDGPU.csdata,"",@progbits
; Kernel info:
; codeLenInByte = 0
; TotalNumSgprs: 0
; NumVgprs: 0
; ScratchSize: 0
; MemoryBound: 0
; FloatMode: 240
; IeeeMode: 1
; LDSByteSize: 0 bytes/workgroup (compile time only)
; SGPRBlocks: 0
; VGPRBlocks: 0
; NumSGPRsForWavesPerEU: 1
; NumVGPRsForWavesPerEU: 1
; Occupancy: 16
; WaveLimiterHint : 0
; COMPUTE_PGM_RSRC2:SCRATCH_EN: 0
; COMPUTE_PGM_RSRC2:USER_SGPR: 6
; COMPUTE_PGM_RSRC2:TRAP_HANDLER: 0
; COMPUTE_PGM_RSRC2:TGID_X_EN: 1
; COMPUTE_PGM_RSRC2:TGID_Y_EN: 0
; COMPUTE_PGM_RSRC2:TGID_Z_EN: 0
; COMPUTE_PGM_RSRC2:TIDIG_COMP_CNT: 0
	.section	.text._ZN7rocprim17ROCPRIM_400000_NS6detail17trampoline_kernelINS0_14default_configENS1_27upper_bound_config_selectorItlEEZNS1_14transform_implILb0ES3_S5_N6thrust23THRUST_200600_302600_NS6detail15normal_iteratorINS8_7pointerItNS8_11hip_rocprim5par_tENS8_11use_defaultESE_EEEENSA_INSB_IlSD_SE_SE_EEEEZNS1_13binary_searchIS3_S5_NSA_INS8_10device_ptrItEEEESG_SI_NS1_21upper_bound_search_opENS9_16wrapped_functionINS8_6system6detail7generic6detail18binary_search_lessEbEEEE10hipError_tPvRmT1_T2_T3_mmT4_T5_P12ihipStream_tbEUlRKtE_EESV_SZ_S10_mS11_S14_bEUlT_E_NS1_11comp_targetILNS1_3genE10ELNS1_11target_archE1201ELNS1_3gpuE5ELNS1_3repE0EEENS1_30default_config_static_selectorELNS0_4arch9wavefront6targetE0EEEvSY_,"axG",@progbits,_ZN7rocprim17ROCPRIM_400000_NS6detail17trampoline_kernelINS0_14default_configENS1_27upper_bound_config_selectorItlEEZNS1_14transform_implILb0ES3_S5_N6thrust23THRUST_200600_302600_NS6detail15normal_iteratorINS8_7pointerItNS8_11hip_rocprim5par_tENS8_11use_defaultESE_EEEENSA_INSB_IlSD_SE_SE_EEEEZNS1_13binary_searchIS3_S5_NSA_INS8_10device_ptrItEEEESG_SI_NS1_21upper_bound_search_opENS9_16wrapped_functionINS8_6system6detail7generic6detail18binary_search_lessEbEEEE10hipError_tPvRmT1_T2_T3_mmT4_T5_P12ihipStream_tbEUlRKtE_EESV_SZ_S10_mS11_S14_bEUlT_E_NS1_11comp_targetILNS1_3genE10ELNS1_11target_archE1201ELNS1_3gpuE5ELNS1_3repE0EEENS1_30default_config_static_selectorELNS0_4arch9wavefront6targetE0EEEvSY_,comdat
	.protected	_ZN7rocprim17ROCPRIM_400000_NS6detail17trampoline_kernelINS0_14default_configENS1_27upper_bound_config_selectorItlEEZNS1_14transform_implILb0ES3_S5_N6thrust23THRUST_200600_302600_NS6detail15normal_iteratorINS8_7pointerItNS8_11hip_rocprim5par_tENS8_11use_defaultESE_EEEENSA_INSB_IlSD_SE_SE_EEEEZNS1_13binary_searchIS3_S5_NSA_INS8_10device_ptrItEEEESG_SI_NS1_21upper_bound_search_opENS9_16wrapped_functionINS8_6system6detail7generic6detail18binary_search_lessEbEEEE10hipError_tPvRmT1_T2_T3_mmT4_T5_P12ihipStream_tbEUlRKtE_EESV_SZ_S10_mS11_S14_bEUlT_E_NS1_11comp_targetILNS1_3genE10ELNS1_11target_archE1201ELNS1_3gpuE5ELNS1_3repE0EEENS1_30default_config_static_selectorELNS0_4arch9wavefront6targetE0EEEvSY_ ; -- Begin function _ZN7rocprim17ROCPRIM_400000_NS6detail17trampoline_kernelINS0_14default_configENS1_27upper_bound_config_selectorItlEEZNS1_14transform_implILb0ES3_S5_N6thrust23THRUST_200600_302600_NS6detail15normal_iteratorINS8_7pointerItNS8_11hip_rocprim5par_tENS8_11use_defaultESE_EEEENSA_INSB_IlSD_SE_SE_EEEEZNS1_13binary_searchIS3_S5_NSA_INS8_10device_ptrItEEEESG_SI_NS1_21upper_bound_search_opENS9_16wrapped_functionINS8_6system6detail7generic6detail18binary_search_lessEbEEEE10hipError_tPvRmT1_T2_T3_mmT4_T5_P12ihipStream_tbEUlRKtE_EESV_SZ_S10_mS11_S14_bEUlT_E_NS1_11comp_targetILNS1_3genE10ELNS1_11target_archE1201ELNS1_3gpuE5ELNS1_3repE0EEENS1_30default_config_static_selectorELNS0_4arch9wavefront6targetE0EEEvSY_
	.globl	_ZN7rocprim17ROCPRIM_400000_NS6detail17trampoline_kernelINS0_14default_configENS1_27upper_bound_config_selectorItlEEZNS1_14transform_implILb0ES3_S5_N6thrust23THRUST_200600_302600_NS6detail15normal_iteratorINS8_7pointerItNS8_11hip_rocprim5par_tENS8_11use_defaultESE_EEEENSA_INSB_IlSD_SE_SE_EEEEZNS1_13binary_searchIS3_S5_NSA_INS8_10device_ptrItEEEESG_SI_NS1_21upper_bound_search_opENS9_16wrapped_functionINS8_6system6detail7generic6detail18binary_search_lessEbEEEE10hipError_tPvRmT1_T2_T3_mmT4_T5_P12ihipStream_tbEUlRKtE_EESV_SZ_S10_mS11_S14_bEUlT_E_NS1_11comp_targetILNS1_3genE10ELNS1_11target_archE1201ELNS1_3gpuE5ELNS1_3repE0EEENS1_30default_config_static_selectorELNS0_4arch9wavefront6targetE0EEEvSY_
	.p2align	8
	.type	_ZN7rocprim17ROCPRIM_400000_NS6detail17trampoline_kernelINS0_14default_configENS1_27upper_bound_config_selectorItlEEZNS1_14transform_implILb0ES3_S5_N6thrust23THRUST_200600_302600_NS6detail15normal_iteratorINS8_7pointerItNS8_11hip_rocprim5par_tENS8_11use_defaultESE_EEEENSA_INSB_IlSD_SE_SE_EEEEZNS1_13binary_searchIS3_S5_NSA_INS8_10device_ptrItEEEESG_SI_NS1_21upper_bound_search_opENS9_16wrapped_functionINS8_6system6detail7generic6detail18binary_search_lessEbEEEE10hipError_tPvRmT1_T2_T3_mmT4_T5_P12ihipStream_tbEUlRKtE_EESV_SZ_S10_mS11_S14_bEUlT_E_NS1_11comp_targetILNS1_3genE10ELNS1_11target_archE1201ELNS1_3gpuE5ELNS1_3repE0EEENS1_30default_config_static_selectorELNS0_4arch9wavefront6targetE0EEEvSY_,@function
_ZN7rocprim17ROCPRIM_400000_NS6detail17trampoline_kernelINS0_14default_configENS1_27upper_bound_config_selectorItlEEZNS1_14transform_implILb0ES3_S5_N6thrust23THRUST_200600_302600_NS6detail15normal_iteratorINS8_7pointerItNS8_11hip_rocprim5par_tENS8_11use_defaultESE_EEEENSA_INSB_IlSD_SE_SE_EEEEZNS1_13binary_searchIS3_S5_NSA_INS8_10device_ptrItEEEESG_SI_NS1_21upper_bound_search_opENS9_16wrapped_functionINS8_6system6detail7generic6detail18binary_search_lessEbEEEE10hipError_tPvRmT1_T2_T3_mmT4_T5_P12ihipStream_tbEUlRKtE_EESV_SZ_S10_mS11_S14_bEUlT_E_NS1_11comp_targetILNS1_3genE10ELNS1_11target_archE1201ELNS1_3gpuE5ELNS1_3repE0EEENS1_30default_config_static_selectorELNS0_4arch9wavefront6targetE0EEEvSY_: ; @_ZN7rocprim17ROCPRIM_400000_NS6detail17trampoline_kernelINS0_14default_configENS1_27upper_bound_config_selectorItlEEZNS1_14transform_implILb0ES3_S5_N6thrust23THRUST_200600_302600_NS6detail15normal_iteratorINS8_7pointerItNS8_11hip_rocprim5par_tENS8_11use_defaultESE_EEEENSA_INSB_IlSD_SE_SE_EEEEZNS1_13binary_searchIS3_S5_NSA_INS8_10device_ptrItEEEESG_SI_NS1_21upper_bound_search_opENS9_16wrapped_functionINS8_6system6detail7generic6detail18binary_search_lessEbEEEE10hipError_tPvRmT1_T2_T3_mmT4_T5_P12ihipStream_tbEUlRKtE_EESV_SZ_S10_mS11_S14_bEUlT_E_NS1_11comp_targetILNS1_3genE10ELNS1_11target_archE1201ELNS1_3gpuE5ELNS1_3repE0EEENS1_30default_config_static_selectorELNS0_4arch9wavefront6targetE0EEEvSY_
; %bb.0:
	.section	.rodata,"a",@progbits
	.p2align	6, 0x0
	.amdhsa_kernel _ZN7rocprim17ROCPRIM_400000_NS6detail17trampoline_kernelINS0_14default_configENS1_27upper_bound_config_selectorItlEEZNS1_14transform_implILb0ES3_S5_N6thrust23THRUST_200600_302600_NS6detail15normal_iteratorINS8_7pointerItNS8_11hip_rocprim5par_tENS8_11use_defaultESE_EEEENSA_INSB_IlSD_SE_SE_EEEEZNS1_13binary_searchIS3_S5_NSA_INS8_10device_ptrItEEEESG_SI_NS1_21upper_bound_search_opENS9_16wrapped_functionINS8_6system6detail7generic6detail18binary_search_lessEbEEEE10hipError_tPvRmT1_T2_T3_mmT4_T5_P12ihipStream_tbEUlRKtE_EESV_SZ_S10_mS11_S14_bEUlT_E_NS1_11comp_targetILNS1_3genE10ELNS1_11target_archE1201ELNS1_3gpuE5ELNS1_3repE0EEENS1_30default_config_static_selectorELNS0_4arch9wavefront6targetE0EEEvSY_
		.amdhsa_group_segment_fixed_size 0
		.amdhsa_private_segment_fixed_size 0
		.amdhsa_kernarg_size 56
		.amdhsa_user_sgpr_count 6
		.amdhsa_user_sgpr_private_segment_buffer 1
		.amdhsa_user_sgpr_dispatch_ptr 0
		.amdhsa_user_sgpr_queue_ptr 0
		.amdhsa_user_sgpr_kernarg_segment_ptr 1
		.amdhsa_user_sgpr_dispatch_id 0
		.amdhsa_user_sgpr_flat_scratch_init 0
		.amdhsa_user_sgpr_private_segment_size 0
		.amdhsa_wavefront_size32 1
		.amdhsa_uses_dynamic_stack 0
		.amdhsa_system_sgpr_private_segment_wavefront_offset 0
		.amdhsa_system_sgpr_workgroup_id_x 1
		.amdhsa_system_sgpr_workgroup_id_y 0
		.amdhsa_system_sgpr_workgroup_id_z 0
		.amdhsa_system_sgpr_workgroup_info 0
		.amdhsa_system_vgpr_workitem_id 0
		.amdhsa_next_free_vgpr 1
		.amdhsa_next_free_sgpr 1
		.amdhsa_reserve_vcc 0
		.amdhsa_reserve_flat_scratch 0
		.amdhsa_float_round_mode_32 0
		.amdhsa_float_round_mode_16_64 0
		.amdhsa_float_denorm_mode_32 3
		.amdhsa_float_denorm_mode_16_64 3
		.amdhsa_dx10_clamp 1
		.amdhsa_ieee_mode 1
		.amdhsa_fp16_overflow 0
		.amdhsa_workgroup_processor_mode 1
		.amdhsa_memory_ordered 1
		.amdhsa_forward_progress 1
		.amdhsa_shared_vgpr_count 0
		.amdhsa_exception_fp_ieee_invalid_op 0
		.amdhsa_exception_fp_denorm_src 0
		.amdhsa_exception_fp_ieee_div_zero 0
		.amdhsa_exception_fp_ieee_overflow 0
		.amdhsa_exception_fp_ieee_underflow 0
		.amdhsa_exception_fp_ieee_inexact 0
		.amdhsa_exception_int_div_zero 0
	.end_amdhsa_kernel
	.section	.text._ZN7rocprim17ROCPRIM_400000_NS6detail17trampoline_kernelINS0_14default_configENS1_27upper_bound_config_selectorItlEEZNS1_14transform_implILb0ES3_S5_N6thrust23THRUST_200600_302600_NS6detail15normal_iteratorINS8_7pointerItNS8_11hip_rocprim5par_tENS8_11use_defaultESE_EEEENSA_INSB_IlSD_SE_SE_EEEEZNS1_13binary_searchIS3_S5_NSA_INS8_10device_ptrItEEEESG_SI_NS1_21upper_bound_search_opENS9_16wrapped_functionINS8_6system6detail7generic6detail18binary_search_lessEbEEEE10hipError_tPvRmT1_T2_T3_mmT4_T5_P12ihipStream_tbEUlRKtE_EESV_SZ_S10_mS11_S14_bEUlT_E_NS1_11comp_targetILNS1_3genE10ELNS1_11target_archE1201ELNS1_3gpuE5ELNS1_3repE0EEENS1_30default_config_static_selectorELNS0_4arch9wavefront6targetE0EEEvSY_,"axG",@progbits,_ZN7rocprim17ROCPRIM_400000_NS6detail17trampoline_kernelINS0_14default_configENS1_27upper_bound_config_selectorItlEEZNS1_14transform_implILb0ES3_S5_N6thrust23THRUST_200600_302600_NS6detail15normal_iteratorINS8_7pointerItNS8_11hip_rocprim5par_tENS8_11use_defaultESE_EEEENSA_INSB_IlSD_SE_SE_EEEEZNS1_13binary_searchIS3_S5_NSA_INS8_10device_ptrItEEEESG_SI_NS1_21upper_bound_search_opENS9_16wrapped_functionINS8_6system6detail7generic6detail18binary_search_lessEbEEEE10hipError_tPvRmT1_T2_T3_mmT4_T5_P12ihipStream_tbEUlRKtE_EESV_SZ_S10_mS11_S14_bEUlT_E_NS1_11comp_targetILNS1_3genE10ELNS1_11target_archE1201ELNS1_3gpuE5ELNS1_3repE0EEENS1_30default_config_static_selectorELNS0_4arch9wavefront6targetE0EEEvSY_,comdat
.Lfunc_end559:
	.size	_ZN7rocprim17ROCPRIM_400000_NS6detail17trampoline_kernelINS0_14default_configENS1_27upper_bound_config_selectorItlEEZNS1_14transform_implILb0ES3_S5_N6thrust23THRUST_200600_302600_NS6detail15normal_iteratorINS8_7pointerItNS8_11hip_rocprim5par_tENS8_11use_defaultESE_EEEENSA_INSB_IlSD_SE_SE_EEEEZNS1_13binary_searchIS3_S5_NSA_INS8_10device_ptrItEEEESG_SI_NS1_21upper_bound_search_opENS9_16wrapped_functionINS8_6system6detail7generic6detail18binary_search_lessEbEEEE10hipError_tPvRmT1_T2_T3_mmT4_T5_P12ihipStream_tbEUlRKtE_EESV_SZ_S10_mS11_S14_bEUlT_E_NS1_11comp_targetILNS1_3genE10ELNS1_11target_archE1201ELNS1_3gpuE5ELNS1_3repE0EEENS1_30default_config_static_selectorELNS0_4arch9wavefront6targetE0EEEvSY_, .Lfunc_end559-_ZN7rocprim17ROCPRIM_400000_NS6detail17trampoline_kernelINS0_14default_configENS1_27upper_bound_config_selectorItlEEZNS1_14transform_implILb0ES3_S5_N6thrust23THRUST_200600_302600_NS6detail15normal_iteratorINS8_7pointerItNS8_11hip_rocprim5par_tENS8_11use_defaultESE_EEEENSA_INSB_IlSD_SE_SE_EEEEZNS1_13binary_searchIS3_S5_NSA_INS8_10device_ptrItEEEESG_SI_NS1_21upper_bound_search_opENS9_16wrapped_functionINS8_6system6detail7generic6detail18binary_search_lessEbEEEE10hipError_tPvRmT1_T2_T3_mmT4_T5_P12ihipStream_tbEUlRKtE_EESV_SZ_S10_mS11_S14_bEUlT_E_NS1_11comp_targetILNS1_3genE10ELNS1_11target_archE1201ELNS1_3gpuE5ELNS1_3repE0EEENS1_30default_config_static_selectorELNS0_4arch9wavefront6targetE0EEEvSY_
                                        ; -- End function
	.set _ZN7rocprim17ROCPRIM_400000_NS6detail17trampoline_kernelINS0_14default_configENS1_27upper_bound_config_selectorItlEEZNS1_14transform_implILb0ES3_S5_N6thrust23THRUST_200600_302600_NS6detail15normal_iteratorINS8_7pointerItNS8_11hip_rocprim5par_tENS8_11use_defaultESE_EEEENSA_INSB_IlSD_SE_SE_EEEEZNS1_13binary_searchIS3_S5_NSA_INS8_10device_ptrItEEEESG_SI_NS1_21upper_bound_search_opENS9_16wrapped_functionINS8_6system6detail7generic6detail18binary_search_lessEbEEEE10hipError_tPvRmT1_T2_T3_mmT4_T5_P12ihipStream_tbEUlRKtE_EESV_SZ_S10_mS11_S14_bEUlT_E_NS1_11comp_targetILNS1_3genE10ELNS1_11target_archE1201ELNS1_3gpuE5ELNS1_3repE0EEENS1_30default_config_static_selectorELNS0_4arch9wavefront6targetE0EEEvSY_.num_vgpr, 0
	.set _ZN7rocprim17ROCPRIM_400000_NS6detail17trampoline_kernelINS0_14default_configENS1_27upper_bound_config_selectorItlEEZNS1_14transform_implILb0ES3_S5_N6thrust23THRUST_200600_302600_NS6detail15normal_iteratorINS8_7pointerItNS8_11hip_rocprim5par_tENS8_11use_defaultESE_EEEENSA_INSB_IlSD_SE_SE_EEEEZNS1_13binary_searchIS3_S5_NSA_INS8_10device_ptrItEEEESG_SI_NS1_21upper_bound_search_opENS9_16wrapped_functionINS8_6system6detail7generic6detail18binary_search_lessEbEEEE10hipError_tPvRmT1_T2_T3_mmT4_T5_P12ihipStream_tbEUlRKtE_EESV_SZ_S10_mS11_S14_bEUlT_E_NS1_11comp_targetILNS1_3genE10ELNS1_11target_archE1201ELNS1_3gpuE5ELNS1_3repE0EEENS1_30default_config_static_selectorELNS0_4arch9wavefront6targetE0EEEvSY_.num_agpr, 0
	.set _ZN7rocprim17ROCPRIM_400000_NS6detail17trampoline_kernelINS0_14default_configENS1_27upper_bound_config_selectorItlEEZNS1_14transform_implILb0ES3_S5_N6thrust23THRUST_200600_302600_NS6detail15normal_iteratorINS8_7pointerItNS8_11hip_rocprim5par_tENS8_11use_defaultESE_EEEENSA_INSB_IlSD_SE_SE_EEEEZNS1_13binary_searchIS3_S5_NSA_INS8_10device_ptrItEEEESG_SI_NS1_21upper_bound_search_opENS9_16wrapped_functionINS8_6system6detail7generic6detail18binary_search_lessEbEEEE10hipError_tPvRmT1_T2_T3_mmT4_T5_P12ihipStream_tbEUlRKtE_EESV_SZ_S10_mS11_S14_bEUlT_E_NS1_11comp_targetILNS1_3genE10ELNS1_11target_archE1201ELNS1_3gpuE5ELNS1_3repE0EEENS1_30default_config_static_selectorELNS0_4arch9wavefront6targetE0EEEvSY_.numbered_sgpr, 0
	.set _ZN7rocprim17ROCPRIM_400000_NS6detail17trampoline_kernelINS0_14default_configENS1_27upper_bound_config_selectorItlEEZNS1_14transform_implILb0ES3_S5_N6thrust23THRUST_200600_302600_NS6detail15normal_iteratorINS8_7pointerItNS8_11hip_rocprim5par_tENS8_11use_defaultESE_EEEENSA_INSB_IlSD_SE_SE_EEEEZNS1_13binary_searchIS3_S5_NSA_INS8_10device_ptrItEEEESG_SI_NS1_21upper_bound_search_opENS9_16wrapped_functionINS8_6system6detail7generic6detail18binary_search_lessEbEEEE10hipError_tPvRmT1_T2_T3_mmT4_T5_P12ihipStream_tbEUlRKtE_EESV_SZ_S10_mS11_S14_bEUlT_E_NS1_11comp_targetILNS1_3genE10ELNS1_11target_archE1201ELNS1_3gpuE5ELNS1_3repE0EEENS1_30default_config_static_selectorELNS0_4arch9wavefront6targetE0EEEvSY_.num_named_barrier, 0
	.set _ZN7rocprim17ROCPRIM_400000_NS6detail17trampoline_kernelINS0_14default_configENS1_27upper_bound_config_selectorItlEEZNS1_14transform_implILb0ES3_S5_N6thrust23THRUST_200600_302600_NS6detail15normal_iteratorINS8_7pointerItNS8_11hip_rocprim5par_tENS8_11use_defaultESE_EEEENSA_INSB_IlSD_SE_SE_EEEEZNS1_13binary_searchIS3_S5_NSA_INS8_10device_ptrItEEEESG_SI_NS1_21upper_bound_search_opENS9_16wrapped_functionINS8_6system6detail7generic6detail18binary_search_lessEbEEEE10hipError_tPvRmT1_T2_T3_mmT4_T5_P12ihipStream_tbEUlRKtE_EESV_SZ_S10_mS11_S14_bEUlT_E_NS1_11comp_targetILNS1_3genE10ELNS1_11target_archE1201ELNS1_3gpuE5ELNS1_3repE0EEENS1_30default_config_static_selectorELNS0_4arch9wavefront6targetE0EEEvSY_.private_seg_size, 0
	.set _ZN7rocprim17ROCPRIM_400000_NS6detail17trampoline_kernelINS0_14default_configENS1_27upper_bound_config_selectorItlEEZNS1_14transform_implILb0ES3_S5_N6thrust23THRUST_200600_302600_NS6detail15normal_iteratorINS8_7pointerItNS8_11hip_rocprim5par_tENS8_11use_defaultESE_EEEENSA_INSB_IlSD_SE_SE_EEEEZNS1_13binary_searchIS3_S5_NSA_INS8_10device_ptrItEEEESG_SI_NS1_21upper_bound_search_opENS9_16wrapped_functionINS8_6system6detail7generic6detail18binary_search_lessEbEEEE10hipError_tPvRmT1_T2_T3_mmT4_T5_P12ihipStream_tbEUlRKtE_EESV_SZ_S10_mS11_S14_bEUlT_E_NS1_11comp_targetILNS1_3genE10ELNS1_11target_archE1201ELNS1_3gpuE5ELNS1_3repE0EEENS1_30default_config_static_selectorELNS0_4arch9wavefront6targetE0EEEvSY_.uses_vcc, 0
	.set _ZN7rocprim17ROCPRIM_400000_NS6detail17trampoline_kernelINS0_14default_configENS1_27upper_bound_config_selectorItlEEZNS1_14transform_implILb0ES3_S5_N6thrust23THRUST_200600_302600_NS6detail15normal_iteratorINS8_7pointerItNS8_11hip_rocprim5par_tENS8_11use_defaultESE_EEEENSA_INSB_IlSD_SE_SE_EEEEZNS1_13binary_searchIS3_S5_NSA_INS8_10device_ptrItEEEESG_SI_NS1_21upper_bound_search_opENS9_16wrapped_functionINS8_6system6detail7generic6detail18binary_search_lessEbEEEE10hipError_tPvRmT1_T2_T3_mmT4_T5_P12ihipStream_tbEUlRKtE_EESV_SZ_S10_mS11_S14_bEUlT_E_NS1_11comp_targetILNS1_3genE10ELNS1_11target_archE1201ELNS1_3gpuE5ELNS1_3repE0EEENS1_30default_config_static_selectorELNS0_4arch9wavefront6targetE0EEEvSY_.uses_flat_scratch, 0
	.set _ZN7rocprim17ROCPRIM_400000_NS6detail17trampoline_kernelINS0_14default_configENS1_27upper_bound_config_selectorItlEEZNS1_14transform_implILb0ES3_S5_N6thrust23THRUST_200600_302600_NS6detail15normal_iteratorINS8_7pointerItNS8_11hip_rocprim5par_tENS8_11use_defaultESE_EEEENSA_INSB_IlSD_SE_SE_EEEEZNS1_13binary_searchIS3_S5_NSA_INS8_10device_ptrItEEEESG_SI_NS1_21upper_bound_search_opENS9_16wrapped_functionINS8_6system6detail7generic6detail18binary_search_lessEbEEEE10hipError_tPvRmT1_T2_T3_mmT4_T5_P12ihipStream_tbEUlRKtE_EESV_SZ_S10_mS11_S14_bEUlT_E_NS1_11comp_targetILNS1_3genE10ELNS1_11target_archE1201ELNS1_3gpuE5ELNS1_3repE0EEENS1_30default_config_static_selectorELNS0_4arch9wavefront6targetE0EEEvSY_.has_dyn_sized_stack, 0
	.set _ZN7rocprim17ROCPRIM_400000_NS6detail17trampoline_kernelINS0_14default_configENS1_27upper_bound_config_selectorItlEEZNS1_14transform_implILb0ES3_S5_N6thrust23THRUST_200600_302600_NS6detail15normal_iteratorINS8_7pointerItNS8_11hip_rocprim5par_tENS8_11use_defaultESE_EEEENSA_INSB_IlSD_SE_SE_EEEEZNS1_13binary_searchIS3_S5_NSA_INS8_10device_ptrItEEEESG_SI_NS1_21upper_bound_search_opENS9_16wrapped_functionINS8_6system6detail7generic6detail18binary_search_lessEbEEEE10hipError_tPvRmT1_T2_T3_mmT4_T5_P12ihipStream_tbEUlRKtE_EESV_SZ_S10_mS11_S14_bEUlT_E_NS1_11comp_targetILNS1_3genE10ELNS1_11target_archE1201ELNS1_3gpuE5ELNS1_3repE0EEENS1_30default_config_static_selectorELNS0_4arch9wavefront6targetE0EEEvSY_.has_recursion, 0
	.set _ZN7rocprim17ROCPRIM_400000_NS6detail17trampoline_kernelINS0_14default_configENS1_27upper_bound_config_selectorItlEEZNS1_14transform_implILb0ES3_S5_N6thrust23THRUST_200600_302600_NS6detail15normal_iteratorINS8_7pointerItNS8_11hip_rocprim5par_tENS8_11use_defaultESE_EEEENSA_INSB_IlSD_SE_SE_EEEEZNS1_13binary_searchIS3_S5_NSA_INS8_10device_ptrItEEEESG_SI_NS1_21upper_bound_search_opENS9_16wrapped_functionINS8_6system6detail7generic6detail18binary_search_lessEbEEEE10hipError_tPvRmT1_T2_T3_mmT4_T5_P12ihipStream_tbEUlRKtE_EESV_SZ_S10_mS11_S14_bEUlT_E_NS1_11comp_targetILNS1_3genE10ELNS1_11target_archE1201ELNS1_3gpuE5ELNS1_3repE0EEENS1_30default_config_static_selectorELNS0_4arch9wavefront6targetE0EEEvSY_.has_indirect_call, 0
	.section	.AMDGPU.csdata,"",@progbits
; Kernel info:
; codeLenInByte = 0
; TotalNumSgprs: 0
; NumVgprs: 0
; ScratchSize: 0
; MemoryBound: 0
; FloatMode: 240
; IeeeMode: 1
; LDSByteSize: 0 bytes/workgroup (compile time only)
; SGPRBlocks: 0
; VGPRBlocks: 0
; NumSGPRsForWavesPerEU: 1
; NumVGPRsForWavesPerEU: 1
; Occupancy: 16
; WaveLimiterHint : 0
; COMPUTE_PGM_RSRC2:SCRATCH_EN: 0
; COMPUTE_PGM_RSRC2:USER_SGPR: 6
; COMPUTE_PGM_RSRC2:TRAP_HANDLER: 0
; COMPUTE_PGM_RSRC2:TGID_X_EN: 1
; COMPUTE_PGM_RSRC2:TGID_Y_EN: 0
; COMPUTE_PGM_RSRC2:TGID_Z_EN: 0
; COMPUTE_PGM_RSRC2:TIDIG_COMP_CNT: 0
	.section	.text._ZN7rocprim17ROCPRIM_400000_NS6detail17trampoline_kernelINS0_14default_configENS1_27upper_bound_config_selectorItlEEZNS1_14transform_implILb0ES3_S5_N6thrust23THRUST_200600_302600_NS6detail15normal_iteratorINS8_7pointerItNS8_11hip_rocprim5par_tENS8_11use_defaultESE_EEEENSA_INSB_IlSD_SE_SE_EEEEZNS1_13binary_searchIS3_S5_NSA_INS8_10device_ptrItEEEESG_SI_NS1_21upper_bound_search_opENS9_16wrapped_functionINS8_6system6detail7generic6detail18binary_search_lessEbEEEE10hipError_tPvRmT1_T2_T3_mmT4_T5_P12ihipStream_tbEUlRKtE_EESV_SZ_S10_mS11_S14_bEUlT_E_NS1_11comp_targetILNS1_3genE10ELNS1_11target_archE1200ELNS1_3gpuE4ELNS1_3repE0EEENS1_30default_config_static_selectorELNS0_4arch9wavefront6targetE0EEEvSY_,"axG",@progbits,_ZN7rocprim17ROCPRIM_400000_NS6detail17trampoline_kernelINS0_14default_configENS1_27upper_bound_config_selectorItlEEZNS1_14transform_implILb0ES3_S5_N6thrust23THRUST_200600_302600_NS6detail15normal_iteratorINS8_7pointerItNS8_11hip_rocprim5par_tENS8_11use_defaultESE_EEEENSA_INSB_IlSD_SE_SE_EEEEZNS1_13binary_searchIS3_S5_NSA_INS8_10device_ptrItEEEESG_SI_NS1_21upper_bound_search_opENS9_16wrapped_functionINS8_6system6detail7generic6detail18binary_search_lessEbEEEE10hipError_tPvRmT1_T2_T3_mmT4_T5_P12ihipStream_tbEUlRKtE_EESV_SZ_S10_mS11_S14_bEUlT_E_NS1_11comp_targetILNS1_3genE10ELNS1_11target_archE1200ELNS1_3gpuE4ELNS1_3repE0EEENS1_30default_config_static_selectorELNS0_4arch9wavefront6targetE0EEEvSY_,comdat
	.protected	_ZN7rocprim17ROCPRIM_400000_NS6detail17trampoline_kernelINS0_14default_configENS1_27upper_bound_config_selectorItlEEZNS1_14transform_implILb0ES3_S5_N6thrust23THRUST_200600_302600_NS6detail15normal_iteratorINS8_7pointerItNS8_11hip_rocprim5par_tENS8_11use_defaultESE_EEEENSA_INSB_IlSD_SE_SE_EEEEZNS1_13binary_searchIS3_S5_NSA_INS8_10device_ptrItEEEESG_SI_NS1_21upper_bound_search_opENS9_16wrapped_functionINS8_6system6detail7generic6detail18binary_search_lessEbEEEE10hipError_tPvRmT1_T2_T3_mmT4_T5_P12ihipStream_tbEUlRKtE_EESV_SZ_S10_mS11_S14_bEUlT_E_NS1_11comp_targetILNS1_3genE10ELNS1_11target_archE1200ELNS1_3gpuE4ELNS1_3repE0EEENS1_30default_config_static_selectorELNS0_4arch9wavefront6targetE0EEEvSY_ ; -- Begin function _ZN7rocprim17ROCPRIM_400000_NS6detail17trampoline_kernelINS0_14default_configENS1_27upper_bound_config_selectorItlEEZNS1_14transform_implILb0ES3_S5_N6thrust23THRUST_200600_302600_NS6detail15normal_iteratorINS8_7pointerItNS8_11hip_rocprim5par_tENS8_11use_defaultESE_EEEENSA_INSB_IlSD_SE_SE_EEEEZNS1_13binary_searchIS3_S5_NSA_INS8_10device_ptrItEEEESG_SI_NS1_21upper_bound_search_opENS9_16wrapped_functionINS8_6system6detail7generic6detail18binary_search_lessEbEEEE10hipError_tPvRmT1_T2_T3_mmT4_T5_P12ihipStream_tbEUlRKtE_EESV_SZ_S10_mS11_S14_bEUlT_E_NS1_11comp_targetILNS1_3genE10ELNS1_11target_archE1200ELNS1_3gpuE4ELNS1_3repE0EEENS1_30default_config_static_selectorELNS0_4arch9wavefront6targetE0EEEvSY_
	.globl	_ZN7rocprim17ROCPRIM_400000_NS6detail17trampoline_kernelINS0_14default_configENS1_27upper_bound_config_selectorItlEEZNS1_14transform_implILb0ES3_S5_N6thrust23THRUST_200600_302600_NS6detail15normal_iteratorINS8_7pointerItNS8_11hip_rocprim5par_tENS8_11use_defaultESE_EEEENSA_INSB_IlSD_SE_SE_EEEEZNS1_13binary_searchIS3_S5_NSA_INS8_10device_ptrItEEEESG_SI_NS1_21upper_bound_search_opENS9_16wrapped_functionINS8_6system6detail7generic6detail18binary_search_lessEbEEEE10hipError_tPvRmT1_T2_T3_mmT4_T5_P12ihipStream_tbEUlRKtE_EESV_SZ_S10_mS11_S14_bEUlT_E_NS1_11comp_targetILNS1_3genE10ELNS1_11target_archE1200ELNS1_3gpuE4ELNS1_3repE0EEENS1_30default_config_static_selectorELNS0_4arch9wavefront6targetE0EEEvSY_
	.p2align	8
	.type	_ZN7rocprim17ROCPRIM_400000_NS6detail17trampoline_kernelINS0_14default_configENS1_27upper_bound_config_selectorItlEEZNS1_14transform_implILb0ES3_S5_N6thrust23THRUST_200600_302600_NS6detail15normal_iteratorINS8_7pointerItNS8_11hip_rocprim5par_tENS8_11use_defaultESE_EEEENSA_INSB_IlSD_SE_SE_EEEEZNS1_13binary_searchIS3_S5_NSA_INS8_10device_ptrItEEEESG_SI_NS1_21upper_bound_search_opENS9_16wrapped_functionINS8_6system6detail7generic6detail18binary_search_lessEbEEEE10hipError_tPvRmT1_T2_T3_mmT4_T5_P12ihipStream_tbEUlRKtE_EESV_SZ_S10_mS11_S14_bEUlT_E_NS1_11comp_targetILNS1_3genE10ELNS1_11target_archE1200ELNS1_3gpuE4ELNS1_3repE0EEENS1_30default_config_static_selectorELNS0_4arch9wavefront6targetE0EEEvSY_,@function
_ZN7rocprim17ROCPRIM_400000_NS6detail17trampoline_kernelINS0_14default_configENS1_27upper_bound_config_selectorItlEEZNS1_14transform_implILb0ES3_S5_N6thrust23THRUST_200600_302600_NS6detail15normal_iteratorINS8_7pointerItNS8_11hip_rocprim5par_tENS8_11use_defaultESE_EEEENSA_INSB_IlSD_SE_SE_EEEEZNS1_13binary_searchIS3_S5_NSA_INS8_10device_ptrItEEEESG_SI_NS1_21upper_bound_search_opENS9_16wrapped_functionINS8_6system6detail7generic6detail18binary_search_lessEbEEEE10hipError_tPvRmT1_T2_T3_mmT4_T5_P12ihipStream_tbEUlRKtE_EESV_SZ_S10_mS11_S14_bEUlT_E_NS1_11comp_targetILNS1_3genE10ELNS1_11target_archE1200ELNS1_3gpuE4ELNS1_3repE0EEENS1_30default_config_static_selectorELNS0_4arch9wavefront6targetE0EEEvSY_: ; @_ZN7rocprim17ROCPRIM_400000_NS6detail17trampoline_kernelINS0_14default_configENS1_27upper_bound_config_selectorItlEEZNS1_14transform_implILb0ES3_S5_N6thrust23THRUST_200600_302600_NS6detail15normal_iteratorINS8_7pointerItNS8_11hip_rocprim5par_tENS8_11use_defaultESE_EEEENSA_INSB_IlSD_SE_SE_EEEEZNS1_13binary_searchIS3_S5_NSA_INS8_10device_ptrItEEEESG_SI_NS1_21upper_bound_search_opENS9_16wrapped_functionINS8_6system6detail7generic6detail18binary_search_lessEbEEEE10hipError_tPvRmT1_T2_T3_mmT4_T5_P12ihipStream_tbEUlRKtE_EESV_SZ_S10_mS11_S14_bEUlT_E_NS1_11comp_targetILNS1_3genE10ELNS1_11target_archE1200ELNS1_3gpuE4ELNS1_3repE0EEENS1_30default_config_static_selectorELNS0_4arch9wavefront6targetE0EEEvSY_
; %bb.0:
	.section	.rodata,"a",@progbits
	.p2align	6, 0x0
	.amdhsa_kernel _ZN7rocprim17ROCPRIM_400000_NS6detail17trampoline_kernelINS0_14default_configENS1_27upper_bound_config_selectorItlEEZNS1_14transform_implILb0ES3_S5_N6thrust23THRUST_200600_302600_NS6detail15normal_iteratorINS8_7pointerItNS8_11hip_rocprim5par_tENS8_11use_defaultESE_EEEENSA_INSB_IlSD_SE_SE_EEEEZNS1_13binary_searchIS3_S5_NSA_INS8_10device_ptrItEEEESG_SI_NS1_21upper_bound_search_opENS9_16wrapped_functionINS8_6system6detail7generic6detail18binary_search_lessEbEEEE10hipError_tPvRmT1_T2_T3_mmT4_T5_P12ihipStream_tbEUlRKtE_EESV_SZ_S10_mS11_S14_bEUlT_E_NS1_11comp_targetILNS1_3genE10ELNS1_11target_archE1200ELNS1_3gpuE4ELNS1_3repE0EEENS1_30default_config_static_selectorELNS0_4arch9wavefront6targetE0EEEvSY_
		.amdhsa_group_segment_fixed_size 0
		.amdhsa_private_segment_fixed_size 0
		.amdhsa_kernarg_size 56
		.amdhsa_user_sgpr_count 6
		.amdhsa_user_sgpr_private_segment_buffer 1
		.amdhsa_user_sgpr_dispatch_ptr 0
		.amdhsa_user_sgpr_queue_ptr 0
		.amdhsa_user_sgpr_kernarg_segment_ptr 1
		.amdhsa_user_sgpr_dispatch_id 0
		.amdhsa_user_sgpr_flat_scratch_init 0
		.amdhsa_user_sgpr_private_segment_size 0
		.amdhsa_wavefront_size32 1
		.amdhsa_uses_dynamic_stack 0
		.amdhsa_system_sgpr_private_segment_wavefront_offset 0
		.amdhsa_system_sgpr_workgroup_id_x 1
		.amdhsa_system_sgpr_workgroup_id_y 0
		.amdhsa_system_sgpr_workgroup_id_z 0
		.amdhsa_system_sgpr_workgroup_info 0
		.amdhsa_system_vgpr_workitem_id 0
		.amdhsa_next_free_vgpr 1
		.amdhsa_next_free_sgpr 1
		.amdhsa_reserve_vcc 0
		.amdhsa_reserve_flat_scratch 0
		.amdhsa_float_round_mode_32 0
		.amdhsa_float_round_mode_16_64 0
		.amdhsa_float_denorm_mode_32 3
		.amdhsa_float_denorm_mode_16_64 3
		.amdhsa_dx10_clamp 1
		.amdhsa_ieee_mode 1
		.amdhsa_fp16_overflow 0
		.amdhsa_workgroup_processor_mode 1
		.amdhsa_memory_ordered 1
		.amdhsa_forward_progress 1
		.amdhsa_shared_vgpr_count 0
		.amdhsa_exception_fp_ieee_invalid_op 0
		.amdhsa_exception_fp_denorm_src 0
		.amdhsa_exception_fp_ieee_div_zero 0
		.amdhsa_exception_fp_ieee_overflow 0
		.amdhsa_exception_fp_ieee_underflow 0
		.amdhsa_exception_fp_ieee_inexact 0
		.amdhsa_exception_int_div_zero 0
	.end_amdhsa_kernel
	.section	.text._ZN7rocprim17ROCPRIM_400000_NS6detail17trampoline_kernelINS0_14default_configENS1_27upper_bound_config_selectorItlEEZNS1_14transform_implILb0ES3_S5_N6thrust23THRUST_200600_302600_NS6detail15normal_iteratorINS8_7pointerItNS8_11hip_rocprim5par_tENS8_11use_defaultESE_EEEENSA_INSB_IlSD_SE_SE_EEEEZNS1_13binary_searchIS3_S5_NSA_INS8_10device_ptrItEEEESG_SI_NS1_21upper_bound_search_opENS9_16wrapped_functionINS8_6system6detail7generic6detail18binary_search_lessEbEEEE10hipError_tPvRmT1_T2_T3_mmT4_T5_P12ihipStream_tbEUlRKtE_EESV_SZ_S10_mS11_S14_bEUlT_E_NS1_11comp_targetILNS1_3genE10ELNS1_11target_archE1200ELNS1_3gpuE4ELNS1_3repE0EEENS1_30default_config_static_selectorELNS0_4arch9wavefront6targetE0EEEvSY_,"axG",@progbits,_ZN7rocprim17ROCPRIM_400000_NS6detail17trampoline_kernelINS0_14default_configENS1_27upper_bound_config_selectorItlEEZNS1_14transform_implILb0ES3_S5_N6thrust23THRUST_200600_302600_NS6detail15normal_iteratorINS8_7pointerItNS8_11hip_rocprim5par_tENS8_11use_defaultESE_EEEENSA_INSB_IlSD_SE_SE_EEEEZNS1_13binary_searchIS3_S5_NSA_INS8_10device_ptrItEEEESG_SI_NS1_21upper_bound_search_opENS9_16wrapped_functionINS8_6system6detail7generic6detail18binary_search_lessEbEEEE10hipError_tPvRmT1_T2_T3_mmT4_T5_P12ihipStream_tbEUlRKtE_EESV_SZ_S10_mS11_S14_bEUlT_E_NS1_11comp_targetILNS1_3genE10ELNS1_11target_archE1200ELNS1_3gpuE4ELNS1_3repE0EEENS1_30default_config_static_selectorELNS0_4arch9wavefront6targetE0EEEvSY_,comdat
.Lfunc_end560:
	.size	_ZN7rocprim17ROCPRIM_400000_NS6detail17trampoline_kernelINS0_14default_configENS1_27upper_bound_config_selectorItlEEZNS1_14transform_implILb0ES3_S5_N6thrust23THRUST_200600_302600_NS6detail15normal_iteratorINS8_7pointerItNS8_11hip_rocprim5par_tENS8_11use_defaultESE_EEEENSA_INSB_IlSD_SE_SE_EEEEZNS1_13binary_searchIS3_S5_NSA_INS8_10device_ptrItEEEESG_SI_NS1_21upper_bound_search_opENS9_16wrapped_functionINS8_6system6detail7generic6detail18binary_search_lessEbEEEE10hipError_tPvRmT1_T2_T3_mmT4_T5_P12ihipStream_tbEUlRKtE_EESV_SZ_S10_mS11_S14_bEUlT_E_NS1_11comp_targetILNS1_3genE10ELNS1_11target_archE1200ELNS1_3gpuE4ELNS1_3repE0EEENS1_30default_config_static_selectorELNS0_4arch9wavefront6targetE0EEEvSY_, .Lfunc_end560-_ZN7rocprim17ROCPRIM_400000_NS6detail17trampoline_kernelINS0_14default_configENS1_27upper_bound_config_selectorItlEEZNS1_14transform_implILb0ES3_S5_N6thrust23THRUST_200600_302600_NS6detail15normal_iteratorINS8_7pointerItNS8_11hip_rocprim5par_tENS8_11use_defaultESE_EEEENSA_INSB_IlSD_SE_SE_EEEEZNS1_13binary_searchIS3_S5_NSA_INS8_10device_ptrItEEEESG_SI_NS1_21upper_bound_search_opENS9_16wrapped_functionINS8_6system6detail7generic6detail18binary_search_lessEbEEEE10hipError_tPvRmT1_T2_T3_mmT4_T5_P12ihipStream_tbEUlRKtE_EESV_SZ_S10_mS11_S14_bEUlT_E_NS1_11comp_targetILNS1_3genE10ELNS1_11target_archE1200ELNS1_3gpuE4ELNS1_3repE0EEENS1_30default_config_static_selectorELNS0_4arch9wavefront6targetE0EEEvSY_
                                        ; -- End function
	.set _ZN7rocprim17ROCPRIM_400000_NS6detail17trampoline_kernelINS0_14default_configENS1_27upper_bound_config_selectorItlEEZNS1_14transform_implILb0ES3_S5_N6thrust23THRUST_200600_302600_NS6detail15normal_iteratorINS8_7pointerItNS8_11hip_rocprim5par_tENS8_11use_defaultESE_EEEENSA_INSB_IlSD_SE_SE_EEEEZNS1_13binary_searchIS3_S5_NSA_INS8_10device_ptrItEEEESG_SI_NS1_21upper_bound_search_opENS9_16wrapped_functionINS8_6system6detail7generic6detail18binary_search_lessEbEEEE10hipError_tPvRmT1_T2_T3_mmT4_T5_P12ihipStream_tbEUlRKtE_EESV_SZ_S10_mS11_S14_bEUlT_E_NS1_11comp_targetILNS1_3genE10ELNS1_11target_archE1200ELNS1_3gpuE4ELNS1_3repE0EEENS1_30default_config_static_selectorELNS0_4arch9wavefront6targetE0EEEvSY_.num_vgpr, 0
	.set _ZN7rocprim17ROCPRIM_400000_NS6detail17trampoline_kernelINS0_14default_configENS1_27upper_bound_config_selectorItlEEZNS1_14transform_implILb0ES3_S5_N6thrust23THRUST_200600_302600_NS6detail15normal_iteratorINS8_7pointerItNS8_11hip_rocprim5par_tENS8_11use_defaultESE_EEEENSA_INSB_IlSD_SE_SE_EEEEZNS1_13binary_searchIS3_S5_NSA_INS8_10device_ptrItEEEESG_SI_NS1_21upper_bound_search_opENS9_16wrapped_functionINS8_6system6detail7generic6detail18binary_search_lessEbEEEE10hipError_tPvRmT1_T2_T3_mmT4_T5_P12ihipStream_tbEUlRKtE_EESV_SZ_S10_mS11_S14_bEUlT_E_NS1_11comp_targetILNS1_3genE10ELNS1_11target_archE1200ELNS1_3gpuE4ELNS1_3repE0EEENS1_30default_config_static_selectorELNS0_4arch9wavefront6targetE0EEEvSY_.num_agpr, 0
	.set _ZN7rocprim17ROCPRIM_400000_NS6detail17trampoline_kernelINS0_14default_configENS1_27upper_bound_config_selectorItlEEZNS1_14transform_implILb0ES3_S5_N6thrust23THRUST_200600_302600_NS6detail15normal_iteratorINS8_7pointerItNS8_11hip_rocprim5par_tENS8_11use_defaultESE_EEEENSA_INSB_IlSD_SE_SE_EEEEZNS1_13binary_searchIS3_S5_NSA_INS8_10device_ptrItEEEESG_SI_NS1_21upper_bound_search_opENS9_16wrapped_functionINS8_6system6detail7generic6detail18binary_search_lessEbEEEE10hipError_tPvRmT1_T2_T3_mmT4_T5_P12ihipStream_tbEUlRKtE_EESV_SZ_S10_mS11_S14_bEUlT_E_NS1_11comp_targetILNS1_3genE10ELNS1_11target_archE1200ELNS1_3gpuE4ELNS1_3repE0EEENS1_30default_config_static_selectorELNS0_4arch9wavefront6targetE0EEEvSY_.numbered_sgpr, 0
	.set _ZN7rocprim17ROCPRIM_400000_NS6detail17trampoline_kernelINS0_14default_configENS1_27upper_bound_config_selectorItlEEZNS1_14transform_implILb0ES3_S5_N6thrust23THRUST_200600_302600_NS6detail15normal_iteratorINS8_7pointerItNS8_11hip_rocprim5par_tENS8_11use_defaultESE_EEEENSA_INSB_IlSD_SE_SE_EEEEZNS1_13binary_searchIS3_S5_NSA_INS8_10device_ptrItEEEESG_SI_NS1_21upper_bound_search_opENS9_16wrapped_functionINS8_6system6detail7generic6detail18binary_search_lessEbEEEE10hipError_tPvRmT1_T2_T3_mmT4_T5_P12ihipStream_tbEUlRKtE_EESV_SZ_S10_mS11_S14_bEUlT_E_NS1_11comp_targetILNS1_3genE10ELNS1_11target_archE1200ELNS1_3gpuE4ELNS1_3repE0EEENS1_30default_config_static_selectorELNS0_4arch9wavefront6targetE0EEEvSY_.num_named_barrier, 0
	.set _ZN7rocprim17ROCPRIM_400000_NS6detail17trampoline_kernelINS0_14default_configENS1_27upper_bound_config_selectorItlEEZNS1_14transform_implILb0ES3_S5_N6thrust23THRUST_200600_302600_NS6detail15normal_iteratorINS8_7pointerItNS8_11hip_rocprim5par_tENS8_11use_defaultESE_EEEENSA_INSB_IlSD_SE_SE_EEEEZNS1_13binary_searchIS3_S5_NSA_INS8_10device_ptrItEEEESG_SI_NS1_21upper_bound_search_opENS9_16wrapped_functionINS8_6system6detail7generic6detail18binary_search_lessEbEEEE10hipError_tPvRmT1_T2_T3_mmT4_T5_P12ihipStream_tbEUlRKtE_EESV_SZ_S10_mS11_S14_bEUlT_E_NS1_11comp_targetILNS1_3genE10ELNS1_11target_archE1200ELNS1_3gpuE4ELNS1_3repE0EEENS1_30default_config_static_selectorELNS0_4arch9wavefront6targetE0EEEvSY_.private_seg_size, 0
	.set _ZN7rocprim17ROCPRIM_400000_NS6detail17trampoline_kernelINS0_14default_configENS1_27upper_bound_config_selectorItlEEZNS1_14transform_implILb0ES3_S5_N6thrust23THRUST_200600_302600_NS6detail15normal_iteratorINS8_7pointerItNS8_11hip_rocprim5par_tENS8_11use_defaultESE_EEEENSA_INSB_IlSD_SE_SE_EEEEZNS1_13binary_searchIS3_S5_NSA_INS8_10device_ptrItEEEESG_SI_NS1_21upper_bound_search_opENS9_16wrapped_functionINS8_6system6detail7generic6detail18binary_search_lessEbEEEE10hipError_tPvRmT1_T2_T3_mmT4_T5_P12ihipStream_tbEUlRKtE_EESV_SZ_S10_mS11_S14_bEUlT_E_NS1_11comp_targetILNS1_3genE10ELNS1_11target_archE1200ELNS1_3gpuE4ELNS1_3repE0EEENS1_30default_config_static_selectorELNS0_4arch9wavefront6targetE0EEEvSY_.uses_vcc, 0
	.set _ZN7rocprim17ROCPRIM_400000_NS6detail17trampoline_kernelINS0_14default_configENS1_27upper_bound_config_selectorItlEEZNS1_14transform_implILb0ES3_S5_N6thrust23THRUST_200600_302600_NS6detail15normal_iteratorINS8_7pointerItNS8_11hip_rocprim5par_tENS8_11use_defaultESE_EEEENSA_INSB_IlSD_SE_SE_EEEEZNS1_13binary_searchIS3_S5_NSA_INS8_10device_ptrItEEEESG_SI_NS1_21upper_bound_search_opENS9_16wrapped_functionINS8_6system6detail7generic6detail18binary_search_lessEbEEEE10hipError_tPvRmT1_T2_T3_mmT4_T5_P12ihipStream_tbEUlRKtE_EESV_SZ_S10_mS11_S14_bEUlT_E_NS1_11comp_targetILNS1_3genE10ELNS1_11target_archE1200ELNS1_3gpuE4ELNS1_3repE0EEENS1_30default_config_static_selectorELNS0_4arch9wavefront6targetE0EEEvSY_.uses_flat_scratch, 0
	.set _ZN7rocprim17ROCPRIM_400000_NS6detail17trampoline_kernelINS0_14default_configENS1_27upper_bound_config_selectorItlEEZNS1_14transform_implILb0ES3_S5_N6thrust23THRUST_200600_302600_NS6detail15normal_iteratorINS8_7pointerItNS8_11hip_rocprim5par_tENS8_11use_defaultESE_EEEENSA_INSB_IlSD_SE_SE_EEEEZNS1_13binary_searchIS3_S5_NSA_INS8_10device_ptrItEEEESG_SI_NS1_21upper_bound_search_opENS9_16wrapped_functionINS8_6system6detail7generic6detail18binary_search_lessEbEEEE10hipError_tPvRmT1_T2_T3_mmT4_T5_P12ihipStream_tbEUlRKtE_EESV_SZ_S10_mS11_S14_bEUlT_E_NS1_11comp_targetILNS1_3genE10ELNS1_11target_archE1200ELNS1_3gpuE4ELNS1_3repE0EEENS1_30default_config_static_selectorELNS0_4arch9wavefront6targetE0EEEvSY_.has_dyn_sized_stack, 0
	.set _ZN7rocprim17ROCPRIM_400000_NS6detail17trampoline_kernelINS0_14default_configENS1_27upper_bound_config_selectorItlEEZNS1_14transform_implILb0ES3_S5_N6thrust23THRUST_200600_302600_NS6detail15normal_iteratorINS8_7pointerItNS8_11hip_rocprim5par_tENS8_11use_defaultESE_EEEENSA_INSB_IlSD_SE_SE_EEEEZNS1_13binary_searchIS3_S5_NSA_INS8_10device_ptrItEEEESG_SI_NS1_21upper_bound_search_opENS9_16wrapped_functionINS8_6system6detail7generic6detail18binary_search_lessEbEEEE10hipError_tPvRmT1_T2_T3_mmT4_T5_P12ihipStream_tbEUlRKtE_EESV_SZ_S10_mS11_S14_bEUlT_E_NS1_11comp_targetILNS1_3genE10ELNS1_11target_archE1200ELNS1_3gpuE4ELNS1_3repE0EEENS1_30default_config_static_selectorELNS0_4arch9wavefront6targetE0EEEvSY_.has_recursion, 0
	.set _ZN7rocprim17ROCPRIM_400000_NS6detail17trampoline_kernelINS0_14default_configENS1_27upper_bound_config_selectorItlEEZNS1_14transform_implILb0ES3_S5_N6thrust23THRUST_200600_302600_NS6detail15normal_iteratorINS8_7pointerItNS8_11hip_rocprim5par_tENS8_11use_defaultESE_EEEENSA_INSB_IlSD_SE_SE_EEEEZNS1_13binary_searchIS3_S5_NSA_INS8_10device_ptrItEEEESG_SI_NS1_21upper_bound_search_opENS9_16wrapped_functionINS8_6system6detail7generic6detail18binary_search_lessEbEEEE10hipError_tPvRmT1_T2_T3_mmT4_T5_P12ihipStream_tbEUlRKtE_EESV_SZ_S10_mS11_S14_bEUlT_E_NS1_11comp_targetILNS1_3genE10ELNS1_11target_archE1200ELNS1_3gpuE4ELNS1_3repE0EEENS1_30default_config_static_selectorELNS0_4arch9wavefront6targetE0EEEvSY_.has_indirect_call, 0
	.section	.AMDGPU.csdata,"",@progbits
; Kernel info:
; codeLenInByte = 0
; TotalNumSgprs: 0
; NumVgprs: 0
; ScratchSize: 0
; MemoryBound: 0
; FloatMode: 240
; IeeeMode: 1
; LDSByteSize: 0 bytes/workgroup (compile time only)
; SGPRBlocks: 0
; VGPRBlocks: 0
; NumSGPRsForWavesPerEU: 1
; NumVGPRsForWavesPerEU: 1
; Occupancy: 16
; WaveLimiterHint : 0
; COMPUTE_PGM_RSRC2:SCRATCH_EN: 0
; COMPUTE_PGM_RSRC2:USER_SGPR: 6
; COMPUTE_PGM_RSRC2:TRAP_HANDLER: 0
; COMPUTE_PGM_RSRC2:TGID_X_EN: 1
; COMPUTE_PGM_RSRC2:TGID_Y_EN: 0
; COMPUTE_PGM_RSRC2:TGID_Z_EN: 0
; COMPUTE_PGM_RSRC2:TIDIG_COMP_CNT: 0
	.section	.text._ZN7rocprim17ROCPRIM_400000_NS6detail17trampoline_kernelINS0_14default_configENS1_27upper_bound_config_selectorItlEEZNS1_14transform_implILb0ES3_S5_N6thrust23THRUST_200600_302600_NS6detail15normal_iteratorINS8_7pointerItNS8_11hip_rocprim5par_tENS8_11use_defaultESE_EEEENSA_INSB_IlSD_SE_SE_EEEEZNS1_13binary_searchIS3_S5_NSA_INS8_10device_ptrItEEEESG_SI_NS1_21upper_bound_search_opENS9_16wrapped_functionINS8_6system6detail7generic6detail18binary_search_lessEbEEEE10hipError_tPvRmT1_T2_T3_mmT4_T5_P12ihipStream_tbEUlRKtE_EESV_SZ_S10_mS11_S14_bEUlT_E_NS1_11comp_targetILNS1_3genE9ELNS1_11target_archE1100ELNS1_3gpuE3ELNS1_3repE0EEENS1_30default_config_static_selectorELNS0_4arch9wavefront6targetE0EEEvSY_,"axG",@progbits,_ZN7rocprim17ROCPRIM_400000_NS6detail17trampoline_kernelINS0_14default_configENS1_27upper_bound_config_selectorItlEEZNS1_14transform_implILb0ES3_S5_N6thrust23THRUST_200600_302600_NS6detail15normal_iteratorINS8_7pointerItNS8_11hip_rocprim5par_tENS8_11use_defaultESE_EEEENSA_INSB_IlSD_SE_SE_EEEEZNS1_13binary_searchIS3_S5_NSA_INS8_10device_ptrItEEEESG_SI_NS1_21upper_bound_search_opENS9_16wrapped_functionINS8_6system6detail7generic6detail18binary_search_lessEbEEEE10hipError_tPvRmT1_T2_T3_mmT4_T5_P12ihipStream_tbEUlRKtE_EESV_SZ_S10_mS11_S14_bEUlT_E_NS1_11comp_targetILNS1_3genE9ELNS1_11target_archE1100ELNS1_3gpuE3ELNS1_3repE0EEENS1_30default_config_static_selectorELNS0_4arch9wavefront6targetE0EEEvSY_,comdat
	.protected	_ZN7rocprim17ROCPRIM_400000_NS6detail17trampoline_kernelINS0_14default_configENS1_27upper_bound_config_selectorItlEEZNS1_14transform_implILb0ES3_S5_N6thrust23THRUST_200600_302600_NS6detail15normal_iteratorINS8_7pointerItNS8_11hip_rocprim5par_tENS8_11use_defaultESE_EEEENSA_INSB_IlSD_SE_SE_EEEEZNS1_13binary_searchIS3_S5_NSA_INS8_10device_ptrItEEEESG_SI_NS1_21upper_bound_search_opENS9_16wrapped_functionINS8_6system6detail7generic6detail18binary_search_lessEbEEEE10hipError_tPvRmT1_T2_T3_mmT4_T5_P12ihipStream_tbEUlRKtE_EESV_SZ_S10_mS11_S14_bEUlT_E_NS1_11comp_targetILNS1_3genE9ELNS1_11target_archE1100ELNS1_3gpuE3ELNS1_3repE0EEENS1_30default_config_static_selectorELNS0_4arch9wavefront6targetE0EEEvSY_ ; -- Begin function _ZN7rocprim17ROCPRIM_400000_NS6detail17trampoline_kernelINS0_14default_configENS1_27upper_bound_config_selectorItlEEZNS1_14transform_implILb0ES3_S5_N6thrust23THRUST_200600_302600_NS6detail15normal_iteratorINS8_7pointerItNS8_11hip_rocprim5par_tENS8_11use_defaultESE_EEEENSA_INSB_IlSD_SE_SE_EEEEZNS1_13binary_searchIS3_S5_NSA_INS8_10device_ptrItEEEESG_SI_NS1_21upper_bound_search_opENS9_16wrapped_functionINS8_6system6detail7generic6detail18binary_search_lessEbEEEE10hipError_tPvRmT1_T2_T3_mmT4_T5_P12ihipStream_tbEUlRKtE_EESV_SZ_S10_mS11_S14_bEUlT_E_NS1_11comp_targetILNS1_3genE9ELNS1_11target_archE1100ELNS1_3gpuE3ELNS1_3repE0EEENS1_30default_config_static_selectorELNS0_4arch9wavefront6targetE0EEEvSY_
	.globl	_ZN7rocprim17ROCPRIM_400000_NS6detail17trampoline_kernelINS0_14default_configENS1_27upper_bound_config_selectorItlEEZNS1_14transform_implILb0ES3_S5_N6thrust23THRUST_200600_302600_NS6detail15normal_iteratorINS8_7pointerItNS8_11hip_rocprim5par_tENS8_11use_defaultESE_EEEENSA_INSB_IlSD_SE_SE_EEEEZNS1_13binary_searchIS3_S5_NSA_INS8_10device_ptrItEEEESG_SI_NS1_21upper_bound_search_opENS9_16wrapped_functionINS8_6system6detail7generic6detail18binary_search_lessEbEEEE10hipError_tPvRmT1_T2_T3_mmT4_T5_P12ihipStream_tbEUlRKtE_EESV_SZ_S10_mS11_S14_bEUlT_E_NS1_11comp_targetILNS1_3genE9ELNS1_11target_archE1100ELNS1_3gpuE3ELNS1_3repE0EEENS1_30default_config_static_selectorELNS0_4arch9wavefront6targetE0EEEvSY_
	.p2align	8
	.type	_ZN7rocprim17ROCPRIM_400000_NS6detail17trampoline_kernelINS0_14default_configENS1_27upper_bound_config_selectorItlEEZNS1_14transform_implILb0ES3_S5_N6thrust23THRUST_200600_302600_NS6detail15normal_iteratorINS8_7pointerItNS8_11hip_rocprim5par_tENS8_11use_defaultESE_EEEENSA_INSB_IlSD_SE_SE_EEEEZNS1_13binary_searchIS3_S5_NSA_INS8_10device_ptrItEEEESG_SI_NS1_21upper_bound_search_opENS9_16wrapped_functionINS8_6system6detail7generic6detail18binary_search_lessEbEEEE10hipError_tPvRmT1_T2_T3_mmT4_T5_P12ihipStream_tbEUlRKtE_EESV_SZ_S10_mS11_S14_bEUlT_E_NS1_11comp_targetILNS1_3genE9ELNS1_11target_archE1100ELNS1_3gpuE3ELNS1_3repE0EEENS1_30default_config_static_selectorELNS0_4arch9wavefront6targetE0EEEvSY_,@function
_ZN7rocprim17ROCPRIM_400000_NS6detail17trampoline_kernelINS0_14default_configENS1_27upper_bound_config_selectorItlEEZNS1_14transform_implILb0ES3_S5_N6thrust23THRUST_200600_302600_NS6detail15normal_iteratorINS8_7pointerItNS8_11hip_rocprim5par_tENS8_11use_defaultESE_EEEENSA_INSB_IlSD_SE_SE_EEEEZNS1_13binary_searchIS3_S5_NSA_INS8_10device_ptrItEEEESG_SI_NS1_21upper_bound_search_opENS9_16wrapped_functionINS8_6system6detail7generic6detail18binary_search_lessEbEEEE10hipError_tPvRmT1_T2_T3_mmT4_T5_P12ihipStream_tbEUlRKtE_EESV_SZ_S10_mS11_S14_bEUlT_E_NS1_11comp_targetILNS1_3genE9ELNS1_11target_archE1100ELNS1_3gpuE3ELNS1_3repE0EEENS1_30default_config_static_selectorELNS0_4arch9wavefront6targetE0EEEvSY_: ; @_ZN7rocprim17ROCPRIM_400000_NS6detail17trampoline_kernelINS0_14default_configENS1_27upper_bound_config_selectorItlEEZNS1_14transform_implILb0ES3_S5_N6thrust23THRUST_200600_302600_NS6detail15normal_iteratorINS8_7pointerItNS8_11hip_rocprim5par_tENS8_11use_defaultESE_EEEENSA_INSB_IlSD_SE_SE_EEEEZNS1_13binary_searchIS3_S5_NSA_INS8_10device_ptrItEEEESG_SI_NS1_21upper_bound_search_opENS9_16wrapped_functionINS8_6system6detail7generic6detail18binary_search_lessEbEEEE10hipError_tPvRmT1_T2_T3_mmT4_T5_P12ihipStream_tbEUlRKtE_EESV_SZ_S10_mS11_S14_bEUlT_E_NS1_11comp_targetILNS1_3genE9ELNS1_11target_archE1100ELNS1_3gpuE3ELNS1_3repE0EEENS1_30default_config_static_selectorELNS0_4arch9wavefront6targetE0EEEvSY_
; %bb.0:
	.section	.rodata,"a",@progbits
	.p2align	6, 0x0
	.amdhsa_kernel _ZN7rocprim17ROCPRIM_400000_NS6detail17trampoline_kernelINS0_14default_configENS1_27upper_bound_config_selectorItlEEZNS1_14transform_implILb0ES3_S5_N6thrust23THRUST_200600_302600_NS6detail15normal_iteratorINS8_7pointerItNS8_11hip_rocprim5par_tENS8_11use_defaultESE_EEEENSA_INSB_IlSD_SE_SE_EEEEZNS1_13binary_searchIS3_S5_NSA_INS8_10device_ptrItEEEESG_SI_NS1_21upper_bound_search_opENS9_16wrapped_functionINS8_6system6detail7generic6detail18binary_search_lessEbEEEE10hipError_tPvRmT1_T2_T3_mmT4_T5_P12ihipStream_tbEUlRKtE_EESV_SZ_S10_mS11_S14_bEUlT_E_NS1_11comp_targetILNS1_3genE9ELNS1_11target_archE1100ELNS1_3gpuE3ELNS1_3repE0EEENS1_30default_config_static_selectorELNS0_4arch9wavefront6targetE0EEEvSY_
		.amdhsa_group_segment_fixed_size 0
		.amdhsa_private_segment_fixed_size 0
		.amdhsa_kernarg_size 56
		.amdhsa_user_sgpr_count 6
		.amdhsa_user_sgpr_private_segment_buffer 1
		.amdhsa_user_sgpr_dispatch_ptr 0
		.amdhsa_user_sgpr_queue_ptr 0
		.amdhsa_user_sgpr_kernarg_segment_ptr 1
		.amdhsa_user_sgpr_dispatch_id 0
		.amdhsa_user_sgpr_flat_scratch_init 0
		.amdhsa_user_sgpr_private_segment_size 0
		.amdhsa_wavefront_size32 1
		.amdhsa_uses_dynamic_stack 0
		.amdhsa_system_sgpr_private_segment_wavefront_offset 0
		.amdhsa_system_sgpr_workgroup_id_x 1
		.amdhsa_system_sgpr_workgroup_id_y 0
		.amdhsa_system_sgpr_workgroup_id_z 0
		.amdhsa_system_sgpr_workgroup_info 0
		.amdhsa_system_vgpr_workitem_id 0
		.amdhsa_next_free_vgpr 1
		.amdhsa_next_free_sgpr 1
		.amdhsa_reserve_vcc 0
		.amdhsa_reserve_flat_scratch 0
		.amdhsa_float_round_mode_32 0
		.amdhsa_float_round_mode_16_64 0
		.amdhsa_float_denorm_mode_32 3
		.amdhsa_float_denorm_mode_16_64 3
		.amdhsa_dx10_clamp 1
		.amdhsa_ieee_mode 1
		.amdhsa_fp16_overflow 0
		.amdhsa_workgroup_processor_mode 1
		.amdhsa_memory_ordered 1
		.amdhsa_forward_progress 1
		.amdhsa_shared_vgpr_count 0
		.amdhsa_exception_fp_ieee_invalid_op 0
		.amdhsa_exception_fp_denorm_src 0
		.amdhsa_exception_fp_ieee_div_zero 0
		.amdhsa_exception_fp_ieee_overflow 0
		.amdhsa_exception_fp_ieee_underflow 0
		.amdhsa_exception_fp_ieee_inexact 0
		.amdhsa_exception_int_div_zero 0
	.end_amdhsa_kernel
	.section	.text._ZN7rocprim17ROCPRIM_400000_NS6detail17trampoline_kernelINS0_14default_configENS1_27upper_bound_config_selectorItlEEZNS1_14transform_implILb0ES3_S5_N6thrust23THRUST_200600_302600_NS6detail15normal_iteratorINS8_7pointerItNS8_11hip_rocprim5par_tENS8_11use_defaultESE_EEEENSA_INSB_IlSD_SE_SE_EEEEZNS1_13binary_searchIS3_S5_NSA_INS8_10device_ptrItEEEESG_SI_NS1_21upper_bound_search_opENS9_16wrapped_functionINS8_6system6detail7generic6detail18binary_search_lessEbEEEE10hipError_tPvRmT1_T2_T3_mmT4_T5_P12ihipStream_tbEUlRKtE_EESV_SZ_S10_mS11_S14_bEUlT_E_NS1_11comp_targetILNS1_3genE9ELNS1_11target_archE1100ELNS1_3gpuE3ELNS1_3repE0EEENS1_30default_config_static_selectorELNS0_4arch9wavefront6targetE0EEEvSY_,"axG",@progbits,_ZN7rocprim17ROCPRIM_400000_NS6detail17trampoline_kernelINS0_14default_configENS1_27upper_bound_config_selectorItlEEZNS1_14transform_implILb0ES3_S5_N6thrust23THRUST_200600_302600_NS6detail15normal_iteratorINS8_7pointerItNS8_11hip_rocprim5par_tENS8_11use_defaultESE_EEEENSA_INSB_IlSD_SE_SE_EEEEZNS1_13binary_searchIS3_S5_NSA_INS8_10device_ptrItEEEESG_SI_NS1_21upper_bound_search_opENS9_16wrapped_functionINS8_6system6detail7generic6detail18binary_search_lessEbEEEE10hipError_tPvRmT1_T2_T3_mmT4_T5_P12ihipStream_tbEUlRKtE_EESV_SZ_S10_mS11_S14_bEUlT_E_NS1_11comp_targetILNS1_3genE9ELNS1_11target_archE1100ELNS1_3gpuE3ELNS1_3repE0EEENS1_30default_config_static_selectorELNS0_4arch9wavefront6targetE0EEEvSY_,comdat
.Lfunc_end561:
	.size	_ZN7rocprim17ROCPRIM_400000_NS6detail17trampoline_kernelINS0_14default_configENS1_27upper_bound_config_selectorItlEEZNS1_14transform_implILb0ES3_S5_N6thrust23THRUST_200600_302600_NS6detail15normal_iteratorINS8_7pointerItNS8_11hip_rocprim5par_tENS8_11use_defaultESE_EEEENSA_INSB_IlSD_SE_SE_EEEEZNS1_13binary_searchIS3_S5_NSA_INS8_10device_ptrItEEEESG_SI_NS1_21upper_bound_search_opENS9_16wrapped_functionINS8_6system6detail7generic6detail18binary_search_lessEbEEEE10hipError_tPvRmT1_T2_T3_mmT4_T5_P12ihipStream_tbEUlRKtE_EESV_SZ_S10_mS11_S14_bEUlT_E_NS1_11comp_targetILNS1_3genE9ELNS1_11target_archE1100ELNS1_3gpuE3ELNS1_3repE0EEENS1_30default_config_static_selectorELNS0_4arch9wavefront6targetE0EEEvSY_, .Lfunc_end561-_ZN7rocprim17ROCPRIM_400000_NS6detail17trampoline_kernelINS0_14default_configENS1_27upper_bound_config_selectorItlEEZNS1_14transform_implILb0ES3_S5_N6thrust23THRUST_200600_302600_NS6detail15normal_iteratorINS8_7pointerItNS8_11hip_rocprim5par_tENS8_11use_defaultESE_EEEENSA_INSB_IlSD_SE_SE_EEEEZNS1_13binary_searchIS3_S5_NSA_INS8_10device_ptrItEEEESG_SI_NS1_21upper_bound_search_opENS9_16wrapped_functionINS8_6system6detail7generic6detail18binary_search_lessEbEEEE10hipError_tPvRmT1_T2_T3_mmT4_T5_P12ihipStream_tbEUlRKtE_EESV_SZ_S10_mS11_S14_bEUlT_E_NS1_11comp_targetILNS1_3genE9ELNS1_11target_archE1100ELNS1_3gpuE3ELNS1_3repE0EEENS1_30default_config_static_selectorELNS0_4arch9wavefront6targetE0EEEvSY_
                                        ; -- End function
	.set _ZN7rocprim17ROCPRIM_400000_NS6detail17trampoline_kernelINS0_14default_configENS1_27upper_bound_config_selectorItlEEZNS1_14transform_implILb0ES3_S5_N6thrust23THRUST_200600_302600_NS6detail15normal_iteratorINS8_7pointerItNS8_11hip_rocprim5par_tENS8_11use_defaultESE_EEEENSA_INSB_IlSD_SE_SE_EEEEZNS1_13binary_searchIS3_S5_NSA_INS8_10device_ptrItEEEESG_SI_NS1_21upper_bound_search_opENS9_16wrapped_functionINS8_6system6detail7generic6detail18binary_search_lessEbEEEE10hipError_tPvRmT1_T2_T3_mmT4_T5_P12ihipStream_tbEUlRKtE_EESV_SZ_S10_mS11_S14_bEUlT_E_NS1_11comp_targetILNS1_3genE9ELNS1_11target_archE1100ELNS1_3gpuE3ELNS1_3repE0EEENS1_30default_config_static_selectorELNS0_4arch9wavefront6targetE0EEEvSY_.num_vgpr, 0
	.set _ZN7rocprim17ROCPRIM_400000_NS6detail17trampoline_kernelINS0_14default_configENS1_27upper_bound_config_selectorItlEEZNS1_14transform_implILb0ES3_S5_N6thrust23THRUST_200600_302600_NS6detail15normal_iteratorINS8_7pointerItNS8_11hip_rocprim5par_tENS8_11use_defaultESE_EEEENSA_INSB_IlSD_SE_SE_EEEEZNS1_13binary_searchIS3_S5_NSA_INS8_10device_ptrItEEEESG_SI_NS1_21upper_bound_search_opENS9_16wrapped_functionINS8_6system6detail7generic6detail18binary_search_lessEbEEEE10hipError_tPvRmT1_T2_T3_mmT4_T5_P12ihipStream_tbEUlRKtE_EESV_SZ_S10_mS11_S14_bEUlT_E_NS1_11comp_targetILNS1_3genE9ELNS1_11target_archE1100ELNS1_3gpuE3ELNS1_3repE0EEENS1_30default_config_static_selectorELNS0_4arch9wavefront6targetE0EEEvSY_.num_agpr, 0
	.set _ZN7rocprim17ROCPRIM_400000_NS6detail17trampoline_kernelINS0_14default_configENS1_27upper_bound_config_selectorItlEEZNS1_14transform_implILb0ES3_S5_N6thrust23THRUST_200600_302600_NS6detail15normal_iteratorINS8_7pointerItNS8_11hip_rocprim5par_tENS8_11use_defaultESE_EEEENSA_INSB_IlSD_SE_SE_EEEEZNS1_13binary_searchIS3_S5_NSA_INS8_10device_ptrItEEEESG_SI_NS1_21upper_bound_search_opENS9_16wrapped_functionINS8_6system6detail7generic6detail18binary_search_lessEbEEEE10hipError_tPvRmT1_T2_T3_mmT4_T5_P12ihipStream_tbEUlRKtE_EESV_SZ_S10_mS11_S14_bEUlT_E_NS1_11comp_targetILNS1_3genE9ELNS1_11target_archE1100ELNS1_3gpuE3ELNS1_3repE0EEENS1_30default_config_static_selectorELNS0_4arch9wavefront6targetE0EEEvSY_.numbered_sgpr, 0
	.set _ZN7rocprim17ROCPRIM_400000_NS6detail17trampoline_kernelINS0_14default_configENS1_27upper_bound_config_selectorItlEEZNS1_14transform_implILb0ES3_S5_N6thrust23THRUST_200600_302600_NS6detail15normal_iteratorINS8_7pointerItNS8_11hip_rocprim5par_tENS8_11use_defaultESE_EEEENSA_INSB_IlSD_SE_SE_EEEEZNS1_13binary_searchIS3_S5_NSA_INS8_10device_ptrItEEEESG_SI_NS1_21upper_bound_search_opENS9_16wrapped_functionINS8_6system6detail7generic6detail18binary_search_lessEbEEEE10hipError_tPvRmT1_T2_T3_mmT4_T5_P12ihipStream_tbEUlRKtE_EESV_SZ_S10_mS11_S14_bEUlT_E_NS1_11comp_targetILNS1_3genE9ELNS1_11target_archE1100ELNS1_3gpuE3ELNS1_3repE0EEENS1_30default_config_static_selectorELNS0_4arch9wavefront6targetE0EEEvSY_.num_named_barrier, 0
	.set _ZN7rocprim17ROCPRIM_400000_NS6detail17trampoline_kernelINS0_14default_configENS1_27upper_bound_config_selectorItlEEZNS1_14transform_implILb0ES3_S5_N6thrust23THRUST_200600_302600_NS6detail15normal_iteratorINS8_7pointerItNS8_11hip_rocprim5par_tENS8_11use_defaultESE_EEEENSA_INSB_IlSD_SE_SE_EEEEZNS1_13binary_searchIS3_S5_NSA_INS8_10device_ptrItEEEESG_SI_NS1_21upper_bound_search_opENS9_16wrapped_functionINS8_6system6detail7generic6detail18binary_search_lessEbEEEE10hipError_tPvRmT1_T2_T3_mmT4_T5_P12ihipStream_tbEUlRKtE_EESV_SZ_S10_mS11_S14_bEUlT_E_NS1_11comp_targetILNS1_3genE9ELNS1_11target_archE1100ELNS1_3gpuE3ELNS1_3repE0EEENS1_30default_config_static_selectorELNS0_4arch9wavefront6targetE0EEEvSY_.private_seg_size, 0
	.set _ZN7rocprim17ROCPRIM_400000_NS6detail17trampoline_kernelINS0_14default_configENS1_27upper_bound_config_selectorItlEEZNS1_14transform_implILb0ES3_S5_N6thrust23THRUST_200600_302600_NS6detail15normal_iteratorINS8_7pointerItNS8_11hip_rocprim5par_tENS8_11use_defaultESE_EEEENSA_INSB_IlSD_SE_SE_EEEEZNS1_13binary_searchIS3_S5_NSA_INS8_10device_ptrItEEEESG_SI_NS1_21upper_bound_search_opENS9_16wrapped_functionINS8_6system6detail7generic6detail18binary_search_lessEbEEEE10hipError_tPvRmT1_T2_T3_mmT4_T5_P12ihipStream_tbEUlRKtE_EESV_SZ_S10_mS11_S14_bEUlT_E_NS1_11comp_targetILNS1_3genE9ELNS1_11target_archE1100ELNS1_3gpuE3ELNS1_3repE0EEENS1_30default_config_static_selectorELNS0_4arch9wavefront6targetE0EEEvSY_.uses_vcc, 0
	.set _ZN7rocprim17ROCPRIM_400000_NS6detail17trampoline_kernelINS0_14default_configENS1_27upper_bound_config_selectorItlEEZNS1_14transform_implILb0ES3_S5_N6thrust23THRUST_200600_302600_NS6detail15normal_iteratorINS8_7pointerItNS8_11hip_rocprim5par_tENS8_11use_defaultESE_EEEENSA_INSB_IlSD_SE_SE_EEEEZNS1_13binary_searchIS3_S5_NSA_INS8_10device_ptrItEEEESG_SI_NS1_21upper_bound_search_opENS9_16wrapped_functionINS8_6system6detail7generic6detail18binary_search_lessEbEEEE10hipError_tPvRmT1_T2_T3_mmT4_T5_P12ihipStream_tbEUlRKtE_EESV_SZ_S10_mS11_S14_bEUlT_E_NS1_11comp_targetILNS1_3genE9ELNS1_11target_archE1100ELNS1_3gpuE3ELNS1_3repE0EEENS1_30default_config_static_selectorELNS0_4arch9wavefront6targetE0EEEvSY_.uses_flat_scratch, 0
	.set _ZN7rocprim17ROCPRIM_400000_NS6detail17trampoline_kernelINS0_14default_configENS1_27upper_bound_config_selectorItlEEZNS1_14transform_implILb0ES3_S5_N6thrust23THRUST_200600_302600_NS6detail15normal_iteratorINS8_7pointerItNS8_11hip_rocprim5par_tENS8_11use_defaultESE_EEEENSA_INSB_IlSD_SE_SE_EEEEZNS1_13binary_searchIS3_S5_NSA_INS8_10device_ptrItEEEESG_SI_NS1_21upper_bound_search_opENS9_16wrapped_functionINS8_6system6detail7generic6detail18binary_search_lessEbEEEE10hipError_tPvRmT1_T2_T3_mmT4_T5_P12ihipStream_tbEUlRKtE_EESV_SZ_S10_mS11_S14_bEUlT_E_NS1_11comp_targetILNS1_3genE9ELNS1_11target_archE1100ELNS1_3gpuE3ELNS1_3repE0EEENS1_30default_config_static_selectorELNS0_4arch9wavefront6targetE0EEEvSY_.has_dyn_sized_stack, 0
	.set _ZN7rocprim17ROCPRIM_400000_NS6detail17trampoline_kernelINS0_14default_configENS1_27upper_bound_config_selectorItlEEZNS1_14transform_implILb0ES3_S5_N6thrust23THRUST_200600_302600_NS6detail15normal_iteratorINS8_7pointerItNS8_11hip_rocprim5par_tENS8_11use_defaultESE_EEEENSA_INSB_IlSD_SE_SE_EEEEZNS1_13binary_searchIS3_S5_NSA_INS8_10device_ptrItEEEESG_SI_NS1_21upper_bound_search_opENS9_16wrapped_functionINS8_6system6detail7generic6detail18binary_search_lessEbEEEE10hipError_tPvRmT1_T2_T3_mmT4_T5_P12ihipStream_tbEUlRKtE_EESV_SZ_S10_mS11_S14_bEUlT_E_NS1_11comp_targetILNS1_3genE9ELNS1_11target_archE1100ELNS1_3gpuE3ELNS1_3repE0EEENS1_30default_config_static_selectorELNS0_4arch9wavefront6targetE0EEEvSY_.has_recursion, 0
	.set _ZN7rocprim17ROCPRIM_400000_NS6detail17trampoline_kernelINS0_14default_configENS1_27upper_bound_config_selectorItlEEZNS1_14transform_implILb0ES3_S5_N6thrust23THRUST_200600_302600_NS6detail15normal_iteratorINS8_7pointerItNS8_11hip_rocprim5par_tENS8_11use_defaultESE_EEEENSA_INSB_IlSD_SE_SE_EEEEZNS1_13binary_searchIS3_S5_NSA_INS8_10device_ptrItEEEESG_SI_NS1_21upper_bound_search_opENS9_16wrapped_functionINS8_6system6detail7generic6detail18binary_search_lessEbEEEE10hipError_tPvRmT1_T2_T3_mmT4_T5_P12ihipStream_tbEUlRKtE_EESV_SZ_S10_mS11_S14_bEUlT_E_NS1_11comp_targetILNS1_3genE9ELNS1_11target_archE1100ELNS1_3gpuE3ELNS1_3repE0EEENS1_30default_config_static_selectorELNS0_4arch9wavefront6targetE0EEEvSY_.has_indirect_call, 0
	.section	.AMDGPU.csdata,"",@progbits
; Kernel info:
; codeLenInByte = 0
; TotalNumSgprs: 0
; NumVgprs: 0
; ScratchSize: 0
; MemoryBound: 0
; FloatMode: 240
; IeeeMode: 1
; LDSByteSize: 0 bytes/workgroup (compile time only)
; SGPRBlocks: 0
; VGPRBlocks: 0
; NumSGPRsForWavesPerEU: 1
; NumVGPRsForWavesPerEU: 1
; Occupancy: 16
; WaveLimiterHint : 0
; COMPUTE_PGM_RSRC2:SCRATCH_EN: 0
; COMPUTE_PGM_RSRC2:USER_SGPR: 6
; COMPUTE_PGM_RSRC2:TRAP_HANDLER: 0
; COMPUTE_PGM_RSRC2:TGID_X_EN: 1
; COMPUTE_PGM_RSRC2:TGID_Y_EN: 0
; COMPUTE_PGM_RSRC2:TGID_Z_EN: 0
; COMPUTE_PGM_RSRC2:TIDIG_COMP_CNT: 0
	.section	.text._ZN7rocprim17ROCPRIM_400000_NS6detail17trampoline_kernelINS0_14default_configENS1_27upper_bound_config_selectorItlEEZNS1_14transform_implILb0ES3_S5_N6thrust23THRUST_200600_302600_NS6detail15normal_iteratorINS8_7pointerItNS8_11hip_rocprim5par_tENS8_11use_defaultESE_EEEENSA_INSB_IlSD_SE_SE_EEEEZNS1_13binary_searchIS3_S5_NSA_INS8_10device_ptrItEEEESG_SI_NS1_21upper_bound_search_opENS9_16wrapped_functionINS8_6system6detail7generic6detail18binary_search_lessEbEEEE10hipError_tPvRmT1_T2_T3_mmT4_T5_P12ihipStream_tbEUlRKtE_EESV_SZ_S10_mS11_S14_bEUlT_E_NS1_11comp_targetILNS1_3genE8ELNS1_11target_archE1030ELNS1_3gpuE2ELNS1_3repE0EEENS1_30default_config_static_selectorELNS0_4arch9wavefront6targetE0EEEvSY_,"axG",@progbits,_ZN7rocprim17ROCPRIM_400000_NS6detail17trampoline_kernelINS0_14default_configENS1_27upper_bound_config_selectorItlEEZNS1_14transform_implILb0ES3_S5_N6thrust23THRUST_200600_302600_NS6detail15normal_iteratorINS8_7pointerItNS8_11hip_rocprim5par_tENS8_11use_defaultESE_EEEENSA_INSB_IlSD_SE_SE_EEEEZNS1_13binary_searchIS3_S5_NSA_INS8_10device_ptrItEEEESG_SI_NS1_21upper_bound_search_opENS9_16wrapped_functionINS8_6system6detail7generic6detail18binary_search_lessEbEEEE10hipError_tPvRmT1_T2_T3_mmT4_T5_P12ihipStream_tbEUlRKtE_EESV_SZ_S10_mS11_S14_bEUlT_E_NS1_11comp_targetILNS1_3genE8ELNS1_11target_archE1030ELNS1_3gpuE2ELNS1_3repE0EEENS1_30default_config_static_selectorELNS0_4arch9wavefront6targetE0EEEvSY_,comdat
	.protected	_ZN7rocprim17ROCPRIM_400000_NS6detail17trampoline_kernelINS0_14default_configENS1_27upper_bound_config_selectorItlEEZNS1_14transform_implILb0ES3_S5_N6thrust23THRUST_200600_302600_NS6detail15normal_iteratorINS8_7pointerItNS8_11hip_rocprim5par_tENS8_11use_defaultESE_EEEENSA_INSB_IlSD_SE_SE_EEEEZNS1_13binary_searchIS3_S5_NSA_INS8_10device_ptrItEEEESG_SI_NS1_21upper_bound_search_opENS9_16wrapped_functionINS8_6system6detail7generic6detail18binary_search_lessEbEEEE10hipError_tPvRmT1_T2_T3_mmT4_T5_P12ihipStream_tbEUlRKtE_EESV_SZ_S10_mS11_S14_bEUlT_E_NS1_11comp_targetILNS1_3genE8ELNS1_11target_archE1030ELNS1_3gpuE2ELNS1_3repE0EEENS1_30default_config_static_selectorELNS0_4arch9wavefront6targetE0EEEvSY_ ; -- Begin function _ZN7rocprim17ROCPRIM_400000_NS6detail17trampoline_kernelINS0_14default_configENS1_27upper_bound_config_selectorItlEEZNS1_14transform_implILb0ES3_S5_N6thrust23THRUST_200600_302600_NS6detail15normal_iteratorINS8_7pointerItNS8_11hip_rocprim5par_tENS8_11use_defaultESE_EEEENSA_INSB_IlSD_SE_SE_EEEEZNS1_13binary_searchIS3_S5_NSA_INS8_10device_ptrItEEEESG_SI_NS1_21upper_bound_search_opENS9_16wrapped_functionINS8_6system6detail7generic6detail18binary_search_lessEbEEEE10hipError_tPvRmT1_T2_T3_mmT4_T5_P12ihipStream_tbEUlRKtE_EESV_SZ_S10_mS11_S14_bEUlT_E_NS1_11comp_targetILNS1_3genE8ELNS1_11target_archE1030ELNS1_3gpuE2ELNS1_3repE0EEENS1_30default_config_static_selectorELNS0_4arch9wavefront6targetE0EEEvSY_
	.globl	_ZN7rocprim17ROCPRIM_400000_NS6detail17trampoline_kernelINS0_14default_configENS1_27upper_bound_config_selectorItlEEZNS1_14transform_implILb0ES3_S5_N6thrust23THRUST_200600_302600_NS6detail15normal_iteratorINS8_7pointerItNS8_11hip_rocprim5par_tENS8_11use_defaultESE_EEEENSA_INSB_IlSD_SE_SE_EEEEZNS1_13binary_searchIS3_S5_NSA_INS8_10device_ptrItEEEESG_SI_NS1_21upper_bound_search_opENS9_16wrapped_functionINS8_6system6detail7generic6detail18binary_search_lessEbEEEE10hipError_tPvRmT1_T2_T3_mmT4_T5_P12ihipStream_tbEUlRKtE_EESV_SZ_S10_mS11_S14_bEUlT_E_NS1_11comp_targetILNS1_3genE8ELNS1_11target_archE1030ELNS1_3gpuE2ELNS1_3repE0EEENS1_30default_config_static_selectorELNS0_4arch9wavefront6targetE0EEEvSY_
	.p2align	8
	.type	_ZN7rocprim17ROCPRIM_400000_NS6detail17trampoline_kernelINS0_14default_configENS1_27upper_bound_config_selectorItlEEZNS1_14transform_implILb0ES3_S5_N6thrust23THRUST_200600_302600_NS6detail15normal_iteratorINS8_7pointerItNS8_11hip_rocprim5par_tENS8_11use_defaultESE_EEEENSA_INSB_IlSD_SE_SE_EEEEZNS1_13binary_searchIS3_S5_NSA_INS8_10device_ptrItEEEESG_SI_NS1_21upper_bound_search_opENS9_16wrapped_functionINS8_6system6detail7generic6detail18binary_search_lessEbEEEE10hipError_tPvRmT1_T2_T3_mmT4_T5_P12ihipStream_tbEUlRKtE_EESV_SZ_S10_mS11_S14_bEUlT_E_NS1_11comp_targetILNS1_3genE8ELNS1_11target_archE1030ELNS1_3gpuE2ELNS1_3repE0EEENS1_30default_config_static_selectorELNS0_4arch9wavefront6targetE0EEEvSY_,@function
_ZN7rocprim17ROCPRIM_400000_NS6detail17trampoline_kernelINS0_14default_configENS1_27upper_bound_config_selectorItlEEZNS1_14transform_implILb0ES3_S5_N6thrust23THRUST_200600_302600_NS6detail15normal_iteratorINS8_7pointerItNS8_11hip_rocprim5par_tENS8_11use_defaultESE_EEEENSA_INSB_IlSD_SE_SE_EEEEZNS1_13binary_searchIS3_S5_NSA_INS8_10device_ptrItEEEESG_SI_NS1_21upper_bound_search_opENS9_16wrapped_functionINS8_6system6detail7generic6detail18binary_search_lessEbEEEE10hipError_tPvRmT1_T2_T3_mmT4_T5_P12ihipStream_tbEUlRKtE_EESV_SZ_S10_mS11_S14_bEUlT_E_NS1_11comp_targetILNS1_3genE8ELNS1_11target_archE1030ELNS1_3gpuE2ELNS1_3repE0EEENS1_30default_config_static_selectorELNS0_4arch9wavefront6targetE0EEEvSY_: ; @_ZN7rocprim17ROCPRIM_400000_NS6detail17trampoline_kernelINS0_14default_configENS1_27upper_bound_config_selectorItlEEZNS1_14transform_implILb0ES3_S5_N6thrust23THRUST_200600_302600_NS6detail15normal_iteratorINS8_7pointerItNS8_11hip_rocprim5par_tENS8_11use_defaultESE_EEEENSA_INSB_IlSD_SE_SE_EEEEZNS1_13binary_searchIS3_S5_NSA_INS8_10device_ptrItEEEESG_SI_NS1_21upper_bound_search_opENS9_16wrapped_functionINS8_6system6detail7generic6detail18binary_search_lessEbEEEE10hipError_tPvRmT1_T2_T3_mmT4_T5_P12ihipStream_tbEUlRKtE_EESV_SZ_S10_mS11_S14_bEUlT_E_NS1_11comp_targetILNS1_3genE8ELNS1_11target_archE1030ELNS1_3gpuE2ELNS1_3repE0EEENS1_30default_config_static_selectorELNS0_4arch9wavefront6targetE0EEEvSY_
; %bb.0:
	s_clause 0x2
	s_load_dwordx8 s[8:15], s[4:5], 0x0
	s_load_dword s2, s[4:5], 0x38
	s_load_dwordx4 s[16:19], s[4:5], 0x20
	s_mov_b32 s5, 0
	s_waitcnt lgkmcnt(0)
	s_lshl_b64 s[0:1], s[10:11], 1
	s_add_u32 s8, s8, s0
	s_addc_u32 s9, s9, s1
	s_lshl_b64 s[0:1], s[10:11], 3
	s_add_u32 s3, s14, s0
	s_addc_u32 s7, s15, s1
	s_lshl_b32 s4, s6, 9
	s_add_i32 s2, s2, -1
	s_lshl_b64 s[0:1], s[4:5], 1
	s_add_u32 s8, s8, s0
	s_addc_u32 s9, s9, s1
	s_cmp_lg_u32 s6, s2
	s_mov_b32 s0, -1
	s_cbranch_scc0 .LBB562_5
; %bb.1:
	v_lshlrev_b32_e32 v1, 1, v0
	s_cmp_lg_u64 s[18:19], 0
	v_add_co_u32 v1, s0, s8, v1
	v_add_co_ci_u32_e64 v2, null, s9, 0, s0
	s_cselect_b32 s0, -1, 0
	s_cmp_eq_u64 s[18:19], 0
	s_clause 0x2
	flat_load_ushort v7, v[1:2] offset:256
	flat_load_ushort v9, v[1:2] offset:512
	;; [unrolled: 1-line block ×3, first 2 shown]
	s_cbranch_scc1 .LBB562_6
; %bb.2:
	flat_load_ushort v5, v[1:2]
	v_mov_b32_e32 v1, 0
	v_mov_b32_e32 v3, s18
	;; [unrolled: 1-line block ×4, first 2 shown]
	s_mov_b32 s1, 0
	s_inst_prefetch 0x1
	.p2align	6
.LBB562_3:                              ; =>This Inner Loop Header: Depth=1
	v_sub_co_u32 v12, vcc_lo, v3, v1
	v_sub_co_ci_u32_e64 v13, null, v4, v2, vcc_lo
	v_lshrrev_b64 v[14:15], 1, v[12:13]
	v_lshrrev_b64 v[12:13], 6, v[12:13]
	v_add_co_u32 v6, vcc_lo, v14, v1
	v_add_co_ci_u32_e64 v8, null, v15, v2, vcc_lo
	v_add_co_u32 v12, vcc_lo, v6, v12
	v_add_co_ci_u32_e64 v13, null, v8, v13, vcc_lo
	v_lshlrev_b64 v[14:15], 1, v[12:13]
	v_add_co_u32 v14, vcc_lo, s16, v14
	v_add_co_ci_u32_e64 v15, null, s17, v15, vcc_lo
	v_add_co_u32 v8, vcc_lo, v12, 1
	v_add_co_ci_u32_e64 v10, null, 0, v13, vcc_lo
	global_load_ushort v6, v[14:15], off
	s_waitcnt vmcnt(0) lgkmcnt(0)
	v_cmp_lt_u16_e32 vcc_lo, v5, v6
	v_cndmask_b32_e32 v4, v4, v13, vcc_lo
	v_cndmask_b32_e32 v3, v3, v12, vcc_lo
	;; [unrolled: 1-line block ×4, first 2 shown]
	v_cmp_ge_u64_e32 vcc_lo, v[1:2], v[3:4]
	s_or_b32 s1, vcc_lo, s1
	s_andn2_b32 exec_lo, exec_lo, s1
	s_cbranch_execnz .LBB562_3
; %bb.4:
	s_inst_prefetch 0x2
	s_or_b32 exec_lo, exec_lo, s1
	s_branch .LBB562_7
.LBB562_5:
	s_mov_b32 s6, s5
                                        ; implicit-def: $vgpr7_vgpr8
                                        ; implicit-def: $vgpr11_vgpr12
	s_and_b32 vcc_lo, exec_lo, s0
	s_cbranch_vccnz .LBB562_20
	s_branch .LBB562_53
.LBB562_6:
	v_mov_b32_e32 v1, 0
	v_mov_b32_e32 v2, 0
.LBB562_7:
	v_mov_b32_e32 v3, 0
	v_cndmask_b32_e64 v10, 0, 1, s0
	v_mov_b32_e32 v4, 0
	s_andn2_b32 vcc_lo, exec_lo, s0
	s_cbranch_vccnz .LBB562_11
; %bb.8:
	v_mov_b32_e32 v5, s18
	v_mov_b32_e32 v6, s19
	s_mov_b32 s0, 0
	s_inst_prefetch 0x1
	.p2align	6
.LBB562_9:                              ; =>This Inner Loop Header: Depth=1
	v_sub_co_u32 v12, vcc_lo, v5, v3
	v_sub_co_ci_u32_e64 v13, null, v6, v4, vcc_lo
	v_lshrrev_b64 v[14:15], 1, v[12:13]
	v_lshrrev_b64 v[12:13], 6, v[12:13]
	v_add_co_u32 v8, vcc_lo, v14, v3
	v_add_co_ci_u32_e64 v14, null, v15, v4, vcc_lo
	v_add_co_u32 v12, vcc_lo, v8, v12
	v_add_co_ci_u32_e64 v13, null, v14, v13, vcc_lo
	v_lshlrev_b64 v[14:15], 1, v[12:13]
	v_add_co_u32 v14, vcc_lo, s16, v14
	v_add_co_ci_u32_e64 v15, null, s17, v15, vcc_lo
	global_load_ushort v8, v[14:15], off
	v_add_co_u32 v14, vcc_lo, v12, 1
	v_add_co_ci_u32_e64 v15, null, 0, v13, vcc_lo
	s_waitcnt vmcnt(0) lgkmcnt(2)
	v_cmp_lt_u16_e32 vcc_lo, v7, v8
	v_cndmask_b32_e32 v6, v6, v13, vcc_lo
	v_cndmask_b32_e32 v5, v5, v12, vcc_lo
	;; [unrolled: 1-line block ×4, first 2 shown]
	v_cmp_ge_u64_e32 vcc_lo, v[3:4], v[5:6]
	s_or_b32 s0, vcc_lo, s0
	s_andn2_b32 exec_lo, exec_lo, s0
	s_cbranch_execnz .LBB562_9
; %bb.10:
	s_inst_prefetch 0x2
	s_or_b32 exec_lo, exec_lo, s0
.LBB562_11:
	v_cmp_ne_u32_e32 vcc_lo, 1, v10
	v_mov_b32_e32 v5, 0
	v_mov_b32_e32 v6, 0
	s_cbranch_vccnz .LBB562_15
; %bb.12:
	s_waitcnt vmcnt(2) lgkmcnt(2)
	v_mov_b32_e32 v7, s18
	v_mov_b32_e32 v8, s19
	s_mov_b32 s0, 0
	s_inst_prefetch 0x1
	.p2align	6
.LBB562_13:                             ; =>This Inner Loop Header: Depth=1
	v_sub_co_u32 v12, vcc_lo, v7, v5
	v_sub_co_ci_u32_e64 v13, null, v8, v6, vcc_lo
	v_lshrrev_b64 v[14:15], 1, v[12:13]
	v_lshrrev_b64 v[12:13], 6, v[12:13]
	v_add_co_u32 v14, vcc_lo, v14, v5
	v_add_co_ci_u32_e64 v15, null, v15, v6, vcc_lo
	v_add_co_u32 v12, vcc_lo, v14, v12
	v_add_co_ci_u32_e64 v13, null, v15, v13, vcc_lo
	v_lshlrev_b64 v[14:15], 1, v[12:13]
	v_add_co_u32 v14, vcc_lo, s16, v14
	v_add_co_ci_u32_e64 v15, null, s17, v15, vcc_lo
	global_load_ushort v14, v[14:15], off
	v_add_co_u32 v15, vcc_lo, v12, 1
	v_add_co_ci_u32_e64 v16, null, 0, v13, vcc_lo
	s_waitcnt vmcnt(0) lgkmcnt(1)
	v_cmp_lt_u16_e32 vcc_lo, v9, v14
	v_cndmask_b32_e32 v8, v8, v13, vcc_lo
	v_cndmask_b32_e32 v7, v7, v12, vcc_lo
	;; [unrolled: 1-line block ×4, first 2 shown]
	v_cmp_ge_u64_e32 vcc_lo, v[5:6], v[7:8]
	s_or_b32 s0, vcc_lo, s0
	s_andn2_b32 exec_lo, exec_lo, s0
	s_cbranch_execnz .LBB562_13
; %bb.14:
	s_inst_prefetch 0x2
	s_or_b32 exec_lo, exec_lo, s0
.LBB562_15:
	v_cmp_ne_u32_e32 vcc_lo, 1, v10
	s_waitcnt vmcnt(2) lgkmcnt(2)
	v_mov_b32_e32 v7, 0
	v_mov_b32_e32 v8, 0
	s_cbranch_vccnz .LBB562_19
; %bb.16:
	s_waitcnt vmcnt(1) lgkmcnt(1)
	v_mov_b32_e32 v9, s18
	v_mov_b32_e32 v10, s19
	s_mov_b32 s0, 0
	s_inst_prefetch 0x1
	.p2align	6
.LBB562_17:                             ; =>This Inner Loop Header: Depth=1
	v_sub_co_u32 v12, vcc_lo, v9, v7
	v_sub_co_ci_u32_e64 v13, null, v10, v8, vcc_lo
	v_lshrrev_b64 v[14:15], 1, v[12:13]
	v_lshrrev_b64 v[12:13], 6, v[12:13]
	v_add_co_u32 v14, vcc_lo, v14, v7
	v_add_co_ci_u32_e64 v15, null, v15, v8, vcc_lo
	v_add_co_u32 v12, vcc_lo, v14, v12
	v_add_co_ci_u32_e64 v13, null, v15, v13, vcc_lo
	v_lshlrev_b64 v[14:15], 1, v[12:13]
	v_add_co_u32 v14, vcc_lo, s16, v14
	v_add_co_ci_u32_e64 v15, null, s17, v15, vcc_lo
	global_load_ushort v14, v[14:15], off
	v_add_co_u32 v15, vcc_lo, v12, 1
	v_add_co_ci_u32_e64 v16, null, 0, v13, vcc_lo
	s_waitcnt vmcnt(0) lgkmcnt(0)
	v_cmp_lt_u16_e32 vcc_lo, v11, v14
	v_cndmask_b32_e32 v10, v10, v13, vcc_lo
	v_cndmask_b32_e32 v9, v9, v12, vcc_lo
	;; [unrolled: 1-line block ×4, first 2 shown]
	v_cmp_ge_u64_e32 vcc_lo, v[7:8], v[9:10]
	s_or_b32 s0, vcc_lo, s0
	s_andn2_b32 exec_lo, exec_lo, s0
	s_cbranch_execnz .LBB562_17
; %bb.18:
	s_inst_prefetch 0x2
	s_or_b32 exec_lo, exec_lo, s0
.LBB562_19:
	s_waitcnt vmcnt(1) lgkmcnt(1)
	v_lshlrev_b32_e32 v9, 3, v0
	s_lshl_b64 s[0:1], s[4:5], 3
	s_mov_b32 s6, -1
	s_add_u32 s0, s3, s0
	s_addc_u32 s1, s7, s1
	s_waitcnt vmcnt(0) lgkmcnt(0)
	v_add_co_u32 v11, s0, s0, v9
	v_add_co_ci_u32_e64 v12, null, s1, 0, s0
	v_add_co_u32 v9, vcc_lo, 0x800, v11
	v_add_co_ci_u32_e64 v10, null, 0, v12, vcc_lo
	flat_store_dwordx2 v[11:12], v[1:2]
	flat_store_dwordx2 v[11:12], v[3:4] offset:1024
	flat_store_dwordx2 v[9:10], v[5:6]
	s_branch .LBB562_53
.LBB562_20:
	v_mov_b32_e32 v1, 0
	s_sub_i32 s6, s12, s4
	v_cmp_gt_u32_e64 s0, s6, v0
	v_mov_b32_e32 v2, v1
	s_and_saveexec_b32 s1, s0
	s_cbranch_execz .LBB562_22
; %bb.21:
	v_lshlrev_b32_e32 v2, 1, v0
	v_mov_b32_e32 v4, v1
	v_mov_b32_e32 v5, v1
	v_add_co_u32 v2, s2, s8, v2
	v_add_co_ci_u32_e64 v3, null, s9, 0, s2
	flat_load_short_d16 v4, v[2:3]
	s_waitcnt vmcnt(0) lgkmcnt(0)
	v_mov_b32_e32 v1, v4
	v_mov_b32_e32 v2, v5
.LBB562_22:
	s_or_b32 exec_lo, exec_lo, s1
	v_or_b32_e32 v3, 0x80, v0
	v_cmp_gt_u32_e64 s1, s6, v3
	s_and_saveexec_b32 s2, s1
	s_cbranch_execz .LBB562_24
; %bb.23:
	v_lshlrev_b32_e32 v3, 1, v0
	v_add_co_u32 v3, s10, s8, v3
	v_add_co_ci_u32_e64 v4, null, s9, 0, s10
	flat_load_short_d16_hi v1, v[3:4] offset:256
.LBB562_24:
	s_or_b32 exec_lo, exec_lo, s2
	v_or_b32_e32 v3, 0x100, v0
	v_cmp_gt_u32_e64 s2, s6, v3
	s_and_saveexec_b32 s10, s2
	s_cbranch_execz .LBB562_26
; %bb.25:
	v_lshlrev_b32_e32 v3, 1, v0
	v_add_co_u32 v3, s11, s8, v3
	v_add_co_ci_u32_e64 v4, null, s9, 0, s11
	flat_load_short_d16 v2, v[3:4] offset:512
.LBB562_26:
	s_or_b32 exec_lo, exec_lo, s10
	v_or_b32_e32 v3, 0x180, v0
	v_cmp_gt_u32_e64 s6, s6, v3
	s_and_saveexec_b32 s10, s6
	s_cbranch_execz .LBB562_28
; %bb.27:
	v_lshlrev_b32_e32 v3, 1, v0
	v_add_co_u32 v3, s8, s8, v3
	v_add_co_ci_u32_e64 v4, null, s9, 0, s8
	s_waitcnt vmcnt(0) lgkmcnt(0)
	flat_load_short_d16_hi v2, v[3:4] offset:768
.LBB562_28:
	s_or_b32 exec_lo, exec_lo, s10
	s_cmp_lg_u64 s[18:19], 0
                                        ; implicit-def: $vgpr3_vgpr4
	s_cselect_b32 s8, -1, 0
	s_and_saveexec_b32 s9, s0
	s_cbranch_execz .LBB562_33
; %bb.29:
	v_mov_b32_e32 v3, 0
	v_mov_b32_e32 v4, 0
	s_andn2_b32 vcc_lo, exec_lo, s8
	s_cbranch_vccnz .LBB562_33
; %bb.30:
	v_mov_b32_e32 v5, s18
	v_mov_b32_e32 v6, s19
	s_mov_b32 s10, 0
	s_inst_prefetch 0x1
	.p2align	6
.LBB562_31:                             ; =>This Inner Loop Header: Depth=1
	v_sub_co_u32 v7, vcc_lo, v5, v3
	v_sub_co_ci_u32_e64 v8, null, v6, v4, vcc_lo
	v_lshrrev_b64 v[9:10], 1, v[7:8]
	v_lshrrev_b64 v[7:8], 6, v[7:8]
	v_add_co_u32 v9, vcc_lo, v9, v3
	v_add_co_ci_u32_e64 v10, null, v10, v4, vcc_lo
	v_add_co_u32 v7, vcc_lo, v9, v7
	v_add_co_ci_u32_e64 v8, null, v10, v8, vcc_lo
	v_lshlrev_b64 v[9:10], 1, v[7:8]
	v_add_co_u32 v9, vcc_lo, s16, v9
	v_add_co_ci_u32_e64 v10, null, s17, v10, vcc_lo
	global_load_ushort v9, v[9:10], off
	v_add_co_u32 v10, vcc_lo, v7, 1
	v_add_co_ci_u32_e64 v11, null, 0, v8, vcc_lo
	s_waitcnt vmcnt(0) lgkmcnt(0)
	v_cmp_lt_u16_e32 vcc_lo, v1, v9
	v_cndmask_b32_e32 v6, v6, v8, vcc_lo
	v_cndmask_b32_e32 v5, v5, v7, vcc_lo
	;; [unrolled: 1-line block ×4, first 2 shown]
	v_cmp_ge_u64_e32 vcc_lo, v[3:4], v[5:6]
	s_or_b32 s10, vcc_lo, s10
	s_andn2_b32 exec_lo, exec_lo, s10
	s_cbranch_execnz .LBB562_31
; %bb.32:
	s_inst_prefetch 0x2
	s_or_b32 exec_lo, exec_lo, s10
.LBB562_33:
	s_or_b32 exec_lo, exec_lo, s9
                                        ; implicit-def: $vgpr5_vgpr6
	s_and_saveexec_b32 s9, s1
	s_cbranch_execz .LBB562_38
; %bb.34:
	v_mov_b32_e32 v5, 0
	v_mov_b32_e32 v6, 0
	s_andn2_b32 vcc_lo, exec_lo, s8
	s_cbranch_vccnz .LBB562_38
; %bb.35:
	v_mov_b32_e32 v7, s18
	v_mov_b32_e32 v8, s19
	s_mov_b32 s10, 0
	s_inst_prefetch 0x1
	.p2align	6
.LBB562_36:                             ; =>This Inner Loop Header: Depth=1
	v_sub_co_u32 v9, vcc_lo, v7, v5
	v_sub_co_ci_u32_e64 v10, null, v8, v6, vcc_lo
	v_lshrrev_b64 v[11:12], 1, v[9:10]
	v_lshrrev_b64 v[9:10], 6, v[9:10]
	v_add_co_u32 v11, vcc_lo, v11, v5
	v_add_co_ci_u32_e64 v12, null, v12, v6, vcc_lo
	v_add_co_u32 v9, vcc_lo, v11, v9
	v_add_co_ci_u32_e64 v10, null, v12, v10, vcc_lo
	v_lshlrev_b64 v[11:12], 1, v[9:10]
	v_add_co_u32 v11, vcc_lo, s16, v11
	v_add_co_ci_u32_e64 v12, null, s17, v12, vcc_lo
	global_load_ushort v11, v[11:12], off
	v_add_co_u32 v12, vcc_lo, v9, 1
	v_add_co_ci_u32_e64 v13, null, 0, v10, vcc_lo
	s_waitcnt vmcnt(0) lgkmcnt(0)
	v_cmp_lt_u16_sdwa vcc_lo, v1, v11 src0_sel:WORD_1 src1_sel:DWORD
	v_cndmask_b32_e32 v8, v8, v10, vcc_lo
	v_cndmask_b32_e32 v7, v7, v9, vcc_lo
	;; [unrolled: 1-line block ×4, first 2 shown]
	v_cmp_ge_u64_e32 vcc_lo, v[5:6], v[7:8]
	s_or_b32 s10, vcc_lo, s10
	s_andn2_b32 exec_lo, exec_lo, s10
	s_cbranch_execnz .LBB562_36
; %bb.37:
	s_inst_prefetch 0x2
	s_or_b32 exec_lo, exec_lo, s10
.LBB562_38:
	s_or_b32 exec_lo, exec_lo, s9
                                        ; implicit-def: $vgpr9_vgpr10
	s_and_saveexec_b32 s9, s2
	s_cbranch_execz .LBB562_43
; %bb.39:
	v_mov_b32_e32 v9, 0
	v_mov_b32_e32 v10, 0
	s_andn2_b32 vcc_lo, exec_lo, s8
	s_cbranch_vccnz .LBB562_43
; %bb.40:
	v_mov_b32_e32 v7, s18
	v_mov_b32_e32 v8, s19
	s_mov_b32 s10, 0
	s_inst_prefetch 0x1
	.p2align	6
.LBB562_41:                             ; =>This Inner Loop Header: Depth=1
	v_sub_co_u32 v11, vcc_lo, v7, v9
	v_sub_co_ci_u32_e64 v12, null, v8, v10, vcc_lo
	v_lshrrev_b64 v[13:14], 1, v[11:12]
	v_lshrrev_b64 v[11:12], 6, v[11:12]
	s_waitcnt vmcnt(0) lgkmcnt(0)
	v_add_co_u32 v1, vcc_lo, v13, v9
	v_add_co_ci_u32_e64 v13, null, v14, v10, vcc_lo
	v_add_co_u32 v11, vcc_lo, v1, v11
	v_add_co_ci_u32_e64 v12, null, v13, v12, vcc_lo
	v_lshlrev_b64 v[13:14], 1, v[11:12]
	v_add_co_u32 v13, vcc_lo, s16, v13
	v_add_co_ci_u32_e64 v14, null, s17, v14, vcc_lo
	global_load_ushort v1, v[13:14], off
	v_add_co_u32 v13, vcc_lo, v11, 1
	v_add_co_ci_u32_e64 v14, null, 0, v12, vcc_lo
	s_waitcnt vmcnt(0)
	v_cmp_lt_u16_e32 vcc_lo, v2, v1
	v_cndmask_b32_e32 v8, v8, v12, vcc_lo
	v_cndmask_b32_e32 v7, v7, v11, vcc_lo
	;; [unrolled: 1-line block ×4, first 2 shown]
	v_cmp_ge_u64_e32 vcc_lo, v[9:10], v[7:8]
	s_or_b32 s10, vcc_lo, s10
	s_andn2_b32 exec_lo, exec_lo, s10
	s_cbranch_execnz .LBB562_41
; %bb.42:
	s_inst_prefetch 0x2
	s_or_b32 exec_lo, exec_lo, s10
.LBB562_43:
	s_or_b32 exec_lo, exec_lo, s9
                                        ; implicit-def: $vgpr7_vgpr8
	s_and_saveexec_b32 s9, s6
	s_cbranch_execz .LBB562_48
; %bb.44:
	v_mov_b32_e32 v7, 0
	v_mov_b32_e32 v8, 0
	s_andn2_b32 vcc_lo, exec_lo, s8
	s_cbranch_vccnz .LBB562_48
; %bb.45:
	v_mov_b32_e32 v11, s18
	v_mov_b32_e32 v12, s19
	s_mov_b32 s8, 0
	s_inst_prefetch 0x1
	.p2align	6
.LBB562_46:                             ; =>This Inner Loop Header: Depth=1
	v_sub_co_u32 v13, vcc_lo, v11, v7
	v_sub_co_ci_u32_e64 v14, null, v12, v8, vcc_lo
	v_lshrrev_b64 v[15:16], 1, v[13:14]
	v_lshrrev_b64 v[13:14], 6, v[13:14]
	s_waitcnt vmcnt(0) lgkmcnt(0)
	v_add_co_u32 v1, vcc_lo, v15, v7
	v_add_co_ci_u32_e64 v15, null, v16, v8, vcc_lo
	v_add_co_u32 v13, vcc_lo, v1, v13
	v_add_co_ci_u32_e64 v14, null, v15, v14, vcc_lo
	v_lshlrev_b64 v[15:16], 1, v[13:14]
	v_add_co_u32 v15, vcc_lo, s16, v15
	v_add_co_ci_u32_e64 v16, null, s17, v16, vcc_lo
	global_load_ushort v1, v[15:16], off
	v_add_co_u32 v15, vcc_lo, v13, 1
	v_add_co_ci_u32_e64 v16, null, 0, v14, vcc_lo
	s_waitcnt vmcnt(0)
	v_cmp_lt_u16_sdwa vcc_lo, v2, v1 src0_sel:WORD_1 src1_sel:DWORD
	v_cndmask_b32_e32 v12, v12, v14, vcc_lo
	v_cndmask_b32_e32 v11, v11, v13, vcc_lo
	;; [unrolled: 1-line block ×4, first 2 shown]
	v_cmp_ge_u64_e32 vcc_lo, v[7:8], v[11:12]
	s_or_b32 s8, vcc_lo, s8
	s_andn2_b32 exec_lo, exec_lo, s8
	s_cbranch_execnz .LBB562_46
; %bb.47:
	s_inst_prefetch 0x2
	s_or_b32 exec_lo, exec_lo, s8
.LBB562_48:
	s_or_b32 exec_lo, exec_lo, s9
	v_lshlrev_b32_e32 v0, 3, v0
	s_lshl_b64 s[4:5], s[4:5], 3
	s_add_u32 s3, s3, s4
	s_addc_u32 s4, s7, s5
	v_add_co_u32 v11, s3, s3, v0
	v_add_co_ci_u32_e64 v12, null, s4, 0, s3
	s_and_saveexec_b32 s3, s0
	s_xor_b32 s0, exec_lo, s3
	s_cbranch_execnz .LBB562_56
; %bb.49:
	s_or_b32 exec_lo, exec_lo, s0
	s_and_saveexec_b32 s0, s1
	s_cbranch_execnz .LBB562_57
.LBB562_50:
	s_or_b32 exec_lo, exec_lo, s0
	s_and_saveexec_b32 s0, s2
	s_cbranch_execz .LBB562_52
.LBB562_51:
	v_add_co_u32 v0, vcc_lo, 0x800, v11
	s_waitcnt vmcnt(0) lgkmcnt(0)
	v_add_co_ci_u32_e64 v1, null, 0, v12, vcc_lo
	flat_store_dwordx2 v[0:1], v[9:10]
.LBB562_52:
	s_or_b32 exec_lo, exec_lo, s0
.LBB562_53:
	s_and_saveexec_b32 s0, s6
	s_cbranch_execnz .LBB562_55
; %bb.54:
	s_endpgm
.LBB562_55:
	v_add_co_u32 v0, vcc_lo, 0x800, v11
	s_waitcnt vmcnt(0) lgkmcnt(0)
	v_add_co_ci_u32_e64 v1, null, 0, v12, vcc_lo
	flat_store_dwordx2 v[0:1], v[7:8] offset:1024
	s_endpgm
.LBB562_56:
	flat_store_dwordx2 v[11:12], v[3:4]
	s_or_b32 exec_lo, exec_lo, s0
	s_and_saveexec_b32 s0, s1
	s_cbranch_execz .LBB562_50
.LBB562_57:
	flat_store_dwordx2 v[11:12], v[5:6] offset:1024
	s_or_b32 exec_lo, exec_lo, s0
	s_and_saveexec_b32 s0, s2
	s_cbranch_execnz .LBB562_51
	s_branch .LBB562_52
	.section	.rodata,"a",@progbits
	.p2align	6, 0x0
	.amdhsa_kernel _ZN7rocprim17ROCPRIM_400000_NS6detail17trampoline_kernelINS0_14default_configENS1_27upper_bound_config_selectorItlEEZNS1_14transform_implILb0ES3_S5_N6thrust23THRUST_200600_302600_NS6detail15normal_iteratorINS8_7pointerItNS8_11hip_rocprim5par_tENS8_11use_defaultESE_EEEENSA_INSB_IlSD_SE_SE_EEEEZNS1_13binary_searchIS3_S5_NSA_INS8_10device_ptrItEEEESG_SI_NS1_21upper_bound_search_opENS9_16wrapped_functionINS8_6system6detail7generic6detail18binary_search_lessEbEEEE10hipError_tPvRmT1_T2_T3_mmT4_T5_P12ihipStream_tbEUlRKtE_EESV_SZ_S10_mS11_S14_bEUlT_E_NS1_11comp_targetILNS1_3genE8ELNS1_11target_archE1030ELNS1_3gpuE2ELNS1_3repE0EEENS1_30default_config_static_selectorELNS0_4arch9wavefront6targetE0EEEvSY_
		.amdhsa_group_segment_fixed_size 0
		.amdhsa_private_segment_fixed_size 0
		.amdhsa_kernarg_size 312
		.amdhsa_user_sgpr_count 6
		.amdhsa_user_sgpr_private_segment_buffer 1
		.amdhsa_user_sgpr_dispatch_ptr 0
		.amdhsa_user_sgpr_queue_ptr 0
		.amdhsa_user_sgpr_kernarg_segment_ptr 1
		.amdhsa_user_sgpr_dispatch_id 0
		.amdhsa_user_sgpr_flat_scratch_init 0
		.amdhsa_user_sgpr_private_segment_size 0
		.amdhsa_wavefront_size32 1
		.amdhsa_uses_dynamic_stack 0
		.amdhsa_system_sgpr_private_segment_wavefront_offset 0
		.amdhsa_system_sgpr_workgroup_id_x 1
		.amdhsa_system_sgpr_workgroup_id_y 0
		.amdhsa_system_sgpr_workgroup_id_z 0
		.amdhsa_system_sgpr_workgroup_info 0
		.amdhsa_system_vgpr_workitem_id 0
		.amdhsa_next_free_vgpr 17
		.amdhsa_next_free_sgpr 20
		.amdhsa_reserve_vcc 1
		.amdhsa_reserve_flat_scratch 1
		.amdhsa_float_round_mode_32 0
		.amdhsa_float_round_mode_16_64 0
		.amdhsa_float_denorm_mode_32 3
		.amdhsa_float_denorm_mode_16_64 3
		.amdhsa_dx10_clamp 1
		.amdhsa_ieee_mode 1
		.amdhsa_fp16_overflow 0
		.amdhsa_workgroup_processor_mode 1
		.amdhsa_memory_ordered 1
		.amdhsa_forward_progress 1
		.amdhsa_shared_vgpr_count 0
		.amdhsa_exception_fp_ieee_invalid_op 0
		.amdhsa_exception_fp_denorm_src 0
		.amdhsa_exception_fp_ieee_div_zero 0
		.amdhsa_exception_fp_ieee_overflow 0
		.amdhsa_exception_fp_ieee_underflow 0
		.amdhsa_exception_fp_ieee_inexact 0
		.amdhsa_exception_int_div_zero 0
	.end_amdhsa_kernel
	.section	.text._ZN7rocprim17ROCPRIM_400000_NS6detail17trampoline_kernelINS0_14default_configENS1_27upper_bound_config_selectorItlEEZNS1_14transform_implILb0ES3_S5_N6thrust23THRUST_200600_302600_NS6detail15normal_iteratorINS8_7pointerItNS8_11hip_rocprim5par_tENS8_11use_defaultESE_EEEENSA_INSB_IlSD_SE_SE_EEEEZNS1_13binary_searchIS3_S5_NSA_INS8_10device_ptrItEEEESG_SI_NS1_21upper_bound_search_opENS9_16wrapped_functionINS8_6system6detail7generic6detail18binary_search_lessEbEEEE10hipError_tPvRmT1_T2_T3_mmT4_T5_P12ihipStream_tbEUlRKtE_EESV_SZ_S10_mS11_S14_bEUlT_E_NS1_11comp_targetILNS1_3genE8ELNS1_11target_archE1030ELNS1_3gpuE2ELNS1_3repE0EEENS1_30default_config_static_selectorELNS0_4arch9wavefront6targetE0EEEvSY_,"axG",@progbits,_ZN7rocprim17ROCPRIM_400000_NS6detail17trampoline_kernelINS0_14default_configENS1_27upper_bound_config_selectorItlEEZNS1_14transform_implILb0ES3_S5_N6thrust23THRUST_200600_302600_NS6detail15normal_iteratorINS8_7pointerItNS8_11hip_rocprim5par_tENS8_11use_defaultESE_EEEENSA_INSB_IlSD_SE_SE_EEEEZNS1_13binary_searchIS3_S5_NSA_INS8_10device_ptrItEEEESG_SI_NS1_21upper_bound_search_opENS9_16wrapped_functionINS8_6system6detail7generic6detail18binary_search_lessEbEEEE10hipError_tPvRmT1_T2_T3_mmT4_T5_P12ihipStream_tbEUlRKtE_EESV_SZ_S10_mS11_S14_bEUlT_E_NS1_11comp_targetILNS1_3genE8ELNS1_11target_archE1030ELNS1_3gpuE2ELNS1_3repE0EEENS1_30default_config_static_selectorELNS0_4arch9wavefront6targetE0EEEvSY_,comdat
.Lfunc_end562:
	.size	_ZN7rocprim17ROCPRIM_400000_NS6detail17trampoline_kernelINS0_14default_configENS1_27upper_bound_config_selectorItlEEZNS1_14transform_implILb0ES3_S5_N6thrust23THRUST_200600_302600_NS6detail15normal_iteratorINS8_7pointerItNS8_11hip_rocprim5par_tENS8_11use_defaultESE_EEEENSA_INSB_IlSD_SE_SE_EEEEZNS1_13binary_searchIS3_S5_NSA_INS8_10device_ptrItEEEESG_SI_NS1_21upper_bound_search_opENS9_16wrapped_functionINS8_6system6detail7generic6detail18binary_search_lessEbEEEE10hipError_tPvRmT1_T2_T3_mmT4_T5_P12ihipStream_tbEUlRKtE_EESV_SZ_S10_mS11_S14_bEUlT_E_NS1_11comp_targetILNS1_3genE8ELNS1_11target_archE1030ELNS1_3gpuE2ELNS1_3repE0EEENS1_30default_config_static_selectorELNS0_4arch9wavefront6targetE0EEEvSY_, .Lfunc_end562-_ZN7rocprim17ROCPRIM_400000_NS6detail17trampoline_kernelINS0_14default_configENS1_27upper_bound_config_selectorItlEEZNS1_14transform_implILb0ES3_S5_N6thrust23THRUST_200600_302600_NS6detail15normal_iteratorINS8_7pointerItNS8_11hip_rocprim5par_tENS8_11use_defaultESE_EEEENSA_INSB_IlSD_SE_SE_EEEEZNS1_13binary_searchIS3_S5_NSA_INS8_10device_ptrItEEEESG_SI_NS1_21upper_bound_search_opENS9_16wrapped_functionINS8_6system6detail7generic6detail18binary_search_lessEbEEEE10hipError_tPvRmT1_T2_T3_mmT4_T5_P12ihipStream_tbEUlRKtE_EESV_SZ_S10_mS11_S14_bEUlT_E_NS1_11comp_targetILNS1_3genE8ELNS1_11target_archE1030ELNS1_3gpuE2ELNS1_3repE0EEENS1_30default_config_static_selectorELNS0_4arch9wavefront6targetE0EEEvSY_
                                        ; -- End function
	.set _ZN7rocprim17ROCPRIM_400000_NS6detail17trampoline_kernelINS0_14default_configENS1_27upper_bound_config_selectorItlEEZNS1_14transform_implILb0ES3_S5_N6thrust23THRUST_200600_302600_NS6detail15normal_iteratorINS8_7pointerItNS8_11hip_rocprim5par_tENS8_11use_defaultESE_EEEENSA_INSB_IlSD_SE_SE_EEEEZNS1_13binary_searchIS3_S5_NSA_INS8_10device_ptrItEEEESG_SI_NS1_21upper_bound_search_opENS9_16wrapped_functionINS8_6system6detail7generic6detail18binary_search_lessEbEEEE10hipError_tPvRmT1_T2_T3_mmT4_T5_P12ihipStream_tbEUlRKtE_EESV_SZ_S10_mS11_S14_bEUlT_E_NS1_11comp_targetILNS1_3genE8ELNS1_11target_archE1030ELNS1_3gpuE2ELNS1_3repE0EEENS1_30default_config_static_selectorELNS0_4arch9wavefront6targetE0EEEvSY_.num_vgpr, 17
	.set _ZN7rocprim17ROCPRIM_400000_NS6detail17trampoline_kernelINS0_14default_configENS1_27upper_bound_config_selectorItlEEZNS1_14transform_implILb0ES3_S5_N6thrust23THRUST_200600_302600_NS6detail15normal_iteratorINS8_7pointerItNS8_11hip_rocprim5par_tENS8_11use_defaultESE_EEEENSA_INSB_IlSD_SE_SE_EEEEZNS1_13binary_searchIS3_S5_NSA_INS8_10device_ptrItEEEESG_SI_NS1_21upper_bound_search_opENS9_16wrapped_functionINS8_6system6detail7generic6detail18binary_search_lessEbEEEE10hipError_tPvRmT1_T2_T3_mmT4_T5_P12ihipStream_tbEUlRKtE_EESV_SZ_S10_mS11_S14_bEUlT_E_NS1_11comp_targetILNS1_3genE8ELNS1_11target_archE1030ELNS1_3gpuE2ELNS1_3repE0EEENS1_30default_config_static_selectorELNS0_4arch9wavefront6targetE0EEEvSY_.num_agpr, 0
	.set _ZN7rocprim17ROCPRIM_400000_NS6detail17trampoline_kernelINS0_14default_configENS1_27upper_bound_config_selectorItlEEZNS1_14transform_implILb0ES3_S5_N6thrust23THRUST_200600_302600_NS6detail15normal_iteratorINS8_7pointerItNS8_11hip_rocprim5par_tENS8_11use_defaultESE_EEEENSA_INSB_IlSD_SE_SE_EEEEZNS1_13binary_searchIS3_S5_NSA_INS8_10device_ptrItEEEESG_SI_NS1_21upper_bound_search_opENS9_16wrapped_functionINS8_6system6detail7generic6detail18binary_search_lessEbEEEE10hipError_tPvRmT1_T2_T3_mmT4_T5_P12ihipStream_tbEUlRKtE_EESV_SZ_S10_mS11_S14_bEUlT_E_NS1_11comp_targetILNS1_3genE8ELNS1_11target_archE1030ELNS1_3gpuE2ELNS1_3repE0EEENS1_30default_config_static_selectorELNS0_4arch9wavefront6targetE0EEEvSY_.numbered_sgpr, 20
	.set _ZN7rocprim17ROCPRIM_400000_NS6detail17trampoline_kernelINS0_14default_configENS1_27upper_bound_config_selectorItlEEZNS1_14transform_implILb0ES3_S5_N6thrust23THRUST_200600_302600_NS6detail15normal_iteratorINS8_7pointerItNS8_11hip_rocprim5par_tENS8_11use_defaultESE_EEEENSA_INSB_IlSD_SE_SE_EEEEZNS1_13binary_searchIS3_S5_NSA_INS8_10device_ptrItEEEESG_SI_NS1_21upper_bound_search_opENS9_16wrapped_functionINS8_6system6detail7generic6detail18binary_search_lessEbEEEE10hipError_tPvRmT1_T2_T3_mmT4_T5_P12ihipStream_tbEUlRKtE_EESV_SZ_S10_mS11_S14_bEUlT_E_NS1_11comp_targetILNS1_3genE8ELNS1_11target_archE1030ELNS1_3gpuE2ELNS1_3repE0EEENS1_30default_config_static_selectorELNS0_4arch9wavefront6targetE0EEEvSY_.num_named_barrier, 0
	.set _ZN7rocprim17ROCPRIM_400000_NS6detail17trampoline_kernelINS0_14default_configENS1_27upper_bound_config_selectorItlEEZNS1_14transform_implILb0ES3_S5_N6thrust23THRUST_200600_302600_NS6detail15normal_iteratorINS8_7pointerItNS8_11hip_rocprim5par_tENS8_11use_defaultESE_EEEENSA_INSB_IlSD_SE_SE_EEEEZNS1_13binary_searchIS3_S5_NSA_INS8_10device_ptrItEEEESG_SI_NS1_21upper_bound_search_opENS9_16wrapped_functionINS8_6system6detail7generic6detail18binary_search_lessEbEEEE10hipError_tPvRmT1_T2_T3_mmT4_T5_P12ihipStream_tbEUlRKtE_EESV_SZ_S10_mS11_S14_bEUlT_E_NS1_11comp_targetILNS1_3genE8ELNS1_11target_archE1030ELNS1_3gpuE2ELNS1_3repE0EEENS1_30default_config_static_selectorELNS0_4arch9wavefront6targetE0EEEvSY_.private_seg_size, 0
	.set _ZN7rocprim17ROCPRIM_400000_NS6detail17trampoline_kernelINS0_14default_configENS1_27upper_bound_config_selectorItlEEZNS1_14transform_implILb0ES3_S5_N6thrust23THRUST_200600_302600_NS6detail15normal_iteratorINS8_7pointerItNS8_11hip_rocprim5par_tENS8_11use_defaultESE_EEEENSA_INSB_IlSD_SE_SE_EEEEZNS1_13binary_searchIS3_S5_NSA_INS8_10device_ptrItEEEESG_SI_NS1_21upper_bound_search_opENS9_16wrapped_functionINS8_6system6detail7generic6detail18binary_search_lessEbEEEE10hipError_tPvRmT1_T2_T3_mmT4_T5_P12ihipStream_tbEUlRKtE_EESV_SZ_S10_mS11_S14_bEUlT_E_NS1_11comp_targetILNS1_3genE8ELNS1_11target_archE1030ELNS1_3gpuE2ELNS1_3repE0EEENS1_30default_config_static_selectorELNS0_4arch9wavefront6targetE0EEEvSY_.uses_vcc, 1
	.set _ZN7rocprim17ROCPRIM_400000_NS6detail17trampoline_kernelINS0_14default_configENS1_27upper_bound_config_selectorItlEEZNS1_14transform_implILb0ES3_S5_N6thrust23THRUST_200600_302600_NS6detail15normal_iteratorINS8_7pointerItNS8_11hip_rocprim5par_tENS8_11use_defaultESE_EEEENSA_INSB_IlSD_SE_SE_EEEEZNS1_13binary_searchIS3_S5_NSA_INS8_10device_ptrItEEEESG_SI_NS1_21upper_bound_search_opENS9_16wrapped_functionINS8_6system6detail7generic6detail18binary_search_lessEbEEEE10hipError_tPvRmT1_T2_T3_mmT4_T5_P12ihipStream_tbEUlRKtE_EESV_SZ_S10_mS11_S14_bEUlT_E_NS1_11comp_targetILNS1_3genE8ELNS1_11target_archE1030ELNS1_3gpuE2ELNS1_3repE0EEENS1_30default_config_static_selectorELNS0_4arch9wavefront6targetE0EEEvSY_.uses_flat_scratch, 1
	.set _ZN7rocprim17ROCPRIM_400000_NS6detail17trampoline_kernelINS0_14default_configENS1_27upper_bound_config_selectorItlEEZNS1_14transform_implILb0ES3_S5_N6thrust23THRUST_200600_302600_NS6detail15normal_iteratorINS8_7pointerItNS8_11hip_rocprim5par_tENS8_11use_defaultESE_EEEENSA_INSB_IlSD_SE_SE_EEEEZNS1_13binary_searchIS3_S5_NSA_INS8_10device_ptrItEEEESG_SI_NS1_21upper_bound_search_opENS9_16wrapped_functionINS8_6system6detail7generic6detail18binary_search_lessEbEEEE10hipError_tPvRmT1_T2_T3_mmT4_T5_P12ihipStream_tbEUlRKtE_EESV_SZ_S10_mS11_S14_bEUlT_E_NS1_11comp_targetILNS1_3genE8ELNS1_11target_archE1030ELNS1_3gpuE2ELNS1_3repE0EEENS1_30default_config_static_selectorELNS0_4arch9wavefront6targetE0EEEvSY_.has_dyn_sized_stack, 0
	.set _ZN7rocprim17ROCPRIM_400000_NS6detail17trampoline_kernelINS0_14default_configENS1_27upper_bound_config_selectorItlEEZNS1_14transform_implILb0ES3_S5_N6thrust23THRUST_200600_302600_NS6detail15normal_iteratorINS8_7pointerItNS8_11hip_rocprim5par_tENS8_11use_defaultESE_EEEENSA_INSB_IlSD_SE_SE_EEEEZNS1_13binary_searchIS3_S5_NSA_INS8_10device_ptrItEEEESG_SI_NS1_21upper_bound_search_opENS9_16wrapped_functionINS8_6system6detail7generic6detail18binary_search_lessEbEEEE10hipError_tPvRmT1_T2_T3_mmT4_T5_P12ihipStream_tbEUlRKtE_EESV_SZ_S10_mS11_S14_bEUlT_E_NS1_11comp_targetILNS1_3genE8ELNS1_11target_archE1030ELNS1_3gpuE2ELNS1_3repE0EEENS1_30default_config_static_selectorELNS0_4arch9wavefront6targetE0EEEvSY_.has_recursion, 0
	.set _ZN7rocprim17ROCPRIM_400000_NS6detail17trampoline_kernelINS0_14default_configENS1_27upper_bound_config_selectorItlEEZNS1_14transform_implILb0ES3_S5_N6thrust23THRUST_200600_302600_NS6detail15normal_iteratorINS8_7pointerItNS8_11hip_rocprim5par_tENS8_11use_defaultESE_EEEENSA_INSB_IlSD_SE_SE_EEEEZNS1_13binary_searchIS3_S5_NSA_INS8_10device_ptrItEEEESG_SI_NS1_21upper_bound_search_opENS9_16wrapped_functionINS8_6system6detail7generic6detail18binary_search_lessEbEEEE10hipError_tPvRmT1_T2_T3_mmT4_T5_P12ihipStream_tbEUlRKtE_EESV_SZ_S10_mS11_S14_bEUlT_E_NS1_11comp_targetILNS1_3genE8ELNS1_11target_archE1030ELNS1_3gpuE2ELNS1_3repE0EEENS1_30default_config_static_selectorELNS0_4arch9wavefront6targetE0EEEvSY_.has_indirect_call, 0
	.section	.AMDGPU.csdata,"",@progbits
; Kernel info:
; codeLenInByte = 2672
; TotalNumSgprs: 22
; NumVgprs: 17
; ScratchSize: 0
; MemoryBound: 0
; FloatMode: 240
; IeeeMode: 1
; LDSByteSize: 0 bytes/workgroup (compile time only)
; SGPRBlocks: 0
; VGPRBlocks: 2
; NumSGPRsForWavesPerEU: 22
; NumVGPRsForWavesPerEU: 17
; Occupancy: 16
; WaveLimiterHint : 1
; COMPUTE_PGM_RSRC2:SCRATCH_EN: 0
; COMPUTE_PGM_RSRC2:USER_SGPR: 6
; COMPUTE_PGM_RSRC2:TRAP_HANDLER: 0
; COMPUTE_PGM_RSRC2:TGID_X_EN: 1
; COMPUTE_PGM_RSRC2:TGID_Y_EN: 0
; COMPUTE_PGM_RSRC2:TGID_Z_EN: 0
; COMPUTE_PGM_RSRC2:TIDIG_COMP_CNT: 0
	.section	.text._ZN7rocprim17ROCPRIM_400000_NS6detail17trampoline_kernelINS0_14default_configENS1_27upper_bound_config_selectorIxlEEZNS1_14transform_implILb0ES3_S5_N6thrust23THRUST_200600_302600_NS6detail15normal_iteratorINS8_7pointerIxNS8_11hip_rocprim5par_tENS8_11use_defaultESE_EEEENSA_INSB_IlSD_SE_SE_EEEEZNS1_13binary_searchIS3_S5_NSA_INS8_10device_ptrIxEEEESG_SI_NS1_21upper_bound_search_opENS9_16wrapped_functionINS8_6system6detail7generic6detail18binary_search_lessEbEEEE10hipError_tPvRmT1_T2_T3_mmT4_T5_P12ihipStream_tbEUlRKxE_EESV_SZ_S10_mS11_S14_bEUlT_E_NS1_11comp_targetILNS1_3genE0ELNS1_11target_archE4294967295ELNS1_3gpuE0ELNS1_3repE0EEENS1_30default_config_static_selectorELNS0_4arch9wavefront6targetE0EEEvSY_,"axG",@progbits,_ZN7rocprim17ROCPRIM_400000_NS6detail17trampoline_kernelINS0_14default_configENS1_27upper_bound_config_selectorIxlEEZNS1_14transform_implILb0ES3_S5_N6thrust23THRUST_200600_302600_NS6detail15normal_iteratorINS8_7pointerIxNS8_11hip_rocprim5par_tENS8_11use_defaultESE_EEEENSA_INSB_IlSD_SE_SE_EEEEZNS1_13binary_searchIS3_S5_NSA_INS8_10device_ptrIxEEEESG_SI_NS1_21upper_bound_search_opENS9_16wrapped_functionINS8_6system6detail7generic6detail18binary_search_lessEbEEEE10hipError_tPvRmT1_T2_T3_mmT4_T5_P12ihipStream_tbEUlRKxE_EESV_SZ_S10_mS11_S14_bEUlT_E_NS1_11comp_targetILNS1_3genE0ELNS1_11target_archE4294967295ELNS1_3gpuE0ELNS1_3repE0EEENS1_30default_config_static_selectorELNS0_4arch9wavefront6targetE0EEEvSY_,comdat
	.protected	_ZN7rocprim17ROCPRIM_400000_NS6detail17trampoline_kernelINS0_14default_configENS1_27upper_bound_config_selectorIxlEEZNS1_14transform_implILb0ES3_S5_N6thrust23THRUST_200600_302600_NS6detail15normal_iteratorINS8_7pointerIxNS8_11hip_rocprim5par_tENS8_11use_defaultESE_EEEENSA_INSB_IlSD_SE_SE_EEEEZNS1_13binary_searchIS3_S5_NSA_INS8_10device_ptrIxEEEESG_SI_NS1_21upper_bound_search_opENS9_16wrapped_functionINS8_6system6detail7generic6detail18binary_search_lessEbEEEE10hipError_tPvRmT1_T2_T3_mmT4_T5_P12ihipStream_tbEUlRKxE_EESV_SZ_S10_mS11_S14_bEUlT_E_NS1_11comp_targetILNS1_3genE0ELNS1_11target_archE4294967295ELNS1_3gpuE0ELNS1_3repE0EEENS1_30default_config_static_selectorELNS0_4arch9wavefront6targetE0EEEvSY_ ; -- Begin function _ZN7rocprim17ROCPRIM_400000_NS6detail17trampoline_kernelINS0_14default_configENS1_27upper_bound_config_selectorIxlEEZNS1_14transform_implILb0ES3_S5_N6thrust23THRUST_200600_302600_NS6detail15normal_iteratorINS8_7pointerIxNS8_11hip_rocprim5par_tENS8_11use_defaultESE_EEEENSA_INSB_IlSD_SE_SE_EEEEZNS1_13binary_searchIS3_S5_NSA_INS8_10device_ptrIxEEEESG_SI_NS1_21upper_bound_search_opENS9_16wrapped_functionINS8_6system6detail7generic6detail18binary_search_lessEbEEEE10hipError_tPvRmT1_T2_T3_mmT4_T5_P12ihipStream_tbEUlRKxE_EESV_SZ_S10_mS11_S14_bEUlT_E_NS1_11comp_targetILNS1_3genE0ELNS1_11target_archE4294967295ELNS1_3gpuE0ELNS1_3repE0EEENS1_30default_config_static_selectorELNS0_4arch9wavefront6targetE0EEEvSY_
	.globl	_ZN7rocprim17ROCPRIM_400000_NS6detail17trampoline_kernelINS0_14default_configENS1_27upper_bound_config_selectorIxlEEZNS1_14transform_implILb0ES3_S5_N6thrust23THRUST_200600_302600_NS6detail15normal_iteratorINS8_7pointerIxNS8_11hip_rocprim5par_tENS8_11use_defaultESE_EEEENSA_INSB_IlSD_SE_SE_EEEEZNS1_13binary_searchIS3_S5_NSA_INS8_10device_ptrIxEEEESG_SI_NS1_21upper_bound_search_opENS9_16wrapped_functionINS8_6system6detail7generic6detail18binary_search_lessEbEEEE10hipError_tPvRmT1_T2_T3_mmT4_T5_P12ihipStream_tbEUlRKxE_EESV_SZ_S10_mS11_S14_bEUlT_E_NS1_11comp_targetILNS1_3genE0ELNS1_11target_archE4294967295ELNS1_3gpuE0ELNS1_3repE0EEENS1_30default_config_static_selectorELNS0_4arch9wavefront6targetE0EEEvSY_
	.p2align	8
	.type	_ZN7rocprim17ROCPRIM_400000_NS6detail17trampoline_kernelINS0_14default_configENS1_27upper_bound_config_selectorIxlEEZNS1_14transform_implILb0ES3_S5_N6thrust23THRUST_200600_302600_NS6detail15normal_iteratorINS8_7pointerIxNS8_11hip_rocprim5par_tENS8_11use_defaultESE_EEEENSA_INSB_IlSD_SE_SE_EEEEZNS1_13binary_searchIS3_S5_NSA_INS8_10device_ptrIxEEEESG_SI_NS1_21upper_bound_search_opENS9_16wrapped_functionINS8_6system6detail7generic6detail18binary_search_lessEbEEEE10hipError_tPvRmT1_T2_T3_mmT4_T5_P12ihipStream_tbEUlRKxE_EESV_SZ_S10_mS11_S14_bEUlT_E_NS1_11comp_targetILNS1_3genE0ELNS1_11target_archE4294967295ELNS1_3gpuE0ELNS1_3repE0EEENS1_30default_config_static_selectorELNS0_4arch9wavefront6targetE0EEEvSY_,@function
_ZN7rocprim17ROCPRIM_400000_NS6detail17trampoline_kernelINS0_14default_configENS1_27upper_bound_config_selectorIxlEEZNS1_14transform_implILb0ES3_S5_N6thrust23THRUST_200600_302600_NS6detail15normal_iteratorINS8_7pointerIxNS8_11hip_rocprim5par_tENS8_11use_defaultESE_EEEENSA_INSB_IlSD_SE_SE_EEEEZNS1_13binary_searchIS3_S5_NSA_INS8_10device_ptrIxEEEESG_SI_NS1_21upper_bound_search_opENS9_16wrapped_functionINS8_6system6detail7generic6detail18binary_search_lessEbEEEE10hipError_tPvRmT1_T2_T3_mmT4_T5_P12ihipStream_tbEUlRKxE_EESV_SZ_S10_mS11_S14_bEUlT_E_NS1_11comp_targetILNS1_3genE0ELNS1_11target_archE4294967295ELNS1_3gpuE0ELNS1_3repE0EEENS1_30default_config_static_selectorELNS0_4arch9wavefront6targetE0EEEvSY_: ; @_ZN7rocprim17ROCPRIM_400000_NS6detail17trampoline_kernelINS0_14default_configENS1_27upper_bound_config_selectorIxlEEZNS1_14transform_implILb0ES3_S5_N6thrust23THRUST_200600_302600_NS6detail15normal_iteratorINS8_7pointerIxNS8_11hip_rocprim5par_tENS8_11use_defaultESE_EEEENSA_INSB_IlSD_SE_SE_EEEEZNS1_13binary_searchIS3_S5_NSA_INS8_10device_ptrIxEEEESG_SI_NS1_21upper_bound_search_opENS9_16wrapped_functionINS8_6system6detail7generic6detail18binary_search_lessEbEEEE10hipError_tPvRmT1_T2_T3_mmT4_T5_P12ihipStream_tbEUlRKxE_EESV_SZ_S10_mS11_S14_bEUlT_E_NS1_11comp_targetILNS1_3genE0ELNS1_11target_archE4294967295ELNS1_3gpuE0ELNS1_3repE0EEENS1_30default_config_static_selectorELNS0_4arch9wavefront6targetE0EEEvSY_
; %bb.0:
	.section	.rodata,"a",@progbits
	.p2align	6, 0x0
	.amdhsa_kernel _ZN7rocprim17ROCPRIM_400000_NS6detail17trampoline_kernelINS0_14default_configENS1_27upper_bound_config_selectorIxlEEZNS1_14transform_implILb0ES3_S5_N6thrust23THRUST_200600_302600_NS6detail15normal_iteratorINS8_7pointerIxNS8_11hip_rocprim5par_tENS8_11use_defaultESE_EEEENSA_INSB_IlSD_SE_SE_EEEEZNS1_13binary_searchIS3_S5_NSA_INS8_10device_ptrIxEEEESG_SI_NS1_21upper_bound_search_opENS9_16wrapped_functionINS8_6system6detail7generic6detail18binary_search_lessEbEEEE10hipError_tPvRmT1_T2_T3_mmT4_T5_P12ihipStream_tbEUlRKxE_EESV_SZ_S10_mS11_S14_bEUlT_E_NS1_11comp_targetILNS1_3genE0ELNS1_11target_archE4294967295ELNS1_3gpuE0ELNS1_3repE0EEENS1_30default_config_static_selectorELNS0_4arch9wavefront6targetE0EEEvSY_
		.amdhsa_group_segment_fixed_size 0
		.amdhsa_private_segment_fixed_size 0
		.amdhsa_kernarg_size 56
		.amdhsa_user_sgpr_count 6
		.amdhsa_user_sgpr_private_segment_buffer 1
		.amdhsa_user_sgpr_dispatch_ptr 0
		.amdhsa_user_sgpr_queue_ptr 0
		.amdhsa_user_sgpr_kernarg_segment_ptr 1
		.amdhsa_user_sgpr_dispatch_id 0
		.amdhsa_user_sgpr_flat_scratch_init 0
		.amdhsa_user_sgpr_private_segment_size 0
		.amdhsa_wavefront_size32 1
		.amdhsa_uses_dynamic_stack 0
		.amdhsa_system_sgpr_private_segment_wavefront_offset 0
		.amdhsa_system_sgpr_workgroup_id_x 1
		.amdhsa_system_sgpr_workgroup_id_y 0
		.amdhsa_system_sgpr_workgroup_id_z 0
		.amdhsa_system_sgpr_workgroup_info 0
		.amdhsa_system_vgpr_workitem_id 0
		.amdhsa_next_free_vgpr 1
		.amdhsa_next_free_sgpr 1
		.amdhsa_reserve_vcc 0
		.amdhsa_reserve_flat_scratch 0
		.amdhsa_float_round_mode_32 0
		.amdhsa_float_round_mode_16_64 0
		.amdhsa_float_denorm_mode_32 3
		.amdhsa_float_denorm_mode_16_64 3
		.amdhsa_dx10_clamp 1
		.amdhsa_ieee_mode 1
		.amdhsa_fp16_overflow 0
		.amdhsa_workgroup_processor_mode 1
		.amdhsa_memory_ordered 1
		.amdhsa_forward_progress 1
		.amdhsa_shared_vgpr_count 0
		.amdhsa_exception_fp_ieee_invalid_op 0
		.amdhsa_exception_fp_denorm_src 0
		.amdhsa_exception_fp_ieee_div_zero 0
		.amdhsa_exception_fp_ieee_overflow 0
		.amdhsa_exception_fp_ieee_underflow 0
		.amdhsa_exception_fp_ieee_inexact 0
		.amdhsa_exception_int_div_zero 0
	.end_amdhsa_kernel
	.section	.text._ZN7rocprim17ROCPRIM_400000_NS6detail17trampoline_kernelINS0_14default_configENS1_27upper_bound_config_selectorIxlEEZNS1_14transform_implILb0ES3_S5_N6thrust23THRUST_200600_302600_NS6detail15normal_iteratorINS8_7pointerIxNS8_11hip_rocprim5par_tENS8_11use_defaultESE_EEEENSA_INSB_IlSD_SE_SE_EEEEZNS1_13binary_searchIS3_S5_NSA_INS8_10device_ptrIxEEEESG_SI_NS1_21upper_bound_search_opENS9_16wrapped_functionINS8_6system6detail7generic6detail18binary_search_lessEbEEEE10hipError_tPvRmT1_T2_T3_mmT4_T5_P12ihipStream_tbEUlRKxE_EESV_SZ_S10_mS11_S14_bEUlT_E_NS1_11comp_targetILNS1_3genE0ELNS1_11target_archE4294967295ELNS1_3gpuE0ELNS1_3repE0EEENS1_30default_config_static_selectorELNS0_4arch9wavefront6targetE0EEEvSY_,"axG",@progbits,_ZN7rocprim17ROCPRIM_400000_NS6detail17trampoline_kernelINS0_14default_configENS1_27upper_bound_config_selectorIxlEEZNS1_14transform_implILb0ES3_S5_N6thrust23THRUST_200600_302600_NS6detail15normal_iteratorINS8_7pointerIxNS8_11hip_rocprim5par_tENS8_11use_defaultESE_EEEENSA_INSB_IlSD_SE_SE_EEEEZNS1_13binary_searchIS3_S5_NSA_INS8_10device_ptrIxEEEESG_SI_NS1_21upper_bound_search_opENS9_16wrapped_functionINS8_6system6detail7generic6detail18binary_search_lessEbEEEE10hipError_tPvRmT1_T2_T3_mmT4_T5_P12ihipStream_tbEUlRKxE_EESV_SZ_S10_mS11_S14_bEUlT_E_NS1_11comp_targetILNS1_3genE0ELNS1_11target_archE4294967295ELNS1_3gpuE0ELNS1_3repE0EEENS1_30default_config_static_selectorELNS0_4arch9wavefront6targetE0EEEvSY_,comdat
.Lfunc_end563:
	.size	_ZN7rocprim17ROCPRIM_400000_NS6detail17trampoline_kernelINS0_14default_configENS1_27upper_bound_config_selectorIxlEEZNS1_14transform_implILb0ES3_S5_N6thrust23THRUST_200600_302600_NS6detail15normal_iteratorINS8_7pointerIxNS8_11hip_rocprim5par_tENS8_11use_defaultESE_EEEENSA_INSB_IlSD_SE_SE_EEEEZNS1_13binary_searchIS3_S5_NSA_INS8_10device_ptrIxEEEESG_SI_NS1_21upper_bound_search_opENS9_16wrapped_functionINS8_6system6detail7generic6detail18binary_search_lessEbEEEE10hipError_tPvRmT1_T2_T3_mmT4_T5_P12ihipStream_tbEUlRKxE_EESV_SZ_S10_mS11_S14_bEUlT_E_NS1_11comp_targetILNS1_3genE0ELNS1_11target_archE4294967295ELNS1_3gpuE0ELNS1_3repE0EEENS1_30default_config_static_selectorELNS0_4arch9wavefront6targetE0EEEvSY_, .Lfunc_end563-_ZN7rocprim17ROCPRIM_400000_NS6detail17trampoline_kernelINS0_14default_configENS1_27upper_bound_config_selectorIxlEEZNS1_14transform_implILb0ES3_S5_N6thrust23THRUST_200600_302600_NS6detail15normal_iteratorINS8_7pointerIxNS8_11hip_rocprim5par_tENS8_11use_defaultESE_EEEENSA_INSB_IlSD_SE_SE_EEEEZNS1_13binary_searchIS3_S5_NSA_INS8_10device_ptrIxEEEESG_SI_NS1_21upper_bound_search_opENS9_16wrapped_functionINS8_6system6detail7generic6detail18binary_search_lessEbEEEE10hipError_tPvRmT1_T2_T3_mmT4_T5_P12ihipStream_tbEUlRKxE_EESV_SZ_S10_mS11_S14_bEUlT_E_NS1_11comp_targetILNS1_3genE0ELNS1_11target_archE4294967295ELNS1_3gpuE0ELNS1_3repE0EEENS1_30default_config_static_selectorELNS0_4arch9wavefront6targetE0EEEvSY_
                                        ; -- End function
	.set _ZN7rocprim17ROCPRIM_400000_NS6detail17trampoline_kernelINS0_14default_configENS1_27upper_bound_config_selectorIxlEEZNS1_14transform_implILb0ES3_S5_N6thrust23THRUST_200600_302600_NS6detail15normal_iteratorINS8_7pointerIxNS8_11hip_rocprim5par_tENS8_11use_defaultESE_EEEENSA_INSB_IlSD_SE_SE_EEEEZNS1_13binary_searchIS3_S5_NSA_INS8_10device_ptrIxEEEESG_SI_NS1_21upper_bound_search_opENS9_16wrapped_functionINS8_6system6detail7generic6detail18binary_search_lessEbEEEE10hipError_tPvRmT1_T2_T3_mmT4_T5_P12ihipStream_tbEUlRKxE_EESV_SZ_S10_mS11_S14_bEUlT_E_NS1_11comp_targetILNS1_3genE0ELNS1_11target_archE4294967295ELNS1_3gpuE0ELNS1_3repE0EEENS1_30default_config_static_selectorELNS0_4arch9wavefront6targetE0EEEvSY_.num_vgpr, 0
	.set _ZN7rocprim17ROCPRIM_400000_NS6detail17trampoline_kernelINS0_14default_configENS1_27upper_bound_config_selectorIxlEEZNS1_14transform_implILb0ES3_S5_N6thrust23THRUST_200600_302600_NS6detail15normal_iteratorINS8_7pointerIxNS8_11hip_rocprim5par_tENS8_11use_defaultESE_EEEENSA_INSB_IlSD_SE_SE_EEEEZNS1_13binary_searchIS3_S5_NSA_INS8_10device_ptrIxEEEESG_SI_NS1_21upper_bound_search_opENS9_16wrapped_functionINS8_6system6detail7generic6detail18binary_search_lessEbEEEE10hipError_tPvRmT1_T2_T3_mmT4_T5_P12ihipStream_tbEUlRKxE_EESV_SZ_S10_mS11_S14_bEUlT_E_NS1_11comp_targetILNS1_3genE0ELNS1_11target_archE4294967295ELNS1_3gpuE0ELNS1_3repE0EEENS1_30default_config_static_selectorELNS0_4arch9wavefront6targetE0EEEvSY_.num_agpr, 0
	.set _ZN7rocprim17ROCPRIM_400000_NS6detail17trampoline_kernelINS0_14default_configENS1_27upper_bound_config_selectorIxlEEZNS1_14transform_implILb0ES3_S5_N6thrust23THRUST_200600_302600_NS6detail15normal_iteratorINS8_7pointerIxNS8_11hip_rocprim5par_tENS8_11use_defaultESE_EEEENSA_INSB_IlSD_SE_SE_EEEEZNS1_13binary_searchIS3_S5_NSA_INS8_10device_ptrIxEEEESG_SI_NS1_21upper_bound_search_opENS9_16wrapped_functionINS8_6system6detail7generic6detail18binary_search_lessEbEEEE10hipError_tPvRmT1_T2_T3_mmT4_T5_P12ihipStream_tbEUlRKxE_EESV_SZ_S10_mS11_S14_bEUlT_E_NS1_11comp_targetILNS1_3genE0ELNS1_11target_archE4294967295ELNS1_3gpuE0ELNS1_3repE0EEENS1_30default_config_static_selectorELNS0_4arch9wavefront6targetE0EEEvSY_.numbered_sgpr, 0
	.set _ZN7rocprim17ROCPRIM_400000_NS6detail17trampoline_kernelINS0_14default_configENS1_27upper_bound_config_selectorIxlEEZNS1_14transform_implILb0ES3_S5_N6thrust23THRUST_200600_302600_NS6detail15normal_iteratorINS8_7pointerIxNS8_11hip_rocprim5par_tENS8_11use_defaultESE_EEEENSA_INSB_IlSD_SE_SE_EEEEZNS1_13binary_searchIS3_S5_NSA_INS8_10device_ptrIxEEEESG_SI_NS1_21upper_bound_search_opENS9_16wrapped_functionINS8_6system6detail7generic6detail18binary_search_lessEbEEEE10hipError_tPvRmT1_T2_T3_mmT4_T5_P12ihipStream_tbEUlRKxE_EESV_SZ_S10_mS11_S14_bEUlT_E_NS1_11comp_targetILNS1_3genE0ELNS1_11target_archE4294967295ELNS1_3gpuE0ELNS1_3repE0EEENS1_30default_config_static_selectorELNS0_4arch9wavefront6targetE0EEEvSY_.num_named_barrier, 0
	.set _ZN7rocprim17ROCPRIM_400000_NS6detail17trampoline_kernelINS0_14default_configENS1_27upper_bound_config_selectorIxlEEZNS1_14transform_implILb0ES3_S5_N6thrust23THRUST_200600_302600_NS6detail15normal_iteratorINS8_7pointerIxNS8_11hip_rocprim5par_tENS8_11use_defaultESE_EEEENSA_INSB_IlSD_SE_SE_EEEEZNS1_13binary_searchIS3_S5_NSA_INS8_10device_ptrIxEEEESG_SI_NS1_21upper_bound_search_opENS9_16wrapped_functionINS8_6system6detail7generic6detail18binary_search_lessEbEEEE10hipError_tPvRmT1_T2_T3_mmT4_T5_P12ihipStream_tbEUlRKxE_EESV_SZ_S10_mS11_S14_bEUlT_E_NS1_11comp_targetILNS1_3genE0ELNS1_11target_archE4294967295ELNS1_3gpuE0ELNS1_3repE0EEENS1_30default_config_static_selectorELNS0_4arch9wavefront6targetE0EEEvSY_.private_seg_size, 0
	.set _ZN7rocprim17ROCPRIM_400000_NS6detail17trampoline_kernelINS0_14default_configENS1_27upper_bound_config_selectorIxlEEZNS1_14transform_implILb0ES3_S5_N6thrust23THRUST_200600_302600_NS6detail15normal_iteratorINS8_7pointerIxNS8_11hip_rocprim5par_tENS8_11use_defaultESE_EEEENSA_INSB_IlSD_SE_SE_EEEEZNS1_13binary_searchIS3_S5_NSA_INS8_10device_ptrIxEEEESG_SI_NS1_21upper_bound_search_opENS9_16wrapped_functionINS8_6system6detail7generic6detail18binary_search_lessEbEEEE10hipError_tPvRmT1_T2_T3_mmT4_T5_P12ihipStream_tbEUlRKxE_EESV_SZ_S10_mS11_S14_bEUlT_E_NS1_11comp_targetILNS1_3genE0ELNS1_11target_archE4294967295ELNS1_3gpuE0ELNS1_3repE0EEENS1_30default_config_static_selectorELNS0_4arch9wavefront6targetE0EEEvSY_.uses_vcc, 0
	.set _ZN7rocprim17ROCPRIM_400000_NS6detail17trampoline_kernelINS0_14default_configENS1_27upper_bound_config_selectorIxlEEZNS1_14transform_implILb0ES3_S5_N6thrust23THRUST_200600_302600_NS6detail15normal_iteratorINS8_7pointerIxNS8_11hip_rocprim5par_tENS8_11use_defaultESE_EEEENSA_INSB_IlSD_SE_SE_EEEEZNS1_13binary_searchIS3_S5_NSA_INS8_10device_ptrIxEEEESG_SI_NS1_21upper_bound_search_opENS9_16wrapped_functionINS8_6system6detail7generic6detail18binary_search_lessEbEEEE10hipError_tPvRmT1_T2_T3_mmT4_T5_P12ihipStream_tbEUlRKxE_EESV_SZ_S10_mS11_S14_bEUlT_E_NS1_11comp_targetILNS1_3genE0ELNS1_11target_archE4294967295ELNS1_3gpuE0ELNS1_3repE0EEENS1_30default_config_static_selectorELNS0_4arch9wavefront6targetE0EEEvSY_.uses_flat_scratch, 0
	.set _ZN7rocprim17ROCPRIM_400000_NS6detail17trampoline_kernelINS0_14default_configENS1_27upper_bound_config_selectorIxlEEZNS1_14transform_implILb0ES3_S5_N6thrust23THRUST_200600_302600_NS6detail15normal_iteratorINS8_7pointerIxNS8_11hip_rocprim5par_tENS8_11use_defaultESE_EEEENSA_INSB_IlSD_SE_SE_EEEEZNS1_13binary_searchIS3_S5_NSA_INS8_10device_ptrIxEEEESG_SI_NS1_21upper_bound_search_opENS9_16wrapped_functionINS8_6system6detail7generic6detail18binary_search_lessEbEEEE10hipError_tPvRmT1_T2_T3_mmT4_T5_P12ihipStream_tbEUlRKxE_EESV_SZ_S10_mS11_S14_bEUlT_E_NS1_11comp_targetILNS1_3genE0ELNS1_11target_archE4294967295ELNS1_3gpuE0ELNS1_3repE0EEENS1_30default_config_static_selectorELNS0_4arch9wavefront6targetE0EEEvSY_.has_dyn_sized_stack, 0
	.set _ZN7rocprim17ROCPRIM_400000_NS6detail17trampoline_kernelINS0_14default_configENS1_27upper_bound_config_selectorIxlEEZNS1_14transform_implILb0ES3_S5_N6thrust23THRUST_200600_302600_NS6detail15normal_iteratorINS8_7pointerIxNS8_11hip_rocprim5par_tENS8_11use_defaultESE_EEEENSA_INSB_IlSD_SE_SE_EEEEZNS1_13binary_searchIS3_S5_NSA_INS8_10device_ptrIxEEEESG_SI_NS1_21upper_bound_search_opENS9_16wrapped_functionINS8_6system6detail7generic6detail18binary_search_lessEbEEEE10hipError_tPvRmT1_T2_T3_mmT4_T5_P12ihipStream_tbEUlRKxE_EESV_SZ_S10_mS11_S14_bEUlT_E_NS1_11comp_targetILNS1_3genE0ELNS1_11target_archE4294967295ELNS1_3gpuE0ELNS1_3repE0EEENS1_30default_config_static_selectorELNS0_4arch9wavefront6targetE0EEEvSY_.has_recursion, 0
	.set _ZN7rocprim17ROCPRIM_400000_NS6detail17trampoline_kernelINS0_14default_configENS1_27upper_bound_config_selectorIxlEEZNS1_14transform_implILb0ES3_S5_N6thrust23THRUST_200600_302600_NS6detail15normal_iteratorINS8_7pointerIxNS8_11hip_rocprim5par_tENS8_11use_defaultESE_EEEENSA_INSB_IlSD_SE_SE_EEEEZNS1_13binary_searchIS3_S5_NSA_INS8_10device_ptrIxEEEESG_SI_NS1_21upper_bound_search_opENS9_16wrapped_functionINS8_6system6detail7generic6detail18binary_search_lessEbEEEE10hipError_tPvRmT1_T2_T3_mmT4_T5_P12ihipStream_tbEUlRKxE_EESV_SZ_S10_mS11_S14_bEUlT_E_NS1_11comp_targetILNS1_3genE0ELNS1_11target_archE4294967295ELNS1_3gpuE0ELNS1_3repE0EEENS1_30default_config_static_selectorELNS0_4arch9wavefront6targetE0EEEvSY_.has_indirect_call, 0
	.section	.AMDGPU.csdata,"",@progbits
; Kernel info:
; codeLenInByte = 0
; TotalNumSgprs: 0
; NumVgprs: 0
; ScratchSize: 0
; MemoryBound: 0
; FloatMode: 240
; IeeeMode: 1
; LDSByteSize: 0 bytes/workgroup (compile time only)
; SGPRBlocks: 0
; VGPRBlocks: 0
; NumSGPRsForWavesPerEU: 1
; NumVGPRsForWavesPerEU: 1
; Occupancy: 16
; WaveLimiterHint : 0
; COMPUTE_PGM_RSRC2:SCRATCH_EN: 0
; COMPUTE_PGM_RSRC2:USER_SGPR: 6
; COMPUTE_PGM_RSRC2:TRAP_HANDLER: 0
; COMPUTE_PGM_RSRC2:TGID_X_EN: 1
; COMPUTE_PGM_RSRC2:TGID_Y_EN: 0
; COMPUTE_PGM_RSRC2:TGID_Z_EN: 0
; COMPUTE_PGM_RSRC2:TIDIG_COMP_CNT: 0
	.section	.text._ZN7rocprim17ROCPRIM_400000_NS6detail17trampoline_kernelINS0_14default_configENS1_27upper_bound_config_selectorIxlEEZNS1_14transform_implILb0ES3_S5_N6thrust23THRUST_200600_302600_NS6detail15normal_iteratorINS8_7pointerIxNS8_11hip_rocprim5par_tENS8_11use_defaultESE_EEEENSA_INSB_IlSD_SE_SE_EEEEZNS1_13binary_searchIS3_S5_NSA_INS8_10device_ptrIxEEEESG_SI_NS1_21upper_bound_search_opENS9_16wrapped_functionINS8_6system6detail7generic6detail18binary_search_lessEbEEEE10hipError_tPvRmT1_T2_T3_mmT4_T5_P12ihipStream_tbEUlRKxE_EESV_SZ_S10_mS11_S14_bEUlT_E_NS1_11comp_targetILNS1_3genE5ELNS1_11target_archE942ELNS1_3gpuE9ELNS1_3repE0EEENS1_30default_config_static_selectorELNS0_4arch9wavefront6targetE0EEEvSY_,"axG",@progbits,_ZN7rocprim17ROCPRIM_400000_NS6detail17trampoline_kernelINS0_14default_configENS1_27upper_bound_config_selectorIxlEEZNS1_14transform_implILb0ES3_S5_N6thrust23THRUST_200600_302600_NS6detail15normal_iteratorINS8_7pointerIxNS8_11hip_rocprim5par_tENS8_11use_defaultESE_EEEENSA_INSB_IlSD_SE_SE_EEEEZNS1_13binary_searchIS3_S5_NSA_INS8_10device_ptrIxEEEESG_SI_NS1_21upper_bound_search_opENS9_16wrapped_functionINS8_6system6detail7generic6detail18binary_search_lessEbEEEE10hipError_tPvRmT1_T2_T3_mmT4_T5_P12ihipStream_tbEUlRKxE_EESV_SZ_S10_mS11_S14_bEUlT_E_NS1_11comp_targetILNS1_3genE5ELNS1_11target_archE942ELNS1_3gpuE9ELNS1_3repE0EEENS1_30default_config_static_selectorELNS0_4arch9wavefront6targetE0EEEvSY_,comdat
	.protected	_ZN7rocprim17ROCPRIM_400000_NS6detail17trampoline_kernelINS0_14default_configENS1_27upper_bound_config_selectorIxlEEZNS1_14transform_implILb0ES3_S5_N6thrust23THRUST_200600_302600_NS6detail15normal_iteratorINS8_7pointerIxNS8_11hip_rocprim5par_tENS8_11use_defaultESE_EEEENSA_INSB_IlSD_SE_SE_EEEEZNS1_13binary_searchIS3_S5_NSA_INS8_10device_ptrIxEEEESG_SI_NS1_21upper_bound_search_opENS9_16wrapped_functionINS8_6system6detail7generic6detail18binary_search_lessEbEEEE10hipError_tPvRmT1_T2_T3_mmT4_T5_P12ihipStream_tbEUlRKxE_EESV_SZ_S10_mS11_S14_bEUlT_E_NS1_11comp_targetILNS1_3genE5ELNS1_11target_archE942ELNS1_3gpuE9ELNS1_3repE0EEENS1_30default_config_static_selectorELNS0_4arch9wavefront6targetE0EEEvSY_ ; -- Begin function _ZN7rocprim17ROCPRIM_400000_NS6detail17trampoline_kernelINS0_14default_configENS1_27upper_bound_config_selectorIxlEEZNS1_14transform_implILb0ES3_S5_N6thrust23THRUST_200600_302600_NS6detail15normal_iteratorINS8_7pointerIxNS8_11hip_rocprim5par_tENS8_11use_defaultESE_EEEENSA_INSB_IlSD_SE_SE_EEEEZNS1_13binary_searchIS3_S5_NSA_INS8_10device_ptrIxEEEESG_SI_NS1_21upper_bound_search_opENS9_16wrapped_functionINS8_6system6detail7generic6detail18binary_search_lessEbEEEE10hipError_tPvRmT1_T2_T3_mmT4_T5_P12ihipStream_tbEUlRKxE_EESV_SZ_S10_mS11_S14_bEUlT_E_NS1_11comp_targetILNS1_3genE5ELNS1_11target_archE942ELNS1_3gpuE9ELNS1_3repE0EEENS1_30default_config_static_selectorELNS0_4arch9wavefront6targetE0EEEvSY_
	.globl	_ZN7rocprim17ROCPRIM_400000_NS6detail17trampoline_kernelINS0_14default_configENS1_27upper_bound_config_selectorIxlEEZNS1_14transform_implILb0ES3_S5_N6thrust23THRUST_200600_302600_NS6detail15normal_iteratorINS8_7pointerIxNS8_11hip_rocprim5par_tENS8_11use_defaultESE_EEEENSA_INSB_IlSD_SE_SE_EEEEZNS1_13binary_searchIS3_S5_NSA_INS8_10device_ptrIxEEEESG_SI_NS1_21upper_bound_search_opENS9_16wrapped_functionINS8_6system6detail7generic6detail18binary_search_lessEbEEEE10hipError_tPvRmT1_T2_T3_mmT4_T5_P12ihipStream_tbEUlRKxE_EESV_SZ_S10_mS11_S14_bEUlT_E_NS1_11comp_targetILNS1_3genE5ELNS1_11target_archE942ELNS1_3gpuE9ELNS1_3repE0EEENS1_30default_config_static_selectorELNS0_4arch9wavefront6targetE0EEEvSY_
	.p2align	8
	.type	_ZN7rocprim17ROCPRIM_400000_NS6detail17trampoline_kernelINS0_14default_configENS1_27upper_bound_config_selectorIxlEEZNS1_14transform_implILb0ES3_S5_N6thrust23THRUST_200600_302600_NS6detail15normal_iteratorINS8_7pointerIxNS8_11hip_rocprim5par_tENS8_11use_defaultESE_EEEENSA_INSB_IlSD_SE_SE_EEEEZNS1_13binary_searchIS3_S5_NSA_INS8_10device_ptrIxEEEESG_SI_NS1_21upper_bound_search_opENS9_16wrapped_functionINS8_6system6detail7generic6detail18binary_search_lessEbEEEE10hipError_tPvRmT1_T2_T3_mmT4_T5_P12ihipStream_tbEUlRKxE_EESV_SZ_S10_mS11_S14_bEUlT_E_NS1_11comp_targetILNS1_3genE5ELNS1_11target_archE942ELNS1_3gpuE9ELNS1_3repE0EEENS1_30default_config_static_selectorELNS0_4arch9wavefront6targetE0EEEvSY_,@function
_ZN7rocprim17ROCPRIM_400000_NS6detail17trampoline_kernelINS0_14default_configENS1_27upper_bound_config_selectorIxlEEZNS1_14transform_implILb0ES3_S5_N6thrust23THRUST_200600_302600_NS6detail15normal_iteratorINS8_7pointerIxNS8_11hip_rocprim5par_tENS8_11use_defaultESE_EEEENSA_INSB_IlSD_SE_SE_EEEEZNS1_13binary_searchIS3_S5_NSA_INS8_10device_ptrIxEEEESG_SI_NS1_21upper_bound_search_opENS9_16wrapped_functionINS8_6system6detail7generic6detail18binary_search_lessEbEEEE10hipError_tPvRmT1_T2_T3_mmT4_T5_P12ihipStream_tbEUlRKxE_EESV_SZ_S10_mS11_S14_bEUlT_E_NS1_11comp_targetILNS1_3genE5ELNS1_11target_archE942ELNS1_3gpuE9ELNS1_3repE0EEENS1_30default_config_static_selectorELNS0_4arch9wavefront6targetE0EEEvSY_: ; @_ZN7rocprim17ROCPRIM_400000_NS6detail17trampoline_kernelINS0_14default_configENS1_27upper_bound_config_selectorIxlEEZNS1_14transform_implILb0ES3_S5_N6thrust23THRUST_200600_302600_NS6detail15normal_iteratorINS8_7pointerIxNS8_11hip_rocprim5par_tENS8_11use_defaultESE_EEEENSA_INSB_IlSD_SE_SE_EEEEZNS1_13binary_searchIS3_S5_NSA_INS8_10device_ptrIxEEEESG_SI_NS1_21upper_bound_search_opENS9_16wrapped_functionINS8_6system6detail7generic6detail18binary_search_lessEbEEEE10hipError_tPvRmT1_T2_T3_mmT4_T5_P12ihipStream_tbEUlRKxE_EESV_SZ_S10_mS11_S14_bEUlT_E_NS1_11comp_targetILNS1_3genE5ELNS1_11target_archE942ELNS1_3gpuE9ELNS1_3repE0EEENS1_30default_config_static_selectorELNS0_4arch9wavefront6targetE0EEEvSY_
; %bb.0:
	.section	.rodata,"a",@progbits
	.p2align	6, 0x0
	.amdhsa_kernel _ZN7rocprim17ROCPRIM_400000_NS6detail17trampoline_kernelINS0_14default_configENS1_27upper_bound_config_selectorIxlEEZNS1_14transform_implILb0ES3_S5_N6thrust23THRUST_200600_302600_NS6detail15normal_iteratorINS8_7pointerIxNS8_11hip_rocprim5par_tENS8_11use_defaultESE_EEEENSA_INSB_IlSD_SE_SE_EEEEZNS1_13binary_searchIS3_S5_NSA_INS8_10device_ptrIxEEEESG_SI_NS1_21upper_bound_search_opENS9_16wrapped_functionINS8_6system6detail7generic6detail18binary_search_lessEbEEEE10hipError_tPvRmT1_T2_T3_mmT4_T5_P12ihipStream_tbEUlRKxE_EESV_SZ_S10_mS11_S14_bEUlT_E_NS1_11comp_targetILNS1_3genE5ELNS1_11target_archE942ELNS1_3gpuE9ELNS1_3repE0EEENS1_30default_config_static_selectorELNS0_4arch9wavefront6targetE0EEEvSY_
		.amdhsa_group_segment_fixed_size 0
		.amdhsa_private_segment_fixed_size 0
		.amdhsa_kernarg_size 56
		.amdhsa_user_sgpr_count 6
		.amdhsa_user_sgpr_private_segment_buffer 1
		.amdhsa_user_sgpr_dispatch_ptr 0
		.amdhsa_user_sgpr_queue_ptr 0
		.amdhsa_user_sgpr_kernarg_segment_ptr 1
		.amdhsa_user_sgpr_dispatch_id 0
		.amdhsa_user_sgpr_flat_scratch_init 0
		.amdhsa_user_sgpr_private_segment_size 0
		.amdhsa_wavefront_size32 1
		.amdhsa_uses_dynamic_stack 0
		.amdhsa_system_sgpr_private_segment_wavefront_offset 0
		.amdhsa_system_sgpr_workgroup_id_x 1
		.amdhsa_system_sgpr_workgroup_id_y 0
		.amdhsa_system_sgpr_workgroup_id_z 0
		.amdhsa_system_sgpr_workgroup_info 0
		.amdhsa_system_vgpr_workitem_id 0
		.amdhsa_next_free_vgpr 1
		.amdhsa_next_free_sgpr 1
		.amdhsa_reserve_vcc 0
		.amdhsa_reserve_flat_scratch 0
		.amdhsa_float_round_mode_32 0
		.amdhsa_float_round_mode_16_64 0
		.amdhsa_float_denorm_mode_32 3
		.amdhsa_float_denorm_mode_16_64 3
		.amdhsa_dx10_clamp 1
		.amdhsa_ieee_mode 1
		.amdhsa_fp16_overflow 0
		.amdhsa_workgroup_processor_mode 1
		.amdhsa_memory_ordered 1
		.amdhsa_forward_progress 1
		.amdhsa_shared_vgpr_count 0
		.amdhsa_exception_fp_ieee_invalid_op 0
		.amdhsa_exception_fp_denorm_src 0
		.amdhsa_exception_fp_ieee_div_zero 0
		.amdhsa_exception_fp_ieee_overflow 0
		.amdhsa_exception_fp_ieee_underflow 0
		.amdhsa_exception_fp_ieee_inexact 0
		.amdhsa_exception_int_div_zero 0
	.end_amdhsa_kernel
	.section	.text._ZN7rocprim17ROCPRIM_400000_NS6detail17trampoline_kernelINS0_14default_configENS1_27upper_bound_config_selectorIxlEEZNS1_14transform_implILb0ES3_S5_N6thrust23THRUST_200600_302600_NS6detail15normal_iteratorINS8_7pointerIxNS8_11hip_rocprim5par_tENS8_11use_defaultESE_EEEENSA_INSB_IlSD_SE_SE_EEEEZNS1_13binary_searchIS3_S5_NSA_INS8_10device_ptrIxEEEESG_SI_NS1_21upper_bound_search_opENS9_16wrapped_functionINS8_6system6detail7generic6detail18binary_search_lessEbEEEE10hipError_tPvRmT1_T2_T3_mmT4_T5_P12ihipStream_tbEUlRKxE_EESV_SZ_S10_mS11_S14_bEUlT_E_NS1_11comp_targetILNS1_3genE5ELNS1_11target_archE942ELNS1_3gpuE9ELNS1_3repE0EEENS1_30default_config_static_selectorELNS0_4arch9wavefront6targetE0EEEvSY_,"axG",@progbits,_ZN7rocprim17ROCPRIM_400000_NS6detail17trampoline_kernelINS0_14default_configENS1_27upper_bound_config_selectorIxlEEZNS1_14transform_implILb0ES3_S5_N6thrust23THRUST_200600_302600_NS6detail15normal_iteratorINS8_7pointerIxNS8_11hip_rocprim5par_tENS8_11use_defaultESE_EEEENSA_INSB_IlSD_SE_SE_EEEEZNS1_13binary_searchIS3_S5_NSA_INS8_10device_ptrIxEEEESG_SI_NS1_21upper_bound_search_opENS9_16wrapped_functionINS8_6system6detail7generic6detail18binary_search_lessEbEEEE10hipError_tPvRmT1_T2_T3_mmT4_T5_P12ihipStream_tbEUlRKxE_EESV_SZ_S10_mS11_S14_bEUlT_E_NS1_11comp_targetILNS1_3genE5ELNS1_11target_archE942ELNS1_3gpuE9ELNS1_3repE0EEENS1_30default_config_static_selectorELNS0_4arch9wavefront6targetE0EEEvSY_,comdat
.Lfunc_end564:
	.size	_ZN7rocprim17ROCPRIM_400000_NS6detail17trampoline_kernelINS0_14default_configENS1_27upper_bound_config_selectorIxlEEZNS1_14transform_implILb0ES3_S5_N6thrust23THRUST_200600_302600_NS6detail15normal_iteratorINS8_7pointerIxNS8_11hip_rocprim5par_tENS8_11use_defaultESE_EEEENSA_INSB_IlSD_SE_SE_EEEEZNS1_13binary_searchIS3_S5_NSA_INS8_10device_ptrIxEEEESG_SI_NS1_21upper_bound_search_opENS9_16wrapped_functionINS8_6system6detail7generic6detail18binary_search_lessEbEEEE10hipError_tPvRmT1_T2_T3_mmT4_T5_P12ihipStream_tbEUlRKxE_EESV_SZ_S10_mS11_S14_bEUlT_E_NS1_11comp_targetILNS1_3genE5ELNS1_11target_archE942ELNS1_3gpuE9ELNS1_3repE0EEENS1_30default_config_static_selectorELNS0_4arch9wavefront6targetE0EEEvSY_, .Lfunc_end564-_ZN7rocprim17ROCPRIM_400000_NS6detail17trampoline_kernelINS0_14default_configENS1_27upper_bound_config_selectorIxlEEZNS1_14transform_implILb0ES3_S5_N6thrust23THRUST_200600_302600_NS6detail15normal_iteratorINS8_7pointerIxNS8_11hip_rocprim5par_tENS8_11use_defaultESE_EEEENSA_INSB_IlSD_SE_SE_EEEEZNS1_13binary_searchIS3_S5_NSA_INS8_10device_ptrIxEEEESG_SI_NS1_21upper_bound_search_opENS9_16wrapped_functionINS8_6system6detail7generic6detail18binary_search_lessEbEEEE10hipError_tPvRmT1_T2_T3_mmT4_T5_P12ihipStream_tbEUlRKxE_EESV_SZ_S10_mS11_S14_bEUlT_E_NS1_11comp_targetILNS1_3genE5ELNS1_11target_archE942ELNS1_3gpuE9ELNS1_3repE0EEENS1_30default_config_static_selectorELNS0_4arch9wavefront6targetE0EEEvSY_
                                        ; -- End function
	.set _ZN7rocprim17ROCPRIM_400000_NS6detail17trampoline_kernelINS0_14default_configENS1_27upper_bound_config_selectorIxlEEZNS1_14transform_implILb0ES3_S5_N6thrust23THRUST_200600_302600_NS6detail15normal_iteratorINS8_7pointerIxNS8_11hip_rocprim5par_tENS8_11use_defaultESE_EEEENSA_INSB_IlSD_SE_SE_EEEEZNS1_13binary_searchIS3_S5_NSA_INS8_10device_ptrIxEEEESG_SI_NS1_21upper_bound_search_opENS9_16wrapped_functionINS8_6system6detail7generic6detail18binary_search_lessEbEEEE10hipError_tPvRmT1_T2_T3_mmT4_T5_P12ihipStream_tbEUlRKxE_EESV_SZ_S10_mS11_S14_bEUlT_E_NS1_11comp_targetILNS1_3genE5ELNS1_11target_archE942ELNS1_3gpuE9ELNS1_3repE0EEENS1_30default_config_static_selectorELNS0_4arch9wavefront6targetE0EEEvSY_.num_vgpr, 0
	.set _ZN7rocprim17ROCPRIM_400000_NS6detail17trampoline_kernelINS0_14default_configENS1_27upper_bound_config_selectorIxlEEZNS1_14transform_implILb0ES3_S5_N6thrust23THRUST_200600_302600_NS6detail15normal_iteratorINS8_7pointerIxNS8_11hip_rocprim5par_tENS8_11use_defaultESE_EEEENSA_INSB_IlSD_SE_SE_EEEEZNS1_13binary_searchIS3_S5_NSA_INS8_10device_ptrIxEEEESG_SI_NS1_21upper_bound_search_opENS9_16wrapped_functionINS8_6system6detail7generic6detail18binary_search_lessEbEEEE10hipError_tPvRmT1_T2_T3_mmT4_T5_P12ihipStream_tbEUlRKxE_EESV_SZ_S10_mS11_S14_bEUlT_E_NS1_11comp_targetILNS1_3genE5ELNS1_11target_archE942ELNS1_3gpuE9ELNS1_3repE0EEENS1_30default_config_static_selectorELNS0_4arch9wavefront6targetE0EEEvSY_.num_agpr, 0
	.set _ZN7rocprim17ROCPRIM_400000_NS6detail17trampoline_kernelINS0_14default_configENS1_27upper_bound_config_selectorIxlEEZNS1_14transform_implILb0ES3_S5_N6thrust23THRUST_200600_302600_NS6detail15normal_iteratorINS8_7pointerIxNS8_11hip_rocprim5par_tENS8_11use_defaultESE_EEEENSA_INSB_IlSD_SE_SE_EEEEZNS1_13binary_searchIS3_S5_NSA_INS8_10device_ptrIxEEEESG_SI_NS1_21upper_bound_search_opENS9_16wrapped_functionINS8_6system6detail7generic6detail18binary_search_lessEbEEEE10hipError_tPvRmT1_T2_T3_mmT4_T5_P12ihipStream_tbEUlRKxE_EESV_SZ_S10_mS11_S14_bEUlT_E_NS1_11comp_targetILNS1_3genE5ELNS1_11target_archE942ELNS1_3gpuE9ELNS1_3repE0EEENS1_30default_config_static_selectorELNS0_4arch9wavefront6targetE0EEEvSY_.numbered_sgpr, 0
	.set _ZN7rocprim17ROCPRIM_400000_NS6detail17trampoline_kernelINS0_14default_configENS1_27upper_bound_config_selectorIxlEEZNS1_14transform_implILb0ES3_S5_N6thrust23THRUST_200600_302600_NS6detail15normal_iteratorINS8_7pointerIxNS8_11hip_rocprim5par_tENS8_11use_defaultESE_EEEENSA_INSB_IlSD_SE_SE_EEEEZNS1_13binary_searchIS3_S5_NSA_INS8_10device_ptrIxEEEESG_SI_NS1_21upper_bound_search_opENS9_16wrapped_functionINS8_6system6detail7generic6detail18binary_search_lessEbEEEE10hipError_tPvRmT1_T2_T3_mmT4_T5_P12ihipStream_tbEUlRKxE_EESV_SZ_S10_mS11_S14_bEUlT_E_NS1_11comp_targetILNS1_3genE5ELNS1_11target_archE942ELNS1_3gpuE9ELNS1_3repE0EEENS1_30default_config_static_selectorELNS0_4arch9wavefront6targetE0EEEvSY_.num_named_barrier, 0
	.set _ZN7rocprim17ROCPRIM_400000_NS6detail17trampoline_kernelINS0_14default_configENS1_27upper_bound_config_selectorIxlEEZNS1_14transform_implILb0ES3_S5_N6thrust23THRUST_200600_302600_NS6detail15normal_iteratorINS8_7pointerIxNS8_11hip_rocprim5par_tENS8_11use_defaultESE_EEEENSA_INSB_IlSD_SE_SE_EEEEZNS1_13binary_searchIS3_S5_NSA_INS8_10device_ptrIxEEEESG_SI_NS1_21upper_bound_search_opENS9_16wrapped_functionINS8_6system6detail7generic6detail18binary_search_lessEbEEEE10hipError_tPvRmT1_T2_T3_mmT4_T5_P12ihipStream_tbEUlRKxE_EESV_SZ_S10_mS11_S14_bEUlT_E_NS1_11comp_targetILNS1_3genE5ELNS1_11target_archE942ELNS1_3gpuE9ELNS1_3repE0EEENS1_30default_config_static_selectorELNS0_4arch9wavefront6targetE0EEEvSY_.private_seg_size, 0
	.set _ZN7rocprim17ROCPRIM_400000_NS6detail17trampoline_kernelINS0_14default_configENS1_27upper_bound_config_selectorIxlEEZNS1_14transform_implILb0ES3_S5_N6thrust23THRUST_200600_302600_NS6detail15normal_iteratorINS8_7pointerIxNS8_11hip_rocprim5par_tENS8_11use_defaultESE_EEEENSA_INSB_IlSD_SE_SE_EEEEZNS1_13binary_searchIS3_S5_NSA_INS8_10device_ptrIxEEEESG_SI_NS1_21upper_bound_search_opENS9_16wrapped_functionINS8_6system6detail7generic6detail18binary_search_lessEbEEEE10hipError_tPvRmT1_T2_T3_mmT4_T5_P12ihipStream_tbEUlRKxE_EESV_SZ_S10_mS11_S14_bEUlT_E_NS1_11comp_targetILNS1_3genE5ELNS1_11target_archE942ELNS1_3gpuE9ELNS1_3repE0EEENS1_30default_config_static_selectorELNS0_4arch9wavefront6targetE0EEEvSY_.uses_vcc, 0
	.set _ZN7rocprim17ROCPRIM_400000_NS6detail17trampoline_kernelINS0_14default_configENS1_27upper_bound_config_selectorIxlEEZNS1_14transform_implILb0ES3_S5_N6thrust23THRUST_200600_302600_NS6detail15normal_iteratorINS8_7pointerIxNS8_11hip_rocprim5par_tENS8_11use_defaultESE_EEEENSA_INSB_IlSD_SE_SE_EEEEZNS1_13binary_searchIS3_S5_NSA_INS8_10device_ptrIxEEEESG_SI_NS1_21upper_bound_search_opENS9_16wrapped_functionINS8_6system6detail7generic6detail18binary_search_lessEbEEEE10hipError_tPvRmT1_T2_T3_mmT4_T5_P12ihipStream_tbEUlRKxE_EESV_SZ_S10_mS11_S14_bEUlT_E_NS1_11comp_targetILNS1_3genE5ELNS1_11target_archE942ELNS1_3gpuE9ELNS1_3repE0EEENS1_30default_config_static_selectorELNS0_4arch9wavefront6targetE0EEEvSY_.uses_flat_scratch, 0
	.set _ZN7rocprim17ROCPRIM_400000_NS6detail17trampoline_kernelINS0_14default_configENS1_27upper_bound_config_selectorIxlEEZNS1_14transform_implILb0ES3_S5_N6thrust23THRUST_200600_302600_NS6detail15normal_iteratorINS8_7pointerIxNS8_11hip_rocprim5par_tENS8_11use_defaultESE_EEEENSA_INSB_IlSD_SE_SE_EEEEZNS1_13binary_searchIS3_S5_NSA_INS8_10device_ptrIxEEEESG_SI_NS1_21upper_bound_search_opENS9_16wrapped_functionINS8_6system6detail7generic6detail18binary_search_lessEbEEEE10hipError_tPvRmT1_T2_T3_mmT4_T5_P12ihipStream_tbEUlRKxE_EESV_SZ_S10_mS11_S14_bEUlT_E_NS1_11comp_targetILNS1_3genE5ELNS1_11target_archE942ELNS1_3gpuE9ELNS1_3repE0EEENS1_30default_config_static_selectorELNS0_4arch9wavefront6targetE0EEEvSY_.has_dyn_sized_stack, 0
	.set _ZN7rocprim17ROCPRIM_400000_NS6detail17trampoline_kernelINS0_14default_configENS1_27upper_bound_config_selectorIxlEEZNS1_14transform_implILb0ES3_S5_N6thrust23THRUST_200600_302600_NS6detail15normal_iteratorINS8_7pointerIxNS8_11hip_rocprim5par_tENS8_11use_defaultESE_EEEENSA_INSB_IlSD_SE_SE_EEEEZNS1_13binary_searchIS3_S5_NSA_INS8_10device_ptrIxEEEESG_SI_NS1_21upper_bound_search_opENS9_16wrapped_functionINS8_6system6detail7generic6detail18binary_search_lessEbEEEE10hipError_tPvRmT1_T2_T3_mmT4_T5_P12ihipStream_tbEUlRKxE_EESV_SZ_S10_mS11_S14_bEUlT_E_NS1_11comp_targetILNS1_3genE5ELNS1_11target_archE942ELNS1_3gpuE9ELNS1_3repE0EEENS1_30default_config_static_selectorELNS0_4arch9wavefront6targetE0EEEvSY_.has_recursion, 0
	.set _ZN7rocprim17ROCPRIM_400000_NS6detail17trampoline_kernelINS0_14default_configENS1_27upper_bound_config_selectorIxlEEZNS1_14transform_implILb0ES3_S5_N6thrust23THRUST_200600_302600_NS6detail15normal_iteratorINS8_7pointerIxNS8_11hip_rocprim5par_tENS8_11use_defaultESE_EEEENSA_INSB_IlSD_SE_SE_EEEEZNS1_13binary_searchIS3_S5_NSA_INS8_10device_ptrIxEEEESG_SI_NS1_21upper_bound_search_opENS9_16wrapped_functionINS8_6system6detail7generic6detail18binary_search_lessEbEEEE10hipError_tPvRmT1_T2_T3_mmT4_T5_P12ihipStream_tbEUlRKxE_EESV_SZ_S10_mS11_S14_bEUlT_E_NS1_11comp_targetILNS1_3genE5ELNS1_11target_archE942ELNS1_3gpuE9ELNS1_3repE0EEENS1_30default_config_static_selectorELNS0_4arch9wavefront6targetE0EEEvSY_.has_indirect_call, 0
	.section	.AMDGPU.csdata,"",@progbits
; Kernel info:
; codeLenInByte = 0
; TotalNumSgprs: 0
; NumVgprs: 0
; ScratchSize: 0
; MemoryBound: 0
; FloatMode: 240
; IeeeMode: 1
; LDSByteSize: 0 bytes/workgroup (compile time only)
; SGPRBlocks: 0
; VGPRBlocks: 0
; NumSGPRsForWavesPerEU: 1
; NumVGPRsForWavesPerEU: 1
; Occupancy: 16
; WaveLimiterHint : 0
; COMPUTE_PGM_RSRC2:SCRATCH_EN: 0
; COMPUTE_PGM_RSRC2:USER_SGPR: 6
; COMPUTE_PGM_RSRC2:TRAP_HANDLER: 0
; COMPUTE_PGM_RSRC2:TGID_X_EN: 1
; COMPUTE_PGM_RSRC2:TGID_Y_EN: 0
; COMPUTE_PGM_RSRC2:TGID_Z_EN: 0
; COMPUTE_PGM_RSRC2:TIDIG_COMP_CNT: 0
	.section	.text._ZN7rocprim17ROCPRIM_400000_NS6detail17trampoline_kernelINS0_14default_configENS1_27upper_bound_config_selectorIxlEEZNS1_14transform_implILb0ES3_S5_N6thrust23THRUST_200600_302600_NS6detail15normal_iteratorINS8_7pointerIxNS8_11hip_rocprim5par_tENS8_11use_defaultESE_EEEENSA_INSB_IlSD_SE_SE_EEEEZNS1_13binary_searchIS3_S5_NSA_INS8_10device_ptrIxEEEESG_SI_NS1_21upper_bound_search_opENS9_16wrapped_functionINS8_6system6detail7generic6detail18binary_search_lessEbEEEE10hipError_tPvRmT1_T2_T3_mmT4_T5_P12ihipStream_tbEUlRKxE_EESV_SZ_S10_mS11_S14_bEUlT_E_NS1_11comp_targetILNS1_3genE4ELNS1_11target_archE910ELNS1_3gpuE8ELNS1_3repE0EEENS1_30default_config_static_selectorELNS0_4arch9wavefront6targetE0EEEvSY_,"axG",@progbits,_ZN7rocprim17ROCPRIM_400000_NS6detail17trampoline_kernelINS0_14default_configENS1_27upper_bound_config_selectorIxlEEZNS1_14transform_implILb0ES3_S5_N6thrust23THRUST_200600_302600_NS6detail15normal_iteratorINS8_7pointerIxNS8_11hip_rocprim5par_tENS8_11use_defaultESE_EEEENSA_INSB_IlSD_SE_SE_EEEEZNS1_13binary_searchIS3_S5_NSA_INS8_10device_ptrIxEEEESG_SI_NS1_21upper_bound_search_opENS9_16wrapped_functionINS8_6system6detail7generic6detail18binary_search_lessEbEEEE10hipError_tPvRmT1_T2_T3_mmT4_T5_P12ihipStream_tbEUlRKxE_EESV_SZ_S10_mS11_S14_bEUlT_E_NS1_11comp_targetILNS1_3genE4ELNS1_11target_archE910ELNS1_3gpuE8ELNS1_3repE0EEENS1_30default_config_static_selectorELNS0_4arch9wavefront6targetE0EEEvSY_,comdat
	.protected	_ZN7rocprim17ROCPRIM_400000_NS6detail17trampoline_kernelINS0_14default_configENS1_27upper_bound_config_selectorIxlEEZNS1_14transform_implILb0ES3_S5_N6thrust23THRUST_200600_302600_NS6detail15normal_iteratorINS8_7pointerIxNS8_11hip_rocprim5par_tENS8_11use_defaultESE_EEEENSA_INSB_IlSD_SE_SE_EEEEZNS1_13binary_searchIS3_S5_NSA_INS8_10device_ptrIxEEEESG_SI_NS1_21upper_bound_search_opENS9_16wrapped_functionINS8_6system6detail7generic6detail18binary_search_lessEbEEEE10hipError_tPvRmT1_T2_T3_mmT4_T5_P12ihipStream_tbEUlRKxE_EESV_SZ_S10_mS11_S14_bEUlT_E_NS1_11comp_targetILNS1_3genE4ELNS1_11target_archE910ELNS1_3gpuE8ELNS1_3repE0EEENS1_30default_config_static_selectorELNS0_4arch9wavefront6targetE0EEEvSY_ ; -- Begin function _ZN7rocprim17ROCPRIM_400000_NS6detail17trampoline_kernelINS0_14default_configENS1_27upper_bound_config_selectorIxlEEZNS1_14transform_implILb0ES3_S5_N6thrust23THRUST_200600_302600_NS6detail15normal_iteratorINS8_7pointerIxNS8_11hip_rocprim5par_tENS8_11use_defaultESE_EEEENSA_INSB_IlSD_SE_SE_EEEEZNS1_13binary_searchIS3_S5_NSA_INS8_10device_ptrIxEEEESG_SI_NS1_21upper_bound_search_opENS9_16wrapped_functionINS8_6system6detail7generic6detail18binary_search_lessEbEEEE10hipError_tPvRmT1_T2_T3_mmT4_T5_P12ihipStream_tbEUlRKxE_EESV_SZ_S10_mS11_S14_bEUlT_E_NS1_11comp_targetILNS1_3genE4ELNS1_11target_archE910ELNS1_3gpuE8ELNS1_3repE0EEENS1_30default_config_static_selectorELNS0_4arch9wavefront6targetE0EEEvSY_
	.globl	_ZN7rocprim17ROCPRIM_400000_NS6detail17trampoline_kernelINS0_14default_configENS1_27upper_bound_config_selectorIxlEEZNS1_14transform_implILb0ES3_S5_N6thrust23THRUST_200600_302600_NS6detail15normal_iteratorINS8_7pointerIxNS8_11hip_rocprim5par_tENS8_11use_defaultESE_EEEENSA_INSB_IlSD_SE_SE_EEEEZNS1_13binary_searchIS3_S5_NSA_INS8_10device_ptrIxEEEESG_SI_NS1_21upper_bound_search_opENS9_16wrapped_functionINS8_6system6detail7generic6detail18binary_search_lessEbEEEE10hipError_tPvRmT1_T2_T3_mmT4_T5_P12ihipStream_tbEUlRKxE_EESV_SZ_S10_mS11_S14_bEUlT_E_NS1_11comp_targetILNS1_3genE4ELNS1_11target_archE910ELNS1_3gpuE8ELNS1_3repE0EEENS1_30default_config_static_selectorELNS0_4arch9wavefront6targetE0EEEvSY_
	.p2align	8
	.type	_ZN7rocprim17ROCPRIM_400000_NS6detail17trampoline_kernelINS0_14default_configENS1_27upper_bound_config_selectorIxlEEZNS1_14transform_implILb0ES3_S5_N6thrust23THRUST_200600_302600_NS6detail15normal_iteratorINS8_7pointerIxNS8_11hip_rocprim5par_tENS8_11use_defaultESE_EEEENSA_INSB_IlSD_SE_SE_EEEEZNS1_13binary_searchIS3_S5_NSA_INS8_10device_ptrIxEEEESG_SI_NS1_21upper_bound_search_opENS9_16wrapped_functionINS8_6system6detail7generic6detail18binary_search_lessEbEEEE10hipError_tPvRmT1_T2_T3_mmT4_T5_P12ihipStream_tbEUlRKxE_EESV_SZ_S10_mS11_S14_bEUlT_E_NS1_11comp_targetILNS1_3genE4ELNS1_11target_archE910ELNS1_3gpuE8ELNS1_3repE0EEENS1_30default_config_static_selectorELNS0_4arch9wavefront6targetE0EEEvSY_,@function
_ZN7rocprim17ROCPRIM_400000_NS6detail17trampoline_kernelINS0_14default_configENS1_27upper_bound_config_selectorIxlEEZNS1_14transform_implILb0ES3_S5_N6thrust23THRUST_200600_302600_NS6detail15normal_iteratorINS8_7pointerIxNS8_11hip_rocprim5par_tENS8_11use_defaultESE_EEEENSA_INSB_IlSD_SE_SE_EEEEZNS1_13binary_searchIS3_S5_NSA_INS8_10device_ptrIxEEEESG_SI_NS1_21upper_bound_search_opENS9_16wrapped_functionINS8_6system6detail7generic6detail18binary_search_lessEbEEEE10hipError_tPvRmT1_T2_T3_mmT4_T5_P12ihipStream_tbEUlRKxE_EESV_SZ_S10_mS11_S14_bEUlT_E_NS1_11comp_targetILNS1_3genE4ELNS1_11target_archE910ELNS1_3gpuE8ELNS1_3repE0EEENS1_30default_config_static_selectorELNS0_4arch9wavefront6targetE0EEEvSY_: ; @_ZN7rocprim17ROCPRIM_400000_NS6detail17trampoline_kernelINS0_14default_configENS1_27upper_bound_config_selectorIxlEEZNS1_14transform_implILb0ES3_S5_N6thrust23THRUST_200600_302600_NS6detail15normal_iteratorINS8_7pointerIxNS8_11hip_rocprim5par_tENS8_11use_defaultESE_EEEENSA_INSB_IlSD_SE_SE_EEEEZNS1_13binary_searchIS3_S5_NSA_INS8_10device_ptrIxEEEESG_SI_NS1_21upper_bound_search_opENS9_16wrapped_functionINS8_6system6detail7generic6detail18binary_search_lessEbEEEE10hipError_tPvRmT1_T2_T3_mmT4_T5_P12ihipStream_tbEUlRKxE_EESV_SZ_S10_mS11_S14_bEUlT_E_NS1_11comp_targetILNS1_3genE4ELNS1_11target_archE910ELNS1_3gpuE8ELNS1_3repE0EEENS1_30default_config_static_selectorELNS0_4arch9wavefront6targetE0EEEvSY_
; %bb.0:
	.section	.rodata,"a",@progbits
	.p2align	6, 0x0
	.amdhsa_kernel _ZN7rocprim17ROCPRIM_400000_NS6detail17trampoline_kernelINS0_14default_configENS1_27upper_bound_config_selectorIxlEEZNS1_14transform_implILb0ES3_S5_N6thrust23THRUST_200600_302600_NS6detail15normal_iteratorINS8_7pointerIxNS8_11hip_rocprim5par_tENS8_11use_defaultESE_EEEENSA_INSB_IlSD_SE_SE_EEEEZNS1_13binary_searchIS3_S5_NSA_INS8_10device_ptrIxEEEESG_SI_NS1_21upper_bound_search_opENS9_16wrapped_functionINS8_6system6detail7generic6detail18binary_search_lessEbEEEE10hipError_tPvRmT1_T2_T3_mmT4_T5_P12ihipStream_tbEUlRKxE_EESV_SZ_S10_mS11_S14_bEUlT_E_NS1_11comp_targetILNS1_3genE4ELNS1_11target_archE910ELNS1_3gpuE8ELNS1_3repE0EEENS1_30default_config_static_selectorELNS0_4arch9wavefront6targetE0EEEvSY_
		.amdhsa_group_segment_fixed_size 0
		.amdhsa_private_segment_fixed_size 0
		.amdhsa_kernarg_size 56
		.amdhsa_user_sgpr_count 6
		.amdhsa_user_sgpr_private_segment_buffer 1
		.amdhsa_user_sgpr_dispatch_ptr 0
		.amdhsa_user_sgpr_queue_ptr 0
		.amdhsa_user_sgpr_kernarg_segment_ptr 1
		.amdhsa_user_sgpr_dispatch_id 0
		.amdhsa_user_sgpr_flat_scratch_init 0
		.amdhsa_user_sgpr_private_segment_size 0
		.amdhsa_wavefront_size32 1
		.amdhsa_uses_dynamic_stack 0
		.amdhsa_system_sgpr_private_segment_wavefront_offset 0
		.amdhsa_system_sgpr_workgroup_id_x 1
		.amdhsa_system_sgpr_workgroup_id_y 0
		.amdhsa_system_sgpr_workgroup_id_z 0
		.amdhsa_system_sgpr_workgroup_info 0
		.amdhsa_system_vgpr_workitem_id 0
		.amdhsa_next_free_vgpr 1
		.amdhsa_next_free_sgpr 1
		.amdhsa_reserve_vcc 0
		.amdhsa_reserve_flat_scratch 0
		.amdhsa_float_round_mode_32 0
		.amdhsa_float_round_mode_16_64 0
		.amdhsa_float_denorm_mode_32 3
		.amdhsa_float_denorm_mode_16_64 3
		.amdhsa_dx10_clamp 1
		.amdhsa_ieee_mode 1
		.amdhsa_fp16_overflow 0
		.amdhsa_workgroup_processor_mode 1
		.amdhsa_memory_ordered 1
		.amdhsa_forward_progress 1
		.amdhsa_shared_vgpr_count 0
		.amdhsa_exception_fp_ieee_invalid_op 0
		.amdhsa_exception_fp_denorm_src 0
		.amdhsa_exception_fp_ieee_div_zero 0
		.amdhsa_exception_fp_ieee_overflow 0
		.amdhsa_exception_fp_ieee_underflow 0
		.amdhsa_exception_fp_ieee_inexact 0
		.amdhsa_exception_int_div_zero 0
	.end_amdhsa_kernel
	.section	.text._ZN7rocprim17ROCPRIM_400000_NS6detail17trampoline_kernelINS0_14default_configENS1_27upper_bound_config_selectorIxlEEZNS1_14transform_implILb0ES3_S5_N6thrust23THRUST_200600_302600_NS6detail15normal_iteratorINS8_7pointerIxNS8_11hip_rocprim5par_tENS8_11use_defaultESE_EEEENSA_INSB_IlSD_SE_SE_EEEEZNS1_13binary_searchIS3_S5_NSA_INS8_10device_ptrIxEEEESG_SI_NS1_21upper_bound_search_opENS9_16wrapped_functionINS8_6system6detail7generic6detail18binary_search_lessEbEEEE10hipError_tPvRmT1_T2_T3_mmT4_T5_P12ihipStream_tbEUlRKxE_EESV_SZ_S10_mS11_S14_bEUlT_E_NS1_11comp_targetILNS1_3genE4ELNS1_11target_archE910ELNS1_3gpuE8ELNS1_3repE0EEENS1_30default_config_static_selectorELNS0_4arch9wavefront6targetE0EEEvSY_,"axG",@progbits,_ZN7rocprim17ROCPRIM_400000_NS6detail17trampoline_kernelINS0_14default_configENS1_27upper_bound_config_selectorIxlEEZNS1_14transform_implILb0ES3_S5_N6thrust23THRUST_200600_302600_NS6detail15normal_iteratorINS8_7pointerIxNS8_11hip_rocprim5par_tENS8_11use_defaultESE_EEEENSA_INSB_IlSD_SE_SE_EEEEZNS1_13binary_searchIS3_S5_NSA_INS8_10device_ptrIxEEEESG_SI_NS1_21upper_bound_search_opENS9_16wrapped_functionINS8_6system6detail7generic6detail18binary_search_lessEbEEEE10hipError_tPvRmT1_T2_T3_mmT4_T5_P12ihipStream_tbEUlRKxE_EESV_SZ_S10_mS11_S14_bEUlT_E_NS1_11comp_targetILNS1_3genE4ELNS1_11target_archE910ELNS1_3gpuE8ELNS1_3repE0EEENS1_30default_config_static_selectorELNS0_4arch9wavefront6targetE0EEEvSY_,comdat
.Lfunc_end565:
	.size	_ZN7rocprim17ROCPRIM_400000_NS6detail17trampoline_kernelINS0_14default_configENS1_27upper_bound_config_selectorIxlEEZNS1_14transform_implILb0ES3_S5_N6thrust23THRUST_200600_302600_NS6detail15normal_iteratorINS8_7pointerIxNS8_11hip_rocprim5par_tENS8_11use_defaultESE_EEEENSA_INSB_IlSD_SE_SE_EEEEZNS1_13binary_searchIS3_S5_NSA_INS8_10device_ptrIxEEEESG_SI_NS1_21upper_bound_search_opENS9_16wrapped_functionINS8_6system6detail7generic6detail18binary_search_lessEbEEEE10hipError_tPvRmT1_T2_T3_mmT4_T5_P12ihipStream_tbEUlRKxE_EESV_SZ_S10_mS11_S14_bEUlT_E_NS1_11comp_targetILNS1_3genE4ELNS1_11target_archE910ELNS1_3gpuE8ELNS1_3repE0EEENS1_30default_config_static_selectorELNS0_4arch9wavefront6targetE0EEEvSY_, .Lfunc_end565-_ZN7rocprim17ROCPRIM_400000_NS6detail17trampoline_kernelINS0_14default_configENS1_27upper_bound_config_selectorIxlEEZNS1_14transform_implILb0ES3_S5_N6thrust23THRUST_200600_302600_NS6detail15normal_iteratorINS8_7pointerIxNS8_11hip_rocprim5par_tENS8_11use_defaultESE_EEEENSA_INSB_IlSD_SE_SE_EEEEZNS1_13binary_searchIS3_S5_NSA_INS8_10device_ptrIxEEEESG_SI_NS1_21upper_bound_search_opENS9_16wrapped_functionINS8_6system6detail7generic6detail18binary_search_lessEbEEEE10hipError_tPvRmT1_T2_T3_mmT4_T5_P12ihipStream_tbEUlRKxE_EESV_SZ_S10_mS11_S14_bEUlT_E_NS1_11comp_targetILNS1_3genE4ELNS1_11target_archE910ELNS1_3gpuE8ELNS1_3repE0EEENS1_30default_config_static_selectorELNS0_4arch9wavefront6targetE0EEEvSY_
                                        ; -- End function
	.set _ZN7rocprim17ROCPRIM_400000_NS6detail17trampoline_kernelINS0_14default_configENS1_27upper_bound_config_selectorIxlEEZNS1_14transform_implILb0ES3_S5_N6thrust23THRUST_200600_302600_NS6detail15normal_iteratorINS8_7pointerIxNS8_11hip_rocprim5par_tENS8_11use_defaultESE_EEEENSA_INSB_IlSD_SE_SE_EEEEZNS1_13binary_searchIS3_S5_NSA_INS8_10device_ptrIxEEEESG_SI_NS1_21upper_bound_search_opENS9_16wrapped_functionINS8_6system6detail7generic6detail18binary_search_lessEbEEEE10hipError_tPvRmT1_T2_T3_mmT4_T5_P12ihipStream_tbEUlRKxE_EESV_SZ_S10_mS11_S14_bEUlT_E_NS1_11comp_targetILNS1_3genE4ELNS1_11target_archE910ELNS1_3gpuE8ELNS1_3repE0EEENS1_30default_config_static_selectorELNS0_4arch9wavefront6targetE0EEEvSY_.num_vgpr, 0
	.set _ZN7rocprim17ROCPRIM_400000_NS6detail17trampoline_kernelINS0_14default_configENS1_27upper_bound_config_selectorIxlEEZNS1_14transform_implILb0ES3_S5_N6thrust23THRUST_200600_302600_NS6detail15normal_iteratorINS8_7pointerIxNS8_11hip_rocprim5par_tENS8_11use_defaultESE_EEEENSA_INSB_IlSD_SE_SE_EEEEZNS1_13binary_searchIS3_S5_NSA_INS8_10device_ptrIxEEEESG_SI_NS1_21upper_bound_search_opENS9_16wrapped_functionINS8_6system6detail7generic6detail18binary_search_lessEbEEEE10hipError_tPvRmT1_T2_T3_mmT4_T5_P12ihipStream_tbEUlRKxE_EESV_SZ_S10_mS11_S14_bEUlT_E_NS1_11comp_targetILNS1_3genE4ELNS1_11target_archE910ELNS1_3gpuE8ELNS1_3repE0EEENS1_30default_config_static_selectorELNS0_4arch9wavefront6targetE0EEEvSY_.num_agpr, 0
	.set _ZN7rocprim17ROCPRIM_400000_NS6detail17trampoline_kernelINS0_14default_configENS1_27upper_bound_config_selectorIxlEEZNS1_14transform_implILb0ES3_S5_N6thrust23THRUST_200600_302600_NS6detail15normal_iteratorINS8_7pointerIxNS8_11hip_rocprim5par_tENS8_11use_defaultESE_EEEENSA_INSB_IlSD_SE_SE_EEEEZNS1_13binary_searchIS3_S5_NSA_INS8_10device_ptrIxEEEESG_SI_NS1_21upper_bound_search_opENS9_16wrapped_functionINS8_6system6detail7generic6detail18binary_search_lessEbEEEE10hipError_tPvRmT1_T2_T3_mmT4_T5_P12ihipStream_tbEUlRKxE_EESV_SZ_S10_mS11_S14_bEUlT_E_NS1_11comp_targetILNS1_3genE4ELNS1_11target_archE910ELNS1_3gpuE8ELNS1_3repE0EEENS1_30default_config_static_selectorELNS0_4arch9wavefront6targetE0EEEvSY_.numbered_sgpr, 0
	.set _ZN7rocprim17ROCPRIM_400000_NS6detail17trampoline_kernelINS0_14default_configENS1_27upper_bound_config_selectorIxlEEZNS1_14transform_implILb0ES3_S5_N6thrust23THRUST_200600_302600_NS6detail15normal_iteratorINS8_7pointerIxNS8_11hip_rocprim5par_tENS8_11use_defaultESE_EEEENSA_INSB_IlSD_SE_SE_EEEEZNS1_13binary_searchIS3_S5_NSA_INS8_10device_ptrIxEEEESG_SI_NS1_21upper_bound_search_opENS9_16wrapped_functionINS8_6system6detail7generic6detail18binary_search_lessEbEEEE10hipError_tPvRmT1_T2_T3_mmT4_T5_P12ihipStream_tbEUlRKxE_EESV_SZ_S10_mS11_S14_bEUlT_E_NS1_11comp_targetILNS1_3genE4ELNS1_11target_archE910ELNS1_3gpuE8ELNS1_3repE0EEENS1_30default_config_static_selectorELNS0_4arch9wavefront6targetE0EEEvSY_.num_named_barrier, 0
	.set _ZN7rocprim17ROCPRIM_400000_NS6detail17trampoline_kernelINS0_14default_configENS1_27upper_bound_config_selectorIxlEEZNS1_14transform_implILb0ES3_S5_N6thrust23THRUST_200600_302600_NS6detail15normal_iteratorINS8_7pointerIxNS8_11hip_rocprim5par_tENS8_11use_defaultESE_EEEENSA_INSB_IlSD_SE_SE_EEEEZNS1_13binary_searchIS3_S5_NSA_INS8_10device_ptrIxEEEESG_SI_NS1_21upper_bound_search_opENS9_16wrapped_functionINS8_6system6detail7generic6detail18binary_search_lessEbEEEE10hipError_tPvRmT1_T2_T3_mmT4_T5_P12ihipStream_tbEUlRKxE_EESV_SZ_S10_mS11_S14_bEUlT_E_NS1_11comp_targetILNS1_3genE4ELNS1_11target_archE910ELNS1_3gpuE8ELNS1_3repE0EEENS1_30default_config_static_selectorELNS0_4arch9wavefront6targetE0EEEvSY_.private_seg_size, 0
	.set _ZN7rocprim17ROCPRIM_400000_NS6detail17trampoline_kernelINS0_14default_configENS1_27upper_bound_config_selectorIxlEEZNS1_14transform_implILb0ES3_S5_N6thrust23THRUST_200600_302600_NS6detail15normal_iteratorINS8_7pointerIxNS8_11hip_rocprim5par_tENS8_11use_defaultESE_EEEENSA_INSB_IlSD_SE_SE_EEEEZNS1_13binary_searchIS3_S5_NSA_INS8_10device_ptrIxEEEESG_SI_NS1_21upper_bound_search_opENS9_16wrapped_functionINS8_6system6detail7generic6detail18binary_search_lessEbEEEE10hipError_tPvRmT1_T2_T3_mmT4_T5_P12ihipStream_tbEUlRKxE_EESV_SZ_S10_mS11_S14_bEUlT_E_NS1_11comp_targetILNS1_3genE4ELNS1_11target_archE910ELNS1_3gpuE8ELNS1_3repE0EEENS1_30default_config_static_selectorELNS0_4arch9wavefront6targetE0EEEvSY_.uses_vcc, 0
	.set _ZN7rocprim17ROCPRIM_400000_NS6detail17trampoline_kernelINS0_14default_configENS1_27upper_bound_config_selectorIxlEEZNS1_14transform_implILb0ES3_S5_N6thrust23THRUST_200600_302600_NS6detail15normal_iteratorINS8_7pointerIxNS8_11hip_rocprim5par_tENS8_11use_defaultESE_EEEENSA_INSB_IlSD_SE_SE_EEEEZNS1_13binary_searchIS3_S5_NSA_INS8_10device_ptrIxEEEESG_SI_NS1_21upper_bound_search_opENS9_16wrapped_functionINS8_6system6detail7generic6detail18binary_search_lessEbEEEE10hipError_tPvRmT1_T2_T3_mmT4_T5_P12ihipStream_tbEUlRKxE_EESV_SZ_S10_mS11_S14_bEUlT_E_NS1_11comp_targetILNS1_3genE4ELNS1_11target_archE910ELNS1_3gpuE8ELNS1_3repE0EEENS1_30default_config_static_selectorELNS0_4arch9wavefront6targetE0EEEvSY_.uses_flat_scratch, 0
	.set _ZN7rocprim17ROCPRIM_400000_NS6detail17trampoline_kernelINS0_14default_configENS1_27upper_bound_config_selectorIxlEEZNS1_14transform_implILb0ES3_S5_N6thrust23THRUST_200600_302600_NS6detail15normal_iteratorINS8_7pointerIxNS8_11hip_rocprim5par_tENS8_11use_defaultESE_EEEENSA_INSB_IlSD_SE_SE_EEEEZNS1_13binary_searchIS3_S5_NSA_INS8_10device_ptrIxEEEESG_SI_NS1_21upper_bound_search_opENS9_16wrapped_functionINS8_6system6detail7generic6detail18binary_search_lessEbEEEE10hipError_tPvRmT1_T2_T3_mmT4_T5_P12ihipStream_tbEUlRKxE_EESV_SZ_S10_mS11_S14_bEUlT_E_NS1_11comp_targetILNS1_3genE4ELNS1_11target_archE910ELNS1_3gpuE8ELNS1_3repE0EEENS1_30default_config_static_selectorELNS0_4arch9wavefront6targetE0EEEvSY_.has_dyn_sized_stack, 0
	.set _ZN7rocprim17ROCPRIM_400000_NS6detail17trampoline_kernelINS0_14default_configENS1_27upper_bound_config_selectorIxlEEZNS1_14transform_implILb0ES3_S5_N6thrust23THRUST_200600_302600_NS6detail15normal_iteratorINS8_7pointerIxNS8_11hip_rocprim5par_tENS8_11use_defaultESE_EEEENSA_INSB_IlSD_SE_SE_EEEEZNS1_13binary_searchIS3_S5_NSA_INS8_10device_ptrIxEEEESG_SI_NS1_21upper_bound_search_opENS9_16wrapped_functionINS8_6system6detail7generic6detail18binary_search_lessEbEEEE10hipError_tPvRmT1_T2_T3_mmT4_T5_P12ihipStream_tbEUlRKxE_EESV_SZ_S10_mS11_S14_bEUlT_E_NS1_11comp_targetILNS1_3genE4ELNS1_11target_archE910ELNS1_3gpuE8ELNS1_3repE0EEENS1_30default_config_static_selectorELNS0_4arch9wavefront6targetE0EEEvSY_.has_recursion, 0
	.set _ZN7rocprim17ROCPRIM_400000_NS6detail17trampoline_kernelINS0_14default_configENS1_27upper_bound_config_selectorIxlEEZNS1_14transform_implILb0ES3_S5_N6thrust23THRUST_200600_302600_NS6detail15normal_iteratorINS8_7pointerIxNS8_11hip_rocprim5par_tENS8_11use_defaultESE_EEEENSA_INSB_IlSD_SE_SE_EEEEZNS1_13binary_searchIS3_S5_NSA_INS8_10device_ptrIxEEEESG_SI_NS1_21upper_bound_search_opENS9_16wrapped_functionINS8_6system6detail7generic6detail18binary_search_lessEbEEEE10hipError_tPvRmT1_T2_T3_mmT4_T5_P12ihipStream_tbEUlRKxE_EESV_SZ_S10_mS11_S14_bEUlT_E_NS1_11comp_targetILNS1_3genE4ELNS1_11target_archE910ELNS1_3gpuE8ELNS1_3repE0EEENS1_30default_config_static_selectorELNS0_4arch9wavefront6targetE0EEEvSY_.has_indirect_call, 0
	.section	.AMDGPU.csdata,"",@progbits
; Kernel info:
; codeLenInByte = 0
; TotalNumSgprs: 0
; NumVgprs: 0
; ScratchSize: 0
; MemoryBound: 0
; FloatMode: 240
; IeeeMode: 1
; LDSByteSize: 0 bytes/workgroup (compile time only)
; SGPRBlocks: 0
; VGPRBlocks: 0
; NumSGPRsForWavesPerEU: 1
; NumVGPRsForWavesPerEU: 1
; Occupancy: 16
; WaveLimiterHint : 0
; COMPUTE_PGM_RSRC2:SCRATCH_EN: 0
; COMPUTE_PGM_RSRC2:USER_SGPR: 6
; COMPUTE_PGM_RSRC2:TRAP_HANDLER: 0
; COMPUTE_PGM_RSRC2:TGID_X_EN: 1
; COMPUTE_PGM_RSRC2:TGID_Y_EN: 0
; COMPUTE_PGM_RSRC2:TGID_Z_EN: 0
; COMPUTE_PGM_RSRC2:TIDIG_COMP_CNT: 0
	.section	.text._ZN7rocprim17ROCPRIM_400000_NS6detail17trampoline_kernelINS0_14default_configENS1_27upper_bound_config_selectorIxlEEZNS1_14transform_implILb0ES3_S5_N6thrust23THRUST_200600_302600_NS6detail15normal_iteratorINS8_7pointerIxNS8_11hip_rocprim5par_tENS8_11use_defaultESE_EEEENSA_INSB_IlSD_SE_SE_EEEEZNS1_13binary_searchIS3_S5_NSA_INS8_10device_ptrIxEEEESG_SI_NS1_21upper_bound_search_opENS9_16wrapped_functionINS8_6system6detail7generic6detail18binary_search_lessEbEEEE10hipError_tPvRmT1_T2_T3_mmT4_T5_P12ihipStream_tbEUlRKxE_EESV_SZ_S10_mS11_S14_bEUlT_E_NS1_11comp_targetILNS1_3genE3ELNS1_11target_archE908ELNS1_3gpuE7ELNS1_3repE0EEENS1_30default_config_static_selectorELNS0_4arch9wavefront6targetE0EEEvSY_,"axG",@progbits,_ZN7rocprim17ROCPRIM_400000_NS6detail17trampoline_kernelINS0_14default_configENS1_27upper_bound_config_selectorIxlEEZNS1_14transform_implILb0ES3_S5_N6thrust23THRUST_200600_302600_NS6detail15normal_iteratorINS8_7pointerIxNS8_11hip_rocprim5par_tENS8_11use_defaultESE_EEEENSA_INSB_IlSD_SE_SE_EEEEZNS1_13binary_searchIS3_S5_NSA_INS8_10device_ptrIxEEEESG_SI_NS1_21upper_bound_search_opENS9_16wrapped_functionINS8_6system6detail7generic6detail18binary_search_lessEbEEEE10hipError_tPvRmT1_T2_T3_mmT4_T5_P12ihipStream_tbEUlRKxE_EESV_SZ_S10_mS11_S14_bEUlT_E_NS1_11comp_targetILNS1_3genE3ELNS1_11target_archE908ELNS1_3gpuE7ELNS1_3repE0EEENS1_30default_config_static_selectorELNS0_4arch9wavefront6targetE0EEEvSY_,comdat
	.protected	_ZN7rocprim17ROCPRIM_400000_NS6detail17trampoline_kernelINS0_14default_configENS1_27upper_bound_config_selectorIxlEEZNS1_14transform_implILb0ES3_S5_N6thrust23THRUST_200600_302600_NS6detail15normal_iteratorINS8_7pointerIxNS8_11hip_rocprim5par_tENS8_11use_defaultESE_EEEENSA_INSB_IlSD_SE_SE_EEEEZNS1_13binary_searchIS3_S5_NSA_INS8_10device_ptrIxEEEESG_SI_NS1_21upper_bound_search_opENS9_16wrapped_functionINS8_6system6detail7generic6detail18binary_search_lessEbEEEE10hipError_tPvRmT1_T2_T3_mmT4_T5_P12ihipStream_tbEUlRKxE_EESV_SZ_S10_mS11_S14_bEUlT_E_NS1_11comp_targetILNS1_3genE3ELNS1_11target_archE908ELNS1_3gpuE7ELNS1_3repE0EEENS1_30default_config_static_selectorELNS0_4arch9wavefront6targetE0EEEvSY_ ; -- Begin function _ZN7rocprim17ROCPRIM_400000_NS6detail17trampoline_kernelINS0_14default_configENS1_27upper_bound_config_selectorIxlEEZNS1_14transform_implILb0ES3_S5_N6thrust23THRUST_200600_302600_NS6detail15normal_iteratorINS8_7pointerIxNS8_11hip_rocprim5par_tENS8_11use_defaultESE_EEEENSA_INSB_IlSD_SE_SE_EEEEZNS1_13binary_searchIS3_S5_NSA_INS8_10device_ptrIxEEEESG_SI_NS1_21upper_bound_search_opENS9_16wrapped_functionINS8_6system6detail7generic6detail18binary_search_lessEbEEEE10hipError_tPvRmT1_T2_T3_mmT4_T5_P12ihipStream_tbEUlRKxE_EESV_SZ_S10_mS11_S14_bEUlT_E_NS1_11comp_targetILNS1_3genE3ELNS1_11target_archE908ELNS1_3gpuE7ELNS1_3repE0EEENS1_30default_config_static_selectorELNS0_4arch9wavefront6targetE0EEEvSY_
	.globl	_ZN7rocprim17ROCPRIM_400000_NS6detail17trampoline_kernelINS0_14default_configENS1_27upper_bound_config_selectorIxlEEZNS1_14transform_implILb0ES3_S5_N6thrust23THRUST_200600_302600_NS6detail15normal_iteratorINS8_7pointerIxNS8_11hip_rocprim5par_tENS8_11use_defaultESE_EEEENSA_INSB_IlSD_SE_SE_EEEEZNS1_13binary_searchIS3_S5_NSA_INS8_10device_ptrIxEEEESG_SI_NS1_21upper_bound_search_opENS9_16wrapped_functionINS8_6system6detail7generic6detail18binary_search_lessEbEEEE10hipError_tPvRmT1_T2_T3_mmT4_T5_P12ihipStream_tbEUlRKxE_EESV_SZ_S10_mS11_S14_bEUlT_E_NS1_11comp_targetILNS1_3genE3ELNS1_11target_archE908ELNS1_3gpuE7ELNS1_3repE0EEENS1_30default_config_static_selectorELNS0_4arch9wavefront6targetE0EEEvSY_
	.p2align	8
	.type	_ZN7rocprim17ROCPRIM_400000_NS6detail17trampoline_kernelINS0_14default_configENS1_27upper_bound_config_selectorIxlEEZNS1_14transform_implILb0ES3_S5_N6thrust23THRUST_200600_302600_NS6detail15normal_iteratorINS8_7pointerIxNS8_11hip_rocprim5par_tENS8_11use_defaultESE_EEEENSA_INSB_IlSD_SE_SE_EEEEZNS1_13binary_searchIS3_S5_NSA_INS8_10device_ptrIxEEEESG_SI_NS1_21upper_bound_search_opENS9_16wrapped_functionINS8_6system6detail7generic6detail18binary_search_lessEbEEEE10hipError_tPvRmT1_T2_T3_mmT4_T5_P12ihipStream_tbEUlRKxE_EESV_SZ_S10_mS11_S14_bEUlT_E_NS1_11comp_targetILNS1_3genE3ELNS1_11target_archE908ELNS1_3gpuE7ELNS1_3repE0EEENS1_30default_config_static_selectorELNS0_4arch9wavefront6targetE0EEEvSY_,@function
_ZN7rocprim17ROCPRIM_400000_NS6detail17trampoline_kernelINS0_14default_configENS1_27upper_bound_config_selectorIxlEEZNS1_14transform_implILb0ES3_S5_N6thrust23THRUST_200600_302600_NS6detail15normal_iteratorINS8_7pointerIxNS8_11hip_rocprim5par_tENS8_11use_defaultESE_EEEENSA_INSB_IlSD_SE_SE_EEEEZNS1_13binary_searchIS3_S5_NSA_INS8_10device_ptrIxEEEESG_SI_NS1_21upper_bound_search_opENS9_16wrapped_functionINS8_6system6detail7generic6detail18binary_search_lessEbEEEE10hipError_tPvRmT1_T2_T3_mmT4_T5_P12ihipStream_tbEUlRKxE_EESV_SZ_S10_mS11_S14_bEUlT_E_NS1_11comp_targetILNS1_3genE3ELNS1_11target_archE908ELNS1_3gpuE7ELNS1_3repE0EEENS1_30default_config_static_selectorELNS0_4arch9wavefront6targetE0EEEvSY_: ; @_ZN7rocprim17ROCPRIM_400000_NS6detail17trampoline_kernelINS0_14default_configENS1_27upper_bound_config_selectorIxlEEZNS1_14transform_implILb0ES3_S5_N6thrust23THRUST_200600_302600_NS6detail15normal_iteratorINS8_7pointerIxNS8_11hip_rocprim5par_tENS8_11use_defaultESE_EEEENSA_INSB_IlSD_SE_SE_EEEEZNS1_13binary_searchIS3_S5_NSA_INS8_10device_ptrIxEEEESG_SI_NS1_21upper_bound_search_opENS9_16wrapped_functionINS8_6system6detail7generic6detail18binary_search_lessEbEEEE10hipError_tPvRmT1_T2_T3_mmT4_T5_P12ihipStream_tbEUlRKxE_EESV_SZ_S10_mS11_S14_bEUlT_E_NS1_11comp_targetILNS1_3genE3ELNS1_11target_archE908ELNS1_3gpuE7ELNS1_3repE0EEENS1_30default_config_static_selectorELNS0_4arch9wavefront6targetE0EEEvSY_
; %bb.0:
	.section	.rodata,"a",@progbits
	.p2align	6, 0x0
	.amdhsa_kernel _ZN7rocprim17ROCPRIM_400000_NS6detail17trampoline_kernelINS0_14default_configENS1_27upper_bound_config_selectorIxlEEZNS1_14transform_implILb0ES3_S5_N6thrust23THRUST_200600_302600_NS6detail15normal_iteratorINS8_7pointerIxNS8_11hip_rocprim5par_tENS8_11use_defaultESE_EEEENSA_INSB_IlSD_SE_SE_EEEEZNS1_13binary_searchIS3_S5_NSA_INS8_10device_ptrIxEEEESG_SI_NS1_21upper_bound_search_opENS9_16wrapped_functionINS8_6system6detail7generic6detail18binary_search_lessEbEEEE10hipError_tPvRmT1_T2_T3_mmT4_T5_P12ihipStream_tbEUlRKxE_EESV_SZ_S10_mS11_S14_bEUlT_E_NS1_11comp_targetILNS1_3genE3ELNS1_11target_archE908ELNS1_3gpuE7ELNS1_3repE0EEENS1_30default_config_static_selectorELNS0_4arch9wavefront6targetE0EEEvSY_
		.amdhsa_group_segment_fixed_size 0
		.amdhsa_private_segment_fixed_size 0
		.amdhsa_kernarg_size 56
		.amdhsa_user_sgpr_count 6
		.amdhsa_user_sgpr_private_segment_buffer 1
		.amdhsa_user_sgpr_dispatch_ptr 0
		.amdhsa_user_sgpr_queue_ptr 0
		.amdhsa_user_sgpr_kernarg_segment_ptr 1
		.amdhsa_user_sgpr_dispatch_id 0
		.amdhsa_user_sgpr_flat_scratch_init 0
		.amdhsa_user_sgpr_private_segment_size 0
		.amdhsa_wavefront_size32 1
		.amdhsa_uses_dynamic_stack 0
		.amdhsa_system_sgpr_private_segment_wavefront_offset 0
		.amdhsa_system_sgpr_workgroup_id_x 1
		.amdhsa_system_sgpr_workgroup_id_y 0
		.amdhsa_system_sgpr_workgroup_id_z 0
		.amdhsa_system_sgpr_workgroup_info 0
		.amdhsa_system_vgpr_workitem_id 0
		.amdhsa_next_free_vgpr 1
		.amdhsa_next_free_sgpr 1
		.amdhsa_reserve_vcc 0
		.amdhsa_reserve_flat_scratch 0
		.amdhsa_float_round_mode_32 0
		.amdhsa_float_round_mode_16_64 0
		.amdhsa_float_denorm_mode_32 3
		.amdhsa_float_denorm_mode_16_64 3
		.amdhsa_dx10_clamp 1
		.amdhsa_ieee_mode 1
		.amdhsa_fp16_overflow 0
		.amdhsa_workgroup_processor_mode 1
		.amdhsa_memory_ordered 1
		.amdhsa_forward_progress 1
		.amdhsa_shared_vgpr_count 0
		.amdhsa_exception_fp_ieee_invalid_op 0
		.amdhsa_exception_fp_denorm_src 0
		.amdhsa_exception_fp_ieee_div_zero 0
		.amdhsa_exception_fp_ieee_overflow 0
		.amdhsa_exception_fp_ieee_underflow 0
		.amdhsa_exception_fp_ieee_inexact 0
		.amdhsa_exception_int_div_zero 0
	.end_amdhsa_kernel
	.section	.text._ZN7rocprim17ROCPRIM_400000_NS6detail17trampoline_kernelINS0_14default_configENS1_27upper_bound_config_selectorIxlEEZNS1_14transform_implILb0ES3_S5_N6thrust23THRUST_200600_302600_NS6detail15normal_iteratorINS8_7pointerIxNS8_11hip_rocprim5par_tENS8_11use_defaultESE_EEEENSA_INSB_IlSD_SE_SE_EEEEZNS1_13binary_searchIS3_S5_NSA_INS8_10device_ptrIxEEEESG_SI_NS1_21upper_bound_search_opENS9_16wrapped_functionINS8_6system6detail7generic6detail18binary_search_lessEbEEEE10hipError_tPvRmT1_T2_T3_mmT4_T5_P12ihipStream_tbEUlRKxE_EESV_SZ_S10_mS11_S14_bEUlT_E_NS1_11comp_targetILNS1_3genE3ELNS1_11target_archE908ELNS1_3gpuE7ELNS1_3repE0EEENS1_30default_config_static_selectorELNS0_4arch9wavefront6targetE0EEEvSY_,"axG",@progbits,_ZN7rocprim17ROCPRIM_400000_NS6detail17trampoline_kernelINS0_14default_configENS1_27upper_bound_config_selectorIxlEEZNS1_14transform_implILb0ES3_S5_N6thrust23THRUST_200600_302600_NS6detail15normal_iteratorINS8_7pointerIxNS8_11hip_rocprim5par_tENS8_11use_defaultESE_EEEENSA_INSB_IlSD_SE_SE_EEEEZNS1_13binary_searchIS3_S5_NSA_INS8_10device_ptrIxEEEESG_SI_NS1_21upper_bound_search_opENS9_16wrapped_functionINS8_6system6detail7generic6detail18binary_search_lessEbEEEE10hipError_tPvRmT1_T2_T3_mmT4_T5_P12ihipStream_tbEUlRKxE_EESV_SZ_S10_mS11_S14_bEUlT_E_NS1_11comp_targetILNS1_3genE3ELNS1_11target_archE908ELNS1_3gpuE7ELNS1_3repE0EEENS1_30default_config_static_selectorELNS0_4arch9wavefront6targetE0EEEvSY_,comdat
.Lfunc_end566:
	.size	_ZN7rocprim17ROCPRIM_400000_NS6detail17trampoline_kernelINS0_14default_configENS1_27upper_bound_config_selectorIxlEEZNS1_14transform_implILb0ES3_S5_N6thrust23THRUST_200600_302600_NS6detail15normal_iteratorINS8_7pointerIxNS8_11hip_rocprim5par_tENS8_11use_defaultESE_EEEENSA_INSB_IlSD_SE_SE_EEEEZNS1_13binary_searchIS3_S5_NSA_INS8_10device_ptrIxEEEESG_SI_NS1_21upper_bound_search_opENS9_16wrapped_functionINS8_6system6detail7generic6detail18binary_search_lessEbEEEE10hipError_tPvRmT1_T2_T3_mmT4_T5_P12ihipStream_tbEUlRKxE_EESV_SZ_S10_mS11_S14_bEUlT_E_NS1_11comp_targetILNS1_3genE3ELNS1_11target_archE908ELNS1_3gpuE7ELNS1_3repE0EEENS1_30default_config_static_selectorELNS0_4arch9wavefront6targetE0EEEvSY_, .Lfunc_end566-_ZN7rocprim17ROCPRIM_400000_NS6detail17trampoline_kernelINS0_14default_configENS1_27upper_bound_config_selectorIxlEEZNS1_14transform_implILb0ES3_S5_N6thrust23THRUST_200600_302600_NS6detail15normal_iteratorINS8_7pointerIxNS8_11hip_rocprim5par_tENS8_11use_defaultESE_EEEENSA_INSB_IlSD_SE_SE_EEEEZNS1_13binary_searchIS3_S5_NSA_INS8_10device_ptrIxEEEESG_SI_NS1_21upper_bound_search_opENS9_16wrapped_functionINS8_6system6detail7generic6detail18binary_search_lessEbEEEE10hipError_tPvRmT1_T2_T3_mmT4_T5_P12ihipStream_tbEUlRKxE_EESV_SZ_S10_mS11_S14_bEUlT_E_NS1_11comp_targetILNS1_3genE3ELNS1_11target_archE908ELNS1_3gpuE7ELNS1_3repE0EEENS1_30default_config_static_selectorELNS0_4arch9wavefront6targetE0EEEvSY_
                                        ; -- End function
	.set _ZN7rocprim17ROCPRIM_400000_NS6detail17trampoline_kernelINS0_14default_configENS1_27upper_bound_config_selectorIxlEEZNS1_14transform_implILb0ES3_S5_N6thrust23THRUST_200600_302600_NS6detail15normal_iteratorINS8_7pointerIxNS8_11hip_rocprim5par_tENS8_11use_defaultESE_EEEENSA_INSB_IlSD_SE_SE_EEEEZNS1_13binary_searchIS3_S5_NSA_INS8_10device_ptrIxEEEESG_SI_NS1_21upper_bound_search_opENS9_16wrapped_functionINS8_6system6detail7generic6detail18binary_search_lessEbEEEE10hipError_tPvRmT1_T2_T3_mmT4_T5_P12ihipStream_tbEUlRKxE_EESV_SZ_S10_mS11_S14_bEUlT_E_NS1_11comp_targetILNS1_3genE3ELNS1_11target_archE908ELNS1_3gpuE7ELNS1_3repE0EEENS1_30default_config_static_selectorELNS0_4arch9wavefront6targetE0EEEvSY_.num_vgpr, 0
	.set _ZN7rocprim17ROCPRIM_400000_NS6detail17trampoline_kernelINS0_14default_configENS1_27upper_bound_config_selectorIxlEEZNS1_14transform_implILb0ES3_S5_N6thrust23THRUST_200600_302600_NS6detail15normal_iteratorINS8_7pointerIxNS8_11hip_rocprim5par_tENS8_11use_defaultESE_EEEENSA_INSB_IlSD_SE_SE_EEEEZNS1_13binary_searchIS3_S5_NSA_INS8_10device_ptrIxEEEESG_SI_NS1_21upper_bound_search_opENS9_16wrapped_functionINS8_6system6detail7generic6detail18binary_search_lessEbEEEE10hipError_tPvRmT1_T2_T3_mmT4_T5_P12ihipStream_tbEUlRKxE_EESV_SZ_S10_mS11_S14_bEUlT_E_NS1_11comp_targetILNS1_3genE3ELNS1_11target_archE908ELNS1_3gpuE7ELNS1_3repE0EEENS1_30default_config_static_selectorELNS0_4arch9wavefront6targetE0EEEvSY_.num_agpr, 0
	.set _ZN7rocprim17ROCPRIM_400000_NS6detail17trampoline_kernelINS0_14default_configENS1_27upper_bound_config_selectorIxlEEZNS1_14transform_implILb0ES3_S5_N6thrust23THRUST_200600_302600_NS6detail15normal_iteratorINS8_7pointerIxNS8_11hip_rocprim5par_tENS8_11use_defaultESE_EEEENSA_INSB_IlSD_SE_SE_EEEEZNS1_13binary_searchIS3_S5_NSA_INS8_10device_ptrIxEEEESG_SI_NS1_21upper_bound_search_opENS9_16wrapped_functionINS8_6system6detail7generic6detail18binary_search_lessEbEEEE10hipError_tPvRmT1_T2_T3_mmT4_T5_P12ihipStream_tbEUlRKxE_EESV_SZ_S10_mS11_S14_bEUlT_E_NS1_11comp_targetILNS1_3genE3ELNS1_11target_archE908ELNS1_3gpuE7ELNS1_3repE0EEENS1_30default_config_static_selectorELNS0_4arch9wavefront6targetE0EEEvSY_.numbered_sgpr, 0
	.set _ZN7rocprim17ROCPRIM_400000_NS6detail17trampoline_kernelINS0_14default_configENS1_27upper_bound_config_selectorIxlEEZNS1_14transform_implILb0ES3_S5_N6thrust23THRUST_200600_302600_NS6detail15normal_iteratorINS8_7pointerIxNS8_11hip_rocprim5par_tENS8_11use_defaultESE_EEEENSA_INSB_IlSD_SE_SE_EEEEZNS1_13binary_searchIS3_S5_NSA_INS8_10device_ptrIxEEEESG_SI_NS1_21upper_bound_search_opENS9_16wrapped_functionINS8_6system6detail7generic6detail18binary_search_lessEbEEEE10hipError_tPvRmT1_T2_T3_mmT4_T5_P12ihipStream_tbEUlRKxE_EESV_SZ_S10_mS11_S14_bEUlT_E_NS1_11comp_targetILNS1_3genE3ELNS1_11target_archE908ELNS1_3gpuE7ELNS1_3repE0EEENS1_30default_config_static_selectorELNS0_4arch9wavefront6targetE0EEEvSY_.num_named_barrier, 0
	.set _ZN7rocprim17ROCPRIM_400000_NS6detail17trampoline_kernelINS0_14default_configENS1_27upper_bound_config_selectorIxlEEZNS1_14transform_implILb0ES3_S5_N6thrust23THRUST_200600_302600_NS6detail15normal_iteratorINS8_7pointerIxNS8_11hip_rocprim5par_tENS8_11use_defaultESE_EEEENSA_INSB_IlSD_SE_SE_EEEEZNS1_13binary_searchIS3_S5_NSA_INS8_10device_ptrIxEEEESG_SI_NS1_21upper_bound_search_opENS9_16wrapped_functionINS8_6system6detail7generic6detail18binary_search_lessEbEEEE10hipError_tPvRmT1_T2_T3_mmT4_T5_P12ihipStream_tbEUlRKxE_EESV_SZ_S10_mS11_S14_bEUlT_E_NS1_11comp_targetILNS1_3genE3ELNS1_11target_archE908ELNS1_3gpuE7ELNS1_3repE0EEENS1_30default_config_static_selectorELNS0_4arch9wavefront6targetE0EEEvSY_.private_seg_size, 0
	.set _ZN7rocprim17ROCPRIM_400000_NS6detail17trampoline_kernelINS0_14default_configENS1_27upper_bound_config_selectorIxlEEZNS1_14transform_implILb0ES3_S5_N6thrust23THRUST_200600_302600_NS6detail15normal_iteratorINS8_7pointerIxNS8_11hip_rocprim5par_tENS8_11use_defaultESE_EEEENSA_INSB_IlSD_SE_SE_EEEEZNS1_13binary_searchIS3_S5_NSA_INS8_10device_ptrIxEEEESG_SI_NS1_21upper_bound_search_opENS9_16wrapped_functionINS8_6system6detail7generic6detail18binary_search_lessEbEEEE10hipError_tPvRmT1_T2_T3_mmT4_T5_P12ihipStream_tbEUlRKxE_EESV_SZ_S10_mS11_S14_bEUlT_E_NS1_11comp_targetILNS1_3genE3ELNS1_11target_archE908ELNS1_3gpuE7ELNS1_3repE0EEENS1_30default_config_static_selectorELNS0_4arch9wavefront6targetE0EEEvSY_.uses_vcc, 0
	.set _ZN7rocprim17ROCPRIM_400000_NS6detail17trampoline_kernelINS0_14default_configENS1_27upper_bound_config_selectorIxlEEZNS1_14transform_implILb0ES3_S5_N6thrust23THRUST_200600_302600_NS6detail15normal_iteratorINS8_7pointerIxNS8_11hip_rocprim5par_tENS8_11use_defaultESE_EEEENSA_INSB_IlSD_SE_SE_EEEEZNS1_13binary_searchIS3_S5_NSA_INS8_10device_ptrIxEEEESG_SI_NS1_21upper_bound_search_opENS9_16wrapped_functionINS8_6system6detail7generic6detail18binary_search_lessEbEEEE10hipError_tPvRmT1_T2_T3_mmT4_T5_P12ihipStream_tbEUlRKxE_EESV_SZ_S10_mS11_S14_bEUlT_E_NS1_11comp_targetILNS1_3genE3ELNS1_11target_archE908ELNS1_3gpuE7ELNS1_3repE0EEENS1_30default_config_static_selectorELNS0_4arch9wavefront6targetE0EEEvSY_.uses_flat_scratch, 0
	.set _ZN7rocprim17ROCPRIM_400000_NS6detail17trampoline_kernelINS0_14default_configENS1_27upper_bound_config_selectorIxlEEZNS1_14transform_implILb0ES3_S5_N6thrust23THRUST_200600_302600_NS6detail15normal_iteratorINS8_7pointerIxNS8_11hip_rocprim5par_tENS8_11use_defaultESE_EEEENSA_INSB_IlSD_SE_SE_EEEEZNS1_13binary_searchIS3_S5_NSA_INS8_10device_ptrIxEEEESG_SI_NS1_21upper_bound_search_opENS9_16wrapped_functionINS8_6system6detail7generic6detail18binary_search_lessEbEEEE10hipError_tPvRmT1_T2_T3_mmT4_T5_P12ihipStream_tbEUlRKxE_EESV_SZ_S10_mS11_S14_bEUlT_E_NS1_11comp_targetILNS1_3genE3ELNS1_11target_archE908ELNS1_3gpuE7ELNS1_3repE0EEENS1_30default_config_static_selectorELNS0_4arch9wavefront6targetE0EEEvSY_.has_dyn_sized_stack, 0
	.set _ZN7rocprim17ROCPRIM_400000_NS6detail17trampoline_kernelINS0_14default_configENS1_27upper_bound_config_selectorIxlEEZNS1_14transform_implILb0ES3_S5_N6thrust23THRUST_200600_302600_NS6detail15normal_iteratorINS8_7pointerIxNS8_11hip_rocprim5par_tENS8_11use_defaultESE_EEEENSA_INSB_IlSD_SE_SE_EEEEZNS1_13binary_searchIS3_S5_NSA_INS8_10device_ptrIxEEEESG_SI_NS1_21upper_bound_search_opENS9_16wrapped_functionINS8_6system6detail7generic6detail18binary_search_lessEbEEEE10hipError_tPvRmT1_T2_T3_mmT4_T5_P12ihipStream_tbEUlRKxE_EESV_SZ_S10_mS11_S14_bEUlT_E_NS1_11comp_targetILNS1_3genE3ELNS1_11target_archE908ELNS1_3gpuE7ELNS1_3repE0EEENS1_30default_config_static_selectorELNS0_4arch9wavefront6targetE0EEEvSY_.has_recursion, 0
	.set _ZN7rocprim17ROCPRIM_400000_NS6detail17trampoline_kernelINS0_14default_configENS1_27upper_bound_config_selectorIxlEEZNS1_14transform_implILb0ES3_S5_N6thrust23THRUST_200600_302600_NS6detail15normal_iteratorINS8_7pointerIxNS8_11hip_rocprim5par_tENS8_11use_defaultESE_EEEENSA_INSB_IlSD_SE_SE_EEEEZNS1_13binary_searchIS3_S5_NSA_INS8_10device_ptrIxEEEESG_SI_NS1_21upper_bound_search_opENS9_16wrapped_functionINS8_6system6detail7generic6detail18binary_search_lessEbEEEE10hipError_tPvRmT1_T2_T3_mmT4_T5_P12ihipStream_tbEUlRKxE_EESV_SZ_S10_mS11_S14_bEUlT_E_NS1_11comp_targetILNS1_3genE3ELNS1_11target_archE908ELNS1_3gpuE7ELNS1_3repE0EEENS1_30default_config_static_selectorELNS0_4arch9wavefront6targetE0EEEvSY_.has_indirect_call, 0
	.section	.AMDGPU.csdata,"",@progbits
; Kernel info:
; codeLenInByte = 0
; TotalNumSgprs: 0
; NumVgprs: 0
; ScratchSize: 0
; MemoryBound: 0
; FloatMode: 240
; IeeeMode: 1
; LDSByteSize: 0 bytes/workgroup (compile time only)
; SGPRBlocks: 0
; VGPRBlocks: 0
; NumSGPRsForWavesPerEU: 1
; NumVGPRsForWavesPerEU: 1
; Occupancy: 16
; WaveLimiterHint : 0
; COMPUTE_PGM_RSRC2:SCRATCH_EN: 0
; COMPUTE_PGM_RSRC2:USER_SGPR: 6
; COMPUTE_PGM_RSRC2:TRAP_HANDLER: 0
; COMPUTE_PGM_RSRC2:TGID_X_EN: 1
; COMPUTE_PGM_RSRC2:TGID_Y_EN: 0
; COMPUTE_PGM_RSRC2:TGID_Z_EN: 0
; COMPUTE_PGM_RSRC2:TIDIG_COMP_CNT: 0
	.section	.text._ZN7rocprim17ROCPRIM_400000_NS6detail17trampoline_kernelINS0_14default_configENS1_27upper_bound_config_selectorIxlEEZNS1_14transform_implILb0ES3_S5_N6thrust23THRUST_200600_302600_NS6detail15normal_iteratorINS8_7pointerIxNS8_11hip_rocprim5par_tENS8_11use_defaultESE_EEEENSA_INSB_IlSD_SE_SE_EEEEZNS1_13binary_searchIS3_S5_NSA_INS8_10device_ptrIxEEEESG_SI_NS1_21upper_bound_search_opENS9_16wrapped_functionINS8_6system6detail7generic6detail18binary_search_lessEbEEEE10hipError_tPvRmT1_T2_T3_mmT4_T5_P12ihipStream_tbEUlRKxE_EESV_SZ_S10_mS11_S14_bEUlT_E_NS1_11comp_targetILNS1_3genE2ELNS1_11target_archE906ELNS1_3gpuE6ELNS1_3repE0EEENS1_30default_config_static_selectorELNS0_4arch9wavefront6targetE0EEEvSY_,"axG",@progbits,_ZN7rocprim17ROCPRIM_400000_NS6detail17trampoline_kernelINS0_14default_configENS1_27upper_bound_config_selectorIxlEEZNS1_14transform_implILb0ES3_S5_N6thrust23THRUST_200600_302600_NS6detail15normal_iteratorINS8_7pointerIxNS8_11hip_rocprim5par_tENS8_11use_defaultESE_EEEENSA_INSB_IlSD_SE_SE_EEEEZNS1_13binary_searchIS3_S5_NSA_INS8_10device_ptrIxEEEESG_SI_NS1_21upper_bound_search_opENS9_16wrapped_functionINS8_6system6detail7generic6detail18binary_search_lessEbEEEE10hipError_tPvRmT1_T2_T3_mmT4_T5_P12ihipStream_tbEUlRKxE_EESV_SZ_S10_mS11_S14_bEUlT_E_NS1_11comp_targetILNS1_3genE2ELNS1_11target_archE906ELNS1_3gpuE6ELNS1_3repE0EEENS1_30default_config_static_selectorELNS0_4arch9wavefront6targetE0EEEvSY_,comdat
	.protected	_ZN7rocprim17ROCPRIM_400000_NS6detail17trampoline_kernelINS0_14default_configENS1_27upper_bound_config_selectorIxlEEZNS1_14transform_implILb0ES3_S5_N6thrust23THRUST_200600_302600_NS6detail15normal_iteratorINS8_7pointerIxNS8_11hip_rocprim5par_tENS8_11use_defaultESE_EEEENSA_INSB_IlSD_SE_SE_EEEEZNS1_13binary_searchIS3_S5_NSA_INS8_10device_ptrIxEEEESG_SI_NS1_21upper_bound_search_opENS9_16wrapped_functionINS8_6system6detail7generic6detail18binary_search_lessEbEEEE10hipError_tPvRmT1_T2_T3_mmT4_T5_P12ihipStream_tbEUlRKxE_EESV_SZ_S10_mS11_S14_bEUlT_E_NS1_11comp_targetILNS1_3genE2ELNS1_11target_archE906ELNS1_3gpuE6ELNS1_3repE0EEENS1_30default_config_static_selectorELNS0_4arch9wavefront6targetE0EEEvSY_ ; -- Begin function _ZN7rocprim17ROCPRIM_400000_NS6detail17trampoline_kernelINS0_14default_configENS1_27upper_bound_config_selectorIxlEEZNS1_14transform_implILb0ES3_S5_N6thrust23THRUST_200600_302600_NS6detail15normal_iteratorINS8_7pointerIxNS8_11hip_rocprim5par_tENS8_11use_defaultESE_EEEENSA_INSB_IlSD_SE_SE_EEEEZNS1_13binary_searchIS3_S5_NSA_INS8_10device_ptrIxEEEESG_SI_NS1_21upper_bound_search_opENS9_16wrapped_functionINS8_6system6detail7generic6detail18binary_search_lessEbEEEE10hipError_tPvRmT1_T2_T3_mmT4_T5_P12ihipStream_tbEUlRKxE_EESV_SZ_S10_mS11_S14_bEUlT_E_NS1_11comp_targetILNS1_3genE2ELNS1_11target_archE906ELNS1_3gpuE6ELNS1_3repE0EEENS1_30default_config_static_selectorELNS0_4arch9wavefront6targetE0EEEvSY_
	.globl	_ZN7rocprim17ROCPRIM_400000_NS6detail17trampoline_kernelINS0_14default_configENS1_27upper_bound_config_selectorIxlEEZNS1_14transform_implILb0ES3_S5_N6thrust23THRUST_200600_302600_NS6detail15normal_iteratorINS8_7pointerIxNS8_11hip_rocprim5par_tENS8_11use_defaultESE_EEEENSA_INSB_IlSD_SE_SE_EEEEZNS1_13binary_searchIS3_S5_NSA_INS8_10device_ptrIxEEEESG_SI_NS1_21upper_bound_search_opENS9_16wrapped_functionINS8_6system6detail7generic6detail18binary_search_lessEbEEEE10hipError_tPvRmT1_T2_T3_mmT4_T5_P12ihipStream_tbEUlRKxE_EESV_SZ_S10_mS11_S14_bEUlT_E_NS1_11comp_targetILNS1_3genE2ELNS1_11target_archE906ELNS1_3gpuE6ELNS1_3repE0EEENS1_30default_config_static_selectorELNS0_4arch9wavefront6targetE0EEEvSY_
	.p2align	8
	.type	_ZN7rocprim17ROCPRIM_400000_NS6detail17trampoline_kernelINS0_14default_configENS1_27upper_bound_config_selectorIxlEEZNS1_14transform_implILb0ES3_S5_N6thrust23THRUST_200600_302600_NS6detail15normal_iteratorINS8_7pointerIxNS8_11hip_rocprim5par_tENS8_11use_defaultESE_EEEENSA_INSB_IlSD_SE_SE_EEEEZNS1_13binary_searchIS3_S5_NSA_INS8_10device_ptrIxEEEESG_SI_NS1_21upper_bound_search_opENS9_16wrapped_functionINS8_6system6detail7generic6detail18binary_search_lessEbEEEE10hipError_tPvRmT1_T2_T3_mmT4_T5_P12ihipStream_tbEUlRKxE_EESV_SZ_S10_mS11_S14_bEUlT_E_NS1_11comp_targetILNS1_3genE2ELNS1_11target_archE906ELNS1_3gpuE6ELNS1_3repE0EEENS1_30default_config_static_selectorELNS0_4arch9wavefront6targetE0EEEvSY_,@function
_ZN7rocprim17ROCPRIM_400000_NS6detail17trampoline_kernelINS0_14default_configENS1_27upper_bound_config_selectorIxlEEZNS1_14transform_implILb0ES3_S5_N6thrust23THRUST_200600_302600_NS6detail15normal_iteratorINS8_7pointerIxNS8_11hip_rocprim5par_tENS8_11use_defaultESE_EEEENSA_INSB_IlSD_SE_SE_EEEEZNS1_13binary_searchIS3_S5_NSA_INS8_10device_ptrIxEEEESG_SI_NS1_21upper_bound_search_opENS9_16wrapped_functionINS8_6system6detail7generic6detail18binary_search_lessEbEEEE10hipError_tPvRmT1_T2_T3_mmT4_T5_P12ihipStream_tbEUlRKxE_EESV_SZ_S10_mS11_S14_bEUlT_E_NS1_11comp_targetILNS1_3genE2ELNS1_11target_archE906ELNS1_3gpuE6ELNS1_3repE0EEENS1_30default_config_static_selectorELNS0_4arch9wavefront6targetE0EEEvSY_: ; @_ZN7rocprim17ROCPRIM_400000_NS6detail17trampoline_kernelINS0_14default_configENS1_27upper_bound_config_selectorIxlEEZNS1_14transform_implILb0ES3_S5_N6thrust23THRUST_200600_302600_NS6detail15normal_iteratorINS8_7pointerIxNS8_11hip_rocprim5par_tENS8_11use_defaultESE_EEEENSA_INSB_IlSD_SE_SE_EEEEZNS1_13binary_searchIS3_S5_NSA_INS8_10device_ptrIxEEEESG_SI_NS1_21upper_bound_search_opENS9_16wrapped_functionINS8_6system6detail7generic6detail18binary_search_lessEbEEEE10hipError_tPvRmT1_T2_T3_mmT4_T5_P12ihipStream_tbEUlRKxE_EESV_SZ_S10_mS11_S14_bEUlT_E_NS1_11comp_targetILNS1_3genE2ELNS1_11target_archE906ELNS1_3gpuE6ELNS1_3repE0EEENS1_30default_config_static_selectorELNS0_4arch9wavefront6targetE0EEEvSY_
; %bb.0:
	.section	.rodata,"a",@progbits
	.p2align	6, 0x0
	.amdhsa_kernel _ZN7rocprim17ROCPRIM_400000_NS6detail17trampoline_kernelINS0_14default_configENS1_27upper_bound_config_selectorIxlEEZNS1_14transform_implILb0ES3_S5_N6thrust23THRUST_200600_302600_NS6detail15normal_iteratorINS8_7pointerIxNS8_11hip_rocprim5par_tENS8_11use_defaultESE_EEEENSA_INSB_IlSD_SE_SE_EEEEZNS1_13binary_searchIS3_S5_NSA_INS8_10device_ptrIxEEEESG_SI_NS1_21upper_bound_search_opENS9_16wrapped_functionINS8_6system6detail7generic6detail18binary_search_lessEbEEEE10hipError_tPvRmT1_T2_T3_mmT4_T5_P12ihipStream_tbEUlRKxE_EESV_SZ_S10_mS11_S14_bEUlT_E_NS1_11comp_targetILNS1_3genE2ELNS1_11target_archE906ELNS1_3gpuE6ELNS1_3repE0EEENS1_30default_config_static_selectorELNS0_4arch9wavefront6targetE0EEEvSY_
		.amdhsa_group_segment_fixed_size 0
		.amdhsa_private_segment_fixed_size 0
		.amdhsa_kernarg_size 56
		.amdhsa_user_sgpr_count 6
		.amdhsa_user_sgpr_private_segment_buffer 1
		.amdhsa_user_sgpr_dispatch_ptr 0
		.amdhsa_user_sgpr_queue_ptr 0
		.amdhsa_user_sgpr_kernarg_segment_ptr 1
		.amdhsa_user_sgpr_dispatch_id 0
		.amdhsa_user_sgpr_flat_scratch_init 0
		.amdhsa_user_sgpr_private_segment_size 0
		.amdhsa_wavefront_size32 1
		.amdhsa_uses_dynamic_stack 0
		.amdhsa_system_sgpr_private_segment_wavefront_offset 0
		.amdhsa_system_sgpr_workgroup_id_x 1
		.amdhsa_system_sgpr_workgroup_id_y 0
		.amdhsa_system_sgpr_workgroup_id_z 0
		.amdhsa_system_sgpr_workgroup_info 0
		.amdhsa_system_vgpr_workitem_id 0
		.amdhsa_next_free_vgpr 1
		.amdhsa_next_free_sgpr 1
		.amdhsa_reserve_vcc 0
		.amdhsa_reserve_flat_scratch 0
		.amdhsa_float_round_mode_32 0
		.amdhsa_float_round_mode_16_64 0
		.amdhsa_float_denorm_mode_32 3
		.amdhsa_float_denorm_mode_16_64 3
		.amdhsa_dx10_clamp 1
		.amdhsa_ieee_mode 1
		.amdhsa_fp16_overflow 0
		.amdhsa_workgroup_processor_mode 1
		.amdhsa_memory_ordered 1
		.amdhsa_forward_progress 1
		.amdhsa_shared_vgpr_count 0
		.amdhsa_exception_fp_ieee_invalid_op 0
		.amdhsa_exception_fp_denorm_src 0
		.amdhsa_exception_fp_ieee_div_zero 0
		.amdhsa_exception_fp_ieee_overflow 0
		.amdhsa_exception_fp_ieee_underflow 0
		.amdhsa_exception_fp_ieee_inexact 0
		.amdhsa_exception_int_div_zero 0
	.end_amdhsa_kernel
	.section	.text._ZN7rocprim17ROCPRIM_400000_NS6detail17trampoline_kernelINS0_14default_configENS1_27upper_bound_config_selectorIxlEEZNS1_14transform_implILb0ES3_S5_N6thrust23THRUST_200600_302600_NS6detail15normal_iteratorINS8_7pointerIxNS8_11hip_rocprim5par_tENS8_11use_defaultESE_EEEENSA_INSB_IlSD_SE_SE_EEEEZNS1_13binary_searchIS3_S5_NSA_INS8_10device_ptrIxEEEESG_SI_NS1_21upper_bound_search_opENS9_16wrapped_functionINS8_6system6detail7generic6detail18binary_search_lessEbEEEE10hipError_tPvRmT1_T2_T3_mmT4_T5_P12ihipStream_tbEUlRKxE_EESV_SZ_S10_mS11_S14_bEUlT_E_NS1_11comp_targetILNS1_3genE2ELNS1_11target_archE906ELNS1_3gpuE6ELNS1_3repE0EEENS1_30default_config_static_selectorELNS0_4arch9wavefront6targetE0EEEvSY_,"axG",@progbits,_ZN7rocprim17ROCPRIM_400000_NS6detail17trampoline_kernelINS0_14default_configENS1_27upper_bound_config_selectorIxlEEZNS1_14transform_implILb0ES3_S5_N6thrust23THRUST_200600_302600_NS6detail15normal_iteratorINS8_7pointerIxNS8_11hip_rocprim5par_tENS8_11use_defaultESE_EEEENSA_INSB_IlSD_SE_SE_EEEEZNS1_13binary_searchIS3_S5_NSA_INS8_10device_ptrIxEEEESG_SI_NS1_21upper_bound_search_opENS9_16wrapped_functionINS8_6system6detail7generic6detail18binary_search_lessEbEEEE10hipError_tPvRmT1_T2_T3_mmT4_T5_P12ihipStream_tbEUlRKxE_EESV_SZ_S10_mS11_S14_bEUlT_E_NS1_11comp_targetILNS1_3genE2ELNS1_11target_archE906ELNS1_3gpuE6ELNS1_3repE0EEENS1_30default_config_static_selectorELNS0_4arch9wavefront6targetE0EEEvSY_,comdat
.Lfunc_end567:
	.size	_ZN7rocprim17ROCPRIM_400000_NS6detail17trampoline_kernelINS0_14default_configENS1_27upper_bound_config_selectorIxlEEZNS1_14transform_implILb0ES3_S5_N6thrust23THRUST_200600_302600_NS6detail15normal_iteratorINS8_7pointerIxNS8_11hip_rocprim5par_tENS8_11use_defaultESE_EEEENSA_INSB_IlSD_SE_SE_EEEEZNS1_13binary_searchIS3_S5_NSA_INS8_10device_ptrIxEEEESG_SI_NS1_21upper_bound_search_opENS9_16wrapped_functionINS8_6system6detail7generic6detail18binary_search_lessEbEEEE10hipError_tPvRmT1_T2_T3_mmT4_T5_P12ihipStream_tbEUlRKxE_EESV_SZ_S10_mS11_S14_bEUlT_E_NS1_11comp_targetILNS1_3genE2ELNS1_11target_archE906ELNS1_3gpuE6ELNS1_3repE0EEENS1_30default_config_static_selectorELNS0_4arch9wavefront6targetE0EEEvSY_, .Lfunc_end567-_ZN7rocprim17ROCPRIM_400000_NS6detail17trampoline_kernelINS0_14default_configENS1_27upper_bound_config_selectorIxlEEZNS1_14transform_implILb0ES3_S5_N6thrust23THRUST_200600_302600_NS6detail15normal_iteratorINS8_7pointerIxNS8_11hip_rocprim5par_tENS8_11use_defaultESE_EEEENSA_INSB_IlSD_SE_SE_EEEEZNS1_13binary_searchIS3_S5_NSA_INS8_10device_ptrIxEEEESG_SI_NS1_21upper_bound_search_opENS9_16wrapped_functionINS8_6system6detail7generic6detail18binary_search_lessEbEEEE10hipError_tPvRmT1_T2_T3_mmT4_T5_P12ihipStream_tbEUlRKxE_EESV_SZ_S10_mS11_S14_bEUlT_E_NS1_11comp_targetILNS1_3genE2ELNS1_11target_archE906ELNS1_3gpuE6ELNS1_3repE0EEENS1_30default_config_static_selectorELNS0_4arch9wavefront6targetE0EEEvSY_
                                        ; -- End function
	.set _ZN7rocprim17ROCPRIM_400000_NS6detail17trampoline_kernelINS0_14default_configENS1_27upper_bound_config_selectorIxlEEZNS1_14transform_implILb0ES3_S5_N6thrust23THRUST_200600_302600_NS6detail15normal_iteratorINS8_7pointerIxNS8_11hip_rocprim5par_tENS8_11use_defaultESE_EEEENSA_INSB_IlSD_SE_SE_EEEEZNS1_13binary_searchIS3_S5_NSA_INS8_10device_ptrIxEEEESG_SI_NS1_21upper_bound_search_opENS9_16wrapped_functionINS8_6system6detail7generic6detail18binary_search_lessEbEEEE10hipError_tPvRmT1_T2_T3_mmT4_T5_P12ihipStream_tbEUlRKxE_EESV_SZ_S10_mS11_S14_bEUlT_E_NS1_11comp_targetILNS1_3genE2ELNS1_11target_archE906ELNS1_3gpuE6ELNS1_3repE0EEENS1_30default_config_static_selectorELNS0_4arch9wavefront6targetE0EEEvSY_.num_vgpr, 0
	.set _ZN7rocprim17ROCPRIM_400000_NS6detail17trampoline_kernelINS0_14default_configENS1_27upper_bound_config_selectorIxlEEZNS1_14transform_implILb0ES3_S5_N6thrust23THRUST_200600_302600_NS6detail15normal_iteratorINS8_7pointerIxNS8_11hip_rocprim5par_tENS8_11use_defaultESE_EEEENSA_INSB_IlSD_SE_SE_EEEEZNS1_13binary_searchIS3_S5_NSA_INS8_10device_ptrIxEEEESG_SI_NS1_21upper_bound_search_opENS9_16wrapped_functionINS8_6system6detail7generic6detail18binary_search_lessEbEEEE10hipError_tPvRmT1_T2_T3_mmT4_T5_P12ihipStream_tbEUlRKxE_EESV_SZ_S10_mS11_S14_bEUlT_E_NS1_11comp_targetILNS1_3genE2ELNS1_11target_archE906ELNS1_3gpuE6ELNS1_3repE0EEENS1_30default_config_static_selectorELNS0_4arch9wavefront6targetE0EEEvSY_.num_agpr, 0
	.set _ZN7rocprim17ROCPRIM_400000_NS6detail17trampoline_kernelINS0_14default_configENS1_27upper_bound_config_selectorIxlEEZNS1_14transform_implILb0ES3_S5_N6thrust23THRUST_200600_302600_NS6detail15normal_iteratorINS8_7pointerIxNS8_11hip_rocprim5par_tENS8_11use_defaultESE_EEEENSA_INSB_IlSD_SE_SE_EEEEZNS1_13binary_searchIS3_S5_NSA_INS8_10device_ptrIxEEEESG_SI_NS1_21upper_bound_search_opENS9_16wrapped_functionINS8_6system6detail7generic6detail18binary_search_lessEbEEEE10hipError_tPvRmT1_T2_T3_mmT4_T5_P12ihipStream_tbEUlRKxE_EESV_SZ_S10_mS11_S14_bEUlT_E_NS1_11comp_targetILNS1_3genE2ELNS1_11target_archE906ELNS1_3gpuE6ELNS1_3repE0EEENS1_30default_config_static_selectorELNS0_4arch9wavefront6targetE0EEEvSY_.numbered_sgpr, 0
	.set _ZN7rocprim17ROCPRIM_400000_NS6detail17trampoline_kernelINS0_14default_configENS1_27upper_bound_config_selectorIxlEEZNS1_14transform_implILb0ES3_S5_N6thrust23THRUST_200600_302600_NS6detail15normal_iteratorINS8_7pointerIxNS8_11hip_rocprim5par_tENS8_11use_defaultESE_EEEENSA_INSB_IlSD_SE_SE_EEEEZNS1_13binary_searchIS3_S5_NSA_INS8_10device_ptrIxEEEESG_SI_NS1_21upper_bound_search_opENS9_16wrapped_functionINS8_6system6detail7generic6detail18binary_search_lessEbEEEE10hipError_tPvRmT1_T2_T3_mmT4_T5_P12ihipStream_tbEUlRKxE_EESV_SZ_S10_mS11_S14_bEUlT_E_NS1_11comp_targetILNS1_3genE2ELNS1_11target_archE906ELNS1_3gpuE6ELNS1_3repE0EEENS1_30default_config_static_selectorELNS0_4arch9wavefront6targetE0EEEvSY_.num_named_barrier, 0
	.set _ZN7rocprim17ROCPRIM_400000_NS6detail17trampoline_kernelINS0_14default_configENS1_27upper_bound_config_selectorIxlEEZNS1_14transform_implILb0ES3_S5_N6thrust23THRUST_200600_302600_NS6detail15normal_iteratorINS8_7pointerIxNS8_11hip_rocprim5par_tENS8_11use_defaultESE_EEEENSA_INSB_IlSD_SE_SE_EEEEZNS1_13binary_searchIS3_S5_NSA_INS8_10device_ptrIxEEEESG_SI_NS1_21upper_bound_search_opENS9_16wrapped_functionINS8_6system6detail7generic6detail18binary_search_lessEbEEEE10hipError_tPvRmT1_T2_T3_mmT4_T5_P12ihipStream_tbEUlRKxE_EESV_SZ_S10_mS11_S14_bEUlT_E_NS1_11comp_targetILNS1_3genE2ELNS1_11target_archE906ELNS1_3gpuE6ELNS1_3repE0EEENS1_30default_config_static_selectorELNS0_4arch9wavefront6targetE0EEEvSY_.private_seg_size, 0
	.set _ZN7rocprim17ROCPRIM_400000_NS6detail17trampoline_kernelINS0_14default_configENS1_27upper_bound_config_selectorIxlEEZNS1_14transform_implILb0ES3_S5_N6thrust23THRUST_200600_302600_NS6detail15normal_iteratorINS8_7pointerIxNS8_11hip_rocprim5par_tENS8_11use_defaultESE_EEEENSA_INSB_IlSD_SE_SE_EEEEZNS1_13binary_searchIS3_S5_NSA_INS8_10device_ptrIxEEEESG_SI_NS1_21upper_bound_search_opENS9_16wrapped_functionINS8_6system6detail7generic6detail18binary_search_lessEbEEEE10hipError_tPvRmT1_T2_T3_mmT4_T5_P12ihipStream_tbEUlRKxE_EESV_SZ_S10_mS11_S14_bEUlT_E_NS1_11comp_targetILNS1_3genE2ELNS1_11target_archE906ELNS1_3gpuE6ELNS1_3repE0EEENS1_30default_config_static_selectorELNS0_4arch9wavefront6targetE0EEEvSY_.uses_vcc, 0
	.set _ZN7rocprim17ROCPRIM_400000_NS6detail17trampoline_kernelINS0_14default_configENS1_27upper_bound_config_selectorIxlEEZNS1_14transform_implILb0ES3_S5_N6thrust23THRUST_200600_302600_NS6detail15normal_iteratorINS8_7pointerIxNS8_11hip_rocprim5par_tENS8_11use_defaultESE_EEEENSA_INSB_IlSD_SE_SE_EEEEZNS1_13binary_searchIS3_S5_NSA_INS8_10device_ptrIxEEEESG_SI_NS1_21upper_bound_search_opENS9_16wrapped_functionINS8_6system6detail7generic6detail18binary_search_lessEbEEEE10hipError_tPvRmT1_T2_T3_mmT4_T5_P12ihipStream_tbEUlRKxE_EESV_SZ_S10_mS11_S14_bEUlT_E_NS1_11comp_targetILNS1_3genE2ELNS1_11target_archE906ELNS1_3gpuE6ELNS1_3repE0EEENS1_30default_config_static_selectorELNS0_4arch9wavefront6targetE0EEEvSY_.uses_flat_scratch, 0
	.set _ZN7rocprim17ROCPRIM_400000_NS6detail17trampoline_kernelINS0_14default_configENS1_27upper_bound_config_selectorIxlEEZNS1_14transform_implILb0ES3_S5_N6thrust23THRUST_200600_302600_NS6detail15normal_iteratorINS8_7pointerIxNS8_11hip_rocprim5par_tENS8_11use_defaultESE_EEEENSA_INSB_IlSD_SE_SE_EEEEZNS1_13binary_searchIS3_S5_NSA_INS8_10device_ptrIxEEEESG_SI_NS1_21upper_bound_search_opENS9_16wrapped_functionINS8_6system6detail7generic6detail18binary_search_lessEbEEEE10hipError_tPvRmT1_T2_T3_mmT4_T5_P12ihipStream_tbEUlRKxE_EESV_SZ_S10_mS11_S14_bEUlT_E_NS1_11comp_targetILNS1_3genE2ELNS1_11target_archE906ELNS1_3gpuE6ELNS1_3repE0EEENS1_30default_config_static_selectorELNS0_4arch9wavefront6targetE0EEEvSY_.has_dyn_sized_stack, 0
	.set _ZN7rocprim17ROCPRIM_400000_NS6detail17trampoline_kernelINS0_14default_configENS1_27upper_bound_config_selectorIxlEEZNS1_14transform_implILb0ES3_S5_N6thrust23THRUST_200600_302600_NS6detail15normal_iteratorINS8_7pointerIxNS8_11hip_rocprim5par_tENS8_11use_defaultESE_EEEENSA_INSB_IlSD_SE_SE_EEEEZNS1_13binary_searchIS3_S5_NSA_INS8_10device_ptrIxEEEESG_SI_NS1_21upper_bound_search_opENS9_16wrapped_functionINS8_6system6detail7generic6detail18binary_search_lessEbEEEE10hipError_tPvRmT1_T2_T3_mmT4_T5_P12ihipStream_tbEUlRKxE_EESV_SZ_S10_mS11_S14_bEUlT_E_NS1_11comp_targetILNS1_3genE2ELNS1_11target_archE906ELNS1_3gpuE6ELNS1_3repE0EEENS1_30default_config_static_selectorELNS0_4arch9wavefront6targetE0EEEvSY_.has_recursion, 0
	.set _ZN7rocprim17ROCPRIM_400000_NS6detail17trampoline_kernelINS0_14default_configENS1_27upper_bound_config_selectorIxlEEZNS1_14transform_implILb0ES3_S5_N6thrust23THRUST_200600_302600_NS6detail15normal_iteratorINS8_7pointerIxNS8_11hip_rocprim5par_tENS8_11use_defaultESE_EEEENSA_INSB_IlSD_SE_SE_EEEEZNS1_13binary_searchIS3_S5_NSA_INS8_10device_ptrIxEEEESG_SI_NS1_21upper_bound_search_opENS9_16wrapped_functionINS8_6system6detail7generic6detail18binary_search_lessEbEEEE10hipError_tPvRmT1_T2_T3_mmT4_T5_P12ihipStream_tbEUlRKxE_EESV_SZ_S10_mS11_S14_bEUlT_E_NS1_11comp_targetILNS1_3genE2ELNS1_11target_archE906ELNS1_3gpuE6ELNS1_3repE0EEENS1_30default_config_static_selectorELNS0_4arch9wavefront6targetE0EEEvSY_.has_indirect_call, 0
	.section	.AMDGPU.csdata,"",@progbits
; Kernel info:
; codeLenInByte = 0
; TotalNumSgprs: 0
; NumVgprs: 0
; ScratchSize: 0
; MemoryBound: 0
; FloatMode: 240
; IeeeMode: 1
; LDSByteSize: 0 bytes/workgroup (compile time only)
; SGPRBlocks: 0
; VGPRBlocks: 0
; NumSGPRsForWavesPerEU: 1
; NumVGPRsForWavesPerEU: 1
; Occupancy: 16
; WaveLimiterHint : 0
; COMPUTE_PGM_RSRC2:SCRATCH_EN: 0
; COMPUTE_PGM_RSRC2:USER_SGPR: 6
; COMPUTE_PGM_RSRC2:TRAP_HANDLER: 0
; COMPUTE_PGM_RSRC2:TGID_X_EN: 1
; COMPUTE_PGM_RSRC2:TGID_Y_EN: 0
; COMPUTE_PGM_RSRC2:TGID_Z_EN: 0
; COMPUTE_PGM_RSRC2:TIDIG_COMP_CNT: 0
	.section	.text._ZN7rocprim17ROCPRIM_400000_NS6detail17trampoline_kernelINS0_14default_configENS1_27upper_bound_config_selectorIxlEEZNS1_14transform_implILb0ES3_S5_N6thrust23THRUST_200600_302600_NS6detail15normal_iteratorINS8_7pointerIxNS8_11hip_rocprim5par_tENS8_11use_defaultESE_EEEENSA_INSB_IlSD_SE_SE_EEEEZNS1_13binary_searchIS3_S5_NSA_INS8_10device_ptrIxEEEESG_SI_NS1_21upper_bound_search_opENS9_16wrapped_functionINS8_6system6detail7generic6detail18binary_search_lessEbEEEE10hipError_tPvRmT1_T2_T3_mmT4_T5_P12ihipStream_tbEUlRKxE_EESV_SZ_S10_mS11_S14_bEUlT_E_NS1_11comp_targetILNS1_3genE10ELNS1_11target_archE1201ELNS1_3gpuE5ELNS1_3repE0EEENS1_30default_config_static_selectorELNS0_4arch9wavefront6targetE0EEEvSY_,"axG",@progbits,_ZN7rocprim17ROCPRIM_400000_NS6detail17trampoline_kernelINS0_14default_configENS1_27upper_bound_config_selectorIxlEEZNS1_14transform_implILb0ES3_S5_N6thrust23THRUST_200600_302600_NS6detail15normal_iteratorINS8_7pointerIxNS8_11hip_rocprim5par_tENS8_11use_defaultESE_EEEENSA_INSB_IlSD_SE_SE_EEEEZNS1_13binary_searchIS3_S5_NSA_INS8_10device_ptrIxEEEESG_SI_NS1_21upper_bound_search_opENS9_16wrapped_functionINS8_6system6detail7generic6detail18binary_search_lessEbEEEE10hipError_tPvRmT1_T2_T3_mmT4_T5_P12ihipStream_tbEUlRKxE_EESV_SZ_S10_mS11_S14_bEUlT_E_NS1_11comp_targetILNS1_3genE10ELNS1_11target_archE1201ELNS1_3gpuE5ELNS1_3repE0EEENS1_30default_config_static_selectorELNS0_4arch9wavefront6targetE0EEEvSY_,comdat
	.protected	_ZN7rocprim17ROCPRIM_400000_NS6detail17trampoline_kernelINS0_14default_configENS1_27upper_bound_config_selectorIxlEEZNS1_14transform_implILb0ES3_S5_N6thrust23THRUST_200600_302600_NS6detail15normal_iteratorINS8_7pointerIxNS8_11hip_rocprim5par_tENS8_11use_defaultESE_EEEENSA_INSB_IlSD_SE_SE_EEEEZNS1_13binary_searchIS3_S5_NSA_INS8_10device_ptrIxEEEESG_SI_NS1_21upper_bound_search_opENS9_16wrapped_functionINS8_6system6detail7generic6detail18binary_search_lessEbEEEE10hipError_tPvRmT1_T2_T3_mmT4_T5_P12ihipStream_tbEUlRKxE_EESV_SZ_S10_mS11_S14_bEUlT_E_NS1_11comp_targetILNS1_3genE10ELNS1_11target_archE1201ELNS1_3gpuE5ELNS1_3repE0EEENS1_30default_config_static_selectorELNS0_4arch9wavefront6targetE0EEEvSY_ ; -- Begin function _ZN7rocprim17ROCPRIM_400000_NS6detail17trampoline_kernelINS0_14default_configENS1_27upper_bound_config_selectorIxlEEZNS1_14transform_implILb0ES3_S5_N6thrust23THRUST_200600_302600_NS6detail15normal_iteratorINS8_7pointerIxNS8_11hip_rocprim5par_tENS8_11use_defaultESE_EEEENSA_INSB_IlSD_SE_SE_EEEEZNS1_13binary_searchIS3_S5_NSA_INS8_10device_ptrIxEEEESG_SI_NS1_21upper_bound_search_opENS9_16wrapped_functionINS8_6system6detail7generic6detail18binary_search_lessEbEEEE10hipError_tPvRmT1_T2_T3_mmT4_T5_P12ihipStream_tbEUlRKxE_EESV_SZ_S10_mS11_S14_bEUlT_E_NS1_11comp_targetILNS1_3genE10ELNS1_11target_archE1201ELNS1_3gpuE5ELNS1_3repE0EEENS1_30default_config_static_selectorELNS0_4arch9wavefront6targetE0EEEvSY_
	.globl	_ZN7rocprim17ROCPRIM_400000_NS6detail17trampoline_kernelINS0_14default_configENS1_27upper_bound_config_selectorIxlEEZNS1_14transform_implILb0ES3_S5_N6thrust23THRUST_200600_302600_NS6detail15normal_iteratorINS8_7pointerIxNS8_11hip_rocprim5par_tENS8_11use_defaultESE_EEEENSA_INSB_IlSD_SE_SE_EEEEZNS1_13binary_searchIS3_S5_NSA_INS8_10device_ptrIxEEEESG_SI_NS1_21upper_bound_search_opENS9_16wrapped_functionINS8_6system6detail7generic6detail18binary_search_lessEbEEEE10hipError_tPvRmT1_T2_T3_mmT4_T5_P12ihipStream_tbEUlRKxE_EESV_SZ_S10_mS11_S14_bEUlT_E_NS1_11comp_targetILNS1_3genE10ELNS1_11target_archE1201ELNS1_3gpuE5ELNS1_3repE0EEENS1_30default_config_static_selectorELNS0_4arch9wavefront6targetE0EEEvSY_
	.p2align	8
	.type	_ZN7rocprim17ROCPRIM_400000_NS6detail17trampoline_kernelINS0_14default_configENS1_27upper_bound_config_selectorIxlEEZNS1_14transform_implILb0ES3_S5_N6thrust23THRUST_200600_302600_NS6detail15normal_iteratorINS8_7pointerIxNS8_11hip_rocprim5par_tENS8_11use_defaultESE_EEEENSA_INSB_IlSD_SE_SE_EEEEZNS1_13binary_searchIS3_S5_NSA_INS8_10device_ptrIxEEEESG_SI_NS1_21upper_bound_search_opENS9_16wrapped_functionINS8_6system6detail7generic6detail18binary_search_lessEbEEEE10hipError_tPvRmT1_T2_T3_mmT4_T5_P12ihipStream_tbEUlRKxE_EESV_SZ_S10_mS11_S14_bEUlT_E_NS1_11comp_targetILNS1_3genE10ELNS1_11target_archE1201ELNS1_3gpuE5ELNS1_3repE0EEENS1_30default_config_static_selectorELNS0_4arch9wavefront6targetE0EEEvSY_,@function
_ZN7rocprim17ROCPRIM_400000_NS6detail17trampoline_kernelINS0_14default_configENS1_27upper_bound_config_selectorIxlEEZNS1_14transform_implILb0ES3_S5_N6thrust23THRUST_200600_302600_NS6detail15normal_iteratorINS8_7pointerIxNS8_11hip_rocprim5par_tENS8_11use_defaultESE_EEEENSA_INSB_IlSD_SE_SE_EEEEZNS1_13binary_searchIS3_S5_NSA_INS8_10device_ptrIxEEEESG_SI_NS1_21upper_bound_search_opENS9_16wrapped_functionINS8_6system6detail7generic6detail18binary_search_lessEbEEEE10hipError_tPvRmT1_T2_T3_mmT4_T5_P12ihipStream_tbEUlRKxE_EESV_SZ_S10_mS11_S14_bEUlT_E_NS1_11comp_targetILNS1_3genE10ELNS1_11target_archE1201ELNS1_3gpuE5ELNS1_3repE0EEENS1_30default_config_static_selectorELNS0_4arch9wavefront6targetE0EEEvSY_: ; @_ZN7rocprim17ROCPRIM_400000_NS6detail17trampoline_kernelINS0_14default_configENS1_27upper_bound_config_selectorIxlEEZNS1_14transform_implILb0ES3_S5_N6thrust23THRUST_200600_302600_NS6detail15normal_iteratorINS8_7pointerIxNS8_11hip_rocprim5par_tENS8_11use_defaultESE_EEEENSA_INSB_IlSD_SE_SE_EEEEZNS1_13binary_searchIS3_S5_NSA_INS8_10device_ptrIxEEEESG_SI_NS1_21upper_bound_search_opENS9_16wrapped_functionINS8_6system6detail7generic6detail18binary_search_lessEbEEEE10hipError_tPvRmT1_T2_T3_mmT4_T5_P12ihipStream_tbEUlRKxE_EESV_SZ_S10_mS11_S14_bEUlT_E_NS1_11comp_targetILNS1_3genE10ELNS1_11target_archE1201ELNS1_3gpuE5ELNS1_3repE0EEENS1_30default_config_static_selectorELNS0_4arch9wavefront6targetE0EEEvSY_
; %bb.0:
	.section	.rodata,"a",@progbits
	.p2align	6, 0x0
	.amdhsa_kernel _ZN7rocprim17ROCPRIM_400000_NS6detail17trampoline_kernelINS0_14default_configENS1_27upper_bound_config_selectorIxlEEZNS1_14transform_implILb0ES3_S5_N6thrust23THRUST_200600_302600_NS6detail15normal_iteratorINS8_7pointerIxNS8_11hip_rocprim5par_tENS8_11use_defaultESE_EEEENSA_INSB_IlSD_SE_SE_EEEEZNS1_13binary_searchIS3_S5_NSA_INS8_10device_ptrIxEEEESG_SI_NS1_21upper_bound_search_opENS9_16wrapped_functionINS8_6system6detail7generic6detail18binary_search_lessEbEEEE10hipError_tPvRmT1_T2_T3_mmT4_T5_P12ihipStream_tbEUlRKxE_EESV_SZ_S10_mS11_S14_bEUlT_E_NS1_11comp_targetILNS1_3genE10ELNS1_11target_archE1201ELNS1_3gpuE5ELNS1_3repE0EEENS1_30default_config_static_selectorELNS0_4arch9wavefront6targetE0EEEvSY_
		.amdhsa_group_segment_fixed_size 0
		.amdhsa_private_segment_fixed_size 0
		.amdhsa_kernarg_size 56
		.amdhsa_user_sgpr_count 6
		.amdhsa_user_sgpr_private_segment_buffer 1
		.amdhsa_user_sgpr_dispatch_ptr 0
		.amdhsa_user_sgpr_queue_ptr 0
		.amdhsa_user_sgpr_kernarg_segment_ptr 1
		.amdhsa_user_sgpr_dispatch_id 0
		.amdhsa_user_sgpr_flat_scratch_init 0
		.amdhsa_user_sgpr_private_segment_size 0
		.amdhsa_wavefront_size32 1
		.amdhsa_uses_dynamic_stack 0
		.amdhsa_system_sgpr_private_segment_wavefront_offset 0
		.amdhsa_system_sgpr_workgroup_id_x 1
		.amdhsa_system_sgpr_workgroup_id_y 0
		.amdhsa_system_sgpr_workgroup_id_z 0
		.amdhsa_system_sgpr_workgroup_info 0
		.amdhsa_system_vgpr_workitem_id 0
		.amdhsa_next_free_vgpr 1
		.amdhsa_next_free_sgpr 1
		.amdhsa_reserve_vcc 0
		.amdhsa_reserve_flat_scratch 0
		.amdhsa_float_round_mode_32 0
		.amdhsa_float_round_mode_16_64 0
		.amdhsa_float_denorm_mode_32 3
		.amdhsa_float_denorm_mode_16_64 3
		.amdhsa_dx10_clamp 1
		.amdhsa_ieee_mode 1
		.amdhsa_fp16_overflow 0
		.amdhsa_workgroup_processor_mode 1
		.amdhsa_memory_ordered 1
		.amdhsa_forward_progress 1
		.amdhsa_shared_vgpr_count 0
		.amdhsa_exception_fp_ieee_invalid_op 0
		.amdhsa_exception_fp_denorm_src 0
		.amdhsa_exception_fp_ieee_div_zero 0
		.amdhsa_exception_fp_ieee_overflow 0
		.amdhsa_exception_fp_ieee_underflow 0
		.amdhsa_exception_fp_ieee_inexact 0
		.amdhsa_exception_int_div_zero 0
	.end_amdhsa_kernel
	.section	.text._ZN7rocprim17ROCPRIM_400000_NS6detail17trampoline_kernelINS0_14default_configENS1_27upper_bound_config_selectorIxlEEZNS1_14transform_implILb0ES3_S5_N6thrust23THRUST_200600_302600_NS6detail15normal_iteratorINS8_7pointerIxNS8_11hip_rocprim5par_tENS8_11use_defaultESE_EEEENSA_INSB_IlSD_SE_SE_EEEEZNS1_13binary_searchIS3_S5_NSA_INS8_10device_ptrIxEEEESG_SI_NS1_21upper_bound_search_opENS9_16wrapped_functionINS8_6system6detail7generic6detail18binary_search_lessEbEEEE10hipError_tPvRmT1_T2_T3_mmT4_T5_P12ihipStream_tbEUlRKxE_EESV_SZ_S10_mS11_S14_bEUlT_E_NS1_11comp_targetILNS1_3genE10ELNS1_11target_archE1201ELNS1_3gpuE5ELNS1_3repE0EEENS1_30default_config_static_selectorELNS0_4arch9wavefront6targetE0EEEvSY_,"axG",@progbits,_ZN7rocprim17ROCPRIM_400000_NS6detail17trampoline_kernelINS0_14default_configENS1_27upper_bound_config_selectorIxlEEZNS1_14transform_implILb0ES3_S5_N6thrust23THRUST_200600_302600_NS6detail15normal_iteratorINS8_7pointerIxNS8_11hip_rocprim5par_tENS8_11use_defaultESE_EEEENSA_INSB_IlSD_SE_SE_EEEEZNS1_13binary_searchIS3_S5_NSA_INS8_10device_ptrIxEEEESG_SI_NS1_21upper_bound_search_opENS9_16wrapped_functionINS8_6system6detail7generic6detail18binary_search_lessEbEEEE10hipError_tPvRmT1_T2_T3_mmT4_T5_P12ihipStream_tbEUlRKxE_EESV_SZ_S10_mS11_S14_bEUlT_E_NS1_11comp_targetILNS1_3genE10ELNS1_11target_archE1201ELNS1_3gpuE5ELNS1_3repE0EEENS1_30default_config_static_selectorELNS0_4arch9wavefront6targetE0EEEvSY_,comdat
.Lfunc_end568:
	.size	_ZN7rocprim17ROCPRIM_400000_NS6detail17trampoline_kernelINS0_14default_configENS1_27upper_bound_config_selectorIxlEEZNS1_14transform_implILb0ES3_S5_N6thrust23THRUST_200600_302600_NS6detail15normal_iteratorINS8_7pointerIxNS8_11hip_rocprim5par_tENS8_11use_defaultESE_EEEENSA_INSB_IlSD_SE_SE_EEEEZNS1_13binary_searchIS3_S5_NSA_INS8_10device_ptrIxEEEESG_SI_NS1_21upper_bound_search_opENS9_16wrapped_functionINS8_6system6detail7generic6detail18binary_search_lessEbEEEE10hipError_tPvRmT1_T2_T3_mmT4_T5_P12ihipStream_tbEUlRKxE_EESV_SZ_S10_mS11_S14_bEUlT_E_NS1_11comp_targetILNS1_3genE10ELNS1_11target_archE1201ELNS1_3gpuE5ELNS1_3repE0EEENS1_30default_config_static_selectorELNS0_4arch9wavefront6targetE0EEEvSY_, .Lfunc_end568-_ZN7rocprim17ROCPRIM_400000_NS6detail17trampoline_kernelINS0_14default_configENS1_27upper_bound_config_selectorIxlEEZNS1_14transform_implILb0ES3_S5_N6thrust23THRUST_200600_302600_NS6detail15normal_iteratorINS8_7pointerIxNS8_11hip_rocprim5par_tENS8_11use_defaultESE_EEEENSA_INSB_IlSD_SE_SE_EEEEZNS1_13binary_searchIS3_S5_NSA_INS8_10device_ptrIxEEEESG_SI_NS1_21upper_bound_search_opENS9_16wrapped_functionINS8_6system6detail7generic6detail18binary_search_lessEbEEEE10hipError_tPvRmT1_T2_T3_mmT4_T5_P12ihipStream_tbEUlRKxE_EESV_SZ_S10_mS11_S14_bEUlT_E_NS1_11comp_targetILNS1_3genE10ELNS1_11target_archE1201ELNS1_3gpuE5ELNS1_3repE0EEENS1_30default_config_static_selectorELNS0_4arch9wavefront6targetE0EEEvSY_
                                        ; -- End function
	.set _ZN7rocprim17ROCPRIM_400000_NS6detail17trampoline_kernelINS0_14default_configENS1_27upper_bound_config_selectorIxlEEZNS1_14transform_implILb0ES3_S5_N6thrust23THRUST_200600_302600_NS6detail15normal_iteratorINS8_7pointerIxNS8_11hip_rocprim5par_tENS8_11use_defaultESE_EEEENSA_INSB_IlSD_SE_SE_EEEEZNS1_13binary_searchIS3_S5_NSA_INS8_10device_ptrIxEEEESG_SI_NS1_21upper_bound_search_opENS9_16wrapped_functionINS8_6system6detail7generic6detail18binary_search_lessEbEEEE10hipError_tPvRmT1_T2_T3_mmT4_T5_P12ihipStream_tbEUlRKxE_EESV_SZ_S10_mS11_S14_bEUlT_E_NS1_11comp_targetILNS1_3genE10ELNS1_11target_archE1201ELNS1_3gpuE5ELNS1_3repE0EEENS1_30default_config_static_selectorELNS0_4arch9wavefront6targetE0EEEvSY_.num_vgpr, 0
	.set _ZN7rocprim17ROCPRIM_400000_NS6detail17trampoline_kernelINS0_14default_configENS1_27upper_bound_config_selectorIxlEEZNS1_14transform_implILb0ES3_S5_N6thrust23THRUST_200600_302600_NS6detail15normal_iteratorINS8_7pointerIxNS8_11hip_rocprim5par_tENS8_11use_defaultESE_EEEENSA_INSB_IlSD_SE_SE_EEEEZNS1_13binary_searchIS3_S5_NSA_INS8_10device_ptrIxEEEESG_SI_NS1_21upper_bound_search_opENS9_16wrapped_functionINS8_6system6detail7generic6detail18binary_search_lessEbEEEE10hipError_tPvRmT1_T2_T3_mmT4_T5_P12ihipStream_tbEUlRKxE_EESV_SZ_S10_mS11_S14_bEUlT_E_NS1_11comp_targetILNS1_3genE10ELNS1_11target_archE1201ELNS1_3gpuE5ELNS1_3repE0EEENS1_30default_config_static_selectorELNS0_4arch9wavefront6targetE0EEEvSY_.num_agpr, 0
	.set _ZN7rocprim17ROCPRIM_400000_NS6detail17trampoline_kernelINS0_14default_configENS1_27upper_bound_config_selectorIxlEEZNS1_14transform_implILb0ES3_S5_N6thrust23THRUST_200600_302600_NS6detail15normal_iteratorINS8_7pointerIxNS8_11hip_rocprim5par_tENS8_11use_defaultESE_EEEENSA_INSB_IlSD_SE_SE_EEEEZNS1_13binary_searchIS3_S5_NSA_INS8_10device_ptrIxEEEESG_SI_NS1_21upper_bound_search_opENS9_16wrapped_functionINS8_6system6detail7generic6detail18binary_search_lessEbEEEE10hipError_tPvRmT1_T2_T3_mmT4_T5_P12ihipStream_tbEUlRKxE_EESV_SZ_S10_mS11_S14_bEUlT_E_NS1_11comp_targetILNS1_3genE10ELNS1_11target_archE1201ELNS1_3gpuE5ELNS1_3repE0EEENS1_30default_config_static_selectorELNS0_4arch9wavefront6targetE0EEEvSY_.numbered_sgpr, 0
	.set _ZN7rocprim17ROCPRIM_400000_NS6detail17trampoline_kernelINS0_14default_configENS1_27upper_bound_config_selectorIxlEEZNS1_14transform_implILb0ES3_S5_N6thrust23THRUST_200600_302600_NS6detail15normal_iteratorINS8_7pointerIxNS8_11hip_rocprim5par_tENS8_11use_defaultESE_EEEENSA_INSB_IlSD_SE_SE_EEEEZNS1_13binary_searchIS3_S5_NSA_INS8_10device_ptrIxEEEESG_SI_NS1_21upper_bound_search_opENS9_16wrapped_functionINS8_6system6detail7generic6detail18binary_search_lessEbEEEE10hipError_tPvRmT1_T2_T3_mmT4_T5_P12ihipStream_tbEUlRKxE_EESV_SZ_S10_mS11_S14_bEUlT_E_NS1_11comp_targetILNS1_3genE10ELNS1_11target_archE1201ELNS1_3gpuE5ELNS1_3repE0EEENS1_30default_config_static_selectorELNS0_4arch9wavefront6targetE0EEEvSY_.num_named_barrier, 0
	.set _ZN7rocprim17ROCPRIM_400000_NS6detail17trampoline_kernelINS0_14default_configENS1_27upper_bound_config_selectorIxlEEZNS1_14transform_implILb0ES3_S5_N6thrust23THRUST_200600_302600_NS6detail15normal_iteratorINS8_7pointerIxNS8_11hip_rocprim5par_tENS8_11use_defaultESE_EEEENSA_INSB_IlSD_SE_SE_EEEEZNS1_13binary_searchIS3_S5_NSA_INS8_10device_ptrIxEEEESG_SI_NS1_21upper_bound_search_opENS9_16wrapped_functionINS8_6system6detail7generic6detail18binary_search_lessEbEEEE10hipError_tPvRmT1_T2_T3_mmT4_T5_P12ihipStream_tbEUlRKxE_EESV_SZ_S10_mS11_S14_bEUlT_E_NS1_11comp_targetILNS1_3genE10ELNS1_11target_archE1201ELNS1_3gpuE5ELNS1_3repE0EEENS1_30default_config_static_selectorELNS0_4arch9wavefront6targetE0EEEvSY_.private_seg_size, 0
	.set _ZN7rocprim17ROCPRIM_400000_NS6detail17trampoline_kernelINS0_14default_configENS1_27upper_bound_config_selectorIxlEEZNS1_14transform_implILb0ES3_S5_N6thrust23THRUST_200600_302600_NS6detail15normal_iteratorINS8_7pointerIxNS8_11hip_rocprim5par_tENS8_11use_defaultESE_EEEENSA_INSB_IlSD_SE_SE_EEEEZNS1_13binary_searchIS3_S5_NSA_INS8_10device_ptrIxEEEESG_SI_NS1_21upper_bound_search_opENS9_16wrapped_functionINS8_6system6detail7generic6detail18binary_search_lessEbEEEE10hipError_tPvRmT1_T2_T3_mmT4_T5_P12ihipStream_tbEUlRKxE_EESV_SZ_S10_mS11_S14_bEUlT_E_NS1_11comp_targetILNS1_3genE10ELNS1_11target_archE1201ELNS1_3gpuE5ELNS1_3repE0EEENS1_30default_config_static_selectorELNS0_4arch9wavefront6targetE0EEEvSY_.uses_vcc, 0
	.set _ZN7rocprim17ROCPRIM_400000_NS6detail17trampoline_kernelINS0_14default_configENS1_27upper_bound_config_selectorIxlEEZNS1_14transform_implILb0ES3_S5_N6thrust23THRUST_200600_302600_NS6detail15normal_iteratorINS8_7pointerIxNS8_11hip_rocprim5par_tENS8_11use_defaultESE_EEEENSA_INSB_IlSD_SE_SE_EEEEZNS1_13binary_searchIS3_S5_NSA_INS8_10device_ptrIxEEEESG_SI_NS1_21upper_bound_search_opENS9_16wrapped_functionINS8_6system6detail7generic6detail18binary_search_lessEbEEEE10hipError_tPvRmT1_T2_T3_mmT4_T5_P12ihipStream_tbEUlRKxE_EESV_SZ_S10_mS11_S14_bEUlT_E_NS1_11comp_targetILNS1_3genE10ELNS1_11target_archE1201ELNS1_3gpuE5ELNS1_3repE0EEENS1_30default_config_static_selectorELNS0_4arch9wavefront6targetE0EEEvSY_.uses_flat_scratch, 0
	.set _ZN7rocprim17ROCPRIM_400000_NS6detail17trampoline_kernelINS0_14default_configENS1_27upper_bound_config_selectorIxlEEZNS1_14transform_implILb0ES3_S5_N6thrust23THRUST_200600_302600_NS6detail15normal_iteratorINS8_7pointerIxNS8_11hip_rocprim5par_tENS8_11use_defaultESE_EEEENSA_INSB_IlSD_SE_SE_EEEEZNS1_13binary_searchIS3_S5_NSA_INS8_10device_ptrIxEEEESG_SI_NS1_21upper_bound_search_opENS9_16wrapped_functionINS8_6system6detail7generic6detail18binary_search_lessEbEEEE10hipError_tPvRmT1_T2_T3_mmT4_T5_P12ihipStream_tbEUlRKxE_EESV_SZ_S10_mS11_S14_bEUlT_E_NS1_11comp_targetILNS1_3genE10ELNS1_11target_archE1201ELNS1_3gpuE5ELNS1_3repE0EEENS1_30default_config_static_selectorELNS0_4arch9wavefront6targetE0EEEvSY_.has_dyn_sized_stack, 0
	.set _ZN7rocprim17ROCPRIM_400000_NS6detail17trampoline_kernelINS0_14default_configENS1_27upper_bound_config_selectorIxlEEZNS1_14transform_implILb0ES3_S5_N6thrust23THRUST_200600_302600_NS6detail15normal_iteratorINS8_7pointerIxNS8_11hip_rocprim5par_tENS8_11use_defaultESE_EEEENSA_INSB_IlSD_SE_SE_EEEEZNS1_13binary_searchIS3_S5_NSA_INS8_10device_ptrIxEEEESG_SI_NS1_21upper_bound_search_opENS9_16wrapped_functionINS8_6system6detail7generic6detail18binary_search_lessEbEEEE10hipError_tPvRmT1_T2_T3_mmT4_T5_P12ihipStream_tbEUlRKxE_EESV_SZ_S10_mS11_S14_bEUlT_E_NS1_11comp_targetILNS1_3genE10ELNS1_11target_archE1201ELNS1_3gpuE5ELNS1_3repE0EEENS1_30default_config_static_selectorELNS0_4arch9wavefront6targetE0EEEvSY_.has_recursion, 0
	.set _ZN7rocprim17ROCPRIM_400000_NS6detail17trampoline_kernelINS0_14default_configENS1_27upper_bound_config_selectorIxlEEZNS1_14transform_implILb0ES3_S5_N6thrust23THRUST_200600_302600_NS6detail15normal_iteratorINS8_7pointerIxNS8_11hip_rocprim5par_tENS8_11use_defaultESE_EEEENSA_INSB_IlSD_SE_SE_EEEEZNS1_13binary_searchIS3_S5_NSA_INS8_10device_ptrIxEEEESG_SI_NS1_21upper_bound_search_opENS9_16wrapped_functionINS8_6system6detail7generic6detail18binary_search_lessEbEEEE10hipError_tPvRmT1_T2_T3_mmT4_T5_P12ihipStream_tbEUlRKxE_EESV_SZ_S10_mS11_S14_bEUlT_E_NS1_11comp_targetILNS1_3genE10ELNS1_11target_archE1201ELNS1_3gpuE5ELNS1_3repE0EEENS1_30default_config_static_selectorELNS0_4arch9wavefront6targetE0EEEvSY_.has_indirect_call, 0
	.section	.AMDGPU.csdata,"",@progbits
; Kernel info:
; codeLenInByte = 0
; TotalNumSgprs: 0
; NumVgprs: 0
; ScratchSize: 0
; MemoryBound: 0
; FloatMode: 240
; IeeeMode: 1
; LDSByteSize: 0 bytes/workgroup (compile time only)
; SGPRBlocks: 0
; VGPRBlocks: 0
; NumSGPRsForWavesPerEU: 1
; NumVGPRsForWavesPerEU: 1
; Occupancy: 16
; WaveLimiterHint : 0
; COMPUTE_PGM_RSRC2:SCRATCH_EN: 0
; COMPUTE_PGM_RSRC2:USER_SGPR: 6
; COMPUTE_PGM_RSRC2:TRAP_HANDLER: 0
; COMPUTE_PGM_RSRC2:TGID_X_EN: 1
; COMPUTE_PGM_RSRC2:TGID_Y_EN: 0
; COMPUTE_PGM_RSRC2:TGID_Z_EN: 0
; COMPUTE_PGM_RSRC2:TIDIG_COMP_CNT: 0
	.section	.text._ZN7rocprim17ROCPRIM_400000_NS6detail17trampoline_kernelINS0_14default_configENS1_27upper_bound_config_selectorIxlEEZNS1_14transform_implILb0ES3_S5_N6thrust23THRUST_200600_302600_NS6detail15normal_iteratorINS8_7pointerIxNS8_11hip_rocprim5par_tENS8_11use_defaultESE_EEEENSA_INSB_IlSD_SE_SE_EEEEZNS1_13binary_searchIS3_S5_NSA_INS8_10device_ptrIxEEEESG_SI_NS1_21upper_bound_search_opENS9_16wrapped_functionINS8_6system6detail7generic6detail18binary_search_lessEbEEEE10hipError_tPvRmT1_T2_T3_mmT4_T5_P12ihipStream_tbEUlRKxE_EESV_SZ_S10_mS11_S14_bEUlT_E_NS1_11comp_targetILNS1_3genE10ELNS1_11target_archE1200ELNS1_3gpuE4ELNS1_3repE0EEENS1_30default_config_static_selectorELNS0_4arch9wavefront6targetE0EEEvSY_,"axG",@progbits,_ZN7rocprim17ROCPRIM_400000_NS6detail17trampoline_kernelINS0_14default_configENS1_27upper_bound_config_selectorIxlEEZNS1_14transform_implILb0ES3_S5_N6thrust23THRUST_200600_302600_NS6detail15normal_iteratorINS8_7pointerIxNS8_11hip_rocprim5par_tENS8_11use_defaultESE_EEEENSA_INSB_IlSD_SE_SE_EEEEZNS1_13binary_searchIS3_S5_NSA_INS8_10device_ptrIxEEEESG_SI_NS1_21upper_bound_search_opENS9_16wrapped_functionINS8_6system6detail7generic6detail18binary_search_lessEbEEEE10hipError_tPvRmT1_T2_T3_mmT4_T5_P12ihipStream_tbEUlRKxE_EESV_SZ_S10_mS11_S14_bEUlT_E_NS1_11comp_targetILNS1_3genE10ELNS1_11target_archE1200ELNS1_3gpuE4ELNS1_3repE0EEENS1_30default_config_static_selectorELNS0_4arch9wavefront6targetE0EEEvSY_,comdat
	.protected	_ZN7rocprim17ROCPRIM_400000_NS6detail17trampoline_kernelINS0_14default_configENS1_27upper_bound_config_selectorIxlEEZNS1_14transform_implILb0ES3_S5_N6thrust23THRUST_200600_302600_NS6detail15normal_iteratorINS8_7pointerIxNS8_11hip_rocprim5par_tENS8_11use_defaultESE_EEEENSA_INSB_IlSD_SE_SE_EEEEZNS1_13binary_searchIS3_S5_NSA_INS8_10device_ptrIxEEEESG_SI_NS1_21upper_bound_search_opENS9_16wrapped_functionINS8_6system6detail7generic6detail18binary_search_lessEbEEEE10hipError_tPvRmT1_T2_T3_mmT4_T5_P12ihipStream_tbEUlRKxE_EESV_SZ_S10_mS11_S14_bEUlT_E_NS1_11comp_targetILNS1_3genE10ELNS1_11target_archE1200ELNS1_3gpuE4ELNS1_3repE0EEENS1_30default_config_static_selectorELNS0_4arch9wavefront6targetE0EEEvSY_ ; -- Begin function _ZN7rocprim17ROCPRIM_400000_NS6detail17trampoline_kernelINS0_14default_configENS1_27upper_bound_config_selectorIxlEEZNS1_14transform_implILb0ES3_S5_N6thrust23THRUST_200600_302600_NS6detail15normal_iteratorINS8_7pointerIxNS8_11hip_rocprim5par_tENS8_11use_defaultESE_EEEENSA_INSB_IlSD_SE_SE_EEEEZNS1_13binary_searchIS3_S5_NSA_INS8_10device_ptrIxEEEESG_SI_NS1_21upper_bound_search_opENS9_16wrapped_functionINS8_6system6detail7generic6detail18binary_search_lessEbEEEE10hipError_tPvRmT1_T2_T3_mmT4_T5_P12ihipStream_tbEUlRKxE_EESV_SZ_S10_mS11_S14_bEUlT_E_NS1_11comp_targetILNS1_3genE10ELNS1_11target_archE1200ELNS1_3gpuE4ELNS1_3repE0EEENS1_30default_config_static_selectorELNS0_4arch9wavefront6targetE0EEEvSY_
	.globl	_ZN7rocprim17ROCPRIM_400000_NS6detail17trampoline_kernelINS0_14default_configENS1_27upper_bound_config_selectorIxlEEZNS1_14transform_implILb0ES3_S5_N6thrust23THRUST_200600_302600_NS6detail15normal_iteratorINS8_7pointerIxNS8_11hip_rocprim5par_tENS8_11use_defaultESE_EEEENSA_INSB_IlSD_SE_SE_EEEEZNS1_13binary_searchIS3_S5_NSA_INS8_10device_ptrIxEEEESG_SI_NS1_21upper_bound_search_opENS9_16wrapped_functionINS8_6system6detail7generic6detail18binary_search_lessEbEEEE10hipError_tPvRmT1_T2_T3_mmT4_T5_P12ihipStream_tbEUlRKxE_EESV_SZ_S10_mS11_S14_bEUlT_E_NS1_11comp_targetILNS1_3genE10ELNS1_11target_archE1200ELNS1_3gpuE4ELNS1_3repE0EEENS1_30default_config_static_selectorELNS0_4arch9wavefront6targetE0EEEvSY_
	.p2align	8
	.type	_ZN7rocprim17ROCPRIM_400000_NS6detail17trampoline_kernelINS0_14default_configENS1_27upper_bound_config_selectorIxlEEZNS1_14transform_implILb0ES3_S5_N6thrust23THRUST_200600_302600_NS6detail15normal_iteratorINS8_7pointerIxNS8_11hip_rocprim5par_tENS8_11use_defaultESE_EEEENSA_INSB_IlSD_SE_SE_EEEEZNS1_13binary_searchIS3_S5_NSA_INS8_10device_ptrIxEEEESG_SI_NS1_21upper_bound_search_opENS9_16wrapped_functionINS8_6system6detail7generic6detail18binary_search_lessEbEEEE10hipError_tPvRmT1_T2_T3_mmT4_T5_P12ihipStream_tbEUlRKxE_EESV_SZ_S10_mS11_S14_bEUlT_E_NS1_11comp_targetILNS1_3genE10ELNS1_11target_archE1200ELNS1_3gpuE4ELNS1_3repE0EEENS1_30default_config_static_selectorELNS0_4arch9wavefront6targetE0EEEvSY_,@function
_ZN7rocprim17ROCPRIM_400000_NS6detail17trampoline_kernelINS0_14default_configENS1_27upper_bound_config_selectorIxlEEZNS1_14transform_implILb0ES3_S5_N6thrust23THRUST_200600_302600_NS6detail15normal_iteratorINS8_7pointerIxNS8_11hip_rocprim5par_tENS8_11use_defaultESE_EEEENSA_INSB_IlSD_SE_SE_EEEEZNS1_13binary_searchIS3_S5_NSA_INS8_10device_ptrIxEEEESG_SI_NS1_21upper_bound_search_opENS9_16wrapped_functionINS8_6system6detail7generic6detail18binary_search_lessEbEEEE10hipError_tPvRmT1_T2_T3_mmT4_T5_P12ihipStream_tbEUlRKxE_EESV_SZ_S10_mS11_S14_bEUlT_E_NS1_11comp_targetILNS1_3genE10ELNS1_11target_archE1200ELNS1_3gpuE4ELNS1_3repE0EEENS1_30default_config_static_selectorELNS0_4arch9wavefront6targetE0EEEvSY_: ; @_ZN7rocprim17ROCPRIM_400000_NS6detail17trampoline_kernelINS0_14default_configENS1_27upper_bound_config_selectorIxlEEZNS1_14transform_implILb0ES3_S5_N6thrust23THRUST_200600_302600_NS6detail15normal_iteratorINS8_7pointerIxNS8_11hip_rocprim5par_tENS8_11use_defaultESE_EEEENSA_INSB_IlSD_SE_SE_EEEEZNS1_13binary_searchIS3_S5_NSA_INS8_10device_ptrIxEEEESG_SI_NS1_21upper_bound_search_opENS9_16wrapped_functionINS8_6system6detail7generic6detail18binary_search_lessEbEEEE10hipError_tPvRmT1_T2_T3_mmT4_T5_P12ihipStream_tbEUlRKxE_EESV_SZ_S10_mS11_S14_bEUlT_E_NS1_11comp_targetILNS1_3genE10ELNS1_11target_archE1200ELNS1_3gpuE4ELNS1_3repE0EEENS1_30default_config_static_selectorELNS0_4arch9wavefront6targetE0EEEvSY_
; %bb.0:
	.section	.rodata,"a",@progbits
	.p2align	6, 0x0
	.amdhsa_kernel _ZN7rocprim17ROCPRIM_400000_NS6detail17trampoline_kernelINS0_14default_configENS1_27upper_bound_config_selectorIxlEEZNS1_14transform_implILb0ES3_S5_N6thrust23THRUST_200600_302600_NS6detail15normal_iteratorINS8_7pointerIxNS8_11hip_rocprim5par_tENS8_11use_defaultESE_EEEENSA_INSB_IlSD_SE_SE_EEEEZNS1_13binary_searchIS3_S5_NSA_INS8_10device_ptrIxEEEESG_SI_NS1_21upper_bound_search_opENS9_16wrapped_functionINS8_6system6detail7generic6detail18binary_search_lessEbEEEE10hipError_tPvRmT1_T2_T3_mmT4_T5_P12ihipStream_tbEUlRKxE_EESV_SZ_S10_mS11_S14_bEUlT_E_NS1_11comp_targetILNS1_3genE10ELNS1_11target_archE1200ELNS1_3gpuE4ELNS1_3repE0EEENS1_30default_config_static_selectorELNS0_4arch9wavefront6targetE0EEEvSY_
		.amdhsa_group_segment_fixed_size 0
		.amdhsa_private_segment_fixed_size 0
		.amdhsa_kernarg_size 56
		.amdhsa_user_sgpr_count 6
		.amdhsa_user_sgpr_private_segment_buffer 1
		.amdhsa_user_sgpr_dispatch_ptr 0
		.amdhsa_user_sgpr_queue_ptr 0
		.amdhsa_user_sgpr_kernarg_segment_ptr 1
		.amdhsa_user_sgpr_dispatch_id 0
		.amdhsa_user_sgpr_flat_scratch_init 0
		.amdhsa_user_sgpr_private_segment_size 0
		.amdhsa_wavefront_size32 1
		.amdhsa_uses_dynamic_stack 0
		.amdhsa_system_sgpr_private_segment_wavefront_offset 0
		.amdhsa_system_sgpr_workgroup_id_x 1
		.amdhsa_system_sgpr_workgroup_id_y 0
		.amdhsa_system_sgpr_workgroup_id_z 0
		.amdhsa_system_sgpr_workgroup_info 0
		.amdhsa_system_vgpr_workitem_id 0
		.amdhsa_next_free_vgpr 1
		.amdhsa_next_free_sgpr 1
		.amdhsa_reserve_vcc 0
		.amdhsa_reserve_flat_scratch 0
		.amdhsa_float_round_mode_32 0
		.amdhsa_float_round_mode_16_64 0
		.amdhsa_float_denorm_mode_32 3
		.amdhsa_float_denorm_mode_16_64 3
		.amdhsa_dx10_clamp 1
		.amdhsa_ieee_mode 1
		.amdhsa_fp16_overflow 0
		.amdhsa_workgroup_processor_mode 1
		.amdhsa_memory_ordered 1
		.amdhsa_forward_progress 1
		.amdhsa_shared_vgpr_count 0
		.amdhsa_exception_fp_ieee_invalid_op 0
		.amdhsa_exception_fp_denorm_src 0
		.amdhsa_exception_fp_ieee_div_zero 0
		.amdhsa_exception_fp_ieee_overflow 0
		.amdhsa_exception_fp_ieee_underflow 0
		.amdhsa_exception_fp_ieee_inexact 0
		.amdhsa_exception_int_div_zero 0
	.end_amdhsa_kernel
	.section	.text._ZN7rocprim17ROCPRIM_400000_NS6detail17trampoline_kernelINS0_14default_configENS1_27upper_bound_config_selectorIxlEEZNS1_14transform_implILb0ES3_S5_N6thrust23THRUST_200600_302600_NS6detail15normal_iteratorINS8_7pointerIxNS8_11hip_rocprim5par_tENS8_11use_defaultESE_EEEENSA_INSB_IlSD_SE_SE_EEEEZNS1_13binary_searchIS3_S5_NSA_INS8_10device_ptrIxEEEESG_SI_NS1_21upper_bound_search_opENS9_16wrapped_functionINS8_6system6detail7generic6detail18binary_search_lessEbEEEE10hipError_tPvRmT1_T2_T3_mmT4_T5_P12ihipStream_tbEUlRKxE_EESV_SZ_S10_mS11_S14_bEUlT_E_NS1_11comp_targetILNS1_3genE10ELNS1_11target_archE1200ELNS1_3gpuE4ELNS1_3repE0EEENS1_30default_config_static_selectorELNS0_4arch9wavefront6targetE0EEEvSY_,"axG",@progbits,_ZN7rocprim17ROCPRIM_400000_NS6detail17trampoline_kernelINS0_14default_configENS1_27upper_bound_config_selectorIxlEEZNS1_14transform_implILb0ES3_S5_N6thrust23THRUST_200600_302600_NS6detail15normal_iteratorINS8_7pointerIxNS8_11hip_rocprim5par_tENS8_11use_defaultESE_EEEENSA_INSB_IlSD_SE_SE_EEEEZNS1_13binary_searchIS3_S5_NSA_INS8_10device_ptrIxEEEESG_SI_NS1_21upper_bound_search_opENS9_16wrapped_functionINS8_6system6detail7generic6detail18binary_search_lessEbEEEE10hipError_tPvRmT1_T2_T3_mmT4_T5_P12ihipStream_tbEUlRKxE_EESV_SZ_S10_mS11_S14_bEUlT_E_NS1_11comp_targetILNS1_3genE10ELNS1_11target_archE1200ELNS1_3gpuE4ELNS1_3repE0EEENS1_30default_config_static_selectorELNS0_4arch9wavefront6targetE0EEEvSY_,comdat
.Lfunc_end569:
	.size	_ZN7rocprim17ROCPRIM_400000_NS6detail17trampoline_kernelINS0_14default_configENS1_27upper_bound_config_selectorIxlEEZNS1_14transform_implILb0ES3_S5_N6thrust23THRUST_200600_302600_NS6detail15normal_iteratorINS8_7pointerIxNS8_11hip_rocprim5par_tENS8_11use_defaultESE_EEEENSA_INSB_IlSD_SE_SE_EEEEZNS1_13binary_searchIS3_S5_NSA_INS8_10device_ptrIxEEEESG_SI_NS1_21upper_bound_search_opENS9_16wrapped_functionINS8_6system6detail7generic6detail18binary_search_lessEbEEEE10hipError_tPvRmT1_T2_T3_mmT4_T5_P12ihipStream_tbEUlRKxE_EESV_SZ_S10_mS11_S14_bEUlT_E_NS1_11comp_targetILNS1_3genE10ELNS1_11target_archE1200ELNS1_3gpuE4ELNS1_3repE0EEENS1_30default_config_static_selectorELNS0_4arch9wavefront6targetE0EEEvSY_, .Lfunc_end569-_ZN7rocprim17ROCPRIM_400000_NS6detail17trampoline_kernelINS0_14default_configENS1_27upper_bound_config_selectorIxlEEZNS1_14transform_implILb0ES3_S5_N6thrust23THRUST_200600_302600_NS6detail15normal_iteratorINS8_7pointerIxNS8_11hip_rocprim5par_tENS8_11use_defaultESE_EEEENSA_INSB_IlSD_SE_SE_EEEEZNS1_13binary_searchIS3_S5_NSA_INS8_10device_ptrIxEEEESG_SI_NS1_21upper_bound_search_opENS9_16wrapped_functionINS8_6system6detail7generic6detail18binary_search_lessEbEEEE10hipError_tPvRmT1_T2_T3_mmT4_T5_P12ihipStream_tbEUlRKxE_EESV_SZ_S10_mS11_S14_bEUlT_E_NS1_11comp_targetILNS1_3genE10ELNS1_11target_archE1200ELNS1_3gpuE4ELNS1_3repE0EEENS1_30default_config_static_selectorELNS0_4arch9wavefront6targetE0EEEvSY_
                                        ; -- End function
	.set _ZN7rocprim17ROCPRIM_400000_NS6detail17trampoline_kernelINS0_14default_configENS1_27upper_bound_config_selectorIxlEEZNS1_14transform_implILb0ES3_S5_N6thrust23THRUST_200600_302600_NS6detail15normal_iteratorINS8_7pointerIxNS8_11hip_rocprim5par_tENS8_11use_defaultESE_EEEENSA_INSB_IlSD_SE_SE_EEEEZNS1_13binary_searchIS3_S5_NSA_INS8_10device_ptrIxEEEESG_SI_NS1_21upper_bound_search_opENS9_16wrapped_functionINS8_6system6detail7generic6detail18binary_search_lessEbEEEE10hipError_tPvRmT1_T2_T3_mmT4_T5_P12ihipStream_tbEUlRKxE_EESV_SZ_S10_mS11_S14_bEUlT_E_NS1_11comp_targetILNS1_3genE10ELNS1_11target_archE1200ELNS1_3gpuE4ELNS1_3repE0EEENS1_30default_config_static_selectorELNS0_4arch9wavefront6targetE0EEEvSY_.num_vgpr, 0
	.set _ZN7rocprim17ROCPRIM_400000_NS6detail17trampoline_kernelINS0_14default_configENS1_27upper_bound_config_selectorIxlEEZNS1_14transform_implILb0ES3_S5_N6thrust23THRUST_200600_302600_NS6detail15normal_iteratorINS8_7pointerIxNS8_11hip_rocprim5par_tENS8_11use_defaultESE_EEEENSA_INSB_IlSD_SE_SE_EEEEZNS1_13binary_searchIS3_S5_NSA_INS8_10device_ptrIxEEEESG_SI_NS1_21upper_bound_search_opENS9_16wrapped_functionINS8_6system6detail7generic6detail18binary_search_lessEbEEEE10hipError_tPvRmT1_T2_T3_mmT4_T5_P12ihipStream_tbEUlRKxE_EESV_SZ_S10_mS11_S14_bEUlT_E_NS1_11comp_targetILNS1_3genE10ELNS1_11target_archE1200ELNS1_3gpuE4ELNS1_3repE0EEENS1_30default_config_static_selectorELNS0_4arch9wavefront6targetE0EEEvSY_.num_agpr, 0
	.set _ZN7rocprim17ROCPRIM_400000_NS6detail17trampoline_kernelINS0_14default_configENS1_27upper_bound_config_selectorIxlEEZNS1_14transform_implILb0ES3_S5_N6thrust23THRUST_200600_302600_NS6detail15normal_iteratorINS8_7pointerIxNS8_11hip_rocprim5par_tENS8_11use_defaultESE_EEEENSA_INSB_IlSD_SE_SE_EEEEZNS1_13binary_searchIS3_S5_NSA_INS8_10device_ptrIxEEEESG_SI_NS1_21upper_bound_search_opENS9_16wrapped_functionINS8_6system6detail7generic6detail18binary_search_lessEbEEEE10hipError_tPvRmT1_T2_T3_mmT4_T5_P12ihipStream_tbEUlRKxE_EESV_SZ_S10_mS11_S14_bEUlT_E_NS1_11comp_targetILNS1_3genE10ELNS1_11target_archE1200ELNS1_3gpuE4ELNS1_3repE0EEENS1_30default_config_static_selectorELNS0_4arch9wavefront6targetE0EEEvSY_.numbered_sgpr, 0
	.set _ZN7rocprim17ROCPRIM_400000_NS6detail17trampoline_kernelINS0_14default_configENS1_27upper_bound_config_selectorIxlEEZNS1_14transform_implILb0ES3_S5_N6thrust23THRUST_200600_302600_NS6detail15normal_iteratorINS8_7pointerIxNS8_11hip_rocprim5par_tENS8_11use_defaultESE_EEEENSA_INSB_IlSD_SE_SE_EEEEZNS1_13binary_searchIS3_S5_NSA_INS8_10device_ptrIxEEEESG_SI_NS1_21upper_bound_search_opENS9_16wrapped_functionINS8_6system6detail7generic6detail18binary_search_lessEbEEEE10hipError_tPvRmT1_T2_T3_mmT4_T5_P12ihipStream_tbEUlRKxE_EESV_SZ_S10_mS11_S14_bEUlT_E_NS1_11comp_targetILNS1_3genE10ELNS1_11target_archE1200ELNS1_3gpuE4ELNS1_3repE0EEENS1_30default_config_static_selectorELNS0_4arch9wavefront6targetE0EEEvSY_.num_named_barrier, 0
	.set _ZN7rocprim17ROCPRIM_400000_NS6detail17trampoline_kernelINS0_14default_configENS1_27upper_bound_config_selectorIxlEEZNS1_14transform_implILb0ES3_S5_N6thrust23THRUST_200600_302600_NS6detail15normal_iteratorINS8_7pointerIxNS8_11hip_rocprim5par_tENS8_11use_defaultESE_EEEENSA_INSB_IlSD_SE_SE_EEEEZNS1_13binary_searchIS3_S5_NSA_INS8_10device_ptrIxEEEESG_SI_NS1_21upper_bound_search_opENS9_16wrapped_functionINS8_6system6detail7generic6detail18binary_search_lessEbEEEE10hipError_tPvRmT1_T2_T3_mmT4_T5_P12ihipStream_tbEUlRKxE_EESV_SZ_S10_mS11_S14_bEUlT_E_NS1_11comp_targetILNS1_3genE10ELNS1_11target_archE1200ELNS1_3gpuE4ELNS1_3repE0EEENS1_30default_config_static_selectorELNS0_4arch9wavefront6targetE0EEEvSY_.private_seg_size, 0
	.set _ZN7rocprim17ROCPRIM_400000_NS6detail17trampoline_kernelINS0_14default_configENS1_27upper_bound_config_selectorIxlEEZNS1_14transform_implILb0ES3_S5_N6thrust23THRUST_200600_302600_NS6detail15normal_iteratorINS8_7pointerIxNS8_11hip_rocprim5par_tENS8_11use_defaultESE_EEEENSA_INSB_IlSD_SE_SE_EEEEZNS1_13binary_searchIS3_S5_NSA_INS8_10device_ptrIxEEEESG_SI_NS1_21upper_bound_search_opENS9_16wrapped_functionINS8_6system6detail7generic6detail18binary_search_lessEbEEEE10hipError_tPvRmT1_T2_T3_mmT4_T5_P12ihipStream_tbEUlRKxE_EESV_SZ_S10_mS11_S14_bEUlT_E_NS1_11comp_targetILNS1_3genE10ELNS1_11target_archE1200ELNS1_3gpuE4ELNS1_3repE0EEENS1_30default_config_static_selectorELNS0_4arch9wavefront6targetE0EEEvSY_.uses_vcc, 0
	.set _ZN7rocprim17ROCPRIM_400000_NS6detail17trampoline_kernelINS0_14default_configENS1_27upper_bound_config_selectorIxlEEZNS1_14transform_implILb0ES3_S5_N6thrust23THRUST_200600_302600_NS6detail15normal_iteratorINS8_7pointerIxNS8_11hip_rocprim5par_tENS8_11use_defaultESE_EEEENSA_INSB_IlSD_SE_SE_EEEEZNS1_13binary_searchIS3_S5_NSA_INS8_10device_ptrIxEEEESG_SI_NS1_21upper_bound_search_opENS9_16wrapped_functionINS8_6system6detail7generic6detail18binary_search_lessEbEEEE10hipError_tPvRmT1_T2_T3_mmT4_T5_P12ihipStream_tbEUlRKxE_EESV_SZ_S10_mS11_S14_bEUlT_E_NS1_11comp_targetILNS1_3genE10ELNS1_11target_archE1200ELNS1_3gpuE4ELNS1_3repE0EEENS1_30default_config_static_selectorELNS0_4arch9wavefront6targetE0EEEvSY_.uses_flat_scratch, 0
	.set _ZN7rocprim17ROCPRIM_400000_NS6detail17trampoline_kernelINS0_14default_configENS1_27upper_bound_config_selectorIxlEEZNS1_14transform_implILb0ES3_S5_N6thrust23THRUST_200600_302600_NS6detail15normal_iteratorINS8_7pointerIxNS8_11hip_rocprim5par_tENS8_11use_defaultESE_EEEENSA_INSB_IlSD_SE_SE_EEEEZNS1_13binary_searchIS3_S5_NSA_INS8_10device_ptrIxEEEESG_SI_NS1_21upper_bound_search_opENS9_16wrapped_functionINS8_6system6detail7generic6detail18binary_search_lessEbEEEE10hipError_tPvRmT1_T2_T3_mmT4_T5_P12ihipStream_tbEUlRKxE_EESV_SZ_S10_mS11_S14_bEUlT_E_NS1_11comp_targetILNS1_3genE10ELNS1_11target_archE1200ELNS1_3gpuE4ELNS1_3repE0EEENS1_30default_config_static_selectorELNS0_4arch9wavefront6targetE0EEEvSY_.has_dyn_sized_stack, 0
	.set _ZN7rocprim17ROCPRIM_400000_NS6detail17trampoline_kernelINS0_14default_configENS1_27upper_bound_config_selectorIxlEEZNS1_14transform_implILb0ES3_S5_N6thrust23THRUST_200600_302600_NS6detail15normal_iteratorINS8_7pointerIxNS8_11hip_rocprim5par_tENS8_11use_defaultESE_EEEENSA_INSB_IlSD_SE_SE_EEEEZNS1_13binary_searchIS3_S5_NSA_INS8_10device_ptrIxEEEESG_SI_NS1_21upper_bound_search_opENS9_16wrapped_functionINS8_6system6detail7generic6detail18binary_search_lessEbEEEE10hipError_tPvRmT1_T2_T3_mmT4_T5_P12ihipStream_tbEUlRKxE_EESV_SZ_S10_mS11_S14_bEUlT_E_NS1_11comp_targetILNS1_3genE10ELNS1_11target_archE1200ELNS1_3gpuE4ELNS1_3repE0EEENS1_30default_config_static_selectorELNS0_4arch9wavefront6targetE0EEEvSY_.has_recursion, 0
	.set _ZN7rocprim17ROCPRIM_400000_NS6detail17trampoline_kernelINS0_14default_configENS1_27upper_bound_config_selectorIxlEEZNS1_14transform_implILb0ES3_S5_N6thrust23THRUST_200600_302600_NS6detail15normal_iteratorINS8_7pointerIxNS8_11hip_rocprim5par_tENS8_11use_defaultESE_EEEENSA_INSB_IlSD_SE_SE_EEEEZNS1_13binary_searchIS3_S5_NSA_INS8_10device_ptrIxEEEESG_SI_NS1_21upper_bound_search_opENS9_16wrapped_functionINS8_6system6detail7generic6detail18binary_search_lessEbEEEE10hipError_tPvRmT1_T2_T3_mmT4_T5_P12ihipStream_tbEUlRKxE_EESV_SZ_S10_mS11_S14_bEUlT_E_NS1_11comp_targetILNS1_3genE10ELNS1_11target_archE1200ELNS1_3gpuE4ELNS1_3repE0EEENS1_30default_config_static_selectorELNS0_4arch9wavefront6targetE0EEEvSY_.has_indirect_call, 0
	.section	.AMDGPU.csdata,"",@progbits
; Kernel info:
; codeLenInByte = 0
; TotalNumSgprs: 0
; NumVgprs: 0
; ScratchSize: 0
; MemoryBound: 0
; FloatMode: 240
; IeeeMode: 1
; LDSByteSize: 0 bytes/workgroup (compile time only)
; SGPRBlocks: 0
; VGPRBlocks: 0
; NumSGPRsForWavesPerEU: 1
; NumVGPRsForWavesPerEU: 1
; Occupancy: 16
; WaveLimiterHint : 0
; COMPUTE_PGM_RSRC2:SCRATCH_EN: 0
; COMPUTE_PGM_RSRC2:USER_SGPR: 6
; COMPUTE_PGM_RSRC2:TRAP_HANDLER: 0
; COMPUTE_PGM_RSRC2:TGID_X_EN: 1
; COMPUTE_PGM_RSRC2:TGID_Y_EN: 0
; COMPUTE_PGM_RSRC2:TGID_Z_EN: 0
; COMPUTE_PGM_RSRC2:TIDIG_COMP_CNT: 0
	.section	.text._ZN7rocprim17ROCPRIM_400000_NS6detail17trampoline_kernelINS0_14default_configENS1_27upper_bound_config_selectorIxlEEZNS1_14transform_implILb0ES3_S5_N6thrust23THRUST_200600_302600_NS6detail15normal_iteratorINS8_7pointerIxNS8_11hip_rocprim5par_tENS8_11use_defaultESE_EEEENSA_INSB_IlSD_SE_SE_EEEEZNS1_13binary_searchIS3_S5_NSA_INS8_10device_ptrIxEEEESG_SI_NS1_21upper_bound_search_opENS9_16wrapped_functionINS8_6system6detail7generic6detail18binary_search_lessEbEEEE10hipError_tPvRmT1_T2_T3_mmT4_T5_P12ihipStream_tbEUlRKxE_EESV_SZ_S10_mS11_S14_bEUlT_E_NS1_11comp_targetILNS1_3genE9ELNS1_11target_archE1100ELNS1_3gpuE3ELNS1_3repE0EEENS1_30default_config_static_selectorELNS0_4arch9wavefront6targetE0EEEvSY_,"axG",@progbits,_ZN7rocprim17ROCPRIM_400000_NS6detail17trampoline_kernelINS0_14default_configENS1_27upper_bound_config_selectorIxlEEZNS1_14transform_implILb0ES3_S5_N6thrust23THRUST_200600_302600_NS6detail15normal_iteratorINS8_7pointerIxNS8_11hip_rocprim5par_tENS8_11use_defaultESE_EEEENSA_INSB_IlSD_SE_SE_EEEEZNS1_13binary_searchIS3_S5_NSA_INS8_10device_ptrIxEEEESG_SI_NS1_21upper_bound_search_opENS9_16wrapped_functionINS8_6system6detail7generic6detail18binary_search_lessEbEEEE10hipError_tPvRmT1_T2_T3_mmT4_T5_P12ihipStream_tbEUlRKxE_EESV_SZ_S10_mS11_S14_bEUlT_E_NS1_11comp_targetILNS1_3genE9ELNS1_11target_archE1100ELNS1_3gpuE3ELNS1_3repE0EEENS1_30default_config_static_selectorELNS0_4arch9wavefront6targetE0EEEvSY_,comdat
	.protected	_ZN7rocprim17ROCPRIM_400000_NS6detail17trampoline_kernelINS0_14default_configENS1_27upper_bound_config_selectorIxlEEZNS1_14transform_implILb0ES3_S5_N6thrust23THRUST_200600_302600_NS6detail15normal_iteratorINS8_7pointerIxNS8_11hip_rocprim5par_tENS8_11use_defaultESE_EEEENSA_INSB_IlSD_SE_SE_EEEEZNS1_13binary_searchIS3_S5_NSA_INS8_10device_ptrIxEEEESG_SI_NS1_21upper_bound_search_opENS9_16wrapped_functionINS8_6system6detail7generic6detail18binary_search_lessEbEEEE10hipError_tPvRmT1_T2_T3_mmT4_T5_P12ihipStream_tbEUlRKxE_EESV_SZ_S10_mS11_S14_bEUlT_E_NS1_11comp_targetILNS1_3genE9ELNS1_11target_archE1100ELNS1_3gpuE3ELNS1_3repE0EEENS1_30default_config_static_selectorELNS0_4arch9wavefront6targetE0EEEvSY_ ; -- Begin function _ZN7rocprim17ROCPRIM_400000_NS6detail17trampoline_kernelINS0_14default_configENS1_27upper_bound_config_selectorIxlEEZNS1_14transform_implILb0ES3_S5_N6thrust23THRUST_200600_302600_NS6detail15normal_iteratorINS8_7pointerIxNS8_11hip_rocprim5par_tENS8_11use_defaultESE_EEEENSA_INSB_IlSD_SE_SE_EEEEZNS1_13binary_searchIS3_S5_NSA_INS8_10device_ptrIxEEEESG_SI_NS1_21upper_bound_search_opENS9_16wrapped_functionINS8_6system6detail7generic6detail18binary_search_lessEbEEEE10hipError_tPvRmT1_T2_T3_mmT4_T5_P12ihipStream_tbEUlRKxE_EESV_SZ_S10_mS11_S14_bEUlT_E_NS1_11comp_targetILNS1_3genE9ELNS1_11target_archE1100ELNS1_3gpuE3ELNS1_3repE0EEENS1_30default_config_static_selectorELNS0_4arch9wavefront6targetE0EEEvSY_
	.globl	_ZN7rocprim17ROCPRIM_400000_NS6detail17trampoline_kernelINS0_14default_configENS1_27upper_bound_config_selectorIxlEEZNS1_14transform_implILb0ES3_S5_N6thrust23THRUST_200600_302600_NS6detail15normal_iteratorINS8_7pointerIxNS8_11hip_rocprim5par_tENS8_11use_defaultESE_EEEENSA_INSB_IlSD_SE_SE_EEEEZNS1_13binary_searchIS3_S5_NSA_INS8_10device_ptrIxEEEESG_SI_NS1_21upper_bound_search_opENS9_16wrapped_functionINS8_6system6detail7generic6detail18binary_search_lessEbEEEE10hipError_tPvRmT1_T2_T3_mmT4_T5_P12ihipStream_tbEUlRKxE_EESV_SZ_S10_mS11_S14_bEUlT_E_NS1_11comp_targetILNS1_3genE9ELNS1_11target_archE1100ELNS1_3gpuE3ELNS1_3repE0EEENS1_30default_config_static_selectorELNS0_4arch9wavefront6targetE0EEEvSY_
	.p2align	8
	.type	_ZN7rocprim17ROCPRIM_400000_NS6detail17trampoline_kernelINS0_14default_configENS1_27upper_bound_config_selectorIxlEEZNS1_14transform_implILb0ES3_S5_N6thrust23THRUST_200600_302600_NS6detail15normal_iteratorINS8_7pointerIxNS8_11hip_rocprim5par_tENS8_11use_defaultESE_EEEENSA_INSB_IlSD_SE_SE_EEEEZNS1_13binary_searchIS3_S5_NSA_INS8_10device_ptrIxEEEESG_SI_NS1_21upper_bound_search_opENS9_16wrapped_functionINS8_6system6detail7generic6detail18binary_search_lessEbEEEE10hipError_tPvRmT1_T2_T3_mmT4_T5_P12ihipStream_tbEUlRKxE_EESV_SZ_S10_mS11_S14_bEUlT_E_NS1_11comp_targetILNS1_3genE9ELNS1_11target_archE1100ELNS1_3gpuE3ELNS1_3repE0EEENS1_30default_config_static_selectorELNS0_4arch9wavefront6targetE0EEEvSY_,@function
_ZN7rocprim17ROCPRIM_400000_NS6detail17trampoline_kernelINS0_14default_configENS1_27upper_bound_config_selectorIxlEEZNS1_14transform_implILb0ES3_S5_N6thrust23THRUST_200600_302600_NS6detail15normal_iteratorINS8_7pointerIxNS8_11hip_rocprim5par_tENS8_11use_defaultESE_EEEENSA_INSB_IlSD_SE_SE_EEEEZNS1_13binary_searchIS3_S5_NSA_INS8_10device_ptrIxEEEESG_SI_NS1_21upper_bound_search_opENS9_16wrapped_functionINS8_6system6detail7generic6detail18binary_search_lessEbEEEE10hipError_tPvRmT1_T2_T3_mmT4_T5_P12ihipStream_tbEUlRKxE_EESV_SZ_S10_mS11_S14_bEUlT_E_NS1_11comp_targetILNS1_3genE9ELNS1_11target_archE1100ELNS1_3gpuE3ELNS1_3repE0EEENS1_30default_config_static_selectorELNS0_4arch9wavefront6targetE0EEEvSY_: ; @_ZN7rocprim17ROCPRIM_400000_NS6detail17trampoline_kernelINS0_14default_configENS1_27upper_bound_config_selectorIxlEEZNS1_14transform_implILb0ES3_S5_N6thrust23THRUST_200600_302600_NS6detail15normal_iteratorINS8_7pointerIxNS8_11hip_rocprim5par_tENS8_11use_defaultESE_EEEENSA_INSB_IlSD_SE_SE_EEEEZNS1_13binary_searchIS3_S5_NSA_INS8_10device_ptrIxEEEESG_SI_NS1_21upper_bound_search_opENS9_16wrapped_functionINS8_6system6detail7generic6detail18binary_search_lessEbEEEE10hipError_tPvRmT1_T2_T3_mmT4_T5_P12ihipStream_tbEUlRKxE_EESV_SZ_S10_mS11_S14_bEUlT_E_NS1_11comp_targetILNS1_3genE9ELNS1_11target_archE1100ELNS1_3gpuE3ELNS1_3repE0EEENS1_30default_config_static_selectorELNS0_4arch9wavefront6targetE0EEEvSY_
; %bb.0:
	.section	.rodata,"a",@progbits
	.p2align	6, 0x0
	.amdhsa_kernel _ZN7rocprim17ROCPRIM_400000_NS6detail17trampoline_kernelINS0_14default_configENS1_27upper_bound_config_selectorIxlEEZNS1_14transform_implILb0ES3_S5_N6thrust23THRUST_200600_302600_NS6detail15normal_iteratorINS8_7pointerIxNS8_11hip_rocprim5par_tENS8_11use_defaultESE_EEEENSA_INSB_IlSD_SE_SE_EEEEZNS1_13binary_searchIS3_S5_NSA_INS8_10device_ptrIxEEEESG_SI_NS1_21upper_bound_search_opENS9_16wrapped_functionINS8_6system6detail7generic6detail18binary_search_lessEbEEEE10hipError_tPvRmT1_T2_T3_mmT4_T5_P12ihipStream_tbEUlRKxE_EESV_SZ_S10_mS11_S14_bEUlT_E_NS1_11comp_targetILNS1_3genE9ELNS1_11target_archE1100ELNS1_3gpuE3ELNS1_3repE0EEENS1_30default_config_static_selectorELNS0_4arch9wavefront6targetE0EEEvSY_
		.amdhsa_group_segment_fixed_size 0
		.amdhsa_private_segment_fixed_size 0
		.amdhsa_kernarg_size 56
		.amdhsa_user_sgpr_count 6
		.amdhsa_user_sgpr_private_segment_buffer 1
		.amdhsa_user_sgpr_dispatch_ptr 0
		.amdhsa_user_sgpr_queue_ptr 0
		.amdhsa_user_sgpr_kernarg_segment_ptr 1
		.amdhsa_user_sgpr_dispatch_id 0
		.amdhsa_user_sgpr_flat_scratch_init 0
		.amdhsa_user_sgpr_private_segment_size 0
		.amdhsa_wavefront_size32 1
		.amdhsa_uses_dynamic_stack 0
		.amdhsa_system_sgpr_private_segment_wavefront_offset 0
		.amdhsa_system_sgpr_workgroup_id_x 1
		.amdhsa_system_sgpr_workgroup_id_y 0
		.amdhsa_system_sgpr_workgroup_id_z 0
		.amdhsa_system_sgpr_workgroup_info 0
		.amdhsa_system_vgpr_workitem_id 0
		.amdhsa_next_free_vgpr 1
		.amdhsa_next_free_sgpr 1
		.amdhsa_reserve_vcc 0
		.amdhsa_reserve_flat_scratch 0
		.amdhsa_float_round_mode_32 0
		.amdhsa_float_round_mode_16_64 0
		.amdhsa_float_denorm_mode_32 3
		.amdhsa_float_denorm_mode_16_64 3
		.amdhsa_dx10_clamp 1
		.amdhsa_ieee_mode 1
		.amdhsa_fp16_overflow 0
		.amdhsa_workgroup_processor_mode 1
		.amdhsa_memory_ordered 1
		.amdhsa_forward_progress 1
		.amdhsa_shared_vgpr_count 0
		.amdhsa_exception_fp_ieee_invalid_op 0
		.amdhsa_exception_fp_denorm_src 0
		.amdhsa_exception_fp_ieee_div_zero 0
		.amdhsa_exception_fp_ieee_overflow 0
		.amdhsa_exception_fp_ieee_underflow 0
		.amdhsa_exception_fp_ieee_inexact 0
		.amdhsa_exception_int_div_zero 0
	.end_amdhsa_kernel
	.section	.text._ZN7rocprim17ROCPRIM_400000_NS6detail17trampoline_kernelINS0_14default_configENS1_27upper_bound_config_selectorIxlEEZNS1_14transform_implILb0ES3_S5_N6thrust23THRUST_200600_302600_NS6detail15normal_iteratorINS8_7pointerIxNS8_11hip_rocprim5par_tENS8_11use_defaultESE_EEEENSA_INSB_IlSD_SE_SE_EEEEZNS1_13binary_searchIS3_S5_NSA_INS8_10device_ptrIxEEEESG_SI_NS1_21upper_bound_search_opENS9_16wrapped_functionINS8_6system6detail7generic6detail18binary_search_lessEbEEEE10hipError_tPvRmT1_T2_T3_mmT4_T5_P12ihipStream_tbEUlRKxE_EESV_SZ_S10_mS11_S14_bEUlT_E_NS1_11comp_targetILNS1_3genE9ELNS1_11target_archE1100ELNS1_3gpuE3ELNS1_3repE0EEENS1_30default_config_static_selectorELNS0_4arch9wavefront6targetE0EEEvSY_,"axG",@progbits,_ZN7rocprim17ROCPRIM_400000_NS6detail17trampoline_kernelINS0_14default_configENS1_27upper_bound_config_selectorIxlEEZNS1_14transform_implILb0ES3_S5_N6thrust23THRUST_200600_302600_NS6detail15normal_iteratorINS8_7pointerIxNS8_11hip_rocprim5par_tENS8_11use_defaultESE_EEEENSA_INSB_IlSD_SE_SE_EEEEZNS1_13binary_searchIS3_S5_NSA_INS8_10device_ptrIxEEEESG_SI_NS1_21upper_bound_search_opENS9_16wrapped_functionINS8_6system6detail7generic6detail18binary_search_lessEbEEEE10hipError_tPvRmT1_T2_T3_mmT4_T5_P12ihipStream_tbEUlRKxE_EESV_SZ_S10_mS11_S14_bEUlT_E_NS1_11comp_targetILNS1_3genE9ELNS1_11target_archE1100ELNS1_3gpuE3ELNS1_3repE0EEENS1_30default_config_static_selectorELNS0_4arch9wavefront6targetE0EEEvSY_,comdat
.Lfunc_end570:
	.size	_ZN7rocprim17ROCPRIM_400000_NS6detail17trampoline_kernelINS0_14default_configENS1_27upper_bound_config_selectorIxlEEZNS1_14transform_implILb0ES3_S5_N6thrust23THRUST_200600_302600_NS6detail15normal_iteratorINS8_7pointerIxNS8_11hip_rocprim5par_tENS8_11use_defaultESE_EEEENSA_INSB_IlSD_SE_SE_EEEEZNS1_13binary_searchIS3_S5_NSA_INS8_10device_ptrIxEEEESG_SI_NS1_21upper_bound_search_opENS9_16wrapped_functionINS8_6system6detail7generic6detail18binary_search_lessEbEEEE10hipError_tPvRmT1_T2_T3_mmT4_T5_P12ihipStream_tbEUlRKxE_EESV_SZ_S10_mS11_S14_bEUlT_E_NS1_11comp_targetILNS1_3genE9ELNS1_11target_archE1100ELNS1_3gpuE3ELNS1_3repE0EEENS1_30default_config_static_selectorELNS0_4arch9wavefront6targetE0EEEvSY_, .Lfunc_end570-_ZN7rocprim17ROCPRIM_400000_NS6detail17trampoline_kernelINS0_14default_configENS1_27upper_bound_config_selectorIxlEEZNS1_14transform_implILb0ES3_S5_N6thrust23THRUST_200600_302600_NS6detail15normal_iteratorINS8_7pointerIxNS8_11hip_rocprim5par_tENS8_11use_defaultESE_EEEENSA_INSB_IlSD_SE_SE_EEEEZNS1_13binary_searchIS3_S5_NSA_INS8_10device_ptrIxEEEESG_SI_NS1_21upper_bound_search_opENS9_16wrapped_functionINS8_6system6detail7generic6detail18binary_search_lessEbEEEE10hipError_tPvRmT1_T2_T3_mmT4_T5_P12ihipStream_tbEUlRKxE_EESV_SZ_S10_mS11_S14_bEUlT_E_NS1_11comp_targetILNS1_3genE9ELNS1_11target_archE1100ELNS1_3gpuE3ELNS1_3repE0EEENS1_30default_config_static_selectorELNS0_4arch9wavefront6targetE0EEEvSY_
                                        ; -- End function
	.set _ZN7rocprim17ROCPRIM_400000_NS6detail17trampoline_kernelINS0_14default_configENS1_27upper_bound_config_selectorIxlEEZNS1_14transform_implILb0ES3_S5_N6thrust23THRUST_200600_302600_NS6detail15normal_iteratorINS8_7pointerIxNS8_11hip_rocprim5par_tENS8_11use_defaultESE_EEEENSA_INSB_IlSD_SE_SE_EEEEZNS1_13binary_searchIS3_S5_NSA_INS8_10device_ptrIxEEEESG_SI_NS1_21upper_bound_search_opENS9_16wrapped_functionINS8_6system6detail7generic6detail18binary_search_lessEbEEEE10hipError_tPvRmT1_T2_T3_mmT4_T5_P12ihipStream_tbEUlRKxE_EESV_SZ_S10_mS11_S14_bEUlT_E_NS1_11comp_targetILNS1_3genE9ELNS1_11target_archE1100ELNS1_3gpuE3ELNS1_3repE0EEENS1_30default_config_static_selectorELNS0_4arch9wavefront6targetE0EEEvSY_.num_vgpr, 0
	.set _ZN7rocprim17ROCPRIM_400000_NS6detail17trampoline_kernelINS0_14default_configENS1_27upper_bound_config_selectorIxlEEZNS1_14transform_implILb0ES3_S5_N6thrust23THRUST_200600_302600_NS6detail15normal_iteratorINS8_7pointerIxNS8_11hip_rocprim5par_tENS8_11use_defaultESE_EEEENSA_INSB_IlSD_SE_SE_EEEEZNS1_13binary_searchIS3_S5_NSA_INS8_10device_ptrIxEEEESG_SI_NS1_21upper_bound_search_opENS9_16wrapped_functionINS8_6system6detail7generic6detail18binary_search_lessEbEEEE10hipError_tPvRmT1_T2_T3_mmT4_T5_P12ihipStream_tbEUlRKxE_EESV_SZ_S10_mS11_S14_bEUlT_E_NS1_11comp_targetILNS1_3genE9ELNS1_11target_archE1100ELNS1_3gpuE3ELNS1_3repE0EEENS1_30default_config_static_selectorELNS0_4arch9wavefront6targetE0EEEvSY_.num_agpr, 0
	.set _ZN7rocprim17ROCPRIM_400000_NS6detail17trampoline_kernelINS0_14default_configENS1_27upper_bound_config_selectorIxlEEZNS1_14transform_implILb0ES3_S5_N6thrust23THRUST_200600_302600_NS6detail15normal_iteratorINS8_7pointerIxNS8_11hip_rocprim5par_tENS8_11use_defaultESE_EEEENSA_INSB_IlSD_SE_SE_EEEEZNS1_13binary_searchIS3_S5_NSA_INS8_10device_ptrIxEEEESG_SI_NS1_21upper_bound_search_opENS9_16wrapped_functionINS8_6system6detail7generic6detail18binary_search_lessEbEEEE10hipError_tPvRmT1_T2_T3_mmT4_T5_P12ihipStream_tbEUlRKxE_EESV_SZ_S10_mS11_S14_bEUlT_E_NS1_11comp_targetILNS1_3genE9ELNS1_11target_archE1100ELNS1_3gpuE3ELNS1_3repE0EEENS1_30default_config_static_selectorELNS0_4arch9wavefront6targetE0EEEvSY_.numbered_sgpr, 0
	.set _ZN7rocprim17ROCPRIM_400000_NS6detail17trampoline_kernelINS0_14default_configENS1_27upper_bound_config_selectorIxlEEZNS1_14transform_implILb0ES3_S5_N6thrust23THRUST_200600_302600_NS6detail15normal_iteratorINS8_7pointerIxNS8_11hip_rocprim5par_tENS8_11use_defaultESE_EEEENSA_INSB_IlSD_SE_SE_EEEEZNS1_13binary_searchIS3_S5_NSA_INS8_10device_ptrIxEEEESG_SI_NS1_21upper_bound_search_opENS9_16wrapped_functionINS8_6system6detail7generic6detail18binary_search_lessEbEEEE10hipError_tPvRmT1_T2_T3_mmT4_T5_P12ihipStream_tbEUlRKxE_EESV_SZ_S10_mS11_S14_bEUlT_E_NS1_11comp_targetILNS1_3genE9ELNS1_11target_archE1100ELNS1_3gpuE3ELNS1_3repE0EEENS1_30default_config_static_selectorELNS0_4arch9wavefront6targetE0EEEvSY_.num_named_barrier, 0
	.set _ZN7rocprim17ROCPRIM_400000_NS6detail17trampoline_kernelINS0_14default_configENS1_27upper_bound_config_selectorIxlEEZNS1_14transform_implILb0ES3_S5_N6thrust23THRUST_200600_302600_NS6detail15normal_iteratorINS8_7pointerIxNS8_11hip_rocprim5par_tENS8_11use_defaultESE_EEEENSA_INSB_IlSD_SE_SE_EEEEZNS1_13binary_searchIS3_S5_NSA_INS8_10device_ptrIxEEEESG_SI_NS1_21upper_bound_search_opENS9_16wrapped_functionINS8_6system6detail7generic6detail18binary_search_lessEbEEEE10hipError_tPvRmT1_T2_T3_mmT4_T5_P12ihipStream_tbEUlRKxE_EESV_SZ_S10_mS11_S14_bEUlT_E_NS1_11comp_targetILNS1_3genE9ELNS1_11target_archE1100ELNS1_3gpuE3ELNS1_3repE0EEENS1_30default_config_static_selectorELNS0_4arch9wavefront6targetE0EEEvSY_.private_seg_size, 0
	.set _ZN7rocprim17ROCPRIM_400000_NS6detail17trampoline_kernelINS0_14default_configENS1_27upper_bound_config_selectorIxlEEZNS1_14transform_implILb0ES3_S5_N6thrust23THRUST_200600_302600_NS6detail15normal_iteratorINS8_7pointerIxNS8_11hip_rocprim5par_tENS8_11use_defaultESE_EEEENSA_INSB_IlSD_SE_SE_EEEEZNS1_13binary_searchIS3_S5_NSA_INS8_10device_ptrIxEEEESG_SI_NS1_21upper_bound_search_opENS9_16wrapped_functionINS8_6system6detail7generic6detail18binary_search_lessEbEEEE10hipError_tPvRmT1_T2_T3_mmT4_T5_P12ihipStream_tbEUlRKxE_EESV_SZ_S10_mS11_S14_bEUlT_E_NS1_11comp_targetILNS1_3genE9ELNS1_11target_archE1100ELNS1_3gpuE3ELNS1_3repE0EEENS1_30default_config_static_selectorELNS0_4arch9wavefront6targetE0EEEvSY_.uses_vcc, 0
	.set _ZN7rocprim17ROCPRIM_400000_NS6detail17trampoline_kernelINS0_14default_configENS1_27upper_bound_config_selectorIxlEEZNS1_14transform_implILb0ES3_S5_N6thrust23THRUST_200600_302600_NS6detail15normal_iteratorINS8_7pointerIxNS8_11hip_rocprim5par_tENS8_11use_defaultESE_EEEENSA_INSB_IlSD_SE_SE_EEEEZNS1_13binary_searchIS3_S5_NSA_INS8_10device_ptrIxEEEESG_SI_NS1_21upper_bound_search_opENS9_16wrapped_functionINS8_6system6detail7generic6detail18binary_search_lessEbEEEE10hipError_tPvRmT1_T2_T3_mmT4_T5_P12ihipStream_tbEUlRKxE_EESV_SZ_S10_mS11_S14_bEUlT_E_NS1_11comp_targetILNS1_3genE9ELNS1_11target_archE1100ELNS1_3gpuE3ELNS1_3repE0EEENS1_30default_config_static_selectorELNS0_4arch9wavefront6targetE0EEEvSY_.uses_flat_scratch, 0
	.set _ZN7rocprim17ROCPRIM_400000_NS6detail17trampoline_kernelINS0_14default_configENS1_27upper_bound_config_selectorIxlEEZNS1_14transform_implILb0ES3_S5_N6thrust23THRUST_200600_302600_NS6detail15normal_iteratorINS8_7pointerIxNS8_11hip_rocprim5par_tENS8_11use_defaultESE_EEEENSA_INSB_IlSD_SE_SE_EEEEZNS1_13binary_searchIS3_S5_NSA_INS8_10device_ptrIxEEEESG_SI_NS1_21upper_bound_search_opENS9_16wrapped_functionINS8_6system6detail7generic6detail18binary_search_lessEbEEEE10hipError_tPvRmT1_T2_T3_mmT4_T5_P12ihipStream_tbEUlRKxE_EESV_SZ_S10_mS11_S14_bEUlT_E_NS1_11comp_targetILNS1_3genE9ELNS1_11target_archE1100ELNS1_3gpuE3ELNS1_3repE0EEENS1_30default_config_static_selectorELNS0_4arch9wavefront6targetE0EEEvSY_.has_dyn_sized_stack, 0
	.set _ZN7rocprim17ROCPRIM_400000_NS6detail17trampoline_kernelINS0_14default_configENS1_27upper_bound_config_selectorIxlEEZNS1_14transform_implILb0ES3_S5_N6thrust23THRUST_200600_302600_NS6detail15normal_iteratorINS8_7pointerIxNS8_11hip_rocprim5par_tENS8_11use_defaultESE_EEEENSA_INSB_IlSD_SE_SE_EEEEZNS1_13binary_searchIS3_S5_NSA_INS8_10device_ptrIxEEEESG_SI_NS1_21upper_bound_search_opENS9_16wrapped_functionINS8_6system6detail7generic6detail18binary_search_lessEbEEEE10hipError_tPvRmT1_T2_T3_mmT4_T5_P12ihipStream_tbEUlRKxE_EESV_SZ_S10_mS11_S14_bEUlT_E_NS1_11comp_targetILNS1_3genE9ELNS1_11target_archE1100ELNS1_3gpuE3ELNS1_3repE0EEENS1_30default_config_static_selectorELNS0_4arch9wavefront6targetE0EEEvSY_.has_recursion, 0
	.set _ZN7rocprim17ROCPRIM_400000_NS6detail17trampoline_kernelINS0_14default_configENS1_27upper_bound_config_selectorIxlEEZNS1_14transform_implILb0ES3_S5_N6thrust23THRUST_200600_302600_NS6detail15normal_iteratorINS8_7pointerIxNS8_11hip_rocprim5par_tENS8_11use_defaultESE_EEEENSA_INSB_IlSD_SE_SE_EEEEZNS1_13binary_searchIS3_S5_NSA_INS8_10device_ptrIxEEEESG_SI_NS1_21upper_bound_search_opENS9_16wrapped_functionINS8_6system6detail7generic6detail18binary_search_lessEbEEEE10hipError_tPvRmT1_T2_T3_mmT4_T5_P12ihipStream_tbEUlRKxE_EESV_SZ_S10_mS11_S14_bEUlT_E_NS1_11comp_targetILNS1_3genE9ELNS1_11target_archE1100ELNS1_3gpuE3ELNS1_3repE0EEENS1_30default_config_static_selectorELNS0_4arch9wavefront6targetE0EEEvSY_.has_indirect_call, 0
	.section	.AMDGPU.csdata,"",@progbits
; Kernel info:
; codeLenInByte = 0
; TotalNumSgprs: 0
; NumVgprs: 0
; ScratchSize: 0
; MemoryBound: 0
; FloatMode: 240
; IeeeMode: 1
; LDSByteSize: 0 bytes/workgroup (compile time only)
; SGPRBlocks: 0
; VGPRBlocks: 0
; NumSGPRsForWavesPerEU: 1
; NumVGPRsForWavesPerEU: 1
; Occupancy: 16
; WaveLimiterHint : 0
; COMPUTE_PGM_RSRC2:SCRATCH_EN: 0
; COMPUTE_PGM_RSRC2:USER_SGPR: 6
; COMPUTE_PGM_RSRC2:TRAP_HANDLER: 0
; COMPUTE_PGM_RSRC2:TGID_X_EN: 1
; COMPUTE_PGM_RSRC2:TGID_Y_EN: 0
; COMPUTE_PGM_RSRC2:TGID_Z_EN: 0
; COMPUTE_PGM_RSRC2:TIDIG_COMP_CNT: 0
	.section	.text._ZN7rocprim17ROCPRIM_400000_NS6detail17trampoline_kernelINS0_14default_configENS1_27upper_bound_config_selectorIxlEEZNS1_14transform_implILb0ES3_S5_N6thrust23THRUST_200600_302600_NS6detail15normal_iteratorINS8_7pointerIxNS8_11hip_rocprim5par_tENS8_11use_defaultESE_EEEENSA_INSB_IlSD_SE_SE_EEEEZNS1_13binary_searchIS3_S5_NSA_INS8_10device_ptrIxEEEESG_SI_NS1_21upper_bound_search_opENS9_16wrapped_functionINS8_6system6detail7generic6detail18binary_search_lessEbEEEE10hipError_tPvRmT1_T2_T3_mmT4_T5_P12ihipStream_tbEUlRKxE_EESV_SZ_S10_mS11_S14_bEUlT_E_NS1_11comp_targetILNS1_3genE8ELNS1_11target_archE1030ELNS1_3gpuE2ELNS1_3repE0EEENS1_30default_config_static_selectorELNS0_4arch9wavefront6targetE0EEEvSY_,"axG",@progbits,_ZN7rocprim17ROCPRIM_400000_NS6detail17trampoline_kernelINS0_14default_configENS1_27upper_bound_config_selectorIxlEEZNS1_14transform_implILb0ES3_S5_N6thrust23THRUST_200600_302600_NS6detail15normal_iteratorINS8_7pointerIxNS8_11hip_rocprim5par_tENS8_11use_defaultESE_EEEENSA_INSB_IlSD_SE_SE_EEEEZNS1_13binary_searchIS3_S5_NSA_INS8_10device_ptrIxEEEESG_SI_NS1_21upper_bound_search_opENS9_16wrapped_functionINS8_6system6detail7generic6detail18binary_search_lessEbEEEE10hipError_tPvRmT1_T2_T3_mmT4_T5_P12ihipStream_tbEUlRKxE_EESV_SZ_S10_mS11_S14_bEUlT_E_NS1_11comp_targetILNS1_3genE8ELNS1_11target_archE1030ELNS1_3gpuE2ELNS1_3repE0EEENS1_30default_config_static_selectorELNS0_4arch9wavefront6targetE0EEEvSY_,comdat
	.protected	_ZN7rocprim17ROCPRIM_400000_NS6detail17trampoline_kernelINS0_14default_configENS1_27upper_bound_config_selectorIxlEEZNS1_14transform_implILb0ES3_S5_N6thrust23THRUST_200600_302600_NS6detail15normal_iteratorINS8_7pointerIxNS8_11hip_rocprim5par_tENS8_11use_defaultESE_EEEENSA_INSB_IlSD_SE_SE_EEEEZNS1_13binary_searchIS3_S5_NSA_INS8_10device_ptrIxEEEESG_SI_NS1_21upper_bound_search_opENS9_16wrapped_functionINS8_6system6detail7generic6detail18binary_search_lessEbEEEE10hipError_tPvRmT1_T2_T3_mmT4_T5_P12ihipStream_tbEUlRKxE_EESV_SZ_S10_mS11_S14_bEUlT_E_NS1_11comp_targetILNS1_3genE8ELNS1_11target_archE1030ELNS1_3gpuE2ELNS1_3repE0EEENS1_30default_config_static_selectorELNS0_4arch9wavefront6targetE0EEEvSY_ ; -- Begin function _ZN7rocprim17ROCPRIM_400000_NS6detail17trampoline_kernelINS0_14default_configENS1_27upper_bound_config_selectorIxlEEZNS1_14transform_implILb0ES3_S5_N6thrust23THRUST_200600_302600_NS6detail15normal_iteratorINS8_7pointerIxNS8_11hip_rocprim5par_tENS8_11use_defaultESE_EEEENSA_INSB_IlSD_SE_SE_EEEEZNS1_13binary_searchIS3_S5_NSA_INS8_10device_ptrIxEEEESG_SI_NS1_21upper_bound_search_opENS9_16wrapped_functionINS8_6system6detail7generic6detail18binary_search_lessEbEEEE10hipError_tPvRmT1_T2_T3_mmT4_T5_P12ihipStream_tbEUlRKxE_EESV_SZ_S10_mS11_S14_bEUlT_E_NS1_11comp_targetILNS1_3genE8ELNS1_11target_archE1030ELNS1_3gpuE2ELNS1_3repE0EEENS1_30default_config_static_selectorELNS0_4arch9wavefront6targetE0EEEvSY_
	.globl	_ZN7rocprim17ROCPRIM_400000_NS6detail17trampoline_kernelINS0_14default_configENS1_27upper_bound_config_selectorIxlEEZNS1_14transform_implILb0ES3_S5_N6thrust23THRUST_200600_302600_NS6detail15normal_iteratorINS8_7pointerIxNS8_11hip_rocprim5par_tENS8_11use_defaultESE_EEEENSA_INSB_IlSD_SE_SE_EEEEZNS1_13binary_searchIS3_S5_NSA_INS8_10device_ptrIxEEEESG_SI_NS1_21upper_bound_search_opENS9_16wrapped_functionINS8_6system6detail7generic6detail18binary_search_lessEbEEEE10hipError_tPvRmT1_T2_T3_mmT4_T5_P12ihipStream_tbEUlRKxE_EESV_SZ_S10_mS11_S14_bEUlT_E_NS1_11comp_targetILNS1_3genE8ELNS1_11target_archE1030ELNS1_3gpuE2ELNS1_3repE0EEENS1_30default_config_static_selectorELNS0_4arch9wavefront6targetE0EEEvSY_
	.p2align	8
	.type	_ZN7rocprim17ROCPRIM_400000_NS6detail17trampoline_kernelINS0_14default_configENS1_27upper_bound_config_selectorIxlEEZNS1_14transform_implILb0ES3_S5_N6thrust23THRUST_200600_302600_NS6detail15normal_iteratorINS8_7pointerIxNS8_11hip_rocprim5par_tENS8_11use_defaultESE_EEEENSA_INSB_IlSD_SE_SE_EEEEZNS1_13binary_searchIS3_S5_NSA_INS8_10device_ptrIxEEEESG_SI_NS1_21upper_bound_search_opENS9_16wrapped_functionINS8_6system6detail7generic6detail18binary_search_lessEbEEEE10hipError_tPvRmT1_T2_T3_mmT4_T5_P12ihipStream_tbEUlRKxE_EESV_SZ_S10_mS11_S14_bEUlT_E_NS1_11comp_targetILNS1_3genE8ELNS1_11target_archE1030ELNS1_3gpuE2ELNS1_3repE0EEENS1_30default_config_static_selectorELNS0_4arch9wavefront6targetE0EEEvSY_,@function
_ZN7rocprim17ROCPRIM_400000_NS6detail17trampoline_kernelINS0_14default_configENS1_27upper_bound_config_selectorIxlEEZNS1_14transform_implILb0ES3_S5_N6thrust23THRUST_200600_302600_NS6detail15normal_iteratorINS8_7pointerIxNS8_11hip_rocprim5par_tENS8_11use_defaultESE_EEEENSA_INSB_IlSD_SE_SE_EEEEZNS1_13binary_searchIS3_S5_NSA_INS8_10device_ptrIxEEEESG_SI_NS1_21upper_bound_search_opENS9_16wrapped_functionINS8_6system6detail7generic6detail18binary_search_lessEbEEEE10hipError_tPvRmT1_T2_T3_mmT4_T5_P12ihipStream_tbEUlRKxE_EESV_SZ_S10_mS11_S14_bEUlT_E_NS1_11comp_targetILNS1_3genE8ELNS1_11target_archE1030ELNS1_3gpuE2ELNS1_3repE0EEENS1_30default_config_static_selectorELNS0_4arch9wavefront6targetE0EEEvSY_: ; @_ZN7rocprim17ROCPRIM_400000_NS6detail17trampoline_kernelINS0_14default_configENS1_27upper_bound_config_selectorIxlEEZNS1_14transform_implILb0ES3_S5_N6thrust23THRUST_200600_302600_NS6detail15normal_iteratorINS8_7pointerIxNS8_11hip_rocprim5par_tENS8_11use_defaultESE_EEEENSA_INSB_IlSD_SE_SE_EEEEZNS1_13binary_searchIS3_S5_NSA_INS8_10device_ptrIxEEEESG_SI_NS1_21upper_bound_search_opENS9_16wrapped_functionINS8_6system6detail7generic6detail18binary_search_lessEbEEEE10hipError_tPvRmT1_T2_T3_mmT4_T5_P12ihipStream_tbEUlRKxE_EESV_SZ_S10_mS11_S14_bEUlT_E_NS1_11comp_targetILNS1_3genE8ELNS1_11target_archE1030ELNS1_3gpuE2ELNS1_3repE0EEENS1_30default_config_static_selectorELNS0_4arch9wavefront6targetE0EEEvSY_
; %bb.0:
	s_clause 0x3
	s_load_dwordx4 s[16:19], s[4:5], 0x0
	s_load_dwordx4 s[0:3], s[4:5], 0x18
	s_load_dword s15, s[4:5], 0x38
	s_load_dwordx2 s[10:11], s[4:5], 0x28
	s_waitcnt lgkmcnt(0)
	s_lshl_b64 s[8:9], s[18:19], 3
	s_add_u32 s13, s16, s8
	s_addc_u32 s14, s17, s9
	s_add_u32 s7, s0, s8
	s_addc_u32 s12, s1, s9
	s_add_i32 s15, s15, -1
	s_lshl_b32 s8, s6, 8
	s_mov_b32 s9, 0
	s_cmp_lg_u32 s6, s15
	s_mov_b32 s0, -1
	s_cbranch_scc0 .LBB571_7
; %bb.1:
	s_cmp_eq_u64 s[10:11], 0
	s_cbranch_scc1 .LBB571_5
; %bb.2:
	v_lshlrev_b32_e32 v1, 3, v0
	s_lshl_b64 s[0:1], s[8:9], 3
	v_mov_b32_e32 v5, s10
	s_add_u32 s0, s13, s0
	s_addc_u32 s1, s14, s1
	v_add_co_u32 v1, s0, s0, v1
	v_add_co_ci_u32_e64 v2, null, s1, 0, s0
	v_mov_b32_e32 v6, s11
	s_mov_b32 s1, 0
	flat_load_dwordx2 v[3:4], v[1:2]
	v_mov_b32_e32 v1, 0
	v_mov_b32_e32 v2, 0
	s_inst_prefetch 0x1
	.p2align	6
.LBB571_3:                              ; =>This Inner Loop Header: Depth=1
	v_sub_co_u32 v7, vcc_lo, v5, v1
	v_sub_co_ci_u32_e64 v8, null, v6, v2, vcc_lo
	v_lshrrev_b64 v[9:10], 1, v[7:8]
	v_lshrrev_b64 v[7:8], 6, v[7:8]
	v_add_co_u32 v9, vcc_lo, v9, v1
	v_add_co_ci_u32_e64 v10, null, v10, v2, vcc_lo
	v_add_co_u32 v7, vcc_lo, v9, v7
	v_add_co_ci_u32_e64 v8, null, v10, v8, vcc_lo
	v_lshlrev_b64 v[9:10], 3, v[7:8]
	v_add_co_u32 v9, vcc_lo, s2, v9
	v_add_co_ci_u32_e64 v10, null, s3, v10, vcc_lo
	v_add_co_u32 v11, vcc_lo, v7, 1
	global_load_dwordx2 v[9:10], v[9:10], off
	s_waitcnt vmcnt(0) lgkmcnt(0)
	v_cmp_lt_i64_e64 s0, v[3:4], v[9:10]
	v_add_co_ci_u32_e64 v9, null, 0, v8, vcc_lo
	v_cndmask_b32_e64 v6, v6, v8, s0
	v_cndmask_b32_e64 v5, v5, v7, s0
	;; [unrolled: 1-line block ×4, first 2 shown]
	v_cmp_ge_u64_e32 vcc_lo, v[1:2], v[5:6]
	s_or_b32 s1, vcc_lo, s1
	s_andn2_b32 exec_lo, exec_lo, s1
	s_cbranch_execnz .LBB571_3
; %bb.4:
	s_inst_prefetch 0x2
	s_or_b32 exec_lo, exec_lo, s1
	s_branch .LBB571_6
.LBB571_5:
	v_mov_b32_e32 v1, 0
	v_mov_b32_e32 v2, 0
.LBB571_6:
	v_lshlrev_b32_e32 v3, 3, v0
	s_lshl_b64 s[0:1], s[8:9], 3
	s_add_u32 s0, s7, s0
	s_addc_u32 s1, s12, s1
	v_add_co_u32 v3, s0, s0, v3
	v_add_co_ci_u32_e64 v4, null, s1, 0, s0
	s_mov_b32 s0, 0
	flat_store_dwordx2 v[3:4], v[1:2]
.LBB571_7:
	s_and_b32 vcc_lo, exec_lo, s0
	s_cbranch_vccz .LBB571_16
; %bb.8:
	s_load_dword s0, s[4:5], 0x10
                                        ; implicit-def: $vgpr3_vgpr4
	s_waitcnt lgkmcnt(0)
	s_sub_i32 s1, s0, s8
	v_cmp_le_u32_e64 s0, s1, v0
	v_cmp_gt_u32_e32 vcc_lo, s1, v0
	s_and_saveexec_b32 s1, vcc_lo
	s_cbranch_execz .LBB571_10
; %bb.9:
	v_lshlrev_b32_e32 v1, 3, v0
	s_lshl_b64 s[4:5], s[8:9], 3
	s_add_u32 s4, s13, s4
	s_addc_u32 s5, s14, s5
	v_add_co_u32 v1, s4, s4, v1
	v_add_co_ci_u32_e64 v2, null, s5, 0, s4
	flat_load_dwordx2 v[3:4], v[1:2]
.LBB571_10:
	s_or_b32 exec_lo, exec_lo, s1
	s_cmp_lg_u64 s[10:11], 0
	v_mov_b32_e32 v1, 0
	v_mov_b32_e32 v2, 0
	s_cselect_b32 s1, -1, 0
	s_xor_b32 s0, s0, -1
	s_and_b32 s0, s0, s1
	s_and_saveexec_b32 s4, s0
	s_cbranch_execz .LBB571_14
; %bb.11:
	v_mov_b32_e32 v1, 0
	v_mov_b32_e32 v5, s10
	v_mov_b32_e32 v2, 0
	v_mov_b32_e32 v6, s11
	s_mov_b32 s5, 0
	s_inst_prefetch 0x1
	.p2align	6
.LBB571_12:                             ; =>This Inner Loop Header: Depth=1
	v_sub_co_u32 v7, s0, v5, v1
	v_sub_co_ci_u32_e64 v8, null, v6, v2, s0
	v_lshrrev_b64 v[9:10], 1, v[7:8]
	v_lshrrev_b64 v[7:8], 6, v[7:8]
	v_add_co_u32 v9, s0, v9, v1
	v_add_co_ci_u32_e64 v10, null, v10, v2, s0
	v_add_co_u32 v7, s0, v9, v7
	v_add_co_ci_u32_e64 v8, null, v10, v8, s0
	v_lshlrev_b64 v[9:10], 3, v[7:8]
	v_add_co_u32 v9, s0, s2, v9
	v_add_co_ci_u32_e64 v10, null, s3, v10, s0
	v_add_co_u32 v11, s0, v7, 1
	global_load_dwordx2 v[9:10], v[9:10], off
	s_waitcnt vmcnt(0) lgkmcnt(0)
	v_cmp_lt_i64_e64 s1, v[3:4], v[9:10]
	v_add_co_ci_u32_e64 v9, null, 0, v8, s0
	v_cndmask_b32_e64 v6, v6, v8, s1
	v_cndmask_b32_e64 v5, v5, v7, s1
	;; [unrolled: 1-line block ×4, first 2 shown]
	v_cmp_ge_u64_e64 s0, v[1:2], v[5:6]
	s_or_b32 s5, s0, s5
	s_andn2_b32 exec_lo, exec_lo, s5
	s_cbranch_execnz .LBB571_12
; %bb.13:
	s_inst_prefetch 0x2
	s_or_b32 exec_lo, exec_lo, s5
.LBB571_14:
	s_or_b32 exec_lo, exec_lo, s4
	s_and_saveexec_b32 s0, vcc_lo
	s_cbranch_execz .LBB571_16
; %bb.15:
	v_lshlrev_b32_e32 v0, 3, v0
	s_lshl_b64 s[0:1], s[8:9], 3
	s_add_u32 s0, s7, s0
	s_addc_u32 s1, s12, s1
	s_waitcnt vmcnt(0) lgkmcnt(0)
	v_add_co_u32 v3, s0, s0, v0
	v_add_co_ci_u32_e64 v4, null, s1, 0, s0
	flat_store_dwordx2 v[3:4], v[1:2]
.LBB571_16:
	s_endpgm
	.section	.rodata,"a",@progbits
	.p2align	6, 0x0
	.amdhsa_kernel _ZN7rocprim17ROCPRIM_400000_NS6detail17trampoline_kernelINS0_14default_configENS1_27upper_bound_config_selectorIxlEEZNS1_14transform_implILb0ES3_S5_N6thrust23THRUST_200600_302600_NS6detail15normal_iteratorINS8_7pointerIxNS8_11hip_rocprim5par_tENS8_11use_defaultESE_EEEENSA_INSB_IlSD_SE_SE_EEEEZNS1_13binary_searchIS3_S5_NSA_INS8_10device_ptrIxEEEESG_SI_NS1_21upper_bound_search_opENS9_16wrapped_functionINS8_6system6detail7generic6detail18binary_search_lessEbEEEE10hipError_tPvRmT1_T2_T3_mmT4_T5_P12ihipStream_tbEUlRKxE_EESV_SZ_S10_mS11_S14_bEUlT_E_NS1_11comp_targetILNS1_3genE8ELNS1_11target_archE1030ELNS1_3gpuE2ELNS1_3repE0EEENS1_30default_config_static_selectorELNS0_4arch9wavefront6targetE0EEEvSY_
		.amdhsa_group_segment_fixed_size 0
		.amdhsa_private_segment_fixed_size 0
		.amdhsa_kernarg_size 312
		.amdhsa_user_sgpr_count 6
		.amdhsa_user_sgpr_private_segment_buffer 1
		.amdhsa_user_sgpr_dispatch_ptr 0
		.amdhsa_user_sgpr_queue_ptr 0
		.amdhsa_user_sgpr_kernarg_segment_ptr 1
		.amdhsa_user_sgpr_dispatch_id 0
		.amdhsa_user_sgpr_flat_scratch_init 0
		.amdhsa_user_sgpr_private_segment_size 0
		.amdhsa_wavefront_size32 1
		.amdhsa_uses_dynamic_stack 0
		.amdhsa_system_sgpr_private_segment_wavefront_offset 0
		.amdhsa_system_sgpr_workgroup_id_x 1
		.amdhsa_system_sgpr_workgroup_id_y 0
		.amdhsa_system_sgpr_workgroup_id_z 0
		.amdhsa_system_sgpr_workgroup_info 0
		.amdhsa_system_vgpr_workitem_id 0
		.amdhsa_next_free_vgpr 12
		.amdhsa_next_free_sgpr 20
		.amdhsa_reserve_vcc 1
		.amdhsa_reserve_flat_scratch 0
		.amdhsa_float_round_mode_32 0
		.amdhsa_float_round_mode_16_64 0
		.amdhsa_float_denorm_mode_32 3
		.amdhsa_float_denorm_mode_16_64 3
		.amdhsa_dx10_clamp 1
		.amdhsa_ieee_mode 1
		.amdhsa_fp16_overflow 0
		.amdhsa_workgroup_processor_mode 1
		.amdhsa_memory_ordered 1
		.amdhsa_forward_progress 1
		.amdhsa_shared_vgpr_count 0
		.amdhsa_exception_fp_ieee_invalid_op 0
		.amdhsa_exception_fp_denorm_src 0
		.amdhsa_exception_fp_ieee_div_zero 0
		.amdhsa_exception_fp_ieee_overflow 0
		.amdhsa_exception_fp_ieee_underflow 0
		.amdhsa_exception_fp_ieee_inexact 0
		.amdhsa_exception_int_div_zero 0
	.end_amdhsa_kernel
	.section	.text._ZN7rocprim17ROCPRIM_400000_NS6detail17trampoline_kernelINS0_14default_configENS1_27upper_bound_config_selectorIxlEEZNS1_14transform_implILb0ES3_S5_N6thrust23THRUST_200600_302600_NS6detail15normal_iteratorINS8_7pointerIxNS8_11hip_rocprim5par_tENS8_11use_defaultESE_EEEENSA_INSB_IlSD_SE_SE_EEEEZNS1_13binary_searchIS3_S5_NSA_INS8_10device_ptrIxEEEESG_SI_NS1_21upper_bound_search_opENS9_16wrapped_functionINS8_6system6detail7generic6detail18binary_search_lessEbEEEE10hipError_tPvRmT1_T2_T3_mmT4_T5_P12ihipStream_tbEUlRKxE_EESV_SZ_S10_mS11_S14_bEUlT_E_NS1_11comp_targetILNS1_3genE8ELNS1_11target_archE1030ELNS1_3gpuE2ELNS1_3repE0EEENS1_30default_config_static_selectorELNS0_4arch9wavefront6targetE0EEEvSY_,"axG",@progbits,_ZN7rocprim17ROCPRIM_400000_NS6detail17trampoline_kernelINS0_14default_configENS1_27upper_bound_config_selectorIxlEEZNS1_14transform_implILb0ES3_S5_N6thrust23THRUST_200600_302600_NS6detail15normal_iteratorINS8_7pointerIxNS8_11hip_rocprim5par_tENS8_11use_defaultESE_EEEENSA_INSB_IlSD_SE_SE_EEEEZNS1_13binary_searchIS3_S5_NSA_INS8_10device_ptrIxEEEESG_SI_NS1_21upper_bound_search_opENS9_16wrapped_functionINS8_6system6detail7generic6detail18binary_search_lessEbEEEE10hipError_tPvRmT1_T2_T3_mmT4_T5_P12ihipStream_tbEUlRKxE_EESV_SZ_S10_mS11_S14_bEUlT_E_NS1_11comp_targetILNS1_3genE8ELNS1_11target_archE1030ELNS1_3gpuE2ELNS1_3repE0EEENS1_30default_config_static_selectorELNS0_4arch9wavefront6targetE0EEEvSY_,comdat
.Lfunc_end571:
	.size	_ZN7rocprim17ROCPRIM_400000_NS6detail17trampoline_kernelINS0_14default_configENS1_27upper_bound_config_selectorIxlEEZNS1_14transform_implILb0ES3_S5_N6thrust23THRUST_200600_302600_NS6detail15normal_iteratorINS8_7pointerIxNS8_11hip_rocprim5par_tENS8_11use_defaultESE_EEEENSA_INSB_IlSD_SE_SE_EEEEZNS1_13binary_searchIS3_S5_NSA_INS8_10device_ptrIxEEEESG_SI_NS1_21upper_bound_search_opENS9_16wrapped_functionINS8_6system6detail7generic6detail18binary_search_lessEbEEEE10hipError_tPvRmT1_T2_T3_mmT4_T5_P12ihipStream_tbEUlRKxE_EESV_SZ_S10_mS11_S14_bEUlT_E_NS1_11comp_targetILNS1_3genE8ELNS1_11target_archE1030ELNS1_3gpuE2ELNS1_3repE0EEENS1_30default_config_static_selectorELNS0_4arch9wavefront6targetE0EEEvSY_, .Lfunc_end571-_ZN7rocprim17ROCPRIM_400000_NS6detail17trampoline_kernelINS0_14default_configENS1_27upper_bound_config_selectorIxlEEZNS1_14transform_implILb0ES3_S5_N6thrust23THRUST_200600_302600_NS6detail15normal_iteratorINS8_7pointerIxNS8_11hip_rocprim5par_tENS8_11use_defaultESE_EEEENSA_INSB_IlSD_SE_SE_EEEEZNS1_13binary_searchIS3_S5_NSA_INS8_10device_ptrIxEEEESG_SI_NS1_21upper_bound_search_opENS9_16wrapped_functionINS8_6system6detail7generic6detail18binary_search_lessEbEEEE10hipError_tPvRmT1_T2_T3_mmT4_T5_P12ihipStream_tbEUlRKxE_EESV_SZ_S10_mS11_S14_bEUlT_E_NS1_11comp_targetILNS1_3genE8ELNS1_11target_archE1030ELNS1_3gpuE2ELNS1_3repE0EEENS1_30default_config_static_selectorELNS0_4arch9wavefront6targetE0EEEvSY_
                                        ; -- End function
	.set _ZN7rocprim17ROCPRIM_400000_NS6detail17trampoline_kernelINS0_14default_configENS1_27upper_bound_config_selectorIxlEEZNS1_14transform_implILb0ES3_S5_N6thrust23THRUST_200600_302600_NS6detail15normal_iteratorINS8_7pointerIxNS8_11hip_rocprim5par_tENS8_11use_defaultESE_EEEENSA_INSB_IlSD_SE_SE_EEEEZNS1_13binary_searchIS3_S5_NSA_INS8_10device_ptrIxEEEESG_SI_NS1_21upper_bound_search_opENS9_16wrapped_functionINS8_6system6detail7generic6detail18binary_search_lessEbEEEE10hipError_tPvRmT1_T2_T3_mmT4_T5_P12ihipStream_tbEUlRKxE_EESV_SZ_S10_mS11_S14_bEUlT_E_NS1_11comp_targetILNS1_3genE8ELNS1_11target_archE1030ELNS1_3gpuE2ELNS1_3repE0EEENS1_30default_config_static_selectorELNS0_4arch9wavefront6targetE0EEEvSY_.num_vgpr, 12
	.set _ZN7rocprim17ROCPRIM_400000_NS6detail17trampoline_kernelINS0_14default_configENS1_27upper_bound_config_selectorIxlEEZNS1_14transform_implILb0ES3_S5_N6thrust23THRUST_200600_302600_NS6detail15normal_iteratorINS8_7pointerIxNS8_11hip_rocprim5par_tENS8_11use_defaultESE_EEEENSA_INSB_IlSD_SE_SE_EEEEZNS1_13binary_searchIS3_S5_NSA_INS8_10device_ptrIxEEEESG_SI_NS1_21upper_bound_search_opENS9_16wrapped_functionINS8_6system6detail7generic6detail18binary_search_lessEbEEEE10hipError_tPvRmT1_T2_T3_mmT4_T5_P12ihipStream_tbEUlRKxE_EESV_SZ_S10_mS11_S14_bEUlT_E_NS1_11comp_targetILNS1_3genE8ELNS1_11target_archE1030ELNS1_3gpuE2ELNS1_3repE0EEENS1_30default_config_static_selectorELNS0_4arch9wavefront6targetE0EEEvSY_.num_agpr, 0
	.set _ZN7rocprim17ROCPRIM_400000_NS6detail17trampoline_kernelINS0_14default_configENS1_27upper_bound_config_selectorIxlEEZNS1_14transform_implILb0ES3_S5_N6thrust23THRUST_200600_302600_NS6detail15normal_iteratorINS8_7pointerIxNS8_11hip_rocprim5par_tENS8_11use_defaultESE_EEEENSA_INSB_IlSD_SE_SE_EEEEZNS1_13binary_searchIS3_S5_NSA_INS8_10device_ptrIxEEEESG_SI_NS1_21upper_bound_search_opENS9_16wrapped_functionINS8_6system6detail7generic6detail18binary_search_lessEbEEEE10hipError_tPvRmT1_T2_T3_mmT4_T5_P12ihipStream_tbEUlRKxE_EESV_SZ_S10_mS11_S14_bEUlT_E_NS1_11comp_targetILNS1_3genE8ELNS1_11target_archE1030ELNS1_3gpuE2ELNS1_3repE0EEENS1_30default_config_static_selectorELNS0_4arch9wavefront6targetE0EEEvSY_.numbered_sgpr, 20
	.set _ZN7rocprim17ROCPRIM_400000_NS6detail17trampoline_kernelINS0_14default_configENS1_27upper_bound_config_selectorIxlEEZNS1_14transform_implILb0ES3_S5_N6thrust23THRUST_200600_302600_NS6detail15normal_iteratorINS8_7pointerIxNS8_11hip_rocprim5par_tENS8_11use_defaultESE_EEEENSA_INSB_IlSD_SE_SE_EEEEZNS1_13binary_searchIS3_S5_NSA_INS8_10device_ptrIxEEEESG_SI_NS1_21upper_bound_search_opENS9_16wrapped_functionINS8_6system6detail7generic6detail18binary_search_lessEbEEEE10hipError_tPvRmT1_T2_T3_mmT4_T5_P12ihipStream_tbEUlRKxE_EESV_SZ_S10_mS11_S14_bEUlT_E_NS1_11comp_targetILNS1_3genE8ELNS1_11target_archE1030ELNS1_3gpuE2ELNS1_3repE0EEENS1_30default_config_static_selectorELNS0_4arch9wavefront6targetE0EEEvSY_.num_named_barrier, 0
	.set _ZN7rocprim17ROCPRIM_400000_NS6detail17trampoline_kernelINS0_14default_configENS1_27upper_bound_config_selectorIxlEEZNS1_14transform_implILb0ES3_S5_N6thrust23THRUST_200600_302600_NS6detail15normal_iteratorINS8_7pointerIxNS8_11hip_rocprim5par_tENS8_11use_defaultESE_EEEENSA_INSB_IlSD_SE_SE_EEEEZNS1_13binary_searchIS3_S5_NSA_INS8_10device_ptrIxEEEESG_SI_NS1_21upper_bound_search_opENS9_16wrapped_functionINS8_6system6detail7generic6detail18binary_search_lessEbEEEE10hipError_tPvRmT1_T2_T3_mmT4_T5_P12ihipStream_tbEUlRKxE_EESV_SZ_S10_mS11_S14_bEUlT_E_NS1_11comp_targetILNS1_3genE8ELNS1_11target_archE1030ELNS1_3gpuE2ELNS1_3repE0EEENS1_30default_config_static_selectorELNS0_4arch9wavefront6targetE0EEEvSY_.private_seg_size, 0
	.set _ZN7rocprim17ROCPRIM_400000_NS6detail17trampoline_kernelINS0_14default_configENS1_27upper_bound_config_selectorIxlEEZNS1_14transform_implILb0ES3_S5_N6thrust23THRUST_200600_302600_NS6detail15normal_iteratorINS8_7pointerIxNS8_11hip_rocprim5par_tENS8_11use_defaultESE_EEEENSA_INSB_IlSD_SE_SE_EEEEZNS1_13binary_searchIS3_S5_NSA_INS8_10device_ptrIxEEEESG_SI_NS1_21upper_bound_search_opENS9_16wrapped_functionINS8_6system6detail7generic6detail18binary_search_lessEbEEEE10hipError_tPvRmT1_T2_T3_mmT4_T5_P12ihipStream_tbEUlRKxE_EESV_SZ_S10_mS11_S14_bEUlT_E_NS1_11comp_targetILNS1_3genE8ELNS1_11target_archE1030ELNS1_3gpuE2ELNS1_3repE0EEENS1_30default_config_static_selectorELNS0_4arch9wavefront6targetE0EEEvSY_.uses_vcc, 1
	.set _ZN7rocprim17ROCPRIM_400000_NS6detail17trampoline_kernelINS0_14default_configENS1_27upper_bound_config_selectorIxlEEZNS1_14transform_implILb0ES3_S5_N6thrust23THRUST_200600_302600_NS6detail15normal_iteratorINS8_7pointerIxNS8_11hip_rocprim5par_tENS8_11use_defaultESE_EEEENSA_INSB_IlSD_SE_SE_EEEEZNS1_13binary_searchIS3_S5_NSA_INS8_10device_ptrIxEEEESG_SI_NS1_21upper_bound_search_opENS9_16wrapped_functionINS8_6system6detail7generic6detail18binary_search_lessEbEEEE10hipError_tPvRmT1_T2_T3_mmT4_T5_P12ihipStream_tbEUlRKxE_EESV_SZ_S10_mS11_S14_bEUlT_E_NS1_11comp_targetILNS1_3genE8ELNS1_11target_archE1030ELNS1_3gpuE2ELNS1_3repE0EEENS1_30default_config_static_selectorELNS0_4arch9wavefront6targetE0EEEvSY_.uses_flat_scratch, 0
	.set _ZN7rocprim17ROCPRIM_400000_NS6detail17trampoline_kernelINS0_14default_configENS1_27upper_bound_config_selectorIxlEEZNS1_14transform_implILb0ES3_S5_N6thrust23THRUST_200600_302600_NS6detail15normal_iteratorINS8_7pointerIxNS8_11hip_rocprim5par_tENS8_11use_defaultESE_EEEENSA_INSB_IlSD_SE_SE_EEEEZNS1_13binary_searchIS3_S5_NSA_INS8_10device_ptrIxEEEESG_SI_NS1_21upper_bound_search_opENS9_16wrapped_functionINS8_6system6detail7generic6detail18binary_search_lessEbEEEE10hipError_tPvRmT1_T2_T3_mmT4_T5_P12ihipStream_tbEUlRKxE_EESV_SZ_S10_mS11_S14_bEUlT_E_NS1_11comp_targetILNS1_3genE8ELNS1_11target_archE1030ELNS1_3gpuE2ELNS1_3repE0EEENS1_30default_config_static_selectorELNS0_4arch9wavefront6targetE0EEEvSY_.has_dyn_sized_stack, 0
	.set _ZN7rocprim17ROCPRIM_400000_NS6detail17trampoline_kernelINS0_14default_configENS1_27upper_bound_config_selectorIxlEEZNS1_14transform_implILb0ES3_S5_N6thrust23THRUST_200600_302600_NS6detail15normal_iteratorINS8_7pointerIxNS8_11hip_rocprim5par_tENS8_11use_defaultESE_EEEENSA_INSB_IlSD_SE_SE_EEEEZNS1_13binary_searchIS3_S5_NSA_INS8_10device_ptrIxEEEESG_SI_NS1_21upper_bound_search_opENS9_16wrapped_functionINS8_6system6detail7generic6detail18binary_search_lessEbEEEE10hipError_tPvRmT1_T2_T3_mmT4_T5_P12ihipStream_tbEUlRKxE_EESV_SZ_S10_mS11_S14_bEUlT_E_NS1_11comp_targetILNS1_3genE8ELNS1_11target_archE1030ELNS1_3gpuE2ELNS1_3repE0EEENS1_30default_config_static_selectorELNS0_4arch9wavefront6targetE0EEEvSY_.has_recursion, 0
	.set _ZN7rocprim17ROCPRIM_400000_NS6detail17trampoline_kernelINS0_14default_configENS1_27upper_bound_config_selectorIxlEEZNS1_14transform_implILb0ES3_S5_N6thrust23THRUST_200600_302600_NS6detail15normal_iteratorINS8_7pointerIxNS8_11hip_rocprim5par_tENS8_11use_defaultESE_EEEENSA_INSB_IlSD_SE_SE_EEEEZNS1_13binary_searchIS3_S5_NSA_INS8_10device_ptrIxEEEESG_SI_NS1_21upper_bound_search_opENS9_16wrapped_functionINS8_6system6detail7generic6detail18binary_search_lessEbEEEE10hipError_tPvRmT1_T2_T3_mmT4_T5_P12ihipStream_tbEUlRKxE_EESV_SZ_S10_mS11_S14_bEUlT_E_NS1_11comp_targetILNS1_3genE8ELNS1_11target_archE1030ELNS1_3gpuE2ELNS1_3repE0EEENS1_30default_config_static_selectorELNS0_4arch9wavefront6targetE0EEEvSY_.has_indirect_call, 0
	.section	.AMDGPU.csdata,"",@progbits
; Kernel info:
; codeLenInByte = 820
; TotalNumSgprs: 22
; NumVgprs: 12
; ScratchSize: 0
; MemoryBound: 0
; FloatMode: 240
; IeeeMode: 1
; LDSByteSize: 0 bytes/workgroup (compile time only)
; SGPRBlocks: 0
; VGPRBlocks: 1
; NumSGPRsForWavesPerEU: 22
; NumVGPRsForWavesPerEU: 12
; Occupancy: 16
; WaveLimiterHint : 0
; COMPUTE_PGM_RSRC2:SCRATCH_EN: 0
; COMPUTE_PGM_RSRC2:USER_SGPR: 6
; COMPUTE_PGM_RSRC2:TRAP_HANDLER: 0
; COMPUTE_PGM_RSRC2:TGID_X_EN: 1
; COMPUTE_PGM_RSRC2:TGID_Y_EN: 0
; COMPUTE_PGM_RSRC2:TGID_Z_EN: 0
; COMPUTE_PGM_RSRC2:TIDIG_COMP_CNT: 0
	.section	.text._ZN7rocprim17ROCPRIM_400000_NS6detail17trampoline_kernelINS0_14default_configENS1_27upper_bound_config_selectorIilEEZNS1_14transform_implILb0ES3_S5_N6thrust23THRUST_200600_302600_NS6detail15normal_iteratorINS8_7pointerIiNS8_11hip_rocprim12par_nosync_tENS8_11use_defaultESE_EEEENSA_INSB_IlSD_SE_SE_EEEEZNS1_13binary_searchIS3_S5_NSA_INS8_10device_ptrIiEEEESG_SI_NS1_21upper_bound_search_opENS9_16wrapped_functionINS8_6system6detail7generic6detail18binary_search_lessEbEEEE10hipError_tPvRmT1_T2_T3_mmT4_T5_P12ihipStream_tbEUlRKiE_EESV_SZ_S10_mS11_S14_bEUlT_E_NS1_11comp_targetILNS1_3genE0ELNS1_11target_archE4294967295ELNS1_3gpuE0ELNS1_3repE0EEENS1_30default_config_static_selectorELNS0_4arch9wavefront6targetE0EEEvSY_,"axG",@progbits,_ZN7rocprim17ROCPRIM_400000_NS6detail17trampoline_kernelINS0_14default_configENS1_27upper_bound_config_selectorIilEEZNS1_14transform_implILb0ES3_S5_N6thrust23THRUST_200600_302600_NS6detail15normal_iteratorINS8_7pointerIiNS8_11hip_rocprim12par_nosync_tENS8_11use_defaultESE_EEEENSA_INSB_IlSD_SE_SE_EEEEZNS1_13binary_searchIS3_S5_NSA_INS8_10device_ptrIiEEEESG_SI_NS1_21upper_bound_search_opENS9_16wrapped_functionINS8_6system6detail7generic6detail18binary_search_lessEbEEEE10hipError_tPvRmT1_T2_T3_mmT4_T5_P12ihipStream_tbEUlRKiE_EESV_SZ_S10_mS11_S14_bEUlT_E_NS1_11comp_targetILNS1_3genE0ELNS1_11target_archE4294967295ELNS1_3gpuE0ELNS1_3repE0EEENS1_30default_config_static_selectorELNS0_4arch9wavefront6targetE0EEEvSY_,comdat
	.protected	_ZN7rocprim17ROCPRIM_400000_NS6detail17trampoline_kernelINS0_14default_configENS1_27upper_bound_config_selectorIilEEZNS1_14transform_implILb0ES3_S5_N6thrust23THRUST_200600_302600_NS6detail15normal_iteratorINS8_7pointerIiNS8_11hip_rocprim12par_nosync_tENS8_11use_defaultESE_EEEENSA_INSB_IlSD_SE_SE_EEEEZNS1_13binary_searchIS3_S5_NSA_INS8_10device_ptrIiEEEESG_SI_NS1_21upper_bound_search_opENS9_16wrapped_functionINS8_6system6detail7generic6detail18binary_search_lessEbEEEE10hipError_tPvRmT1_T2_T3_mmT4_T5_P12ihipStream_tbEUlRKiE_EESV_SZ_S10_mS11_S14_bEUlT_E_NS1_11comp_targetILNS1_3genE0ELNS1_11target_archE4294967295ELNS1_3gpuE0ELNS1_3repE0EEENS1_30default_config_static_selectorELNS0_4arch9wavefront6targetE0EEEvSY_ ; -- Begin function _ZN7rocprim17ROCPRIM_400000_NS6detail17trampoline_kernelINS0_14default_configENS1_27upper_bound_config_selectorIilEEZNS1_14transform_implILb0ES3_S5_N6thrust23THRUST_200600_302600_NS6detail15normal_iteratorINS8_7pointerIiNS8_11hip_rocprim12par_nosync_tENS8_11use_defaultESE_EEEENSA_INSB_IlSD_SE_SE_EEEEZNS1_13binary_searchIS3_S5_NSA_INS8_10device_ptrIiEEEESG_SI_NS1_21upper_bound_search_opENS9_16wrapped_functionINS8_6system6detail7generic6detail18binary_search_lessEbEEEE10hipError_tPvRmT1_T2_T3_mmT4_T5_P12ihipStream_tbEUlRKiE_EESV_SZ_S10_mS11_S14_bEUlT_E_NS1_11comp_targetILNS1_3genE0ELNS1_11target_archE4294967295ELNS1_3gpuE0ELNS1_3repE0EEENS1_30default_config_static_selectorELNS0_4arch9wavefront6targetE0EEEvSY_
	.globl	_ZN7rocprim17ROCPRIM_400000_NS6detail17trampoline_kernelINS0_14default_configENS1_27upper_bound_config_selectorIilEEZNS1_14transform_implILb0ES3_S5_N6thrust23THRUST_200600_302600_NS6detail15normal_iteratorINS8_7pointerIiNS8_11hip_rocprim12par_nosync_tENS8_11use_defaultESE_EEEENSA_INSB_IlSD_SE_SE_EEEEZNS1_13binary_searchIS3_S5_NSA_INS8_10device_ptrIiEEEESG_SI_NS1_21upper_bound_search_opENS9_16wrapped_functionINS8_6system6detail7generic6detail18binary_search_lessEbEEEE10hipError_tPvRmT1_T2_T3_mmT4_T5_P12ihipStream_tbEUlRKiE_EESV_SZ_S10_mS11_S14_bEUlT_E_NS1_11comp_targetILNS1_3genE0ELNS1_11target_archE4294967295ELNS1_3gpuE0ELNS1_3repE0EEENS1_30default_config_static_selectorELNS0_4arch9wavefront6targetE0EEEvSY_
	.p2align	8
	.type	_ZN7rocprim17ROCPRIM_400000_NS6detail17trampoline_kernelINS0_14default_configENS1_27upper_bound_config_selectorIilEEZNS1_14transform_implILb0ES3_S5_N6thrust23THRUST_200600_302600_NS6detail15normal_iteratorINS8_7pointerIiNS8_11hip_rocprim12par_nosync_tENS8_11use_defaultESE_EEEENSA_INSB_IlSD_SE_SE_EEEEZNS1_13binary_searchIS3_S5_NSA_INS8_10device_ptrIiEEEESG_SI_NS1_21upper_bound_search_opENS9_16wrapped_functionINS8_6system6detail7generic6detail18binary_search_lessEbEEEE10hipError_tPvRmT1_T2_T3_mmT4_T5_P12ihipStream_tbEUlRKiE_EESV_SZ_S10_mS11_S14_bEUlT_E_NS1_11comp_targetILNS1_3genE0ELNS1_11target_archE4294967295ELNS1_3gpuE0ELNS1_3repE0EEENS1_30default_config_static_selectorELNS0_4arch9wavefront6targetE0EEEvSY_,@function
_ZN7rocprim17ROCPRIM_400000_NS6detail17trampoline_kernelINS0_14default_configENS1_27upper_bound_config_selectorIilEEZNS1_14transform_implILb0ES3_S5_N6thrust23THRUST_200600_302600_NS6detail15normal_iteratorINS8_7pointerIiNS8_11hip_rocprim12par_nosync_tENS8_11use_defaultESE_EEEENSA_INSB_IlSD_SE_SE_EEEEZNS1_13binary_searchIS3_S5_NSA_INS8_10device_ptrIiEEEESG_SI_NS1_21upper_bound_search_opENS9_16wrapped_functionINS8_6system6detail7generic6detail18binary_search_lessEbEEEE10hipError_tPvRmT1_T2_T3_mmT4_T5_P12ihipStream_tbEUlRKiE_EESV_SZ_S10_mS11_S14_bEUlT_E_NS1_11comp_targetILNS1_3genE0ELNS1_11target_archE4294967295ELNS1_3gpuE0ELNS1_3repE0EEENS1_30default_config_static_selectorELNS0_4arch9wavefront6targetE0EEEvSY_: ; @_ZN7rocprim17ROCPRIM_400000_NS6detail17trampoline_kernelINS0_14default_configENS1_27upper_bound_config_selectorIilEEZNS1_14transform_implILb0ES3_S5_N6thrust23THRUST_200600_302600_NS6detail15normal_iteratorINS8_7pointerIiNS8_11hip_rocprim12par_nosync_tENS8_11use_defaultESE_EEEENSA_INSB_IlSD_SE_SE_EEEEZNS1_13binary_searchIS3_S5_NSA_INS8_10device_ptrIiEEEESG_SI_NS1_21upper_bound_search_opENS9_16wrapped_functionINS8_6system6detail7generic6detail18binary_search_lessEbEEEE10hipError_tPvRmT1_T2_T3_mmT4_T5_P12ihipStream_tbEUlRKiE_EESV_SZ_S10_mS11_S14_bEUlT_E_NS1_11comp_targetILNS1_3genE0ELNS1_11target_archE4294967295ELNS1_3gpuE0ELNS1_3repE0EEENS1_30default_config_static_selectorELNS0_4arch9wavefront6targetE0EEEvSY_
; %bb.0:
	.section	.rodata,"a",@progbits
	.p2align	6, 0x0
	.amdhsa_kernel _ZN7rocprim17ROCPRIM_400000_NS6detail17trampoline_kernelINS0_14default_configENS1_27upper_bound_config_selectorIilEEZNS1_14transform_implILb0ES3_S5_N6thrust23THRUST_200600_302600_NS6detail15normal_iteratorINS8_7pointerIiNS8_11hip_rocprim12par_nosync_tENS8_11use_defaultESE_EEEENSA_INSB_IlSD_SE_SE_EEEEZNS1_13binary_searchIS3_S5_NSA_INS8_10device_ptrIiEEEESG_SI_NS1_21upper_bound_search_opENS9_16wrapped_functionINS8_6system6detail7generic6detail18binary_search_lessEbEEEE10hipError_tPvRmT1_T2_T3_mmT4_T5_P12ihipStream_tbEUlRKiE_EESV_SZ_S10_mS11_S14_bEUlT_E_NS1_11comp_targetILNS1_3genE0ELNS1_11target_archE4294967295ELNS1_3gpuE0ELNS1_3repE0EEENS1_30default_config_static_selectorELNS0_4arch9wavefront6targetE0EEEvSY_
		.amdhsa_group_segment_fixed_size 0
		.amdhsa_private_segment_fixed_size 0
		.amdhsa_kernarg_size 56
		.amdhsa_user_sgpr_count 6
		.amdhsa_user_sgpr_private_segment_buffer 1
		.amdhsa_user_sgpr_dispatch_ptr 0
		.amdhsa_user_sgpr_queue_ptr 0
		.amdhsa_user_sgpr_kernarg_segment_ptr 1
		.amdhsa_user_sgpr_dispatch_id 0
		.amdhsa_user_sgpr_flat_scratch_init 0
		.amdhsa_user_sgpr_private_segment_size 0
		.amdhsa_wavefront_size32 1
		.amdhsa_uses_dynamic_stack 0
		.amdhsa_system_sgpr_private_segment_wavefront_offset 0
		.amdhsa_system_sgpr_workgroup_id_x 1
		.amdhsa_system_sgpr_workgroup_id_y 0
		.amdhsa_system_sgpr_workgroup_id_z 0
		.amdhsa_system_sgpr_workgroup_info 0
		.amdhsa_system_vgpr_workitem_id 0
		.amdhsa_next_free_vgpr 1
		.amdhsa_next_free_sgpr 1
		.amdhsa_reserve_vcc 0
		.amdhsa_reserve_flat_scratch 0
		.amdhsa_float_round_mode_32 0
		.amdhsa_float_round_mode_16_64 0
		.amdhsa_float_denorm_mode_32 3
		.amdhsa_float_denorm_mode_16_64 3
		.amdhsa_dx10_clamp 1
		.amdhsa_ieee_mode 1
		.amdhsa_fp16_overflow 0
		.amdhsa_workgroup_processor_mode 1
		.amdhsa_memory_ordered 1
		.amdhsa_forward_progress 1
		.amdhsa_shared_vgpr_count 0
		.amdhsa_exception_fp_ieee_invalid_op 0
		.amdhsa_exception_fp_denorm_src 0
		.amdhsa_exception_fp_ieee_div_zero 0
		.amdhsa_exception_fp_ieee_overflow 0
		.amdhsa_exception_fp_ieee_underflow 0
		.amdhsa_exception_fp_ieee_inexact 0
		.amdhsa_exception_int_div_zero 0
	.end_amdhsa_kernel
	.section	.text._ZN7rocprim17ROCPRIM_400000_NS6detail17trampoline_kernelINS0_14default_configENS1_27upper_bound_config_selectorIilEEZNS1_14transform_implILb0ES3_S5_N6thrust23THRUST_200600_302600_NS6detail15normal_iteratorINS8_7pointerIiNS8_11hip_rocprim12par_nosync_tENS8_11use_defaultESE_EEEENSA_INSB_IlSD_SE_SE_EEEEZNS1_13binary_searchIS3_S5_NSA_INS8_10device_ptrIiEEEESG_SI_NS1_21upper_bound_search_opENS9_16wrapped_functionINS8_6system6detail7generic6detail18binary_search_lessEbEEEE10hipError_tPvRmT1_T2_T3_mmT4_T5_P12ihipStream_tbEUlRKiE_EESV_SZ_S10_mS11_S14_bEUlT_E_NS1_11comp_targetILNS1_3genE0ELNS1_11target_archE4294967295ELNS1_3gpuE0ELNS1_3repE0EEENS1_30default_config_static_selectorELNS0_4arch9wavefront6targetE0EEEvSY_,"axG",@progbits,_ZN7rocprim17ROCPRIM_400000_NS6detail17trampoline_kernelINS0_14default_configENS1_27upper_bound_config_selectorIilEEZNS1_14transform_implILb0ES3_S5_N6thrust23THRUST_200600_302600_NS6detail15normal_iteratorINS8_7pointerIiNS8_11hip_rocprim12par_nosync_tENS8_11use_defaultESE_EEEENSA_INSB_IlSD_SE_SE_EEEEZNS1_13binary_searchIS3_S5_NSA_INS8_10device_ptrIiEEEESG_SI_NS1_21upper_bound_search_opENS9_16wrapped_functionINS8_6system6detail7generic6detail18binary_search_lessEbEEEE10hipError_tPvRmT1_T2_T3_mmT4_T5_P12ihipStream_tbEUlRKiE_EESV_SZ_S10_mS11_S14_bEUlT_E_NS1_11comp_targetILNS1_3genE0ELNS1_11target_archE4294967295ELNS1_3gpuE0ELNS1_3repE0EEENS1_30default_config_static_selectorELNS0_4arch9wavefront6targetE0EEEvSY_,comdat
.Lfunc_end572:
	.size	_ZN7rocprim17ROCPRIM_400000_NS6detail17trampoline_kernelINS0_14default_configENS1_27upper_bound_config_selectorIilEEZNS1_14transform_implILb0ES3_S5_N6thrust23THRUST_200600_302600_NS6detail15normal_iteratorINS8_7pointerIiNS8_11hip_rocprim12par_nosync_tENS8_11use_defaultESE_EEEENSA_INSB_IlSD_SE_SE_EEEEZNS1_13binary_searchIS3_S5_NSA_INS8_10device_ptrIiEEEESG_SI_NS1_21upper_bound_search_opENS9_16wrapped_functionINS8_6system6detail7generic6detail18binary_search_lessEbEEEE10hipError_tPvRmT1_T2_T3_mmT4_T5_P12ihipStream_tbEUlRKiE_EESV_SZ_S10_mS11_S14_bEUlT_E_NS1_11comp_targetILNS1_3genE0ELNS1_11target_archE4294967295ELNS1_3gpuE0ELNS1_3repE0EEENS1_30default_config_static_selectorELNS0_4arch9wavefront6targetE0EEEvSY_, .Lfunc_end572-_ZN7rocprim17ROCPRIM_400000_NS6detail17trampoline_kernelINS0_14default_configENS1_27upper_bound_config_selectorIilEEZNS1_14transform_implILb0ES3_S5_N6thrust23THRUST_200600_302600_NS6detail15normal_iteratorINS8_7pointerIiNS8_11hip_rocprim12par_nosync_tENS8_11use_defaultESE_EEEENSA_INSB_IlSD_SE_SE_EEEEZNS1_13binary_searchIS3_S5_NSA_INS8_10device_ptrIiEEEESG_SI_NS1_21upper_bound_search_opENS9_16wrapped_functionINS8_6system6detail7generic6detail18binary_search_lessEbEEEE10hipError_tPvRmT1_T2_T3_mmT4_T5_P12ihipStream_tbEUlRKiE_EESV_SZ_S10_mS11_S14_bEUlT_E_NS1_11comp_targetILNS1_3genE0ELNS1_11target_archE4294967295ELNS1_3gpuE0ELNS1_3repE0EEENS1_30default_config_static_selectorELNS0_4arch9wavefront6targetE0EEEvSY_
                                        ; -- End function
	.set _ZN7rocprim17ROCPRIM_400000_NS6detail17trampoline_kernelINS0_14default_configENS1_27upper_bound_config_selectorIilEEZNS1_14transform_implILb0ES3_S5_N6thrust23THRUST_200600_302600_NS6detail15normal_iteratorINS8_7pointerIiNS8_11hip_rocprim12par_nosync_tENS8_11use_defaultESE_EEEENSA_INSB_IlSD_SE_SE_EEEEZNS1_13binary_searchIS3_S5_NSA_INS8_10device_ptrIiEEEESG_SI_NS1_21upper_bound_search_opENS9_16wrapped_functionINS8_6system6detail7generic6detail18binary_search_lessEbEEEE10hipError_tPvRmT1_T2_T3_mmT4_T5_P12ihipStream_tbEUlRKiE_EESV_SZ_S10_mS11_S14_bEUlT_E_NS1_11comp_targetILNS1_3genE0ELNS1_11target_archE4294967295ELNS1_3gpuE0ELNS1_3repE0EEENS1_30default_config_static_selectorELNS0_4arch9wavefront6targetE0EEEvSY_.num_vgpr, 0
	.set _ZN7rocprim17ROCPRIM_400000_NS6detail17trampoline_kernelINS0_14default_configENS1_27upper_bound_config_selectorIilEEZNS1_14transform_implILb0ES3_S5_N6thrust23THRUST_200600_302600_NS6detail15normal_iteratorINS8_7pointerIiNS8_11hip_rocprim12par_nosync_tENS8_11use_defaultESE_EEEENSA_INSB_IlSD_SE_SE_EEEEZNS1_13binary_searchIS3_S5_NSA_INS8_10device_ptrIiEEEESG_SI_NS1_21upper_bound_search_opENS9_16wrapped_functionINS8_6system6detail7generic6detail18binary_search_lessEbEEEE10hipError_tPvRmT1_T2_T3_mmT4_T5_P12ihipStream_tbEUlRKiE_EESV_SZ_S10_mS11_S14_bEUlT_E_NS1_11comp_targetILNS1_3genE0ELNS1_11target_archE4294967295ELNS1_3gpuE0ELNS1_3repE0EEENS1_30default_config_static_selectorELNS0_4arch9wavefront6targetE0EEEvSY_.num_agpr, 0
	.set _ZN7rocprim17ROCPRIM_400000_NS6detail17trampoline_kernelINS0_14default_configENS1_27upper_bound_config_selectorIilEEZNS1_14transform_implILb0ES3_S5_N6thrust23THRUST_200600_302600_NS6detail15normal_iteratorINS8_7pointerIiNS8_11hip_rocprim12par_nosync_tENS8_11use_defaultESE_EEEENSA_INSB_IlSD_SE_SE_EEEEZNS1_13binary_searchIS3_S5_NSA_INS8_10device_ptrIiEEEESG_SI_NS1_21upper_bound_search_opENS9_16wrapped_functionINS8_6system6detail7generic6detail18binary_search_lessEbEEEE10hipError_tPvRmT1_T2_T3_mmT4_T5_P12ihipStream_tbEUlRKiE_EESV_SZ_S10_mS11_S14_bEUlT_E_NS1_11comp_targetILNS1_3genE0ELNS1_11target_archE4294967295ELNS1_3gpuE0ELNS1_3repE0EEENS1_30default_config_static_selectorELNS0_4arch9wavefront6targetE0EEEvSY_.numbered_sgpr, 0
	.set _ZN7rocprim17ROCPRIM_400000_NS6detail17trampoline_kernelINS0_14default_configENS1_27upper_bound_config_selectorIilEEZNS1_14transform_implILb0ES3_S5_N6thrust23THRUST_200600_302600_NS6detail15normal_iteratorINS8_7pointerIiNS8_11hip_rocprim12par_nosync_tENS8_11use_defaultESE_EEEENSA_INSB_IlSD_SE_SE_EEEEZNS1_13binary_searchIS3_S5_NSA_INS8_10device_ptrIiEEEESG_SI_NS1_21upper_bound_search_opENS9_16wrapped_functionINS8_6system6detail7generic6detail18binary_search_lessEbEEEE10hipError_tPvRmT1_T2_T3_mmT4_T5_P12ihipStream_tbEUlRKiE_EESV_SZ_S10_mS11_S14_bEUlT_E_NS1_11comp_targetILNS1_3genE0ELNS1_11target_archE4294967295ELNS1_3gpuE0ELNS1_3repE0EEENS1_30default_config_static_selectorELNS0_4arch9wavefront6targetE0EEEvSY_.num_named_barrier, 0
	.set _ZN7rocprim17ROCPRIM_400000_NS6detail17trampoline_kernelINS0_14default_configENS1_27upper_bound_config_selectorIilEEZNS1_14transform_implILb0ES3_S5_N6thrust23THRUST_200600_302600_NS6detail15normal_iteratorINS8_7pointerIiNS8_11hip_rocprim12par_nosync_tENS8_11use_defaultESE_EEEENSA_INSB_IlSD_SE_SE_EEEEZNS1_13binary_searchIS3_S5_NSA_INS8_10device_ptrIiEEEESG_SI_NS1_21upper_bound_search_opENS9_16wrapped_functionINS8_6system6detail7generic6detail18binary_search_lessEbEEEE10hipError_tPvRmT1_T2_T3_mmT4_T5_P12ihipStream_tbEUlRKiE_EESV_SZ_S10_mS11_S14_bEUlT_E_NS1_11comp_targetILNS1_3genE0ELNS1_11target_archE4294967295ELNS1_3gpuE0ELNS1_3repE0EEENS1_30default_config_static_selectorELNS0_4arch9wavefront6targetE0EEEvSY_.private_seg_size, 0
	.set _ZN7rocprim17ROCPRIM_400000_NS6detail17trampoline_kernelINS0_14default_configENS1_27upper_bound_config_selectorIilEEZNS1_14transform_implILb0ES3_S5_N6thrust23THRUST_200600_302600_NS6detail15normal_iteratorINS8_7pointerIiNS8_11hip_rocprim12par_nosync_tENS8_11use_defaultESE_EEEENSA_INSB_IlSD_SE_SE_EEEEZNS1_13binary_searchIS3_S5_NSA_INS8_10device_ptrIiEEEESG_SI_NS1_21upper_bound_search_opENS9_16wrapped_functionINS8_6system6detail7generic6detail18binary_search_lessEbEEEE10hipError_tPvRmT1_T2_T3_mmT4_T5_P12ihipStream_tbEUlRKiE_EESV_SZ_S10_mS11_S14_bEUlT_E_NS1_11comp_targetILNS1_3genE0ELNS1_11target_archE4294967295ELNS1_3gpuE0ELNS1_3repE0EEENS1_30default_config_static_selectorELNS0_4arch9wavefront6targetE0EEEvSY_.uses_vcc, 0
	.set _ZN7rocprim17ROCPRIM_400000_NS6detail17trampoline_kernelINS0_14default_configENS1_27upper_bound_config_selectorIilEEZNS1_14transform_implILb0ES3_S5_N6thrust23THRUST_200600_302600_NS6detail15normal_iteratorINS8_7pointerIiNS8_11hip_rocprim12par_nosync_tENS8_11use_defaultESE_EEEENSA_INSB_IlSD_SE_SE_EEEEZNS1_13binary_searchIS3_S5_NSA_INS8_10device_ptrIiEEEESG_SI_NS1_21upper_bound_search_opENS9_16wrapped_functionINS8_6system6detail7generic6detail18binary_search_lessEbEEEE10hipError_tPvRmT1_T2_T3_mmT4_T5_P12ihipStream_tbEUlRKiE_EESV_SZ_S10_mS11_S14_bEUlT_E_NS1_11comp_targetILNS1_3genE0ELNS1_11target_archE4294967295ELNS1_3gpuE0ELNS1_3repE0EEENS1_30default_config_static_selectorELNS0_4arch9wavefront6targetE0EEEvSY_.uses_flat_scratch, 0
	.set _ZN7rocprim17ROCPRIM_400000_NS6detail17trampoline_kernelINS0_14default_configENS1_27upper_bound_config_selectorIilEEZNS1_14transform_implILb0ES3_S5_N6thrust23THRUST_200600_302600_NS6detail15normal_iteratorINS8_7pointerIiNS8_11hip_rocprim12par_nosync_tENS8_11use_defaultESE_EEEENSA_INSB_IlSD_SE_SE_EEEEZNS1_13binary_searchIS3_S5_NSA_INS8_10device_ptrIiEEEESG_SI_NS1_21upper_bound_search_opENS9_16wrapped_functionINS8_6system6detail7generic6detail18binary_search_lessEbEEEE10hipError_tPvRmT1_T2_T3_mmT4_T5_P12ihipStream_tbEUlRKiE_EESV_SZ_S10_mS11_S14_bEUlT_E_NS1_11comp_targetILNS1_3genE0ELNS1_11target_archE4294967295ELNS1_3gpuE0ELNS1_3repE0EEENS1_30default_config_static_selectorELNS0_4arch9wavefront6targetE0EEEvSY_.has_dyn_sized_stack, 0
	.set _ZN7rocprim17ROCPRIM_400000_NS6detail17trampoline_kernelINS0_14default_configENS1_27upper_bound_config_selectorIilEEZNS1_14transform_implILb0ES3_S5_N6thrust23THRUST_200600_302600_NS6detail15normal_iteratorINS8_7pointerIiNS8_11hip_rocprim12par_nosync_tENS8_11use_defaultESE_EEEENSA_INSB_IlSD_SE_SE_EEEEZNS1_13binary_searchIS3_S5_NSA_INS8_10device_ptrIiEEEESG_SI_NS1_21upper_bound_search_opENS9_16wrapped_functionINS8_6system6detail7generic6detail18binary_search_lessEbEEEE10hipError_tPvRmT1_T2_T3_mmT4_T5_P12ihipStream_tbEUlRKiE_EESV_SZ_S10_mS11_S14_bEUlT_E_NS1_11comp_targetILNS1_3genE0ELNS1_11target_archE4294967295ELNS1_3gpuE0ELNS1_3repE0EEENS1_30default_config_static_selectorELNS0_4arch9wavefront6targetE0EEEvSY_.has_recursion, 0
	.set _ZN7rocprim17ROCPRIM_400000_NS6detail17trampoline_kernelINS0_14default_configENS1_27upper_bound_config_selectorIilEEZNS1_14transform_implILb0ES3_S5_N6thrust23THRUST_200600_302600_NS6detail15normal_iteratorINS8_7pointerIiNS8_11hip_rocprim12par_nosync_tENS8_11use_defaultESE_EEEENSA_INSB_IlSD_SE_SE_EEEEZNS1_13binary_searchIS3_S5_NSA_INS8_10device_ptrIiEEEESG_SI_NS1_21upper_bound_search_opENS9_16wrapped_functionINS8_6system6detail7generic6detail18binary_search_lessEbEEEE10hipError_tPvRmT1_T2_T3_mmT4_T5_P12ihipStream_tbEUlRKiE_EESV_SZ_S10_mS11_S14_bEUlT_E_NS1_11comp_targetILNS1_3genE0ELNS1_11target_archE4294967295ELNS1_3gpuE0ELNS1_3repE0EEENS1_30default_config_static_selectorELNS0_4arch9wavefront6targetE0EEEvSY_.has_indirect_call, 0
	.section	.AMDGPU.csdata,"",@progbits
; Kernel info:
; codeLenInByte = 0
; TotalNumSgprs: 0
; NumVgprs: 0
; ScratchSize: 0
; MemoryBound: 0
; FloatMode: 240
; IeeeMode: 1
; LDSByteSize: 0 bytes/workgroup (compile time only)
; SGPRBlocks: 0
; VGPRBlocks: 0
; NumSGPRsForWavesPerEU: 1
; NumVGPRsForWavesPerEU: 1
; Occupancy: 16
; WaveLimiterHint : 0
; COMPUTE_PGM_RSRC2:SCRATCH_EN: 0
; COMPUTE_PGM_RSRC2:USER_SGPR: 6
; COMPUTE_PGM_RSRC2:TRAP_HANDLER: 0
; COMPUTE_PGM_RSRC2:TGID_X_EN: 1
; COMPUTE_PGM_RSRC2:TGID_Y_EN: 0
; COMPUTE_PGM_RSRC2:TGID_Z_EN: 0
; COMPUTE_PGM_RSRC2:TIDIG_COMP_CNT: 0
	.section	.text._ZN7rocprim17ROCPRIM_400000_NS6detail17trampoline_kernelINS0_14default_configENS1_27upper_bound_config_selectorIilEEZNS1_14transform_implILb0ES3_S5_N6thrust23THRUST_200600_302600_NS6detail15normal_iteratorINS8_7pointerIiNS8_11hip_rocprim12par_nosync_tENS8_11use_defaultESE_EEEENSA_INSB_IlSD_SE_SE_EEEEZNS1_13binary_searchIS3_S5_NSA_INS8_10device_ptrIiEEEESG_SI_NS1_21upper_bound_search_opENS9_16wrapped_functionINS8_6system6detail7generic6detail18binary_search_lessEbEEEE10hipError_tPvRmT1_T2_T3_mmT4_T5_P12ihipStream_tbEUlRKiE_EESV_SZ_S10_mS11_S14_bEUlT_E_NS1_11comp_targetILNS1_3genE5ELNS1_11target_archE942ELNS1_3gpuE9ELNS1_3repE0EEENS1_30default_config_static_selectorELNS0_4arch9wavefront6targetE0EEEvSY_,"axG",@progbits,_ZN7rocprim17ROCPRIM_400000_NS6detail17trampoline_kernelINS0_14default_configENS1_27upper_bound_config_selectorIilEEZNS1_14transform_implILb0ES3_S5_N6thrust23THRUST_200600_302600_NS6detail15normal_iteratorINS8_7pointerIiNS8_11hip_rocprim12par_nosync_tENS8_11use_defaultESE_EEEENSA_INSB_IlSD_SE_SE_EEEEZNS1_13binary_searchIS3_S5_NSA_INS8_10device_ptrIiEEEESG_SI_NS1_21upper_bound_search_opENS9_16wrapped_functionINS8_6system6detail7generic6detail18binary_search_lessEbEEEE10hipError_tPvRmT1_T2_T3_mmT4_T5_P12ihipStream_tbEUlRKiE_EESV_SZ_S10_mS11_S14_bEUlT_E_NS1_11comp_targetILNS1_3genE5ELNS1_11target_archE942ELNS1_3gpuE9ELNS1_3repE0EEENS1_30default_config_static_selectorELNS0_4arch9wavefront6targetE0EEEvSY_,comdat
	.protected	_ZN7rocprim17ROCPRIM_400000_NS6detail17trampoline_kernelINS0_14default_configENS1_27upper_bound_config_selectorIilEEZNS1_14transform_implILb0ES3_S5_N6thrust23THRUST_200600_302600_NS6detail15normal_iteratorINS8_7pointerIiNS8_11hip_rocprim12par_nosync_tENS8_11use_defaultESE_EEEENSA_INSB_IlSD_SE_SE_EEEEZNS1_13binary_searchIS3_S5_NSA_INS8_10device_ptrIiEEEESG_SI_NS1_21upper_bound_search_opENS9_16wrapped_functionINS8_6system6detail7generic6detail18binary_search_lessEbEEEE10hipError_tPvRmT1_T2_T3_mmT4_T5_P12ihipStream_tbEUlRKiE_EESV_SZ_S10_mS11_S14_bEUlT_E_NS1_11comp_targetILNS1_3genE5ELNS1_11target_archE942ELNS1_3gpuE9ELNS1_3repE0EEENS1_30default_config_static_selectorELNS0_4arch9wavefront6targetE0EEEvSY_ ; -- Begin function _ZN7rocprim17ROCPRIM_400000_NS6detail17trampoline_kernelINS0_14default_configENS1_27upper_bound_config_selectorIilEEZNS1_14transform_implILb0ES3_S5_N6thrust23THRUST_200600_302600_NS6detail15normal_iteratorINS8_7pointerIiNS8_11hip_rocprim12par_nosync_tENS8_11use_defaultESE_EEEENSA_INSB_IlSD_SE_SE_EEEEZNS1_13binary_searchIS3_S5_NSA_INS8_10device_ptrIiEEEESG_SI_NS1_21upper_bound_search_opENS9_16wrapped_functionINS8_6system6detail7generic6detail18binary_search_lessEbEEEE10hipError_tPvRmT1_T2_T3_mmT4_T5_P12ihipStream_tbEUlRKiE_EESV_SZ_S10_mS11_S14_bEUlT_E_NS1_11comp_targetILNS1_3genE5ELNS1_11target_archE942ELNS1_3gpuE9ELNS1_3repE0EEENS1_30default_config_static_selectorELNS0_4arch9wavefront6targetE0EEEvSY_
	.globl	_ZN7rocprim17ROCPRIM_400000_NS6detail17trampoline_kernelINS0_14default_configENS1_27upper_bound_config_selectorIilEEZNS1_14transform_implILb0ES3_S5_N6thrust23THRUST_200600_302600_NS6detail15normal_iteratorINS8_7pointerIiNS8_11hip_rocprim12par_nosync_tENS8_11use_defaultESE_EEEENSA_INSB_IlSD_SE_SE_EEEEZNS1_13binary_searchIS3_S5_NSA_INS8_10device_ptrIiEEEESG_SI_NS1_21upper_bound_search_opENS9_16wrapped_functionINS8_6system6detail7generic6detail18binary_search_lessEbEEEE10hipError_tPvRmT1_T2_T3_mmT4_T5_P12ihipStream_tbEUlRKiE_EESV_SZ_S10_mS11_S14_bEUlT_E_NS1_11comp_targetILNS1_3genE5ELNS1_11target_archE942ELNS1_3gpuE9ELNS1_3repE0EEENS1_30default_config_static_selectorELNS0_4arch9wavefront6targetE0EEEvSY_
	.p2align	8
	.type	_ZN7rocprim17ROCPRIM_400000_NS6detail17trampoline_kernelINS0_14default_configENS1_27upper_bound_config_selectorIilEEZNS1_14transform_implILb0ES3_S5_N6thrust23THRUST_200600_302600_NS6detail15normal_iteratorINS8_7pointerIiNS8_11hip_rocprim12par_nosync_tENS8_11use_defaultESE_EEEENSA_INSB_IlSD_SE_SE_EEEEZNS1_13binary_searchIS3_S5_NSA_INS8_10device_ptrIiEEEESG_SI_NS1_21upper_bound_search_opENS9_16wrapped_functionINS8_6system6detail7generic6detail18binary_search_lessEbEEEE10hipError_tPvRmT1_T2_T3_mmT4_T5_P12ihipStream_tbEUlRKiE_EESV_SZ_S10_mS11_S14_bEUlT_E_NS1_11comp_targetILNS1_3genE5ELNS1_11target_archE942ELNS1_3gpuE9ELNS1_3repE0EEENS1_30default_config_static_selectorELNS0_4arch9wavefront6targetE0EEEvSY_,@function
_ZN7rocprim17ROCPRIM_400000_NS6detail17trampoline_kernelINS0_14default_configENS1_27upper_bound_config_selectorIilEEZNS1_14transform_implILb0ES3_S5_N6thrust23THRUST_200600_302600_NS6detail15normal_iteratorINS8_7pointerIiNS8_11hip_rocprim12par_nosync_tENS8_11use_defaultESE_EEEENSA_INSB_IlSD_SE_SE_EEEEZNS1_13binary_searchIS3_S5_NSA_INS8_10device_ptrIiEEEESG_SI_NS1_21upper_bound_search_opENS9_16wrapped_functionINS8_6system6detail7generic6detail18binary_search_lessEbEEEE10hipError_tPvRmT1_T2_T3_mmT4_T5_P12ihipStream_tbEUlRKiE_EESV_SZ_S10_mS11_S14_bEUlT_E_NS1_11comp_targetILNS1_3genE5ELNS1_11target_archE942ELNS1_3gpuE9ELNS1_3repE0EEENS1_30default_config_static_selectorELNS0_4arch9wavefront6targetE0EEEvSY_: ; @_ZN7rocprim17ROCPRIM_400000_NS6detail17trampoline_kernelINS0_14default_configENS1_27upper_bound_config_selectorIilEEZNS1_14transform_implILb0ES3_S5_N6thrust23THRUST_200600_302600_NS6detail15normal_iteratorINS8_7pointerIiNS8_11hip_rocprim12par_nosync_tENS8_11use_defaultESE_EEEENSA_INSB_IlSD_SE_SE_EEEEZNS1_13binary_searchIS3_S5_NSA_INS8_10device_ptrIiEEEESG_SI_NS1_21upper_bound_search_opENS9_16wrapped_functionINS8_6system6detail7generic6detail18binary_search_lessEbEEEE10hipError_tPvRmT1_T2_T3_mmT4_T5_P12ihipStream_tbEUlRKiE_EESV_SZ_S10_mS11_S14_bEUlT_E_NS1_11comp_targetILNS1_3genE5ELNS1_11target_archE942ELNS1_3gpuE9ELNS1_3repE0EEENS1_30default_config_static_selectorELNS0_4arch9wavefront6targetE0EEEvSY_
; %bb.0:
	.section	.rodata,"a",@progbits
	.p2align	6, 0x0
	.amdhsa_kernel _ZN7rocprim17ROCPRIM_400000_NS6detail17trampoline_kernelINS0_14default_configENS1_27upper_bound_config_selectorIilEEZNS1_14transform_implILb0ES3_S5_N6thrust23THRUST_200600_302600_NS6detail15normal_iteratorINS8_7pointerIiNS8_11hip_rocprim12par_nosync_tENS8_11use_defaultESE_EEEENSA_INSB_IlSD_SE_SE_EEEEZNS1_13binary_searchIS3_S5_NSA_INS8_10device_ptrIiEEEESG_SI_NS1_21upper_bound_search_opENS9_16wrapped_functionINS8_6system6detail7generic6detail18binary_search_lessEbEEEE10hipError_tPvRmT1_T2_T3_mmT4_T5_P12ihipStream_tbEUlRKiE_EESV_SZ_S10_mS11_S14_bEUlT_E_NS1_11comp_targetILNS1_3genE5ELNS1_11target_archE942ELNS1_3gpuE9ELNS1_3repE0EEENS1_30default_config_static_selectorELNS0_4arch9wavefront6targetE0EEEvSY_
		.amdhsa_group_segment_fixed_size 0
		.amdhsa_private_segment_fixed_size 0
		.amdhsa_kernarg_size 56
		.amdhsa_user_sgpr_count 6
		.amdhsa_user_sgpr_private_segment_buffer 1
		.amdhsa_user_sgpr_dispatch_ptr 0
		.amdhsa_user_sgpr_queue_ptr 0
		.amdhsa_user_sgpr_kernarg_segment_ptr 1
		.amdhsa_user_sgpr_dispatch_id 0
		.amdhsa_user_sgpr_flat_scratch_init 0
		.amdhsa_user_sgpr_private_segment_size 0
		.amdhsa_wavefront_size32 1
		.amdhsa_uses_dynamic_stack 0
		.amdhsa_system_sgpr_private_segment_wavefront_offset 0
		.amdhsa_system_sgpr_workgroup_id_x 1
		.amdhsa_system_sgpr_workgroup_id_y 0
		.amdhsa_system_sgpr_workgroup_id_z 0
		.amdhsa_system_sgpr_workgroup_info 0
		.amdhsa_system_vgpr_workitem_id 0
		.amdhsa_next_free_vgpr 1
		.amdhsa_next_free_sgpr 1
		.amdhsa_reserve_vcc 0
		.amdhsa_reserve_flat_scratch 0
		.amdhsa_float_round_mode_32 0
		.amdhsa_float_round_mode_16_64 0
		.amdhsa_float_denorm_mode_32 3
		.amdhsa_float_denorm_mode_16_64 3
		.amdhsa_dx10_clamp 1
		.amdhsa_ieee_mode 1
		.amdhsa_fp16_overflow 0
		.amdhsa_workgroup_processor_mode 1
		.amdhsa_memory_ordered 1
		.amdhsa_forward_progress 1
		.amdhsa_shared_vgpr_count 0
		.amdhsa_exception_fp_ieee_invalid_op 0
		.amdhsa_exception_fp_denorm_src 0
		.amdhsa_exception_fp_ieee_div_zero 0
		.amdhsa_exception_fp_ieee_overflow 0
		.amdhsa_exception_fp_ieee_underflow 0
		.amdhsa_exception_fp_ieee_inexact 0
		.amdhsa_exception_int_div_zero 0
	.end_amdhsa_kernel
	.section	.text._ZN7rocprim17ROCPRIM_400000_NS6detail17trampoline_kernelINS0_14default_configENS1_27upper_bound_config_selectorIilEEZNS1_14transform_implILb0ES3_S5_N6thrust23THRUST_200600_302600_NS6detail15normal_iteratorINS8_7pointerIiNS8_11hip_rocprim12par_nosync_tENS8_11use_defaultESE_EEEENSA_INSB_IlSD_SE_SE_EEEEZNS1_13binary_searchIS3_S5_NSA_INS8_10device_ptrIiEEEESG_SI_NS1_21upper_bound_search_opENS9_16wrapped_functionINS8_6system6detail7generic6detail18binary_search_lessEbEEEE10hipError_tPvRmT1_T2_T3_mmT4_T5_P12ihipStream_tbEUlRKiE_EESV_SZ_S10_mS11_S14_bEUlT_E_NS1_11comp_targetILNS1_3genE5ELNS1_11target_archE942ELNS1_3gpuE9ELNS1_3repE0EEENS1_30default_config_static_selectorELNS0_4arch9wavefront6targetE0EEEvSY_,"axG",@progbits,_ZN7rocprim17ROCPRIM_400000_NS6detail17trampoline_kernelINS0_14default_configENS1_27upper_bound_config_selectorIilEEZNS1_14transform_implILb0ES3_S5_N6thrust23THRUST_200600_302600_NS6detail15normal_iteratorINS8_7pointerIiNS8_11hip_rocprim12par_nosync_tENS8_11use_defaultESE_EEEENSA_INSB_IlSD_SE_SE_EEEEZNS1_13binary_searchIS3_S5_NSA_INS8_10device_ptrIiEEEESG_SI_NS1_21upper_bound_search_opENS9_16wrapped_functionINS8_6system6detail7generic6detail18binary_search_lessEbEEEE10hipError_tPvRmT1_T2_T3_mmT4_T5_P12ihipStream_tbEUlRKiE_EESV_SZ_S10_mS11_S14_bEUlT_E_NS1_11comp_targetILNS1_3genE5ELNS1_11target_archE942ELNS1_3gpuE9ELNS1_3repE0EEENS1_30default_config_static_selectorELNS0_4arch9wavefront6targetE0EEEvSY_,comdat
.Lfunc_end573:
	.size	_ZN7rocprim17ROCPRIM_400000_NS6detail17trampoline_kernelINS0_14default_configENS1_27upper_bound_config_selectorIilEEZNS1_14transform_implILb0ES3_S5_N6thrust23THRUST_200600_302600_NS6detail15normal_iteratorINS8_7pointerIiNS8_11hip_rocprim12par_nosync_tENS8_11use_defaultESE_EEEENSA_INSB_IlSD_SE_SE_EEEEZNS1_13binary_searchIS3_S5_NSA_INS8_10device_ptrIiEEEESG_SI_NS1_21upper_bound_search_opENS9_16wrapped_functionINS8_6system6detail7generic6detail18binary_search_lessEbEEEE10hipError_tPvRmT1_T2_T3_mmT4_T5_P12ihipStream_tbEUlRKiE_EESV_SZ_S10_mS11_S14_bEUlT_E_NS1_11comp_targetILNS1_3genE5ELNS1_11target_archE942ELNS1_3gpuE9ELNS1_3repE0EEENS1_30default_config_static_selectorELNS0_4arch9wavefront6targetE0EEEvSY_, .Lfunc_end573-_ZN7rocprim17ROCPRIM_400000_NS6detail17trampoline_kernelINS0_14default_configENS1_27upper_bound_config_selectorIilEEZNS1_14transform_implILb0ES3_S5_N6thrust23THRUST_200600_302600_NS6detail15normal_iteratorINS8_7pointerIiNS8_11hip_rocprim12par_nosync_tENS8_11use_defaultESE_EEEENSA_INSB_IlSD_SE_SE_EEEEZNS1_13binary_searchIS3_S5_NSA_INS8_10device_ptrIiEEEESG_SI_NS1_21upper_bound_search_opENS9_16wrapped_functionINS8_6system6detail7generic6detail18binary_search_lessEbEEEE10hipError_tPvRmT1_T2_T3_mmT4_T5_P12ihipStream_tbEUlRKiE_EESV_SZ_S10_mS11_S14_bEUlT_E_NS1_11comp_targetILNS1_3genE5ELNS1_11target_archE942ELNS1_3gpuE9ELNS1_3repE0EEENS1_30default_config_static_selectorELNS0_4arch9wavefront6targetE0EEEvSY_
                                        ; -- End function
	.set _ZN7rocprim17ROCPRIM_400000_NS6detail17trampoline_kernelINS0_14default_configENS1_27upper_bound_config_selectorIilEEZNS1_14transform_implILb0ES3_S5_N6thrust23THRUST_200600_302600_NS6detail15normal_iteratorINS8_7pointerIiNS8_11hip_rocprim12par_nosync_tENS8_11use_defaultESE_EEEENSA_INSB_IlSD_SE_SE_EEEEZNS1_13binary_searchIS3_S5_NSA_INS8_10device_ptrIiEEEESG_SI_NS1_21upper_bound_search_opENS9_16wrapped_functionINS8_6system6detail7generic6detail18binary_search_lessEbEEEE10hipError_tPvRmT1_T2_T3_mmT4_T5_P12ihipStream_tbEUlRKiE_EESV_SZ_S10_mS11_S14_bEUlT_E_NS1_11comp_targetILNS1_3genE5ELNS1_11target_archE942ELNS1_3gpuE9ELNS1_3repE0EEENS1_30default_config_static_selectorELNS0_4arch9wavefront6targetE0EEEvSY_.num_vgpr, 0
	.set _ZN7rocprim17ROCPRIM_400000_NS6detail17trampoline_kernelINS0_14default_configENS1_27upper_bound_config_selectorIilEEZNS1_14transform_implILb0ES3_S5_N6thrust23THRUST_200600_302600_NS6detail15normal_iteratorINS8_7pointerIiNS8_11hip_rocprim12par_nosync_tENS8_11use_defaultESE_EEEENSA_INSB_IlSD_SE_SE_EEEEZNS1_13binary_searchIS3_S5_NSA_INS8_10device_ptrIiEEEESG_SI_NS1_21upper_bound_search_opENS9_16wrapped_functionINS8_6system6detail7generic6detail18binary_search_lessEbEEEE10hipError_tPvRmT1_T2_T3_mmT4_T5_P12ihipStream_tbEUlRKiE_EESV_SZ_S10_mS11_S14_bEUlT_E_NS1_11comp_targetILNS1_3genE5ELNS1_11target_archE942ELNS1_3gpuE9ELNS1_3repE0EEENS1_30default_config_static_selectorELNS0_4arch9wavefront6targetE0EEEvSY_.num_agpr, 0
	.set _ZN7rocprim17ROCPRIM_400000_NS6detail17trampoline_kernelINS0_14default_configENS1_27upper_bound_config_selectorIilEEZNS1_14transform_implILb0ES3_S5_N6thrust23THRUST_200600_302600_NS6detail15normal_iteratorINS8_7pointerIiNS8_11hip_rocprim12par_nosync_tENS8_11use_defaultESE_EEEENSA_INSB_IlSD_SE_SE_EEEEZNS1_13binary_searchIS3_S5_NSA_INS8_10device_ptrIiEEEESG_SI_NS1_21upper_bound_search_opENS9_16wrapped_functionINS8_6system6detail7generic6detail18binary_search_lessEbEEEE10hipError_tPvRmT1_T2_T3_mmT4_T5_P12ihipStream_tbEUlRKiE_EESV_SZ_S10_mS11_S14_bEUlT_E_NS1_11comp_targetILNS1_3genE5ELNS1_11target_archE942ELNS1_3gpuE9ELNS1_3repE0EEENS1_30default_config_static_selectorELNS0_4arch9wavefront6targetE0EEEvSY_.numbered_sgpr, 0
	.set _ZN7rocprim17ROCPRIM_400000_NS6detail17trampoline_kernelINS0_14default_configENS1_27upper_bound_config_selectorIilEEZNS1_14transform_implILb0ES3_S5_N6thrust23THRUST_200600_302600_NS6detail15normal_iteratorINS8_7pointerIiNS8_11hip_rocprim12par_nosync_tENS8_11use_defaultESE_EEEENSA_INSB_IlSD_SE_SE_EEEEZNS1_13binary_searchIS3_S5_NSA_INS8_10device_ptrIiEEEESG_SI_NS1_21upper_bound_search_opENS9_16wrapped_functionINS8_6system6detail7generic6detail18binary_search_lessEbEEEE10hipError_tPvRmT1_T2_T3_mmT4_T5_P12ihipStream_tbEUlRKiE_EESV_SZ_S10_mS11_S14_bEUlT_E_NS1_11comp_targetILNS1_3genE5ELNS1_11target_archE942ELNS1_3gpuE9ELNS1_3repE0EEENS1_30default_config_static_selectorELNS0_4arch9wavefront6targetE0EEEvSY_.num_named_barrier, 0
	.set _ZN7rocprim17ROCPRIM_400000_NS6detail17trampoline_kernelINS0_14default_configENS1_27upper_bound_config_selectorIilEEZNS1_14transform_implILb0ES3_S5_N6thrust23THRUST_200600_302600_NS6detail15normal_iteratorINS8_7pointerIiNS8_11hip_rocprim12par_nosync_tENS8_11use_defaultESE_EEEENSA_INSB_IlSD_SE_SE_EEEEZNS1_13binary_searchIS3_S5_NSA_INS8_10device_ptrIiEEEESG_SI_NS1_21upper_bound_search_opENS9_16wrapped_functionINS8_6system6detail7generic6detail18binary_search_lessEbEEEE10hipError_tPvRmT1_T2_T3_mmT4_T5_P12ihipStream_tbEUlRKiE_EESV_SZ_S10_mS11_S14_bEUlT_E_NS1_11comp_targetILNS1_3genE5ELNS1_11target_archE942ELNS1_3gpuE9ELNS1_3repE0EEENS1_30default_config_static_selectorELNS0_4arch9wavefront6targetE0EEEvSY_.private_seg_size, 0
	.set _ZN7rocprim17ROCPRIM_400000_NS6detail17trampoline_kernelINS0_14default_configENS1_27upper_bound_config_selectorIilEEZNS1_14transform_implILb0ES3_S5_N6thrust23THRUST_200600_302600_NS6detail15normal_iteratorINS8_7pointerIiNS8_11hip_rocprim12par_nosync_tENS8_11use_defaultESE_EEEENSA_INSB_IlSD_SE_SE_EEEEZNS1_13binary_searchIS3_S5_NSA_INS8_10device_ptrIiEEEESG_SI_NS1_21upper_bound_search_opENS9_16wrapped_functionINS8_6system6detail7generic6detail18binary_search_lessEbEEEE10hipError_tPvRmT1_T2_T3_mmT4_T5_P12ihipStream_tbEUlRKiE_EESV_SZ_S10_mS11_S14_bEUlT_E_NS1_11comp_targetILNS1_3genE5ELNS1_11target_archE942ELNS1_3gpuE9ELNS1_3repE0EEENS1_30default_config_static_selectorELNS0_4arch9wavefront6targetE0EEEvSY_.uses_vcc, 0
	.set _ZN7rocprim17ROCPRIM_400000_NS6detail17trampoline_kernelINS0_14default_configENS1_27upper_bound_config_selectorIilEEZNS1_14transform_implILb0ES3_S5_N6thrust23THRUST_200600_302600_NS6detail15normal_iteratorINS8_7pointerIiNS8_11hip_rocprim12par_nosync_tENS8_11use_defaultESE_EEEENSA_INSB_IlSD_SE_SE_EEEEZNS1_13binary_searchIS3_S5_NSA_INS8_10device_ptrIiEEEESG_SI_NS1_21upper_bound_search_opENS9_16wrapped_functionINS8_6system6detail7generic6detail18binary_search_lessEbEEEE10hipError_tPvRmT1_T2_T3_mmT4_T5_P12ihipStream_tbEUlRKiE_EESV_SZ_S10_mS11_S14_bEUlT_E_NS1_11comp_targetILNS1_3genE5ELNS1_11target_archE942ELNS1_3gpuE9ELNS1_3repE0EEENS1_30default_config_static_selectorELNS0_4arch9wavefront6targetE0EEEvSY_.uses_flat_scratch, 0
	.set _ZN7rocprim17ROCPRIM_400000_NS6detail17trampoline_kernelINS0_14default_configENS1_27upper_bound_config_selectorIilEEZNS1_14transform_implILb0ES3_S5_N6thrust23THRUST_200600_302600_NS6detail15normal_iteratorINS8_7pointerIiNS8_11hip_rocprim12par_nosync_tENS8_11use_defaultESE_EEEENSA_INSB_IlSD_SE_SE_EEEEZNS1_13binary_searchIS3_S5_NSA_INS8_10device_ptrIiEEEESG_SI_NS1_21upper_bound_search_opENS9_16wrapped_functionINS8_6system6detail7generic6detail18binary_search_lessEbEEEE10hipError_tPvRmT1_T2_T3_mmT4_T5_P12ihipStream_tbEUlRKiE_EESV_SZ_S10_mS11_S14_bEUlT_E_NS1_11comp_targetILNS1_3genE5ELNS1_11target_archE942ELNS1_3gpuE9ELNS1_3repE0EEENS1_30default_config_static_selectorELNS0_4arch9wavefront6targetE0EEEvSY_.has_dyn_sized_stack, 0
	.set _ZN7rocprim17ROCPRIM_400000_NS6detail17trampoline_kernelINS0_14default_configENS1_27upper_bound_config_selectorIilEEZNS1_14transform_implILb0ES3_S5_N6thrust23THRUST_200600_302600_NS6detail15normal_iteratorINS8_7pointerIiNS8_11hip_rocprim12par_nosync_tENS8_11use_defaultESE_EEEENSA_INSB_IlSD_SE_SE_EEEEZNS1_13binary_searchIS3_S5_NSA_INS8_10device_ptrIiEEEESG_SI_NS1_21upper_bound_search_opENS9_16wrapped_functionINS8_6system6detail7generic6detail18binary_search_lessEbEEEE10hipError_tPvRmT1_T2_T3_mmT4_T5_P12ihipStream_tbEUlRKiE_EESV_SZ_S10_mS11_S14_bEUlT_E_NS1_11comp_targetILNS1_3genE5ELNS1_11target_archE942ELNS1_3gpuE9ELNS1_3repE0EEENS1_30default_config_static_selectorELNS0_4arch9wavefront6targetE0EEEvSY_.has_recursion, 0
	.set _ZN7rocprim17ROCPRIM_400000_NS6detail17trampoline_kernelINS0_14default_configENS1_27upper_bound_config_selectorIilEEZNS1_14transform_implILb0ES3_S5_N6thrust23THRUST_200600_302600_NS6detail15normal_iteratorINS8_7pointerIiNS8_11hip_rocprim12par_nosync_tENS8_11use_defaultESE_EEEENSA_INSB_IlSD_SE_SE_EEEEZNS1_13binary_searchIS3_S5_NSA_INS8_10device_ptrIiEEEESG_SI_NS1_21upper_bound_search_opENS9_16wrapped_functionINS8_6system6detail7generic6detail18binary_search_lessEbEEEE10hipError_tPvRmT1_T2_T3_mmT4_T5_P12ihipStream_tbEUlRKiE_EESV_SZ_S10_mS11_S14_bEUlT_E_NS1_11comp_targetILNS1_3genE5ELNS1_11target_archE942ELNS1_3gpuE9ELNS1_3repE0EEENS1_30default_config_static_selectorELNS0_4arch9wavefront6targetE0EEEvSY_.has_indirect_call, 0
	.section	.AMDGPU.csdata,"",@progbits
; Kernel info:
; codeLenInByte = 0
; TotalNumSgprs: 0
; NumVgprs: 0
; ScratchSize: 0
; MemoryBound: 0
; FloatMode: 240
; IeeeMode: 1
; LDSByteSize: 0 bytes/workgroup (compile time only)
; SGPRBlocks: 0
; VGPRBlocks: 0
; NumSGPRsForWavesPerEU: 1
; NumVGPRsForWavesPerEU: 1
; Occupancy: 16
; WaveLimiterHint : 0
; COMPUTE_PGM_RSRC2:SCRATCH_EN: 0
; COMPUTE_PGM_RSRC2:USER_SGPR: 6
; COMPUTE_PGM_RSRC2:TRAP_HANDLER: 0
; COMPUTE_PGM_RSRC2:TGID_X_EN: 1
; COMPUTE_PGM_RSRC2:TGID_Y_EN: 0
; COMPUTE_PGM_RSRC2:TGID_Z_EN: 0
; COMPUTE_PGM_RSRC2:TIDIG_COMP_CNT: 0
	.section	.text._ZN7rocprim17ROCPRIM_400000_NS6detail17trampoline_kernelINS0_14default_configENS1_27upper_bound_config_selectorIilEEZNS1_14transform_implILb0ES3_S5_N6thrust23THRUST_200600_302600_NS6detail15normal_iteratorINS8_7pointerIiNS8_11hip_rocprim12par_nosync_tENS8_11use_defaultESE_EEEENSA_INSB_IlSD_SE_SE_EEEEZNS1_13binary_searchIS3_S5_NSA_INS8_10device_ptrIiEEEESG_SI_NS1_21upper_bound_search_opENS9_16wrapped_functionINS8_6system6detail7generic6detail18binary_search_lessEbEEEE10hipError_tPvRmT1_T2_T3_mmT4_T5_P12ihipStream_tbEUlRKiE_EESV_SZ_S10_mS11_S14_bEUlT_E_NS1_11comp_targetILNS1_3genE4ELNS1_11target_archE910ELNS1_3gpuE8ELNS1_3repE0EEENS1_30default_config_static_selectorELNS0_4arch9wavefront6targetE0EEEvSY_,"axG",@progbits,_ZN7rocprim17ROCPRIM_400000_NS6detail17trampoline_kernelINS0_14default_configENS1_27upper_bound_config_selectorIilEEZNS1_14transform_implILb0ES3_S5_N6thrust23THRUST_200600_302600_NS6detail15normal_iteratorINS8_7pointerIiNS8_11hip_rocprim12par_nosync_tENS8_11use_defaultESE_EEEENSA_INSB_IlSD_SE_SE_EEEEZNS1_13binary_searchIS3_S5_NSA_INS8_10device_ptrIiEEEESG_SI_NS1_21upper_bound_search_opENS9_16wrapped_functionINS8_6system6detail7generic6detail18binary_search_lessEbEEEE10hipError_tPvRmT1_T2_T3_mmT4_T5_P12ihipStream_tbEUlRKiE_EESV_SZ_S10_mS11_S14_bEUlT_E_NS1_11comp_targetILNS1_3genE4ELNS1_11target_archE910ELNS1_3gpuE8ELNS1_3repE0EEENS1_30default_config_static_selectorELNS0_4arch9wavefront6targetE0EEEvSY_,comdat
	.protected	_ZN7rocprim17ROCPRIM_400000_NS6detail17trampoline_kernelINS0_14default_configENS1_27upper_bound_config_selectorIilEEZNS1_14transform_implILb0ES3_S5_N6thrust23THRUST_200600_302600_NS6detail15normal_iteratorINS8_7pointerIiNS8_11hip_rocprim12par_nosync_tENS8_11use_defaultESE_EEEENSA_INSB_IlSD_SE_SE_EEEEZNS1_13binary_searchIS3_S5_NSA_INS8_10device_ptrIiEEEESG_SI_NS1_21upper_bound_search_opENS9_16wrapped_functionINS8_6system6detail7generic6detail18binary_search_lessEbEEEE10hipError_tPvRmT1_T2_T3_mmT4_T5_P12ihipStream_tbEUlRKiE_EESV_SZ_S10_mS11_S14_bEUlT_E_NS1_11comp_targetILNS1_3genE4ELNS1_11target_archE910ELNS1_3gpuE8ELNS1_3repE0EEENS1_30default_config_static_selectorELNS0_4arch9wavefront6targetE0EEEvSY_ ; -- Begin function _ZN7rocprim17ROCPRIM_400000_NS6detail17trampoline_kernelINS0_14default_configENS1_27upper_bound_config_selectorIilEEZNS1_14transform_implILb0ES3_S5_N6thrust23THRUST_200600_302600_NS6detail15normal_iteratorINS8_7pointerIiNS8_11hip_rocprim12par_nosync_tENS8_11use_defaultESE_EEEENSA_INSB_IlSD_SE_SE_EEEEZNS1_13binary_searchIS3_S5_NSA_INS8_10device_ptrIiEEEESG_SI_NS1_21upper_bound_search_opENS9_16wrapped_functionINS8_6system6detail7generic6detail18binary_search_lessEbEEEE10hipError_tPvRmT1_T2_T3_mmT4_T5_P12ihipStream_tbEUlRKiE_EESV_SZ_S10_mS11_S14_bEUlT_E_NS1_11comp_targetILNS1_3genE4ELNS1_11target_archE910ELNS1_3gpuE8ELNS1_3repE0EEENS1_30default_config_static_selectorELNS0_4arch9wavefront6targetE0EEEvSY_
	.globl	_ZN7rocprim17ROCPRIM_400000_NS6detail17trampoline_kernelINS0_14default_configENS1_27upper_bound_config_selectorIilEEZNS1_14transform_implILb0ES3_S5_N6thrust23THRUST_200600_302600_NS6detail15normal_iteratorINS8_7pointerIiNS8_11hip_rocprim12par_nosync_tENS8_11use_defaultESE_EEEENSA_INSB_IlSD_SE_SE_EEEEZNS1_13binary_searchIS3_S5_NSA_INS8_10device_ptrIiEEEESG_SI_NS1_21upper_bound_search_opENS9_16wrapped_functionINS8_6system6detail7generic6detail18binary_search_lessEbEEEE10hipError_tPvRmT1_T2_T3_mmT4_T5_P12ihipStream_tbEUlRKiE_EESV_SZ_S10_mS11_S14_bEUlT_E_NS1_11comp_targetILNS1_3genE4ELNS1_11target_archE910ELNS1_3gpuE8ELNS1_3repE0EEENS1_30default_config_static_selectorELNS0_4arch9wavefront6targetE0EEEvSY_
	.p2align	8
	.type	_ZN7rocprim17ROCPRIM_400000_NS6detail17trampoline_kernelINS0_14default_configENS1_27upper_bound_config_selectorIilEEZNS1_14transform_implILb0ES3_S5_N6thrust23THRUST_200600_302600_NS6detail15normal_iteratorINS8_7pointerIiNS8_11hip_rocprim12par_nosync_tENS8_11use_defaultESE_EEEENSA_INSB_IlSD_SE_SE_EEEEZNS1_13binary_searchIS3_S5_NSA_INS8_10device_ptrIiEEEESG_SI_NS1_21upper_bound_search_opENS9_16wrapped_functionINS8_6system6detail7generic6detail18binary_search_lessEbEEEE10hipError_tPvRmT1_T2_T3_mmT4_T5_P12ihipStream_tbEUlRKiE_EESV_SZ_S10_mS11_S14_bEUlT_E_NS1_11comp_targetILNS1_3genE4ELNS1_11target_archE910ELNS1_3gpuE8ELNS1_3repE0EEENS1_30default_config_static_selectorELNS0_4arch9wavefront6targetE0EEEvSY_,@function
_ZN7rocprim17ROCPRIM_400000_NS6detail17trampoline_kernelINS0_14default_configENS1_27upper_bound_config_selectorIilEEZNS1_14transform_implILb0ES3_S5_N6thrust23THRUST_200600_302600_NS6detail15normal_iteratorINS8_7pointerIiNS8_11hip_rocprim12par_nosync_tENS8_11use_defaultESE_EEEENSA_INSB_IlSD_SE_SE_EEEEZNS1_13binary_searchIS3_S5_NSA_INS8_10device_ptrIiEEEESG_SI_NS1_21upper_bound_search_opENS9_16wrapped_functionINS8_6system6detail7generic6detail18binary_search_lessEbEEEE10hipError_tPvRmT1_T2_T3_mmT4_T5_P12ihipStream_tbEUlRKiE_EESV_SZ_S10_mS11_S14_bEUlT_E_NS1_11comp_targetILNS1_3genE4ELNS1_11target_archE910ELNS1_3gpuE8ELNS1_3repE0EEENS1_30default_config_static_selectorELNS0_4arch9wavefront6targetE0EEEvSY_: ; @_ZN7rocprim17ROCPRIM_400000_NS6detail17trampoline_kernelINS0_14default_configENS1_27upper_bound_config_selectorIilEEZNS1_14transform_implILb0ES3_S5_N6thrust23THRUST_200600_302600_NS6detail15normal_iteratorINS8_7pointerIiNS8_11hip_rocprim12par_nosync_tENS8_11use_defaultESE_EEEENSA_INSB_IlSD_SE_SE_EEEEZNS1_13binary_searchIS3_S5_NSA_INS8_10device_ptrIiEEEESG_SI_NS1_21upper_bound_search_opENS9_16wrapped_functionINS8_6system6detail7generic6detail18binary_search_lessEbEEEE10hipError_tPvRmT1_T2_T3_mmT4_T5_P12ihipStream_tbEUlRKiE_EESV_SZ_S10_mS11_S14_bEUlT_E_NS1_11comp_targetILNS1_3genE4ELNS1_11target_archE910ELNS1_3gpuE8ELNS1_3repE0EEENS1_30default_config_static_selectorELNS0_4arch9wavefront6targetE0EEEvSY_
; %bb.0:
	.section	.rodata,"a",@progbits
	.p2align	6, 0x0
	.amdhsa_kernel _ZN7rocprim17ROCPRIM_400000_NS6detail17trampoline_kernelINS0_14default_configENS1_27upper_bound_config_selectorIilEEZNS1_14transform_implILb0ES3_S5_N6thrust23THRUST_200600_302600_NS6detail15normal_iteratorINS8_7pointerIiNS8_11hip_rocprim12par_nosync_tENS8_11use_defaultESE_EEEENSA_INSB_IlSD_SE_SE_EEEEZNS1_13binary_searchIS3_S5_NSA_INS8_10device_ptrIiEEEESG_SI_NS1_21upper_bound_search_opENS9_16wrapped_functionINS8_6system6detail7generic6detail18binary_search_lessEbEEEE10hipError_tPvRmT1_T2_T3_mmT4_T5_P12ihipStream_tbEUlRKiE_EESV_SZ_S10_mS11_S14_bEUlT_E_NS1_11comp_targetILNS1_3genE4ELNS1_11target_archE910ELNS1_3gpuE8ELNS1_3repE0EEENS1_30default_config_static_selectorELNS0_4arch9wavefront6targetE0EEEvSY_
		.amdhsa_group_segment_fixed_size 0
		.amdhsa_private_segment_fixed_size 0
		.amdhsa_kernarg_size 56
		.amdhsa_user_sgpr_count 6
		.amdhsa_user_sgpr_private_segment_buffer 1
		.amdhsa_user_sgpr_dispatch_ptr 0
		.amdhsa_user_sgpr_queue_ptr 0
		.amdhsa_user_sgpr_kernarg_segment_ptr 1
		.amdhsa_user_sgpr_dispatch_id 0
		.amdhsa_user_sgpr_flat_scratch_init 0
		.amdhsa_user_sgpr_private_segment_size 0
		.amdhsa_wavefront_size32 1
		.amdhsa_uses_dynamic_stack 0
		.amdhsa_system_sgpr_private_segment_wavefront_offset 0
		.amdhsa_system_sgpr_workgroup_id_x 1
		.amdhsa_system_sgpr_workgroup_id_y 0
		.amdhsa_system_sgpr_workgroup_id_z 0
		.amdhsa_system_sgpr_workgroup_info 0
		.amdhsa_system_vgpr_workitem_id 0
		.amdhsa_next_free_vgpr 1
		.amdhsa_next_free_sgpr 1
		.amdhsa_reserve_vcc 0
		.amdhsa_reserve_flat_scratch 0
		.amdhsa_float_round_mode_32 0
		.amdhsa_float_round_mode_16_64 0
		.amdhsa_float_denorm_mode_32 3
		.amdhsa_float_denorm_mode_16_64 3
		.amdhsa_dx10_clamp 1
		.amdhsa_ieee_mode 1
		.amdhsa_fp16_overflow 0
		.amdhsa_workgroup_processor_mode 1
		.amdhsa_memory_ordered 1
		.amdhsa_forward_progress 1
		.amdhsa_shared_vgpr_count 0
		.amdhsa_exception_fp_ieee_invalid_op 0
		.amdhsa_exception_fp_denorm_src 0
		.amdhsa_exception_fp_ieee_div_zero 0
		.amdhsa_exception_fp_ieee_overflow 0
		.amdhsa_exception_fp_ieee_underflow 0
		.amdhsa_exception_fp_ieee_inexact 0
		.amdhsa_exception_int_div_zero 0
	.end_amdhsa_kernel
	.section	.text._ZN7rocprim17ROCPRIM_400000_NS6detail17trampoline_kernelINS0_14default_configENS1_27upper_bound_config_selectorIilEEZNS1_14transform_implILb0ES3_S5_N6thrust23THRUST_200600_302600_NS6detail15normal_iteratorINS8_7pointerIiNS8_11hip_rocprim12par_nosync_tENS8_11use_defaultESE_EEEENSA_INSB_IlSD_SE_SE_EEEEZNS1_13binary_searchIS3_S5_NSA_INS8_10device_ptrIiEEEESG_SI_NS1_21upper_bound_search_opENS9_16wrapped_functionINS8_6system6detail7generic6detail18binary_search_lessEbEEEE10hipError_tPvRmT1_T2_T3_mmT4_T5_P12ihipStream_tbEUlRKiE_EESV_SZ_S10_mS11_S14_bEUlT_E_NS1_11comp_targetILNS1_3genE4ELNS1_11target_archE910ELNS1_3gpuE8ELNS1_3repE0EEENS1_30default_config_static_selectorELNS0_4arch9wavefront6targetE0EEEvSY_,"axG",@progbits,_ZN7rocprim17ROCPRIM_400000_NS6detail17trampoline_kernelINS0_14default_configENS1_27upper_bound_config_selectorIilEEZNS1_14transform_implILb0ES3_S5_N6thrust23THRUST_200600_302600_NS6detail15normal_iteratorINS8_7pointerIiNS8_11hip_rocprim12par_nosync_tENS8_11use_defaultESE_EEEENSA_INSB_IlSD_SE_SE_EEEEZNS1_13binary_searchIS3_S5_NSA_INS8_10device_ptrIiEEEESG_SI_NS1_21upper_bound_search_opENS9_16wrapped_functionINS8_6system6detail7generic6detail18binary_search_lessEbEEEE10hipError_tPvRmT1_T2_T3_mmT4_T5_P12ihipStream_tbEUlRKiE_EESV_SZ_S10_mS11_S14_bEUlT_E_NS1_11comp_targetILNS1_3genE4ELNS1_11target_archE910ELNS1_3gpuE8ELNS1_3repE0EEENS1_30default_config_static_selectorELNS0_4arch9wavefront6targetE0EEEvSY_,comdat
.Lfunc_end574:
	.size	_ZN7rocprim17ROCPRIM_400000_NS6detail17trampoline_kernelINS0_14default_configENS1_27upper_bound_config_selectorIilEEZNS1_14transform_implILb0ES3_S5_N6thrust23THRUST_200600_302600_NS6detail15normal_iteratorINS8_7pointerIiNS8_11hip_rocprim12par_nosync_tENS8_11use_defaultESE_EEEENSA_INSB_IlSD_SE_SE_EEEEZNS1_13binary_searchIS3_S5_NSA_INS8_10device_ptrIiEEEESG_SI_NS1_21upper_bound_search_opENS9_16wrapped_functionINS8_6system6detail7generic6detail18binary_search_lessEbEEEE10hipError_tPvRmT1_T2_T3_mmT4_T5_P12ihipStream_tbEUlRKiE_EESV_SZ_S10_mS11_S14_bEUlT_E_NS1_11comp_targetILNS1_3genE4ELNS1_11target_archE910ELNS1_3gpuE8ELNS1_3repE0EEENS1_30default_config_static_selectorELNS0_4arch9wavefront6targetE0EEEvSY_, .Lfunc_end574-_ZN7rocprim17ROCPRIM_400000_NS6detail17trampoline_kernelINS0_14default_configENS1_27upper_bound_config_selectorIilEEZNS1_14transform_implILb0ES3_S5_N6thrust23THRUST_200600_302600_NS6detail15normal_iteratorINS8_7pointerIiNS8_11hip_rocprim12par_nosync_tENS8_11use_defaultESE_EEEENSA_INSB_IlSD_SE_SE_EEEEZNS1_13binary_searchIS3_S5_NSA_INS8_10device_ptrIiEEEESG_SI_NS1_21upper_bound_search_opENS9_16wrapped_functionINS8_6system6detail7generic6detail18binary_search_lessEbEEEE10hipError_tPvRmT1_T2_T3_mmT4_T5_P12ihipStream_tbEUlRKiE_EESV_SZ_S10_mS11_S14_bEUlT_E_NS1_11comp_targetILNS1_3genE4ELNS1_11target_archE910ELNS1_3gpuE8ELNS1_3repE0EEENS1_30default_config_static_selectorELNS0_4arch9wavefront6targetE0EEEvSY_
                                        ; -- End function
	.set _ZN7rocprim17ROCPRIM_400000_NS6detail17trampoline_kernelINS0_14default_configENS1_27upper_bound_config_selectorIilEEZNS1_14transform_implILb0ES3_S5_N6thrust23THRUST_200600_302600_NS6detail15normal_iteratorINS8_7pointerIiNS8_11hip_rocprim12par_nosync_tENS8_11use_defaultESE_EEEENSA_INSB_IlSD_SE_SE_EEEEZNS1_13binary_searchIS3_S5_NSA_INS8_10device_ptrIiEEEESG_SI_NS1_21upper_bound_search_opENS9_16wrapped_functionINS8_6system6detail7generic6detail18binary_search_lessEbEEEE10hipError_tPvRmT1_T2_T3_mmT4_T5_P12ihipStream_tbEUlRKiE_EESV_SZ_S10_mS11_S14_bEUlT_E_NS1_11comp_targetILNS1_3genE4ELNS1_11target_archE910ELNS1_3gpuE8ELNS1_3repE0EEENS1_30default_config_static_selectorELNS0_4arch9wavefront6targetE0EEEvSY_.num_vgpr, 0
	.set _ZN7rocprim17ROCPRIM_400000_NS6detail17trampoline_kernelINS0_14default_configENS1_27upper_bound_config_selectorIilEEZNS1_14transform_implILb0ES3_S5_N6thrust23THRUST_200600_302600_NS6detail15normal_iteratorINS8_7pointerIiNS8_11hip_rocprim12par_nosync_tENS8_11use_defaultESE_EEEENSA_INSB_IlSD_SE_SE_EEEEZNS1_13binary_searchIS3_S5_NSA_INS8_10device_ptrIiEEEESG_SI_NS1_21upper_bound_search_opENS9_16wrapped_functionINS8_6system6detail7generic6detail18binary_search_lessEbEEEE10hipError_tPvRmT1_T2_T3_mmT4_T5_P12ihipStream_tbEUlRKiE_EESV_SZ_S10_mS11_S14_bEUlT_E_NS1_11comp_targetILNS1_3genE4ELNS1_11target_archE910ELNS1_3gpuE8ELNS1_3repE0EEENS1_30default_config_static_selectorELNS0_4arch9wavefront6targetE0EEEvSY_.num_agpr, 0
	.set _ZN7rocprim17ROCPRIM_400000_NS6detail17trampoline_kernelINS0_14default_configENS1_27upper_bound_config_selectorIilEEZNS1_14transform_implILb0ES3_S5_N6thrust23THRUST_200600_302600_NS6detail15normal_iteratorINS8_7pointerIiNS8_11hip_rocprim12par_nosync_tENS8_11use_defaultESE_EEEENSA_INSB_IlSD_SE_SE_EEEEZNS1_13binary_searchIS3_S5_NSA_INS8_10device_ptrIiEEEESG_SI_NS1_21upper_bound_search_opENS9_16wrapped_functionINS8_6system6detail7generic6detail18binary_search_lessEbEEEE10hipError_tPvRmT1_T2_T3_mmT4_T5_P12ihipStream_tbEUlRKiE_EESV_SZ_S10_mS11_S14_bEUlT_E_NS1_11comp_targetILNS1_3genE4ELNS1_11target_archE910ELNS1_3gpuE8ELNS1_3repE0EEENS1_30default_config_static_selectorELNS0_4arch9wavefront6targetE0EEEvSY_.numbered_sgpr, 0
	.set _ZN7rocprim17ROCPRIM_400000_NS6detail17trampoline_kernelINS0_14default_configENS1_27upper_bound_config_selectorIilEEZNS1_14transform_implILb0ES3_S5_N6thrust23THRUST_200600_302600_NS6detail15normal_iteratorINS8_7pointerIiNS8_11hip_rocprim12par_nosync_tENS8_11use_defaultESE_EEEENSA_INSB_IlSD_SE_SE_EEEEZNS1_13binary_searchIS3_S5_NSA_INS8_10device_ptrIiEEEESG_SI_NS1_21upper_bound_search_opENS9_16wrapped_functionINS8_6system6detail7generic6detail18binary_search_lessEbEEEE10hipError_tPvRmT1_T2_T3_mmT4_T5_P12ihipStream_tbEUlRKiE_EESV_SZ_S10_mS11_S14_bEUlT_E_NS1_11comp_targetILNS1_3genE4ELNS1_11target_archE910ELNS1_3gpuE8ELNS1_3repE0EEENS1_30default_config_static_selectorELNS0_4arch9wavefront6targetE0EEEvSY_.num_named_barrier, 0
	.set _ZN7rocprim17ROCPRIM_400000_NS6detail17trampoline_kernelINS0_14default_configENS1_27upper_bound_config_selectorIilEEZNS1_14transform_implILb0ES3_S5_N6thrust23THRUST_200600_302600_NS6detail15normal_iteratorINS8_7pointerIiNS8_11hip_rocprim12par_nosync_tENS8_11use_defaultESE_EEEENSA_INSB_IlSD_SE_SE_EEEEZNS1_13binary_searchIS3_S5_NSA_INS8_10device_ptrIiEEEESG_SI_NS1_21upper_bound_search_opENS9_16wrapped_functionINS8_6system6detail7generic6detail18binary_search_lessEbEEEE10hipError_tPvRmT1_T2_T3_mmT4_T5_P12ihipStream_tbEUlRKiE_EESV_SZ_S10_mS11_S14_bEUlT_E_NS1_11comp_targetILNS1_3genE4ELNS1_11target_archE910ELNS1_3gpuE8ELNS1_3repE0EEENS1_30default_config_static_selectorELNS0_4arch9wavefront6targetE0EEEvSY_.private_seg_size, 0
	.set _ZN7rocprim17ROCPRIM_400000_NS6detail17trampoline_kernelINS0_14default_configENS1_27upper_bound_config_selectorIilEEZNS1_14transform_implILb0ES3_S5_N6thrust23THRUST_200600_302600_NS6detail15normal_iteratorINS8_7pointerIiNS8_11hip_rocprim12par_nosync_tENS8_11use_defaultESE_EEEENSA_INSB_IlSD_SE_SE_EEEEZNS1_13binary_searchIS3_S5_NSA_INS8_10device_ptrIiEEEESG_SI_NS1_21upper_bound_search_opENS9_16wrapped_functionINS8_6system6detail7generic6detail18binary_search_lessEbEEEE10hipError_tPvRmT1_T2_T3_mmT4_T5_P12ihipStream_tbEUlRKiE_EESV_SZ_S10_mS11_S14_bEUlT_E_NS1_11comp_targetILNS1_3genE4ELNS1_11target_archE910ELNS1_3gpuE8ELNS1_3repE0EEENS1_30default_config_static_selectorELNS0_4arch9wavefront6targetE0EEEvSY_.uses_vcc, 0
	.set _ZN7rocprim17ROCPRIM_400000_NS6detail17trampoline_kernelINS0_14default_configENS1_27upper_bound_config_selectorIilEEZNS1_14transform_implILb0ES3_S5_N6thrust23THRUST_200600_302600_NS6detail15normal_iteratorINS8_7pointerIiNS8_11hip_rocprim12par_nosync_tENS8_11use_defaultESE_EEEENSA_INSB_IlSD_SE_SE_EEEEZNS1_13binary_searchIS3_S5_NSA_INS8_10device_ptrIiEEEESG_SI_NS1_21upper_bound_search_opENS9_16wrapped_functionINS8_6system6detail7generic6detail18binary_search_lessEbEEEE10hipError_tPvRmT1_T2_T3_mmT4_T5_P12ihipStream_tbEUlRKiE_EESV_SZ_S10_mS11_S14_bEUlT_E_NS1_11comp_targetILNS1_3genE4ELNS1_11target_archE910ELNS1_3gpuE8ELNS1_3repE0EEENS1_30default_config_static_selectorELNS0_4arch9wavefront6targetE0EEEvSY_.uses_flat_scratch, 0
	.set _ZN7rocprim17ROCPRIM_400000_NS6detail17trampoline_kernelINS0_14default_configENS1_27upper_bound_config_selectorIilEEZNS1_14transform_implILb0ES3_S5_N6thrust23THRUST_200600_302600_NS6detail15normal_iteratorINS8_7pointerIiNS8_11hip_rocprim12par_nosync_tENS8_11use_defaultESE_EEEENSA_INSB_IlSD_SE_SE_EEEEZNS1_13binary_searchIS3_S5_NSA_INS8_10device_ptrIiEEEESG_SI_NS1_21upper_bound_search_opENS9_16wrapped_functionINS8_6system6detail7generic6detail18binary_search_lessEbEEEE10hipError_tPvRmT1_T2_T3_mmT4_T5_P12ihipStream_tbEUlRKiE_EESV_SZ_S10_mS11_S14_bEUlT_E_NS1_11comp_targetILNS1_3genE4ELNS1_11target_archE910ELNS1_3gpuE8ELNS1_3repE0EEENS1_30default_config_static_selectorELNS0_4arch9wavefront6targetE0EEEvSY_.has_dyn_sized_stack, 0
	.set _ZN7rocprim17ROCPRIM_400000_NS6detail17trampoline_kernelINS0_14default_configENS1_27upper_bound_config_selectorIilEEZNS1_14transform_implILb0ES3_S5_N6thrust23THRUST_200600_302600_NS6detail15normal_iteratorINS8_7pointerIiNS8_11hip_rocprim12par_nosync_tENS8_11use_defaultESE_EEEENSA_INSB_IlSD_SE_SE_EEEEZNS1_13binary_searchIS3_S5_NSA_INS8_10device_ptrIiEEEESG_SI_NS1_21upper_bound_search_opENS9_16wrapped_functionINS8_6system6detail7generic6detail18binary_search_lessEbEEEE10hipError_tPvRmT1_T2_T3_mmT4_T5_P12ihipStream_tbEUlRKiE_EESV_SZ_S10_mS11_S14_bEUlT_E_NS1_11comp_targetILNS1_3genE4ELNS1_11target_archE910ELNS1_3gpuE8ELNS1_3repE0EEENS1_30default_config_static_selectorELNS0_4arch9wavefront6targetE0EEEvSY_.has_recursion, 0
	.set _ZN7rocprim17ROCPRIM_400000_NS6detail17trampoline_kernelINS0_14default_configENS1_27upper_bound_config_selectorIilEEZNS1_14transform_implILb0ES3_S5_N6thrust23THRUST_200600_302600_NS6detail15normal_iteratorINS8_7pointerIiNS8_11hip_rocprim12par_nosync_tENS8_11use_defaultESE_EEEENSA_INSB_IlSD_SE_SE_EEEEZNS1_13binary_searchIS3_S5_NSA_INS8_10device_ptrIiEEEESG_SI_NS1_21upper_bound_search_opENS9_16wrapped_functionINS8_6system6detail7generic6detail18binary_search_lessEbEEEE10hipError_tPvRmT1_T2_T3_mmT4_T5_P12ihipStream_tbEUlRKiE_EESV_SZ_S10_mS11_S14_bEUlT_E_NS1_11comp_targetILNS1_3genE4ELNS1_11target_archE910ELNS1_3gpuE8ELNS1_3repE0EEENS1_30default_config_static_selectorELNS0_4arch9wavefront6targetE0EEEvSY_.has_indirect_call, 0
	.section	.AMDGPU.csdata,"",@progbits
; Kernel info:
; codeLenInByte = 0
; TotalNumSgprs: 0
; NumVgprs: 0
; ScratchSize: 0
; MemoryBound: 0
; FloatMode: 240
; IeeeMode: 1
; LDSByteSize: 0 bytes/workgroup (compile time only)
; SGPRBlocks: 0
; VGPRBlocks: 0
; NumSGPRsForWavesPerEU: 1
; NumVGPRsForWavesPerEU: 1
; Occupancy: 16
; WaveLimiterHint : 0
; COMPUTE_PGM_RSRC2:SCRATCH_EN: 0
; COMPUTE_PGM_RSRC2:USER_SGPR: 6
; COMPUTE_PGM_RSRC2:TRAP_HANDLER: 0
; COMPUTE_PGM_RSRC2:TGID_X_EN: 1
; COMPUTE_PGM_RSRC2:TGID_Y_EN: 0
; COMPUTE_PGM_RSRC2:TGID_Z_EN: 0
; COMPUTE_PGM_RSRC2:TIDIG_COMP_CNT: 0
	.section	.text._ZN7rocprim17ROCPRIM_400000_NS6detail17trampoline_kernelINS0_14default_configENS1_27upper_bound_config_selectorIilEEZNS1_14transform_implILb0ES3_S5_N6thrust23THRUST_200600_302600_NS6detail15normal_iteratorINS8_7pointerIiNS8_11hip_rocprim12par_nosync_tENS8_11use_defaultESE_EEEENSA_INSB_IlSD_SE_SE_EEEEZNS1_13binary_searchIS3_S5_NSA_INS8_10device_ptrIiEEEESG_SI_NS1_21upper_bound_search_opENS9_16wrapped_functionINS8_6system6detail7generic6detail18binary_search_lessEbEEEE10hipError_tPvRmT1_T2_T3_mmT4_T5_P12ihipStream_tbEUlRKiE_EESV_SZ_S10_mS11_S14_bEUlT_E_NS1_11comp_targetILNS1_3genE3ELNS1_11target_archE908ELNS1_3gpuE7ELNS1_3repE0EEENS1_30default_config_static_selectorELNS0_4arch9wavefront6targetE0EEEvSY_,"axG",@progbits,_ZN7rocprim17ROCPRIM_400000_NS6detail17trampoline_kernelINS0_14default_configENS1_27upper_bound_config_selectorIilEEZNS1_14transform_implILb0ES3_S5_N6thrust23THRUST_200600_302600_NS6detail15normal_iteratorINS8_7pointerIiNS8_11hip_rocprim12par_nosync_tENS8_11use_defaultESE_EEEENSA_INSB_IlSD_SE_SE_EEEEZNS1_13binary_searchIS3_S5_NSA_INS8_10device_ptrIiEEEESG_SI_NS1_21upper_bound_search_opENS9_16wrapped_functionINS8_6system6detail7generic6detail18binary_search_lessEbEEEE10hipError_tPvRmT1_T2_T3_mmT4_T5_P12ihipStream_tbEUlRKiE_EESV_SZ_S10_mS11_S14_bEUlT_E_NS1_11comp_targetILNS1_3genE3ELNS1_11target_archE908ELNS1_3gpuE7ELNS1_3repE0EEENS1_30default_config_static_selectorELNS0_4arch9wavefront6targetE0EEEvSY_,comdat
	.protected	_ZN7rocprim17ROCPRIM_400000_NS6detail17trampoline_kernelINS0_14default_configENS1_27upper_bound_config_selectorIilEEZNS1_14transform_implILb0ES3_S5_N6thrust23THRUST_200600_302600_NS6detail15normal_iteratorINS8_7pointerIiNS8_11hip_rocprim12par_nosync_tENS8_11use_defaultESE_EEEENSA_INSB_IlSD_SE_SE_EEEEZNS1_13binary_searchIS3_S5_NSA_INS8_10device_ptrIiEEEESG_SI_NS1_21upper_bound_search_opENS9_16wrapped_functionINS8_6system6detail7generic6detail18binary_search_lessEbEEEE10hipError_tPvRmT1_T2_T3_mmT4_T5_P12ihipStream_tbEUlRKiE_EESV_SZ_S10_mS11_S14_bEUlT_E_NS1_11comp_targetILNS1_3genE3ELNS1_11target_archE908ELNS1_3gpuE7ELNS1_3repE0EEENS1_30default_config_static_selectorELNS0_4arch9wavefront6targetE0EEEvSY_ ; -- Begin function _ZN7rocprim17ROCPRIM_400000_NS6detail17trampoline_kernelINS0_14default_configENS1_27upper_bound_config_selectorIilEEZNS1_14transform_implILb0ES3_S5_N6thrust23THRUST_200600_302600_NS6detail15normal_iteratorINS8_7pointerIiNS8_11hip_rocprim12par_nosync_tENS8_11use_defaultESE_EEEENSA_INSB_IlSD_SE_SE_EEEEZNS1_13binary_searchIS3_S5_NSA_INS8_10device_ptrIiEEEESG_SI_NS1_21upper_bound_search_opENS9_16wrapped_functionINS8_6system6detail7generic6detail18binary_search_lessEbEEEE10hipError_tPvRmT1_T2_T3_mmT4_T5_P12ihipStream_tbEUlRKiE_EESV_SZ_S10_mS11_S14_bEUlT_E_NS1_11comp_targetILNS1_3genE3ELNS1_11target_archE908ELNS1_3gpuE7ELNS1_3repE0EEENS1_30default_config_static_selectorELNS0_4arch9wavefront6targetE0EEEvSY_
	.globl	_ZN7rocprim17ROCPRIM_400000_NS6detail17trampoline_kernelINS0_14default_configENS1_27upper_bound_config_selectorIilEEZNS1_14transform_implILb0ES3_S5_N6thrust23THRUST_200600_302600_NS6detail15normal_iteratorINS8_7pointerIiNS8_11hip_rocprim12par_nosync_tENS8_11use_defaultESE_EEEENSA_INSB_IlSD_SE_SE_EEEEZNS1_13binary_searchIS3_S5_NSA_INS8_10device_ptrIiEEEESG_SI_NS1_21upper_bound_search_opENS9_16wrapped_functionINS8_6system6detail7generic6detail18binary_search_lessEbEEEE10hipError_tPvRmT1_T2_T3_mmT4_T5_P12ihipStream_tbEUlRKiE_EESV_SZ_S10_mS11_S14_bEUlT_E_NS1_11comp_targetILNS1_3genE3ELNS1_11target_archE908ELNS1_3gpuE7ELNS1_3repE0EEENS1_30default_config_static_selectorELNS0_4arch9wavefront6targetE0EEEvSY_
	.p2align	8
	.type	_ZN7rocprim17ROCPRIM_400000_NS6detail17trampoline_kernelINS0_14default_configENS1_27upper_bound_config_selectorIilEEZNS1_14transform_implILb0ES3_S5_N6thrust23THRUST_200600_302600_NS6detail15normal_iteratorINS8_7pointerIiNS8_11hip_rocprim12par_nosync_tENS8_11use_defaultESE_EEEENSA_INSB_IlSD_SE_SE_EEEEZNS1_13binary_searchIS3_S5_NSA_INS8_10device_ptrIiEEEESG_SI_NS1_21upper_bound_search_opENS9_16wrapped_functionINS8_6system6detail7generic6detail18binary_search_lessEbEEEE10hipError_tPvRmT1_T2_T3_mmT4_T5_P12ihipStream_tbEUlRKiE_EESV_SZ_S10_mS11_S14_bEUlT_E_NS1_11comp_targetILNS1_3genE3ELNS1_11target_archE908ELNS1_3gpuE7ELNS1_3repE0EEENS1_30default_config_static_selectorELNS0_4arch9wavefront6targetE0EEEvSY_,@function
_ZN7rocprim17ROCPRIM_400000_NS6detail17trampoline_kernelINS0_14default_configENS1_27upper_bound_config_selectorIilEEZNS1_14transform_implILb0ES3_S5_N6thrust23THRUST_200600_302600_NS6detail15normal_iteratorINS8_7pointerIiNS8_11hip_rocprim12par_nosync_tENS8_11use_defaultESE_EEEENSA_INSB_IlSD_SE_SE_EEEEZNS1_13binary_searchIS3_S5_NSA_INS8_10device_ptrIiEEEESG_SI_NS1_21upper_bound_search_opENS9_16wrapped_functionINS8_6system6detail7generic6detail18binary_search_lessEbEEEE10hipError_tPvRmT1_T2_T3_mmT4_T5_P12ihipStream_tbEUlRKiE_EESV_SZ_S10_mS11_S14_bEUlT_E_NS1_11comp_targetILNS1_3genE3ELNS1_11target_archE908ELNS1_3gpuE7ELNS1_3repE0EEENS1_30default_config_static_selectorELNS0_4arch9wavefront6targetE0EEEvSY_: ; @_ZN7rocprim17ROCPRIM_400000_NS6detail17trampoline_kernelINS0_14default_configENS1_27upper_bound_config_selectorIilEEZNS1_14transform_implILb0ES3_S5_N6thrust23THRUST_200600_302600_NS6detail15normal_iteratorINS8_7pointerIiNS8_11hip_rocprim12par_nosync_tENS8_11use_defaultESE_EEEENSA_INSB_IlSD_SE_SE_EEEEZNS1_13binary_searchIS3_S5_NSA_INS8_10device_ptrIiEEEESG_SI_NS1_21upper_bound_search_opENS9_16wrapped_functionINS8_6system6detail7generic6detail18binary_search_lessEbEEEE10hipError_tPvRmT1_T2_T3_mmT4_T5_P12ihipStream_tbEUlRKiE_EESV_SZ_S10_mS11_S14_bEUlT_E_NS1_11comp_targetILNS1_3genE3ELNS1_11target_archE908ELNS1_3gpuE7ELNS1_3repE0EEENS1_30default_config_static_selectorELNS0_4arch9wavefront6targetE0EEEvSY_
; %bb.0:
	.section	.rodata,"a",@progbits
	.p2align	6, 0x0
	.amdhsa_kernel _ZN7rocprim17ROCPRIM_400000_NS6detail17trampoline_kernelINS0_14default_configENS1_27upper_bound_config_selectorIilEEZNS1_14transform_implILb0ES3_S5_N6thrust23THRUST_200600_302600_NS6detail15normal_iteratorINS8_7pointerIiNS8_11hip_rocprim12par_nosync_tENS8_11use_defaultESE_EEEENSA_INSB_IlSD_SE_SE_EEEEZNS1_13binary_searchIS3_S5_NSA_INS8_10device_ptrIiEEEESG_SI_NS1_21upper_bound_search_opENS9_16wrapped_functionINS8_6system6detail7generic6detail18binary_search_lessEbEEEE10hipError_tPvRmT1_T2_T3_mmT4_T5_P12ihipStream_tbEUlRKiE_EESV_SZ_S10_mS11_S14_bEUlT_E_NS1_11comp_targetILNS1_3genE3ELNS1_11target_archE908ELNS1_3gpuE7ELNS1_3repE0EEENS1_30default_config_static_selectorELNS0_4arch9wavefront6targetE0EEEvSY_
		.amdhsa_group_segment_fixed_size 0
		.amdhsa_private_segment_fixed_size 0
		.amdhsa_kernarg_size 56
		.amdhsa_user_sgpr_count 6
		.amdhsa_user_sgpr_private_segment_buffer 1
		.amdhsa_user_sgpr_dispatch_ptr 0
		.amdhsa_user_sgpr_queue_ptr 0
		.amdhsa_user_sgpr_kernarg_segment_ptr 1
		.amdhsa_user_sgpr_dispatch_id 0
		.amdhsa_user_sgpr_flat_scratch_init 0
		.amdhsa_user_sgpr_private_segment_size 0
		.amdhsa_wavefront_size32 1
		.amdhsa_uses_dynamic_stack 0
		.amdhsa_system_sgpr_private_segment_wavefront_offset 0
		.amdhsa_system_sgpr_workgroup_id_x 1
		.amdhsa_system_sgpr_workgroup_id_y 0
		.amdhsa_system_sgpr_workgroup_id_z 0
		.amdhsa_system_sgpr_workgroup_info 0
		.amdhsa_system_vgpr_workitem_id 0
		.amdhsa_next_free_vgpr 1
		.amdhsa_next_free_sgpr 1
		.amdhsa_reserve_vcc 0
		.amdhsa_reserve_flat_scratch 0
		.amdhsa_float_round_mode_32 0
		.amdhsa_float_round_mode_16_64 0
		.amdhsa_float_denorm_mode_32 3
		.amdhsa_float_denorm_mode_16_64 3
		.amdhsa_dx10_clamp 1
		.amdhsa_ieee_mode 1
		.amdhsa_fp16_overflow 0
		.amdhsa_workgroup_processor_mode 1
		.amdhsa_memory_ordered 1
		.amdhsa_forward_progress 1
		.amdhsa_shared_vgpr_count 0
		.amdhsa_exception_fp_ieee_invalid_op 0
		.amdhsa_exception_fp_denorm_src 0
		.amdhsa_exception_fp_ieee_div_zero 0
		.amdhsa_exception_fp_ieee_overflow 0
		.amdhsa_exception_fp_ieee_underflow 0
		.amdhsa_exception_fp_ieee_inexact 0
		.amdhsa_exception_int_div_zero 0
	.end_amdhsa_kernel
	.section	.text._ZN7rocprim17ROCPRIM_400000_NS6detail17trampoline_kernelINS0_14default_configENS1_27upper_bound_config_selectorIilEEZNS1_14transform_implILb0ES3_S5_N6thrust23THRUST_200600_302600_NS6detail15normal_iteratorINS8_7pointerIiNS8_11hip_rocprim12par_nosync_tENS8_11use_defaultESE_EEEENSA_INSB_IlSD_SE_SE_EEEEZNS1_13binary_searchIS3_S5_NSA_INS8_10device_ptrIiEEEESG_SI_NS1_21upper_bound_search_opENS9_16wrapped_functionINS8_6system6detail7generic6detail18binary_search_lessEbEEEE10hipError_tPvRmT1_T2_T3_mmT4_T5_P12ihipStream_tbEUlRKiE_EESV_SZ_S10_mS11_S14_bEUlT_E_NS1_11comp_targetILNS1_3genE3ELNS1_11target_archE908ELNS1_3gpuE7ELNS1_3repE0EEENS1_30default_config_static_selectorELNS0_4arch9wavefront6targetE0EEEvSY_,"axG",@progbits,_ZN7rocprim17ROCPRIM_400000_NS6detail17trampoline_kernelINS0_14default_configENS1_27upper_bound_config_selectorIilEEZNS1_14transform_implILb0ES3_S5_N6thrust23THRUST_200600_302600_NS6detail15normal_iteratorINS8_7pointerIiNS8_11hip_rocprim12par_nosync_tENS8_11use_defaultESE_EEEENSA_INSB_IlSD_SE_SE_EEEEZNS1_13binary_searchIS3_S5_NSA_INS8_10device_ptrIiEEEESG_SI_NS1_21upper_bound_search_opENS9_16wrapped_functionINS8_6system6detail7generic6detail18binary_search_lessEbEEEE10hipError_tPvRmT1_T2_T3_mmT4_T5_P12ihipStream_tbEUlRKiE_EESV_SZ_S10_mS11_S14_bEUlT_E_NS1_11comp_targetILNS1_3genE3ELNS1_11target_archE908ELNS1_3gpuE7ELNS1_3repE0EEENS1_30default_config_static_selectorELNS0_4arch9wavefront6targetE0EEEvSY_,comdat
.Lfunc_end575:
	.size	_ZN7rocprim17ROCPRIM_400000_NS6detail17trampoline_kernelINS0_14default_configENS1_27upper_bound_config_selectorIilEEZNS1_14transform_implILb0ES3_S5_N6thrust23THRUST_200600_302600_NS6detail15normal_iteratorINS8_7pointerIiNS8_11hip_rocprim12par_nosync_tENS8_11use_defaultESE_EEEENSA_INSB_IlSD_SE_SE_EEEEZNS1_13binary_searchIS3_S5_NSA_INS8_10device_ptrIiEEEESG_SI_NS1_21upper_bound_search_opENS9_16wrapped_functionINS8_6system6detail7generic6detail18binary_search_lessEbEEEE10hipError_tPvRmT1_T2_T3_mmT4_T5_P12ihipStream_tbEUlRKiE_EESV_SZ_S10_mS11_S14_bEUlT_E_NS1_11comp_targetILNS1_3genE3ELNS1_11target_archE908ELNS1_3gpuE7ELNS1_3repE0EEENS1_30default_config_static_selectorELNS0_4arch9wavefront6targetE0EEEvSY_, .Lfunc_end575-_ZN7rocprim17ROCPRIM_400000_NS6detail17trampoline_kernelINS0_14default_configENS1_27upper_bound_config_selectorIilEEZNS1_14transform_implILb0ES3_S5_N6thrust23THRUST_200600_302600_NS6detail15normal_iteratorINS8_7pointerIiNS8_11hip_rocprim12par_nosync_tENS8_11use_defaultESE_EEEENSA_INSB_IlSD_SE_SE_EEEEZNS1_13binary_searchIS3_S5_NSA_INS8_10device_ptrIiEEEESG_SI_NS1_21upper_bound_search_opENS9_16wrapped_functionINS8_6system6detail7generic6detail18binary_search_lessEbEEEE10hipError_tPvRmT1_T2_T3_mmT4_T5_P12ihipStream_tbEUlRKiE_EESV_SZ_S10_mS11_S14_bEUlT_E_NS1_11comp_targetILNS1_3genE3ELNS1_11target_archE908ELNS1_3gpuE7ELNS1_3repE0EEENS1_30default_config_static_selectorELNS0_4arch9wavefront6targetE0EEEvSY_
                                        ; -- End function
	.set _ZN7rocprim17ROCPRIM_400000_NS6detail17trampoline_kernelINS0_14default_configENS1_27upper_bound_config_selectorIilEEZNS1_14transform_implILb0ES3_S5_N6thrust23THRUST_200600_302600_NS6detail15normal_iteratorINS8_7pointerIiNS8_11hip_rocprim12par_nosync_tENS8_11use_defaultESE_EEEENSA_INSB_IlSD_SE_SE_EEEEZNS1_13binary_searchIS3_S5_NSA_INS8_10device_ptrIiEEEESG_SI_NS1_21upper_bound_search_opENS9_16wrapped_functionINS8_6system6detail7generic6detail18binary_search_lessEbEEEE10hipError_tPvRmT1_T2_T3_mmT4_T5_P12ihipStream_tbEUlRKiE_EESV_SZ_S10_mS11_S14_bEUlT_E_NS1_11comp_targetILNS1_3genE3ELNS1_11target_archE908ELNS1_3gpuE7ELNS1_3repE0EEENS1_30default_config_static_selectorELNS0_4arch9wavefront6targetE0EEEvSY_.num_vgpr, 0
	.set _ZN7rocprim17ROCPRIM_400000_NS6detail17trampoline_kernelINS0_14default_configENS1_27upper_bound_config_selectorIilEEZNS1_14transform_implILb0ES3_S5_N6thrust23THRUST_200600_302600_NS6detail15normal_iteratorINS8_7pointerIiNS8_11hip_rocprim12par_nosync_tENS8_11use_defaultESE_EEEENSA_INSB_IlSD_SE_SE_EEEEZNS1_13binary_searchIS3_S5_NSA_INS8_10device_ptrIiEEEESG_SI_NS1_21upper_bound_search_opENS9_16wrapped_functionINS8_6system6detail7generic6detail18binary_search_lessEbEEEE10hipError_tPvRmT1_T2_T3_mmT4_T5_P12ihipStream_tbEUlRKiE_EESV_SZ_S10_mS11_S14_bEUlT_E_NS1_11comp_targetILNS1_3genE3ELNS1_11target_archE908ELNS1_3gpuE7ELNS1_3repE0EEENS1_30default_config_static_selectorELNS0_4arch9wavefront6targetE0EEEvSY_.num_agpr, 0
	.set _ZN7rocprim17ROCPRIM_400000_NS6detail17trampoline_kernelINS0_14default_configENS1_27upper_bound_config_selectorIilEEZNS1_14transform_implILb0ES3_S5_N6thrust23THRUST_200600_302600_NS6detail15normal_iteratorINS8_7pointerIiNS8_11hip_rocprim12par_nosync_tENS8_11use_defaultESE_EEEENSA_INSB_IlSD_SE_SE_EEEEZNS1_13binary_searchIS3_S5_NSA_INS8_10device_ptrIiEEEESG_SI_NS1_21upper_bound_search_opENS9_16wrapped_functionINS8_6system6detail7generic6detail18binary_search_lessEbEEEE10hipError_tPvRmT1_T2_T3_mmT4_T5_P12ihipStream_tbEUlRKiE_EESV_SZ_S10_mS11_S14_bEUlT_E_NS1_11comp_targetILNS1_3genE3ELNS1_11target_archE908ELNS1_3gpuE7ELNS1_3repE0EEENS1_30default_config_static_selectorELNS0_4arch9wavefront6targetE0EEEvSY_.numbered_sgpr, 0
	.set _ZN7rocprim17ROCPRIM_400000_NS6detail17trampoline_kernelINS0_14default_configENS1_27upper_bound_config_selectorIilEEZNS1_14transform_implILb0ES3_S5_N6thrust23THRUST_200600_302600_NS6detail15normal_iteratorINS8_7pointerIiNS8_11hip_rocprim12par_nosync_tENS8_11use_defaultESE_EEEENSA_INSB_IlSD_SE_SE_EEEEZNS1_13binary_searchIS3_S5_NSA_INS8_10device_ptrIiEEEESG_SI_NS1_21upper_bound_search_opENS9_16wrapped_functionINS8_6system6detail7generic6detail18binary_search_lessEbEEEE10hipError_tPvRmT1_T2_T3_mmT4_T5_P12ihipStream_tbEUlRKiE_EESV_SZ_S10_mS11_S14_bEUlT_E_NS1_11comp_targetILNS1_3genE3ELNS1_11target_archE908ELNS1_3gpuE7ELNS1_3repE0EEENS1_30default_config_static_selectorELNS0_4arch9wavefront6targetE0EEEvSY_.num_named_barrier, 0
	.set _ZN7rocprim17ROCPRIM_400000_NS6detail17trampoline_kernelINS0_14default_configENS1_27upper_bound_config_selectorIilEEZNS1_14transform_implILb0ES3_S5_N6thrust23THRUST_200600_302600_NS6detail15normal_iteratorINS8_7pointerIiNS8_11hip_rocprim12par_nosync_tENS8_11use_defaultESE_EEEENSA_INSB_IlSD_SE_SE_EEEEZNS1_13binary_searchIS3_S5_NSA_INS8_10device_ptrIiEEEESG_SI_NS1_21upper_bound_search_opENS9_16wrapped_functionINS8_6system6detail7generic6detail18binary_search_lessEbEEEE10hipError_tPvRmT1_T2_T3_mmT4_T5_P12ihipStream_tbEUlRKiE_EESV_SZ_S10_mS11_S14_bEUlT_E_NS1_11comp_targetILNS1_3genE3ELNS1_11target_archE908ELNS1_3gpuE7ELNS1_3repE0EEENS1_30default_config_static_selectorELNS0_4arch9wavefront6targetE0EEEvSY_.private_seg_size, 0
	.set _ZN7rocprim17ROCPRIM_400000_NS6detail17trampoline_kernelINS0_14default_configENS1_27upper_bound_config_selectorIilEEZNS1_14transform_implILb0ES3_S5_N6thrust23THRUST_200600_302600_NS6detail15normal_iteratorINS8_7pointerIiNS8_11hip_rocprim12par_nosync_tENS8_11use_defaultESE_EEEENSA_INSB_IlSD_SE_SE_EEEEZNS1_13binary_searchIS3_S5_NSA_INS8_10device_ptrIiEEEESG_SI_NS1_21upper_bound_search_opENS9_16wrapped_functionINS8_6system6detail7generic6detail18binary_search_lessEbEEEE10hipError_tPvRmT1_T2_T3_mmT4_T5_P12ihipStream_tbEUlRKiE_EESV_SZ_S10_mS11_S14_bEUlT_E_NS1_11comp_targetILNS1_3genE3ELNS1_11target_archE908ELNS1_3gpuE7ELNS1_3repE0EEENS1_30default_config_static_selectorELNS0_4arch9wavefront6targetE0EEEvSY_.uses_vcc, 0
	.set _ZN7rocprim17ROCPRIM_400000_NS6detail17trampoline_kernelINS0_14default_configENS1_27upper_bound_config_selectorIilEEZNS1_14transform_implILb0ES3_S5_N6thrust23THRUST_200600_302600_NS6detail15normal_iteratorINS8_7pointerIiNS8_11hip_rocprim12par_nosync_tENS8_11use_defaultESE_EEEENSA_INSB_IlSD_SE_SE_EEEEZNS1_13binary_searchIS3_S5_NSA_INS8_10device_ptrIiEEEESG_SI_NS1_21upper_bound_search_opENS9_16wrapped_functionINS8_6system6detail7generic6detail18binary_search_lessEbEEEE10hipError_tPvRmT1_T2_T3_mmT4_T5_P12ihipStream_tbEUlRKiE_EESV_SZ_S10_mS11_S14_bEUlT_E_NS1_11comp_targetILNS1_3genE3ELNS1_11target_archE908ELNS1_3gpuE7ELNS1_3repE0EEENS1_30default_config_static_selectorELNS0_4arch9wavefront6targetE0EEEvSY_.uses_flat_scratch, 0
	.set _ZN7rocprim17ROCPRIM_400000_NS6detail17trampoline_kernelINS0_14default_configENS1_27upper_bound_config_selectorIilEEZNS1_14transform_implILb0ES3_S5_N6thrust23THRUST_200600_302600_NS6detail15normal_iteratorINS8_7pointerIiNS8_11hip_rocprim12par_nosync_tENS8_11use_defaultESE_EEEENSA_INSB_IlSD_SE_SE_EEEEZNS1_13binary_searchIS3_S5_NSA_INS8_10device_ptrIiEEEESG_SI_NS1_21upper_bound_search_opENS9_16wrapped_functionINS8_6system6detail7generic6detail18binary_search_lessEbEEEE10hipError_tPvRmT1_T2_T3_mmT4_T5_P12ihipStream_tbEUlRKiE_EESV_SZ_S10_mS11_S14_bEUlT_E_NS1_11comp_targetILNS1_3genE3ELNS1_11target_archE908ELNS1_3gpuE7ELNS1_3repE0EEENS1_30default_config_static_selectorELNS0_4arch9wavefront6targetE0EEEvSY_.has_dyn_sized_stack, 0
	.set _ZN7rocprim17ROCPRIM_400000_NS6detail17trampoline_kernelINS0_14default_configENS1_27upper_bound_config_selectorIilEEZNS1_14transform_implILb0ES3_S5_N6thrust23THRUST_200600_302600_NS6detail15normal_iteratorINS8_7pointerIiNS8_11hip_rocprim12par_nosync_tENS8_11use_defaultESE_EEEENSA_INSB_IlSD_SE_SE_EEEEZNS1_13binary_searchIS3_S5_NSA_INS8_10device_ptrIiEEEESG_SI_NS1_21upper_bound_search_opENS9_16wrapped_functionINS8_6system6detail7generic6detail18binary_search_lessEbEEEE10hipError_tPvRmT1_T2_T3_mmT4_T5_P12ihipStream_tbEUlRKiE_EESV_SZ_S10_mS11_S14_bEUlT_E_NS1_11comp_targetILNS1_3genE3ELNS1_11target_archE908ELNS1_3gpuE7ELNS1_3repE0EEENS1_30default_config_static_selectorELNS0_4arch9wavefront6targetE0EEEvSY_.has_recursion, 0
	.set _ZN7rocprim17ROCPRIM_400000_NS6detail17trampoline_kernelINS0_14default_configENS1_27upper_bound_config_selectorIilEEZNS1_14transform_implILb0ES3_S5_N6thrust23THRUST_200600_302600_NS6detail15normal_iteratorINS8_7pointerIiNS8_11hip_rocprim12par_nosync_tENS8_11use_defaultESE_EEEENSA_INSB_IlSD_SE_SE_EEEEZNS1_13binary_searchIS3_S5_NSA_INS8_10device_ptrIiEEEESG_SI_NS1_21upper_bound_search_opENS9_16wrapped_functionINS8_6system6detail7generic6detail18binary_search_lessEbEEEE10hipError_tPvRmT1_T2_T3_mmT4_T5_P12ihipStream_tbEUlRKiE_EESV_SZ_S10_mS11_S14_bEUlT_E_NS1_11comp_targetILNS1_3genE3ELNS1_11target_archE908ELNS1_3gpuE7ELNS1_3repE0EEENS1_30default_config_static_selectorELNS0_4arch9wavefront6targetE0EEEvSY_.has_indirect_call, 0
	.section	.AMDGPU.csdata,"",@progbits
; Kernel info:
; codeLenInByte = 0
; TotalNumSgprs: 0
; NumVgprs: 0
; ScratchSize: 0
; MemoryBound: 0
; FloatMode: 240
; IeeeMode: 1
; LDSByteSize: 0 bytes/workgroup (compile time only)
; SGPRBlocks: 0
; VGPRBlocks: 0
; NumSGPRsForWavesPerEU: 1
; NumVGPRsForWavesPerEU: 1
; Occupancy: 16
; WaveLimiterHint : 0
; COMPUTE_PGM_RSRC2:SCRATCH_EN: 0
; COMPUTE_PGM_RSRC2:USER_SGPR: 6
; COMPUTE_PGM_RSRC2:TRAP_HANDLER: 0
; COMPUTE_PGM_RSRC2:TGID_X_EN: 1
; COMPUTE_PGM_RSRC2:TGID_Y_EN: 0
; COMPUTE_PGM_RSRC2:TGID_Z_EN: 0
; COMPUTE_PGM_RSRC2:TIDIG_COMP_CNT: 0
	.section	.text._ZN7rocprim17ROCPRIM_400000_NS6detail17trampoline_kernelINS0_14default_configENS1_27upper_bound_config_selectorIilEEZNS1_14transform_implILb0ES3_S5_N6thrust23THRUST_200600_302600_NS6detail15normal_iteratorINS8_7pointerIiNS8_11hip_rocprim12par_nosync_tENS8_11use_defaultESE_EEEENSA_INSB_IlSD_SE_SE_EEEEZNS1_13binary_searchIS3_S5_NSA_INS8_10device_ptrIiEEEESG_SI_NS1_21upper_bound_search_opENS9_16wrapped_functionINS8_6system6detail7generic6detail18binary_search_lessEbEEEE10hipError_tPvRmT1_T2_T3_mmT4_T5_P12ihipStream_tbEUlRKiE_EESV_SZ_S10_mS11_S14_bEUlT_E_NS1_11comp_targetILNS1_3genE2ELNS1_11target_archE906ELNS1_3gpuE6ELNS1_3repE0EEENS1_30default_config_static_selectorELNS0_4arch9wavefront6targetE0EEEvSY_,"axG",@progbits,_ZN7rocprim17ROCPRIM_400000_NS6detail17trampoline_kernelINS0_14default_configENS1_27upper_bound_config_selectorIilEEZNS1_14transform_implILb0ES3_S5_N6thrust23THRUST_200600_302600_NS6detail15normal_iteratorINS8_7pointerIiNS8_11hip_rocprim12par_nosync_tENS8_11use_defaultESE_EEEENSA_INSB_IlSD_SE_SE_EEEEZNS1_13binary_searchIS3_S5_NSA_INS8_10device_ptrIiEEEESG_SI_NS1_21upper_bound_search_opENS9_16wrapped_functionINS8_6system6detail7generic6detail18binary_search_lessEbEEEE10hipError_tPvRmT1_T2_T3_mmT4_T5_P12ihipStream_tbEUlRKiE_EESV_SZ_S10_mS11_S14_bEUlT_E_NS1_11comp_targetILNS1_3genE2ELNS1_11target_archE906ELNS1_3gpuE6ELNS1_3repE0EEENS1_30default_config_static_selectorELNS0_4arch9wavefront6targetE0EEEvSY_,comdat
	.protected	_ZN7rocprim17ROCPRIM_400000_NS6detail17trampoline_kernelINS0_14default_configENS1_27upper_bound_config_selectorIilEEZNS1_14transform_implILb0ES3_S5_N6thrust23THRUST_200600_302600_NS6detail15normal_iteratorINS8_7pointerIiNS8_11hip_rocprim12par_nosync_tENS8_11use_defaultESE_EEEENSA_INSB_IlSD_SE_SE_EEEEZNS1_13binary_searchIS3_S5_NSA_INS8_10device_ptrIiEEEESG_SI_NS1_21upper_bound_search_opENS9_16wrapped_functionINS8_6system6detail7generic6detail18binary_search_lessEbEEEE10hipError_tPvRmT1_T2_T3_mmT4_T5_P12ihipStream_tbEUlRKiE_EESV_SZ_S10_mS11_S14_bEUlT_E_NS1_11comp_targetILNS1_3genE2ELNS1_11target_archE906ELNS1_3gpuE6ELNS1_3repE0EEENS1_30default_config_static_selectorELNS0_4arch9wavefront6targetE0EEEvSY_ ; -- Begin function _ZN7rocprim17ROCPRIM_400000_NS6detail17trampoline_kernelINS0_14default_configENS1_27upper_bound_config_selectorIilEEZNS1_14transform_implILb0ES3_S5_N6thrust23THRUST_200600_302600_NS6detail15normal_iteratorINS8_7pointerIiNS8_11hip_rocprim12par_nosync_tENS8_11use_defaultESE_EEEENSA_INSB_IlSD_SE_SE_EEEEZNS1_13binary_searchIS3_S5_NSA_INS8_10device_ptrIiEEEESG_SI_NS1_21upper_bound_search_opENS9_16wrapped_functionINS8_6system6detail7generic6detail18binary_search_lessEbEEEE10hipError_tPvRmT1_T2_T3_mmT4_T5_P12ihipStream_tbEUlRKiE_EESV_SZ_S10_mS11_S14_bEUlT_E_NS1_11comp_targetILNS1_3genE2ELNS1_11target_archE906ELNS1_3gpuE6ELNS1_3repE0EEENS1_30default_config_static_selectorELNS0_4arch9wavefront6targetE0EEEvSY_
	.globl	_ZN7rocprim17ROCPRIM_400000_NS6detail17trampoline_kernelINS0_14default_configENS1_27upper_bound_config_selectorIilEEZNS1_14transform_implILb0ES3_S5_N6thrust23THRUST_200600_302600_NS6detail15normal_iteratorINS8_7pointerIiNS8_11hip_rocprim12par_nosync_tENS8_11use_defaultESE_EEEENSA_INSB_IlSD_SE_SE_EEEEZNS1_13binary_searchIS3_S5_NSA_INS8_10device_ptrIiEEEESG_SI_NS1_21upper_bound_search_opENS9_16wrapped_functionINS8_6system6detail7generic6detail18binary_search_lessEbEEEE10hipError_tPvRmT1_T2_T3_mmT4_T5_P12ihipStream_tbEUlRKiE_EESV_SZ_S10_mS11_S14_bEUlT_E_NS1_11comp_targetILNS1_3genE2ELNS1_11target_archE906ELNS1_3gpuE6ELNS1_3repE0EEENS1_30default_config_static_selectorELNS0_4arch9wavefront6targetE0EEEvSY_
	.p2align	8
	.type	_ZN7rocprim17ROCPRIM_400000_NS6detail17trampoline_kernelINS0_14default_configENS1_27upper_bound_config_selectorIilEEZNS1_14transform_implILb0ES3_S5_N6thrust23THRUST_200600_302600_NS6detail15normal_iteratorINS8_7pointerIiNS8_11hip_rocprim12par_nosync_tENS8_11use_defaultESE_EEEENSA_INSB_IlSD_SE_SE_EEEEZNS1_13binary_searchIS3_S5_NSA_INS8_10device_ptrIiEEEESG_SI_NS1_21upper_bound_search_opENS9_16wrapped_functionINS8_6system6detail7generic6detail18binary_search_lessEbEEEE10hipError_tPvRmT1_T2_T3_mmT4_T5_P12ihipStream_tbEUlRKiE_EESV_SZ_S10_mS11_S14_bEUlT_E_NS1_11comp_targetILNS1_3genE2ELNS1_11target_archE906ELNS1_3gpuE6ELNS1_3repE0EEENS1_30default_config_static_selectorELNS0_4arch9wavefront6targetE0EEEvSY_,@function
_ZN7rocprim17ROCPRIM_400000_NS6detail17trampoline_kernelINS0_14default_configENS1_27upper_bound_config_selectorIilEEZNS1_14transform_implILb0ES3_S5_N6thrust23THRUST_200600_302600_NS6detail15normal_iteratorINS8_7pointerIiNS8_11hip_rocprim12par_nosync_tENS8_11use_defaultESE_EEEENSA_INSB_IlSD_SE_SE_EEEEZNS1_13binary_searchIS3_S5_NSA_INS8_10device_ptrIiEEEESG_SI_NS1_21upper_bound_search_opENS9_16wrapped_functionINS8_6system6detail7generic6detail18binary_search_lessEbEEEE10hipError_tPvRmT1_T2_T3_mmT4_T5_P12ihipStream_tbEUlRKiE_EESV_SZ_S10_mS11_S14_bEUlT_E_NS1_11comp_targetILNS1_3genE2ELNS1_11target_archE906ELNS1_3gpuE6ELNS1_3repE0EEENS1_30default_config_static_selectorELNS0_4arch9wavefront6targetE0EEEvSY_: ; @_ZN7rocprim17ROCPRIM_400000_NS6detail17trampoline_kernelINS0_14default_configENS1_27upper_bound_config_selectorIilEEZNS1_14transform_implILb0ES3_S5_N6thrust23THRUST_200600_302600_NS6detail15normal_iteratorINS8_7pointerIiNS8_11hip_rocprim12par_nosync_tENS8_11use_defaultESE_EEEENSA_INSB_IlSD_SE_SE_EEEEZNS1_13binary_searchIS3_S5_NSA_INS8_10device_ptrIiEEEESG_SI_NS1_21upper_bound_search_opENS9_16wrapped_functionINS8_6system6detail7generic6detail18binary_search_lessEbEEEE10hipError_tPvRmT1_T2_T3_mmT4_T5_P12ihipStream_tbEUlRKiE_EESV_SZ_S10_mS11_S14_bEUlT_E_NS1_11comp_targetILNS1_3genE2ELNS1_11target_archE906ELNS1_3gpuE6ELNS1_3repE0EEENS1_30default_config_static_selectorELNS0_4arch9wavefront6targetE0EEEvSY_
; %bb.0:
	.section	.rodata,"a",@progbits
	.p2align	6, 0x0
	.amdhsa_kernel _ZN7rocprim17ROCPRIM_400000_NS6detail17trampoline_kernelINS0_14default_configENS1_27upper_bound_config_selectorIilEEZNS1_14transform_implILb0ES3_S5_N6thrust23THRUST_200600_302600_NS6detail15normal_iteratorINS8_7pointerIiNS8_11hip_rocprim12par_nosync_tENS8_11use_defaultESE_EEEENSA_INSB_IlSD_SE_SE_EEEEZNS1_13binary_searchIS3_S5_NSA_INS8_10device_ptrIiEEEESG_SI_NS1_21upper_bound_search_opENS9_16wrapped_functionINS8_6system6detail7generic6detail18binary_search_lessEbEEEE10hipError_tPvRmT1_T2_T3_mmT4_T5_P12ihipStream_tbEUlRKiE_EESV_SZ_S10_mS11_S14_bEUlT_E_NS1_11comp_targetILNS1_3genE2ELNS1_11target_archE906ELNS1_3gpuE6ELNS1_3repE0EEENS1_30default_config_static_selectorELNS0_4arch9wavefront6targetE0EEEvSY_
		.amdhsa_group_segment_fixed_size 0
		.amdhsa_private_segment_fixed_size 0
		.amdhsa_kernarg_size 56
		.amdhsa_user_sgpr_count 6
		.amdhsa_user_sgpr_private_segment_buffer 1
		.amdhsa_user_sgpr_dispatch_ptr 0
		.amdhsa_user_sgpr_queue_ptr 0
		.amdhsa_user_sgpr_kernarg_segment_ptr 1
		.amdhsa_user_sgpr_dispatch_id 0
		.amdhsa_user_sgpr_flat_scratch_init 0
		.amdhsa_user_sgpr_private_segment_size 0
		.amdhsa_wavefront_size32 1
		.amdhsa_uses_dynamic_stack 0
		.amdhsa_system_sgpr_private_segment_wavefront_offset 0
		.amdhsa_system_sgpr_workgroup_id_x 1
		.amdhsa_system_sgpr_workgroup_id_y 0
		.amdhsa_system_sgpr_workgroup_id_z 0
		.amdhsa_system_sgpr_workgroup_info 0
		.amdhsa_system_vgpr_workitem_id 0
		.amdhsa_next_free_vgpr 1
		.amdhsa_next_free_sgpr 1
		.amdhsa_reserve_vcc 0
		.amdhsa_reserve_flat_scratch 0
		.amdhsa_float_round_mode_32 0
		.amdhsa_float_round_mode_16_64 0
		.amdhsa_float_denorm_mode_32 3
		.amdhsa_float_denorm_mode_16_64 3
		.amdhsa_dx10_clamp 1
		.amdhsa_ieee_mode 1
		.amdhsa_fp16_overflow 0
		.amdhsa_workgroup_processor_mode 1
		.amdhsa_memory_ordered 1
		.amdhsa_forward_progress 1
		.amdhsa_shared_vgpr_count 0
		.amdhsa_exception_fp_ieee_invalid_op 0
		.amdhsa_exception_fp_denorm_src 0
		.amdhsa_exception_fp_ieee_div_zero 0
		.amdhsa_exception_fp_ieee_overflow 0
		.amdhsa_exception_fp_ieee_underflow 0
		.amdhsa_exception_fp_ieee_inexact 0
		.amdhsa_exception_int_div_zero 0
	.end_amdhsa_kernel
	.section	.text._ZN7rocprim17ROCPRIM_400000_NS6detail17trampoline_kernelINS0_14default_configENS1_27upper_bound_config_selectorIilEEZNS1_14transform_implILb0ES3_S5_N6thrust23THRUST_200600_302600_NS6detail15normal_iteratorINS8_7pointerIiNS8_11hip_rocprim12par_nosync_tENS8_11use_defaultESE_EEEENSA_INSB_IlSD_SE_SE_EEEEZNS1_13binary_searchIS3_S5_NSA_INS8_10device_ptrIiEEEESG_SI_NS1_21upper_bound_search_opENS9_16wrapped_functionINS8_6system6detail7generic6detail18binary_search_lessEbEEEE10hipError_tPvRmT1_T2_T3_mmT4_T5_P12ihipStream_tbEUlRKiE_EESV_SZ_S10_mS11_S14_bEUlT_E_NS1_11comp_targetILNS1_3genE2ELNS1_11target_archE906ELNS1_3gpuE6ELNS1_3repE0EEENS1_30default_config_static_selectorELNS0_4arch9wavefront6targetE0EEEvSY_,"axG",@progbits,_ZN7rocprim17ROCPRIM_400000_NS6detail17trampoline_kernelINS0_14default_configENS1_27upper_bound_config_selectorIilEEZNS1_14transform_implILb0ES3_S5_N6thrust23THRUST_200600_302600_NS6detail15normal_iteratorINS8_7pointerIiNS8_11hip_rocprim12par_nosync_tENS8_11use_defaultESE_EEEENSA_INSB_IlSD_SE_SE_EEEEZNS1_13binary_searchIS3_S5_NSA_INS8_10device_ptrIiEEEESG_SI_NS1_21upper_bound_search_opENS9_16wrapped_functionINS8_6system6detail7generic6detail18binary_search_lessEbEEEE10hipError_tPvRmT1_T2_T3_mmT4_T5_P12ihipStream_tbEUlRKiE_EESV_SZ_S10_mS11_S14_bEUlT_E_NS1_11comp_targetILNS1_3genE2ELNS1_11target_archE906ELNS1_3gpuE6ELNS1_3repE0EEENS1_30default_config_static_selectorELNS0_4arch9wavefront6targetE0EEEvSY_,comdat
.Lfunc_end576:
	.size	_ZN7rocprim17ROCPRIM_400000_NS6detail17trampoline_kernelINS0_14default_configENS1_27upper_bound_config_selectorIilEEZNS1_14transform_implILb0ES3_S5_N6thrust23THRUST_200600_302600_NS6detail15normal_iteratorINS8_7pointerIiNS8_11hip_rocprim12par_nosync_tENS8_11use_defaultESE_EEEENSA_INSB_IlSD_SE_SE_EEEEZNS1_13binary_searchIS3_S5_NSA_INS8_10device_ptrIiEEEESG_SI_NS1_21upper_bound_search_opENS9_16wrapped_functionINS8_6system6detail7generic6detail18binary_search_lessEbEEEE10hipError_tPvRmT1_T2_T3_mmT4_T5_P12ihipStream_tbEUlRKiE_EESV_SZ_S10_mS11_S14_bEUlT_E_NS1_11comp_targetILNS1_3genE2ELNS1_11target_archE906ELNS1_3gpuE6ELNS1_3repE0EEENS1_30default_config_static_selectorELNS0_4arch9wavefront6targetE0EEEvSY_, .Lfunc_end576-_ZN7rocprim17ROCPRIM_400000_NS6detail17trampoline_kernelINS0_14default_configENS1_27upper_bound_config_selectorIilEEZNS1_14transform_implILb0ES3_S5_N6thrust23THRUST_200600_302600_NS6detail15normal_iteratorINS8_7pointerIiNS8_11hip_rocprim12par_nosync_tENS8_11use_defaultESE_EEEENSA_INSB_IlSD_SE_SE_EEEEZNS1_13binary_searchIS3_S5_NSA_INS8_10device_ptrIiEEEESG_SI_NS1_21upper_bound_search_opENS9_16wrapped_functionINS8_6system6detail7generic6detail18binary_search_lessEbEEEE10hipError_tPvRmT1_T2_T3_mmT4_T5_P12ihipStream_tbEUlRKiE_EESV_SZ_S10_mS11_S14_bEUlT_E_NS1_11comp_targetILNS1_3genE2ELNS1_11target_archE906ELNS1_3gpuE6ELNS1_3repE0EEENS1_30default_config_static_selectorELNS0_4arch9wavefront6targetE0EEEvSY_
                                        ; -- End function
	.set _ZN7rocprim17ROCPRIM_400000_NS6detail17trampoline_kernelINS0_14default_configENS1_27upper_bound_config_selectorIilEEZNS1_14transform_implILb0ES3_S5_N6thrust23THRUST_200600_302600_NS6detail15normal_iteratorINS8_7pointerIiNS8_11hip_rocprim12par_nosync_tENS8_11use_defaultESE_EEEENSA_INSB_IlSD_SE_SE_EEEEZNS1_13binary_searchIS3_S5_NSA_INS8_10device_ptrIiEEEESG_SI_NS1_21upper_bound_search_opENS9_16wrapped_functionINS8_6system6detail7generic6detail18binary_search_lessEbEEEE10hipError_tPvRmT1_T2_T3_mmT4_T5_P12ihipStream_tbEUlRKiE_EESV_SZ_S10_mS11_S14_bEUlT_E_NS1_11comp_targetILNS1_3genE2ELNS1_11target_archE906ELNS1_3gpuE6ELNS1_3repE0EEENS1_30default_config_static_selectorELNS0_4arch9wavefront6targetE0EEEvSY_.num_vgpr, 0
	.set _ZN7rocprim17ROCPRIM_400000_NS6detail17trampoline_kernelINS0_14default_configENS1_27upper_bound_config_selectorIilEEZNS1_14transform_implILb0ES3_S5_N6thrust23THRUST_200600_302600_NS6detail15normal_iteratorINS8_7pointerIiNS8_11hip_rocprim12par_nosync_tENS8_11use_defaultESE_EEEENSA_INSB_IlSD_SE_SE_EEEEZNS1_13binary_searchIS3_S5_NSA_INS8_10device_ptrIiEEEESG_SI_NS1_21upper_bound_search_opENS9_16wrapped_functionINS8_6system6detail7generic6detail18binary_search_lessEbEEEE10hipError_tPvRmT1_T2_T3_mmT4_T5_P12ihipStream_tbEUlRKiE_EESV_SZ_S10_mS11_S14_bEUlT_E_NS1_11comp_targetILNS1_3genE2ELNS1_11target_archE906ELNS1_3gpuE6ELNS1_3repE0EEENS1_30default_config_static_selectorELNS0_4arch9wavefront6targetE0EEEvSY_.num_agpr, 0
	.set _ZN7rocprim17ROCPRIM_400000_NS6detail17trampoline_kernelINS0_14default_configENS1_27upper_bound_config_selectorIilEEZNS1_14transform_implILb0ES3_S5_N6thrust23THRUST_200600_302600_NS6detail15normal_iteratorINS8_7pointerIiNS8_11hip_rocprim12par_nosync_tENS8_11use_defaultESE_EEEENSA_INSB_IlSD_SE_SE_EEEEZNS1_13binary_searchIS3_S5_NSA_INS8_10device_ptrIiEEEESG_SI_NS1_21upper_bound_search_opENS9_16wrapped_functionINS8_6system6detail7generic6detail18binary_search_lessEbEEEE10hipError_tPvRmT1_T2_T3_mmT4_T5_P12ihipStream_tbEUlRKiE_EESV_SZ_S10_mS11_S14_bEUlT_E_NS1_11comp_targetILNS1_3genE2ELNS1_11target_archE906ELNS1_3gpuE6ELNS1_3repE0EEENS1_30default_config_static_selectorELNS0_4arch9wavefront6targetE0EEEvSY_.numbered_sgpr, 0
	.set _ZN7rocprim17ROCPRIM_400000_NS6detail17trampoline_kernelINS0_14default_configENS1_27upper_bound_config_selectorIilEEZNS1_14transform_implILb0ES3_S5_N6thrust23THRUST_200600_302600_NS6detail15normal_iteratorINS8_7pointerIiNS8_11hip_rocprim12par_nosync_tENS8_11use_defaultESE_EEEENSA_INSB_IlSD_SE_SE_EEEEZNS1_13binary_searchIS3_S5_NSA_INS8_10device_ptrIiEEEESG_SI_NS1_21upper_bound_search_opENS9_16wrapped_functionINS8_6system6detail7generic6detail18binary_search_lessEbEEEE10hipError_tPvRmT1_T2_T3_mmT4_T5_P12ihipStream_tbEUlRKiE_EESV_SZ_S10_mS11_S14_bEUlT_E_NS1_11comp_targetILNS1_3genE2ELNS1_11target_archE906ELNS1_3gpuE6ELNS1_3repE0EEENS1_30default_config_static_selectorELNS0_4arch9wavefront6targetE0EEEvSY_.num_named_barrier, 0
	.set _ZN7rocprim17ROCPRIM_400000_NS6detail17trampoline_kernelINS0_14default_configENS1_27upper_bound_config_selectorIilEEZNS1_14transform_implILb0ES3_S5_N6thrust23THRUST_200600_302600_NS6detail15normal_iteratorINS8_7pointerIiNS8_11hip_rocprim12par_nosync_tENS8_11use_defaultESE_EEEENSA_INSB_IlSD_SE_SE_EEEEZNS1_13binary_searchIS3_S5_NSA_INS8_10device_ptrIiEEEESG_SI_NS1_21upper_bound_search_opENS9_16wrapped_functionINS8_6system6detail7generic6detail18binary_search_lessEbEEEE10hipError_tPvRmT1_T2_T3_mmT4_T5_P12ihipStream_tbEUlRKiE_EESV_SZ_S10_mS11_S14_bEUlT_E_NS1_11comp_targetILNS1_3genE2ELNS1_11target_archE906ELNS1_3gpuE6ELNS1_3repE0EEENS1_30default_config_static_selectorELNS0_4arch9wavefront6targetE0EEEvSY_.private_seg_size, 0
	.set _ZN7rocprim17ROCPRIM_400000_NS6detail17trampoline_kernelINS0_14default_configENS1_27upper_bound_config_selectorIilEEZNS1_14transform_implILb0ES3_S5_N6thrust23THRUST_200600_302600_NS6detail15normal_iteratorINS8_7pointerIiNS8_11hip_rocprim12par_nosync_tENS8_11use_defaultESE_EEEENSA_INSB_IlSD_SE_SE_EEEEZNS1_13binary_searchIS3_S5_NSA_INS8_10device_ptrIiEEEESG_SI_NS1_21upper_bound_search_opENS9_16wrapped_functionINS8_6system6detail7generic6detail18binary_search_lessEbEEEE10hipError_tPvRmT1_T2_T3_mmT4_T5_P12ihipStream_tbEUlRKiE_EESV_SZ_S10_mS11_S14_bEUlT_E_NS1_11comp_targetILNS1_3genE2ELNS1_11target_archE906ELNS1_3gpuE6ELNS1_3repE0EEENS1_30default_config_static_selectorELNS0_4arch9wavefront6targetE0EEEvSY_.uses_vcc, 0
	.set _ZN7rocprim17ROCPRIM_400000_NS6detail17trampoline_kernelINS0_14default_configENS1_27upper_bound_config_selectorIilEEZNS1_14transform_implILb0ES3_S5_N6thrust23THRUST_200600_302600_NS6detail15normal_iteratorINS8_7pointerIiNS8_11hip_rocprim12par_nosync_tENS8_11use_defaultESE_EEEENSA_INSB_IlSD_SE_SE_EEEEZNS1_13binary_searchIS3_S5_NSA_INS8_10device_ptrIiEEEESG_SI_NS1_21upper_bound_search_opENS9_16wrapped_functionINS8_6system6detail7generic6detail18binary_search_lessEbEEEE10hipError_tPvRmT1_T2_T3_mmT4_T5_P12ihipStream_tbEUlRKiE_EESV_SZ_S10_mS11_S14_bEUlT_E_NS1_11comp_targetILNS1_3genE2ELNS1_11target_archE906ELNS1_3gpuE6ELNS1_3repE0EEENS1_30default_config_static_selectorELNS0_4arch9wavefront6targetE0EEEvSY_.uses_flat_scratch, 0
	.set _ZN7rocprim17ROCPRIM_400000_NS6detail17trampoline_kernelINS0_14default_configENS1_27upper_bound_config_selectorIilEEZNS1_14transform_implILb0ES3_S5_N6thrust23THRUST_200600_302600_NS6detail15normal_iteratorINS8_7pointerIiNS8_11hip_rocprim12par_nosync_tENS8_11use_defaultESE_EEEENSA_INSB_IlSD_SE_SE_EEEEZNS1_13binary_searchIS3_S5_NSA_INS8_10device_ptrIiEEEESG_SI_NS1_21upper_bound_search_opENS9_16wrapped_functionINS8_6system6detail7generic6detail18binary_search_lessEbEEEE10hipError_tPvRmT1_T2_T3_mmT4_T5_P12ihipStream_tbEUlRKiE_EESV_SZ_S10_mS11_S14_bEUlT_E_NS1_11comp_targetILNS1_3genE2ELNS1_11target_archE906ELNS1_3gpuE6ELNS1_3repE0EEENS1_30default_config_static_selectorELNS0_4arch9wavefront6targetE0EEEvSY_.has_dyn_sized_stack, 0
	.set _ZN7rocprim17ROCPRIM_400000_NS6detail17trampoline_kernelINS0_14default_configENS1_27upper_bound_config_selectorIilEEZNS1_14transform_implILb0ES3_S5_N6thrust23THRUST_200600_302600_NS6detail15normal_iteratorINS8_7pointerIiNS8_11hip_rocprim12par_nosync_tENS8_11use_defaultESE_EEEENSA_INSB_IlSD_SE_SE_EEEEZNS1_13binary_searchIS3_S5_NSA_INS8_10device_ptrIiEEEESG_SI_NS1_21upper_bound_search_opENS9_16wrapped_functionINS8_6system6detail7generic6detail18binary_search_lessEbEEEE10hipError_tPvRmT1_T2_T3_mmT4_T5_P12ihipStream_tbEUlRKiE_EESV_SZ_S10_mS11_S14_bEUlT_E_NS1_11comp_targetILNS1_3genE2ELNS1_11target_archE906ELNS1_3gpuE6ELNS1_3repE0EEENS1_30default_config_static_selectorELNS0_4arch9wavefront6targetE0EEEvSY_.has_recursion, 0
	.set _ZN7rocprim17ROCPRIM_400000_NS6detail17trampoline_kernelINS0_14default_configENS1_27upper_bound_config_selectorIilEEZNS1_14transform_implILb0ES3_S5_N6thrust23THRUST_200600_302600_NS6detail15normal_iteratorINS8_7pointerIiNS8_11hip_rocprim12par_nosync_tENS8_11use_defaultESE_EEEENSA_INSB_IlSD_SE_SE_EEEEZNS1_13binary_searchIS3_S5_NSA_INS8_10device_ptrIiEEEESG_SI_NS1_21upper_bound_search_opENS9_16wrapped_functionINS8_6system6detail7generic6detail18binary_search_lessEbEEEE10hipError_tPvRmT1_T2_T3_mmT4_T5_P12ihipStream_tbEUlRKiE_EESV_SZ_S10_mS11_S14_bEUlT_E_NS1_11comp_targetILNS1_3genE2ELNS1_11target_archE906ELNS1_3gpuE6ELNS1_3repE0EEENS1_30default_config_static_selectorELNS0_4arch9wavefront6targetE0EEEvSY_.has_indirect_call, 0
	.section	.AMDGPU.csdata,"",@progbits
; Kernel info:
; codeLenInByte = 0
; TotalNumSgprs: 0
; NumVgprs: 0
; ScratchSize: 0
; MemoryBound: 0
; FloatMode: 240
; IeeeMode: 1
; LDSByteSize: 0 bytes/workgroup (compile time only)
; SGPRBlocks: 0
; VGPRBlocks: 0
; NumSGPRsForWavesPerEU: 1
; NumVGPRsForWavesPerEU: 1
; Occupancy: 16
; WaveLimiterHint : 0
; COMPUTE_PGM_RSRC2:SCRATCH_EN: 0
; COMPUTE_PGM_RSRC2:USER_SGPR: 6
; COMPUTE_PGM_RSRC2:TRAP_HANDLER: 0
; COMPUTE_PGM_RSRC2:TGID_X_EN: 1
; COMPUTE_PGM_RSRC2:TGID_Y_EN: 0
; COMPUTE_PGM_RSRC2:TGID_Z_EN: 0
; COMPUTE_PGM_RSRC2:TIDIG_COMP_CNT: 0
	.section	.text._ZN7rocprim17ROCPRIM_400000_NS6detail17trampoline_kernelINS0_14default_configENS1_27upper_bound_config_selectorIilEEZNS1_14transform_implILb0ES3_S5_N6thrust23THRUST_200600_302600_NS6detail15normal_iteratorINS8_7pointerIiNS8_11hip_rocprim12par_nosync_tENS8_11use_defaultESE_EEEENSA_INSB_IlSD_SE_SE_EEEEZNS1_13binary_searchIS3_S5_NSA_INS8_10device_ptrIiEEEESG_SI_NS1_21upper_bound_search_opENS9_16wrapped_functionINS8_6system6detail7generic6detail18binary_search_lessEbEEEE10hipError_tPvRmT1_T2_T3_mmT4_T5_P12ihipStream_tbEUlRKiE_EESV_SZ_S10_mS11_S14_bEUlT_E_NS1_11comp_targetILNS1_3genE10ELNS1_11target_archE1201ELNS1_3gpuE5ELNS1_3repE0EEENS1_30default_config_static_selectorELNS0_4arch9wavefront6targetE0EEEvSY_,"axG",@progbits,_ZN7rocprim17ROCPRIM_400000_NS6detail17trampoline_kernelINS0_14default_configENS1_27upper_bound_config_selectorIilEEZNS1_14transform_implILb0ES3_S5_N6thrust23THRUST_200600_302600_NS6detail15normal_iteratorINS8_7pointerIiNS8_11hip_rocprim12par_nosync_tENS8_11use_defaultESE_EEEENSA_INSB_IlSD_SE_SE_EEEEZNS1_13binary_searchIS3_S5_NSA_INS8_10device_ptrIiEEEESG_SI_NS1_21upper_bound_search_opENS9_16wrapped_functionINS8_6system6detail7generic6detail18binary_search_lessEbEEEE10hipError_tPvRmT1_T2_T3_mmT4_T5_P12ihipStream_tbEUlRKiE_EESV_SZ_S10_mS11_S14_bEUlT_E_NS1_11comp_targetILNS1_3genE10ELNS1_11target_archE1201ELNS1_3gpuE5ELNS1_3repE0EEENS1_30default_config_static_selectorELNS0_4arch9wavefront6targetE0EEEvSY_,comdat
	.protected	_ZN7rocprim17ROCPRIM_400000_NS6detail17trampoline_kernelINS0_14default_configENS1_27upper_bound_config_selectorIilEEZNS1_14transform_implILb0ES3_S5_N6thrust23THRUST_200600_302600_NS6detail15normal_iteratorINS8_7pointerIiNS8_11hip_rocprim12par_nosync_tENS8_11use_defaultESE_EEEENSA_INSB_IlSD_SE_SE_EEEEZNS1_13binary_searchIS3_S5_NSA_INS8_10device_ptrIiEEEESG_SI_NS1_21upper_bound_search_opENS9_16wrapped_functionINS8_6system6detail7generic6detail18binary_search_lessEbEEEE10hipError_tPvRmT1_T2_T3_mmT4_T5_P12ihipStream_tbEUlRKiE_EESV_SZ_S10_mS11_S14_bEUlT_E_NS1_11comp_targetILNS1_3genE10ELNS1_11target_archE1201ELNS1_3gpuE5ELNS1_3repE0EEENS1_30default_config_static_selectorELNS0_4arch9wavefront6targetE0EEEvSY_ ; -- Begin function _ZN7rocprim17ROCPRIM_400000_NS6detail17trampoline_kernelINS0_14default_configENS1_27upper_bound_config_selectorIilEEZNS1_14transform_implILb0ES3_S5_N6thrust23THRUST_200600_302600_NS6detail15normal_iteratorINS8_7pointerIiNS8_11hip_rocprim12par_nosync_tENS8_11use_defaultESE_EEEENSA_INSB_IlSD_SE_SE_EEEEZNS1_13binary_searchIS3_S5_NSA_INS8_10device_ptrIiEEEESG_SI_NS1_21upper_bound_search_opENS9_16wrapped_functionINS8_6system6detail7generic6detail18binary_search_lessEbEEEE10hipError_tPvRmT1_T2_T3_mmT4_T5_P12ihipStream_tbEUlRKiE_EESV_SZ_S10_mS11_S14_bEUlT_E_NS1_11comp_targetILNS1_3genE10ELNS1_11target_archE1201ELNS1_3gpuE5ELNS1_3repE0EEENS1_30default_config_static_selectorELNS0_4arch9wavefront6targetE0EEEvSY_
	.globl	_ZN7rocprim17ROCPRIM_400000_NS6detail17trampoline_kernelINS0_14default_configENS1_27upper_bound_config_selectorIilEEZNS1_14transform_implILb0ES3_S5_N6thrust23THRUST_200600_302600_NS6detail15normal_iteratorINS8_7pointerIiNS8_11hip_rocprim12par_nosync_tENS8_11use_defaultESE_EEEENSA_INSB_IlSD_SE_SE_EEEEZNS1_13binary_searchIS3_S5_NSA_INS8_10device_ptrIiEEEESG_SI_NS1_21upper_bound_search_opENS9_16wrapped_functionINS8_6system6detail7generic6detail18binary_search_lessEbEEEE10hipError_tPvRmT1_T2_T3_mmT4_T5_P12ihipStream_tbEUlRKiE_EESV_SZ_S10_mS11_S14_bEUlT_E_NS1_11comp_targetILNS1_3genE10ELNS1_11target_archE1201ELNS1_3gpuE5ELNS1_3repE0EEENS1_30default_config_static_selectorELNS0_4arch9wavefront6targetE0EEEvSY_
	.p2align	8
	.type	_ZN7rocprim17ROCPRIM_400000_NS6detail17trampoline_kernelINS0_14default_configENS1_27upper_bound_config_selectorIilEEZNS1_14transform_implILb0ES3_S5_N6thrust23THRUST_200600_302600_NS6detail15normal_iteratorINS8_7pointerIiNS8_11hip_rocprim12par_nosync_tENS8_11use_defaultESE_EEEENSA_INSB_IlSD_SE_SE_EEEEZNS1_13binary_searchIS3_S5_NSA_INS8_10device_ptrIiEEEESG_SI_NS1_21upper_bound_search_opENS9_16wrapped_functionINS8_6system6detail7generic6detail18binary_search_lessEbEEEE10hipError_tPvRmT1_T2_T3_mmT4_T5_P12ihipStream_tbEUlRKiE_EESV_SZ_S10_mS11_S14_bEUlT_E_NS1_11comp_targetILNS1_3genE10ELNS1_11target_archE1201ELNS1_3gpuE5ELNS1_3repE0EEENS1_30default_config_static_selectorELNS0_4arch9wavefront6targetE0EEEvSY_,@function
_ZN7rocprim17ROCPRIM_400000_NS6detail17trampoline_kernelINS0_14default_configENS1_27upper_bound_config_selectorIilEEZNS1_14transform_implILb0ES3_S5_N6thrust23THRUST_200600_302600_NS6detail15normal_iteratorINS8_7pointerIiNS8_11hip_rocprim12par_nosync_tENS8_11use_defaultESE_EEEENSA_INSB_IlSD_SE_SE_EEEEZNS1_13binary_searchIS3_S5_NSA_INS8_10device_ptrIiEEEESG_SI_NS1_21upper_bound_search_opENS9_16wrapped_functionINS8_6system6detail7generic6detail18binary_search_lessEbEEEE10hipError_tPvRmT1_T2_T3_mmT4_T5_P12ihipStream_tbEUlRKiE_EESV_SZ_S10_mS11_S14_bEUlT_E_NS1_11comp_targetILNS1_3genE10ELNS1_11target_archE1201ELNS1_3gpuE5ELNS1_3repE0EEENS1_30default_config_static_selectorELNS0_4arch9wavefront6targetE0EEEvSY_: ; @_ZN7rocprim17ROCPRIM_400000_NS6detail17trampoline_kernelINS0_14default_configENS1_27upper_bound_config_selectorIilEEZNS1_14transform_implILb0ES3_S5_N6thrust23THRUST_200600_302600_NS6detail15normal_iteratorINS8_7pointerIiNS8_11hip_rocprim12par_nosync_tENS8_11use_defaultESE_EEEENSA_INSB_IlSD_SE_SE_EEEEZNS1_13binary_searchIS3_S5_NSA_INS8_10device_ptrIiEEEESG_SI_NS1_21upper_bound_search_opENS9_16wrapped_functionINS8_6system6detail7generic6detail18binary_search_lessEbEEEE10hipError_tPvRmT1_T2_T3_mmT4_T5_P12ihipStream_tbEUlRKiE_EESV_SZ_S10_mS11_S14_bEUlT_E_NS1_11comp_targetILNS1_3genE10ELNS1_11target_archE1201ELNS1_3gpuE5ELNS1_3repE0EEENS1_30default_config_static_selectorELNS0_4arch9wavefront6targetE0EEEvSY_
; %bb.0:
	.section	.rodata,"a",@progbits
	.p2align	6, 0x0
	.amdhsa_kernel _ZN7rocprim17ROCPRIM_400000_NS6detail17trampoline_kernelINS0_14default_configENS1_27upper_bound_config_selectorIilEEZNS1_14transform_implILb0ES3_S5_N6thrust23THRUST_200600_302600_NS6detail15normal_iteratorINS8_7pointerIiNS8_11hip_rocprim12par_nosync_tENS8_11use_defaultESE_EEEENSA_INSB_IlSD_SE_SE_EEEEZNS1_13binary_searchIS3_S5_NSA_INS8_10device_ptrIiEEEESG_SI_NS1_21upper_bound_search_opENS9_16wrapped_functionINS8_6system6detail7generic6detail18binary_search_lessEbEEEE10hipError_tPvRmT1_T2_T3_mmT4_T5_P12ihipStream_tbEUlRKiE_EESV_SZ_S10_mS11_S14_bEUlT_E_NS1_11comp_targetILNS1_3genE10ELNS1_11target_archE1201ELNS1_3gpuE5ELNS1_3repE0EEENS1_30default_config_static_selectorELNS0_4arch9wavefront6targetE0EEEvSY_
		.amdhsa_group_segment_fixed_size 0
		.amdhsa_private_segment_fixed_size 0
		.amdhsa_kernarg_size 56
		.amdhsa_user_sgpr_count 6
		.amdhsa_user_sgpr_private_segment_buffer 1
		.amdhsa_user_sgpr_dispatch_ptr 0
		.amdhsa_user_sgpr_queue_ptr 0
		.amdhsa_user_sgpr_kernarg_segment_ptr 1
		.amdhsa_user_sgpr_dispatch_id 0
		.amdhsa_user_sgpr_flat_scratch_init 0
		.amdhsa_user_sgpr_private_segment_size 0
		.amdhsa_wavefront_size32 1
		.amdhsa_uses_dynamic_stack 0
		.amdhsa_system_sgpr_private_segment_wavefront_offset 0
		.amdhsa_system_sgpr_workgroup_id_x 1
		.amdhsa_system_sgpr_workgroup_id_y 0
		.amdhsa_system_sgpr_workgroup_id_z 0
		.amdhsa_system_sgpr_workgroup_info 0
		.amdhsa_system_vgpr_workitem_id 0
		.amdhsa_next_free_vgpr 1
		.amdhsa_next_free_sgpr 1
		.amdhsa_reserve_vcc 0
		.amdhsa_reserve_flat_scratch 0
		.amdhsa_float_round_mode_32 0
		.amdhsa_float_round_mode_16_64 0
		.amdhsa_float_denorm_mode_32 3
		.amdhsa_float_denorm_mode_16_64 3
		.amdhsa_dx10_clamp 1
		.amdhsa_ieee_mode 1
		.amdhsa_fp16_overflow 0
		.amdhsa_workgroup_processor_mode 1
		.amdhsa_memory_ordered 1
		.amdhsa_forward_progress 1
		.amdhsa_shared_vgpr_count 0
		.amdhsa_exception_fp_ieee_invalid_op 0
		.amdhsa_exception_fp_denorm_src 0
		.amdhsa_exception_fp_ieee_div_zero 0
		.amdhsa_exception_fp_ieee_overflow 0
		.amdhsa_exception_fp_ieee_underflow 0
		.amdhsa_exception_fp_ieee_inexact 0
		.amdhsa_exception_int_div_zero 0
	.end_amdhsa_kernel
	.section	.text._ZN7rocprim17ROCPRIM_400000_NS6detail17trampoline_kernelINS0_14default_configENS1_27upper_bound_config_selectorIilEEZNS1_14transform_implILb0ES3_S5_N6thrust23THRUST_200600_302600_NS6detail15normal_iteratorINS8_7pointerIiNS8_11hip_rocprim12par_nosync_tENS8_11use_defaultESE_EEEENSA_INSB_IlSD_SE_SE_EEEEZNS1_13binary_searchIS3_S5_NSA_INS8_10device_ptrIiEEEESG_SI_NS1_21upper_bound_search_opENS9_16wrapped_functionINS8_6system6detail7generic6detail18binary_search_lessEbEEEE10hipError_tPvRmT1_T2_T3_mmT4_T5_P12ihipStream_tbEUlRKiE_EESV_SZ_S10_mS11_S14_bEUlT_E_NS1_11comp_targetILNS1_3genE10ELNS1_11target_archE1201ELNS1_3gpuE5ELNS1_3repE0EEENS1_30default_config_static_selectorELNS0_4arch9wavefront6targetE0EEEvSY_,"axG",@progbits,_ZN7rocprim17ROCPRIM_400000_NS6detail17trampoline_kernelINS0_14default_configENS1_27upper_bound_config_selectorIilEEZNS1_14transform_implILb0ES3_S5_N6thrust23THRUST_200600_302600_NS6detail15normal_iteratorINS8_7pointerIiNS8_11hip_rocprim12par_nosync_tENS8_11use_defaultESE_EEEENSA_INSB_IlSD_SE_SE_EEEEZNS1_13binary_searchIS3_S5_NSA_INS8_10device_ptrIiEEEESG_SI_NS1_21upper_bound_search_opENS9_16wrapped_functionINS8_6system6detail7generic6detail18binary_search_lessEbEEEE10hipError_tPvRmT1_T2_T3_mmT4_T5_P12ihipStream_tbEUlRKiE_EESV_SZ_S10_mS11_S14_bEUlT_E_NS1_11comp_targetILNS1_3genE10ELNS1_11target_archE1201ELNS1_3gpuE5ELNS1_3repE0EEENS1_30default_config_static_selectorELNS0_4arch9wavefront6targetE0EEEvSY_,comdat
.Lfunc_end577:
	.size	_ZN7rocprim17ROCPRIM_400000_NS6detail17trampoline_kernelINS0_14default_configENS1_27upper_bound_config_selectorIilEEZNS1_14transform_implILb0ES3_S5_N6thrust23THRUST_200600_302600_NS6detail15normal_iteratorINS8_7pointerIiNS8_11hip_rocprim12par_nosync_tENS8_11use_defaultESE_EEEENSA_INSB_IlSD_SE_SE_EEEEZNS1_13binary_searchIS3_S5_NSA_INS8_10device_ptrIiEEEESG_SI_NS1_21upper_bound_search_opENS9_16wrapped_functionINS8_6system6detail7generic6detail18binary_search_lessEbEEEE10hipError_tPvRmT1_T2_T3_mmT4_T5_P12ihipStream_tbEUlRKiE_EESV_SZ_S10_mS11_S14_bEUlT_E_NS1_11comp_targetILNS1_3genE10ELNS1_11target_archE1201ELNS1_3gpuE5ELNS1_3repE0EEENS1_30default_config_static_selectorELNS0_4arch9wavefront6targetE0EEEvSY_, .Lfunc_end577-_ZN7rocprim17ROCPRIM_400000_NS6detail17trampoline_kernelINS0_14default_configENS1_27upper_bound_config_selectorIilEEZNS1_14transform_implILb0ES3_S5_N6thrust23THRUST_200600_302600_NS6detail15normal_iteratorINS8_7pointerIiNS8_11hip_rocprim12par_nosync_tENS8_11use_defaultESE_EEEENSA_INSB_IlSD_SE_SE_EEEEZNS1_13binary_searchIS3_S5_NSA_INS8_10device_ptrIiEEEESG_SI_NS1_21upper_bound_search_opENS9_16wrapped_functionINS8_6system6detail7generic6detail18binary_search_lessEbEEEE10hipError_tPvRmT1_T2_T3_mmT4_T5_P12ihipStream_tbEUlRKiE_EESV_SZ_S10_mS11_S14_bEUlT_E_NS1_11comp_targetILNS1_3genE10ELNS1_11target_archE1201ELNS1_3gpuE5ELNS1_3repE0EEENS1_30default_config_static_selectorELNS0_4arch9wavefront6targetE0EEEvSY_
                                        ; -- End function
	.set _ZN7rocprim17ROCPRIM_400000_NS6detail17trampoline_kernelINS0_14default_configENS1_27upper_bound_config_selectorIilEEZNS1_14transform_implILb0ES3_S5_N6thrust23THRUST_200600_302600_NS6detail15normal_iteratorINS8_7pointerIiNS8_11hip_rocprim12par_nosync_tENS8_11use_defaultESE_EEEENSA_INSB_IlSD_SE_SE_EEEEZNS1_13binary_searchIS3_S5_NSA_INS8_10device_ptrIiEEEESG_SI_NS1_21upper_bound_search_opENS9_16wrapped_functionINS8_6system6detail7generic6detail18binary_search_lessEbEEEE10hipError_tPvRmT1_T2_T3_mmT4_T5_P12ihipStream_tbEUlRKiE_EESV_SZ_S10_mS11_S14_bEUlT_E_NS1_11comp_targetILNS1_3genE10ELNS1_11target_archE1201ELNS1_3gpuE5ELNS1_3repE0EEENS1_30default_config_static_selectorELNS0_4arch9wavefront6targetE0EEEvSY_.num_vgpr, 0
	.set _ZN7rocprim17ROCPRIM_400000_NS6detail17trampoline_kernelINS0_14default_configENS1_27upper_bound_config_selectorIilEEZNS1_14transform_implILb0ES3_S5_N6thrust23THRUST_200600_302600_NS6detail15normal_iteratorINS8_7pointerIiNS8_11hip_rocprim12par_nosync_tENS8_11use_defaultESE_EEEENSA_INSB_IlSD_SE_SE_EEEEZNS1_13binary_searchIS3_S5_NSA_INS8_10device_ptrIiEEEESG_SI_NS1_21upper_bound_search_opENS9_16wrapped_functionINS8_6system6detail7generic6detail18binary_search_lessEbEEEE10hipError_tPvRmT1_T2_T3_mmT4_T5_P12ihipStream_tbEUlRKiE_EESV_SZ_S10_mS11_S14_bEUlT_E_NS1_11comp_targetILNS1_3genE10ELNS1_11target_archE1201ELNS1_3gpuE5ELNS1_3repE0EEENS1_30default_config_static_selectorELNS0_4arch9wavefront6targetE0EEEvSY_.num_agpr, 0
	.set _ZN7rocprim17ROCPRIM_400000_NS6detail17trampoline_kernelINS0_14default_configENS1_27upper_bound_config_selectorIilEEZNS1_14transform_implILb0ES3_S5_N6thrust23THRUST_200600_302600_NS6detail15normal_iteratorINS8_7pointerIiNS8_11hip_rocprim12par_nosync_tENS8_11use_defaultESE_EEEENSA_INSB_IlSD_SE_SE_EEEEZNS1_13binary_searchIS3_S5_NSA_INS8_10device_ptrIiEEEESG_SI_NS1_21upper_bound_search_opENS9_16wrapped_functionINS8_6system6detail7generic6detail18binary_search_lessEbEEEE10hipError_tPvRmT1_T2_T3_mmT4_T5_P12ihipStream_tbEUlRKiE_EESV_SZ_S10_mS11_S14_bEUlT_E_NS1_11comp_targetILNS1_3genE10ELNS1_11target_archE1201ELNS1_3gpuE5ELNS1_3repE0EEENS1_30default_config_static_selectorELNS0_4arch9wavefront6targetE0EEEvSY_.numbered_sgpr, 0
	.set _ZN7rocprim17ROCPRIM_400000_NS6detail17trampoline_kernelINS0_14default_configENS1_27upper_bound_config_selectorIilEEZNS1_14transform_implILb0ES3_S5_N6thrust23THRUST_200600_302600_NS6detail15normal_iteratorINS8_7pointerIiNS8_11hip_rocprim12par_nosync_tENS8_11use_defaultESE_EEEENSA_INSB_IlSD_SE_SE_EEEEZNS1_13binary_searchIS3_S5_NSA_INS8_10device_ptrIiEEEESG_SI_NS1_21upper_bound_search_opENS9_16wrapped_functionINS8_6system6detail7generic6detail18binary_search_lessEbEEEE10hipError_tPvRmT1_T2_T3_mmT4_T5_P12ihipStream_tbEUlRKiE_EESV_SZ_S10_mS11_S14_bEUlT_E_NS1_11comp_targetILNS1_3genE10ELNS1_11target_archE1201ELNS1_3gpuE5ELNS1_3repE0EEENS1_30default_config_static_selectorELNS0_4arch9wavefront6targetE0EEEvSY_.num_named_barrier, 0
	.set _ZN7rocprim17ROCPRIM_400000_NS6detail17trampoline_kernelINS0_14default_configENS1_27upper_bound_config_selectorIilEEZNS1_14transform_implILb0ES3_S5_N6thrust23THRUST_200600_302600_NS6detail15normal_iteratorINS8_7pointerIiNS8_11hip_rocprim12par_nosync_tENS8_11use_defaultESE_EEEENSA_INSB_IlSD_SE_SE_EEEEZNS1_13binary_searchIS3_S5_NSA_INS8_10device_ptrIiEEEESG_SI_NS1_21upper_bound_search_opENS9_16wrapped_functionINS8_6system6detail7generic6detail18binary_search_lessEbEEEE10hipError_tPvRmT1_T2_T3_mmT4_T5_P12ihipStream_tbEUlRKiE_EESV_SZ_S10_mS11_S14_bEUlT_E_NS1_11comp_targetILNS1_3genE10ELNS1_11target_archE1201ELNS1_3gpuE5ELNS1_3repE0EEENS1_30default_config_static_selectorELNS0_4arch9wavefront6targetE0EEEvSY_.private_seg_size, 0
	.set _ZN7rocprim17ROCPRIM_400000_NS6detail17trampoline_kernelINS0_14default_configENS1_27upper_bound_config_selectorIilEEZNS1_14transform_implILb0ES3_S5_N6thrust23THRUST_200600_302600_NS6detail15normal_iteratorINS8_7pointerIiNS8_11hip_rocprim12par_nosync_tENS8_11use_defaultESE_EEEENSA_INSB_IlSD_SE_SE_EEEEZNS1_13binary_searchIS3_S5_NSA_INS8_10device_ptrIiEEEESG_SI_NS1_21upper_bound_search_opENS9_16wrapped_functionINS8_6system6detail7generic6detail18binary_search_lessEbEEEE10hipError_tPvRmT1_T2_T3_mmT4_T5_P12ihipStream_tbEUlRKiE_EESV_SZ_S10_mS11_S14_bEUlT_E_NS1_11comp_targetILNS1_3genE10ELNS1_11target_archE1201ELNS1_3gpuE5ELNS1_3repE0EEENS1_30default_config_static_selectorELNS0_4arch9wavefront6targetE0EEEvSY_.uses_vcc, 0
	.set _ZN7rocprim17ROCPRIM_400000_NS6detail17trampoline_kernelINS0_14default_configENS1_27upper_bound_config_selectorIilEEZNS1_14transform_implILb0ES3_S5_N6thrust23THRUST_200600_302600_NS6detail15normal_iteratorINS8_7pointerIiNS8_11hip_rocprim12par_nosync_tENS8_11use_defaultESE_EEEENSA_INSB_IlSD_SE_SE_EEEEZNS1_13binary_searchIS3_S5_NSA_INS8_10device_ptrIiEEEESG_SI_NS1_21upper_bound_search_opENS9_16wrapped_functionINS8_6system6detail7generic6detail18binary_search_lessEbEEEE10hipError_tPvRmT1_T2_T3_mmT4_T5_P12ihipStream_tbEUlRKiE_EESV_SZ_S10_mS11_S14_bEUlT_E_NS1_11comp_targetILNS1_3genE10ELNS1_11target_archE1201ELNS1_3gpuE5ELNS1_3repE0EEENS1_30default_config_static_selectorELNS0_4arch9wavefront6targetE0EEEvSY_.uses_flat_scratch, 0
	.set _ZN7rocprim17ROCPRIM_400000_NS6detail17trampoline_kernelINS0_14default_configENS1_27upper_bound_config_selectorIilEEZNS1_14transform_implILb0ES3_S5_N6thrust23THRUST_200600_302600_NS6detail15normal_iteratorINS8_7pointerIiNS8_11hip_rocprim12par_nosync_tENS8_11use_defaultESE_EEEENSA_INSB_IlSD_SE_SE_EEEEZNS1_13binary_searchIS3_S5_NSA_INS8_10device_ptrIiEEEESG_SI_NS1_21upper_bound_search_opENS9_16wrapped_functionINS8_6system6detail7generic6detail18binary_search_lessEbEEEE10hipError_tPvRmT1_T2_T3_mmT4_T5_P12ihipStream_tbEUlRKiE_EESV_SZ_S10_mS11_S14_bEUlT_E_NS1_11comp_targetILNS1_3genE10ELNS1_11target_archE1201ELNS1_3gpuE5ELNS1_3repE0EEENS1_30default_config_static_selectorELNS0_4arch9wavefront6targetE0EEEvSY_.has_dyn_sized_stack, 0
	.set _ZN7rocprim17ROCPRIM_400000_NS6detail17trampoline_kernelINS0_14default_configENS1_27upper_bound_config_selectorIilEEZNS1_14transform_implILb0ES3_S5_N6thrust23THRUST_200600_302600_NS6detail15normal_iteratorINS8_7pointerIiNS8_11hip_rocprim12par_nosync_tENS8_11use_defaultESE_EEEENSA_INSB_IlSD_SE_SE_EEEEZNS1_13binary_searchIS3_S5_NSA_INS8_10device_ptrIiEEEESG_SI_NS1_21upper_bound_search_opENS9_16wrapped_functionINS8_6system6detail7generic6detail18binary_search_lessEbEEEE10hipError_tPvRmT1_T2_T3_mmT4_T5_P12ihipStream_tbEUlRKiE_EESV_SZ_S10_mS11_S14_bEUlT_E_NS1_11comp_targetILNS1_3genE10ELNS1_11target_archE1201ELNS1_3gpuE5ELNS1_3repE0EEENS1_30default_config_static_selectorELNS0_4arch9wavefront6targetE0EEEvSY_.has_recursion, 0
	.set _ZN7rocprim17ROCPRIM_400000_NS6detail17trampoline_kernelINS0_14default_configENS1_27upper_bound_config_selectorIilEEZNS1_14transform_implILb0ES3_S5_N6thrust23THRUST_200600_302600_NS6detail15normal_iteratorINS8_7pointerIiNS8_11hip_rocprim12par_nosync_tENS8_11use_defaultESE_EEEENSA_INSB_IlSD_SE_SE_EEEEZNS1_13binary_searchIS3_S5_NSA_INS8_10device_ptrIiEEEESG_SI_NS1_21upper_bound_search_opENS9_16wrapped_functionINS8_6system6detail7generic6detail18binary_search_lessEbEEEE10hipError_tPvRmT1_T2_T3_mmT4_T5_P12ihipStream_tbEUlRKiE_EESV_SZ_S10_mS11_S14_bEUlT_E_NS1_11comp_targetILNS1_3genE10ELNS1_11target_archE1201ELNS1_3gpuE5ELNS1_3repE0EEENS1_30default_config_static_selectorELNS0_4arch9wavefront6targetE0EEEvSY_.has_indirect_call, 0
	.section	.AMDGPU.csdata,"",@progbits
; Kernel info:
; codeLenInByte = 0
; TotalNumSgprs: 0
; NumVgprs: 0
; ScratchSize: 0
; MemoryBound: 0
; FloatMode: 240
; IeeeMode: 1
; LDSByteSize: 0 bytes/workgroup (compile time only)
; SGPRBlocks: 0
; VGPRBlocks: 0
; NumSGPRsForWavesPerEU: 1
; NumVGPRsForWavesPerEU: 1
; Occupancy: 16
; WaveLimiterHint : 0
; COMPUTE_PGM_RSRC2:SCRATCH_EN: 0
; COMPUTE_PGM_RSRC2:USER_SGPR: 6
; COMPUTE_PGM_RSRC2:TRAP_HANDLER: 0
; COMPUTE_PGM_RSRC2:TGID_X_EN: 1
; COMPUTE_PGM_RSRC2:TGID_Y_EN: 0
; COMPUTE_PGM_RSRC2:TGID_Z_EN: 0
; COMPUTE_PGM_RSRC2:TIDIG_COMP_CNT: 0
	.section	.text._ZN7rocprim17ROCPRIM_400000_NS6detail17trampoline_kernelINS0_14default_configENS1_27upper_bound_config_selectorIilEEZNS1_14transform_implILb0ES3_S5_N6thrust23THRUST_200600_302600_NS6detail15normal_iteratorINS8_7pointerIiNS8_11hip_rocprim12par_nosync_tENS8_11use_defaultESE_EEEENSA_INSB_IlSD_SE_SE_EEEEZNS1_13binary_searchIS3_S5_NSA_INS8_10device_ptrIiEEEESG_SI_NS1_21upper_bound_search_opENS9_16wrapped_functionINS8_6system6detail7generic6detail18binary_search_lessEbEEEE10hipError_tPvRmT1_T2_T3_mmT4_T5_P12ihipStream_tbEUlRKiE_EESV_SZ_S10_mS11_S14_bEUlT_E_NS1_11comp_targetILNS1_3genE10ELNS1_11target_archE1200ELNS1_3gpuE4ELNS1_3repE0EEENS1_30default_config_static_selectorELNS0_4arch9wavefront6targetE0EEEvSY_,"axG",@progbits,_ZN7rocprim17ROCPRIM_400000_NS6detail17trampoline_kernelINS0_14default_configENS1_27upper_bound_config_selectorIilEEZNS1_14transform_implILb0ES3_S5_N6thrust23THRUST_200600_302600_NS6detail15normal_iteratorINS8_7pointerIiNS8_11hip_rocprim12par_nosync_tENS8_11use_defaultESE_EEEENSA_INSB_IlSD_SE_SE_EEEEZNS1_13binary_searchIS3_S5_NSA_INS8_10device_ptrIiEEEESG_SI_NS1_21upper_bound_search_opENS9_16wrapped_functionINS8_6system6detail7generic6detail18binary_search_lessEbEEEE10hipError_tPvRmT1_T2_T3_mmT4_T5_P12ihipStream_tbEUlRKiE_EESV_SZ_S10_mS11_S14_bEUlT_E_NS1_11comp_targetILNS1_3genE10ELNS1_11target_archE1200ELNS1_3gpuE4ELNS1_3repE0EEENS1_30default_config_static_selectorELNS0_4arch9wavefront6targetE0EEEvSY_,comdat
	.protected	_ZN7rocprim17ROCPRIM_400000_NS6detail17trampoline_kernelINS0_14default_configENS1_27upper_bound_config_selectorIilEEZNS1_14transform_implILb0ES3_S5_N6thrust23THRUST_200600_302600_NS6detail15normal_iteratorINS8_7pointerIiNS8_11hip_rocprim12par_nosync_tENS8_11use_defaultESE_EEEENSA_INSB_IlSD_SE_SE_EEEEZNS1_13binary_searchIS3_S5_NSA_INS8_10device_ptrIiEEEESG_SI_NS1_21upper_bound_search_opENS9_16wrapped_functionINS8_6system6detail7generic6detail18binary_search_lessEbEEEE10hipError_tPvRmT1_T2_T3_mmT4_T5_P12ihipStream_tbEUlRKiE_EESV_SZ_S10_mS11_S14_bEUlT_E_NS1_11comp_targetILNS1_3genE10ELNS1_11target_archE1200ELNS1_3gpuE4ELNS1_3repE0EEENS1_30default_config_static_selectorELNS0_4arch9wavefront6targetE0EEEvSY_ ; -- Begin function _ZN7rocprim17ROCPRIM_400000_NS6detail17trampoline_kernelINS0_14default_configENS1_27upper_bound_config_selectorIilEEZNS1_14transform_implILb0ES3_S5_N6thrust23THRUST_200600_302600_NS6detail15normal_iteratorINS8_7pointerIiNS8_11hip_rocprim12par_nosync_tENS8_11use_defaultESE_EEEENSA_INSB_IlSD_SE_SE_EEEEZNS1_13binary_searchIS3_S5_NSA_INS8_10device_ptrIiEEEESG_SI_NS1_21upper_bound_search_opENS9_16wrapped_functionINS8_6system6detail7generic6detail18binary_search_lessEbEEEE10hipError_tPvRmT1_T2_T3_mmT4_T5_P12ihipStream_tbEUlRKiE_EESV_SZ_S10_mS11_S14_bEUlT_E_NS1_11comp_targetILNS1_3genE10ELNS1_11target_archE1200ELNS1_3gpuE4ELNS1_3repE0EEENS1_30default_config_static_selectorELNS0_4arch9wavefront6targetE0EEEvSY_
	.globl	_ZN7rocprim17ROCPRIM_400000_NS6detail17trampoline_kernelINS0_14default_configENS1_27upper_bound_config_selectorIilEEZNS1_14transform_implILb0ES3_S5_N6thrust23THRUST_200600_302600_NS6detail15normal_iteratorINS8_7pointerIiNS8_11hip_rocprim12par_nosync_tENS8_11use_defaultESE_EEEENSA_INSB_IlSD_SE_SE_EEEEZNS1_13binary_searchIS3_S5_NSA_INS8_10device_ptrIiEEEESG_SI_NS1_21upper_bound_search_opENS9_16wrapped_functionINS8_6system6detail7generic6detail18binary_search_lessEbEEEE10hipError_tPvRmT1_T2_T3_mmT4_T5_P12ihipStream_tbEUlRKiE_EESV_SZ_S10_mS11_S14_bEUlT_E_NS1_11comp_targetILNS1_3genE10ELNS1_11target_archE1200ELNS1_3gpuE4ELNS1_3repE0EEENS1_30default_config_static_selectorELNS0_4arch9wavefront6targetE0EEEvSY_
	.p2align	8
	.type	_ZN7rocprim17ROCPRIM_400000_NS6detail17trampoline_kernelINS0_14default_configENS1_27upper_bound_config_selectorIilEEZNS1_14transform_implILb0ES3_S5_N6thrust23THRUST_200600_302600_NS6detail15normal_iteratorINS8_7pointerIiNS8_11hip_rocprim12par_nosync_tENS8_11use_defaultESE_EEEENSA_INSB_IlSD_SE_SE_EEEEZNS1_13binary_searchIS3_S5_NSA_INS8_10device_ptrIiEEEESG_SI_NS1_21upper_bound_search_opENS9_16wrapped_functionINS8_6system6detail7generic6detail18binary_search_lessEbEEEE10hipError_tPvRmT1_T2_T3_mmT4_T5_P12ihipStream_tbEUlRKiE_EESV_SZ_S10_mS11_S14_bEUlT_E_NS1_11comp_targetILNS1_3genE10ELNS1_11target_archE1200ELNS1_3gpuE4ELNS1_3repE0EEENS1_30default_config_static_selectorELNS0_4arch9wavefront6targetE0EEEvSY_,@function
_ZN7rocprim17ROCPRIM_400000_NS6detail17trampoline_kernelINS0_14default_configENS1_27upper_bound_config_selectorIilEEZNS1_14transform_implILb0ES3_S5_N6thrust23THRUST_200600_302600_NS6detail15normal_iteratorINS8_7pointerIiNS8_11hip_rocprim12par_nosync_tENS8_11use_defaultESE_EEEENSA_INSB_IlSD_SE_SE_EEEEZNS1_13binary_searchIS3_S5_NSA_INS8_10device_ptrIiEEEESG_SI_NS1_21upper_bound_search_opENS9_16wrapped_functionINS8_6system6detail7generic6detail18binary_search_lessEbEEEE10hipError_tPvRmT1_T2_T3_mmT4_T5_P12ihipStream_tbEUlRKiE_EESV_SZ_S10_mS11_S14_bEUlT_E_NS1_11comp_targetILNS1_3genE10ELNS1_11target_archE1200ELNS1_3gpuE4ELNS1_3repE0EEENS1_30default_config_static_selectorELNS0_4arch9wavefront6targetE0EEEvSY_: ; @_ZN7rocprim17ROCPRIM_400000_NS6detail17trampoline_kernelINS0_14default_configENS1_27upper_bound_config_selectorIilEEZNS1_14transform_implILb0ES3_S5_N6thrust23THRUST_200600_302600_NS6detail15normal_iteratorINS8_7pointerIiNS8_11hip_rocprim12par_nosync_tENS8_11use_defaultESE_EEEENSA_INSB_IlSD_SE_SE_EEEEZNS1_13binary_searchIS3_S5_NSA_INS8_10device_ptrIiEEEESG_SI_NS1_21upper_bound_search_opENS9_16wrapped_functionINS8_6system6detail7generic6detail18binary_search_lessEbEEEE10hipError_tPvRmT1_T2_T3_mmT4_T5_P12ihipStream_tbEUlRKiE_EESV_SZ_S10_mS11_S14_bEUlT_E_NS1_11comp_targetILNS1_3genE10ELNS1_11target_archE1200ELNS1_3gpuE4ELNS1_3repE0EEENS1_30default_config_static_selectorELNS0_4arch9wavefront6targetE0EEEvSY_
; %bb.0:
	.section	.rodata,"a",@progbits
	.p2align	6, 0x0
	.amdhsa_kernel _ZN7rocprim17ROCPRIM_400000_NS6detail17trampoline_kernelINS0_14default_configENS1_27upper_bound_config_selectorIilEEZNS1_14transform_implILb0ES3_S5_N6thrust23THRUST_200600_302600_NS6detail15normal_iteratorINS8_7pointerIiNS8_11hip_rocprim12par_nosync_tENS8_11use_defaultESE_EEEENSA_INSB_IlSD_SE_SE_EEEEZNS1_13binary_searchIS3_S5_NSA_INS8_10device_ptrIiEEEESG_SI_NS1_21upper_bound_search_opENS9_16wrapped_functionINS8_6system6detail7generic6detail18binary_search_lessEbEEEE10hipError_tPvRmT1_T2_T3_mmT4_T5_P12ihipStream_tbEUlRKiE_EESV_SZ_S10_mS11_S14_bEUlT_E_NS1_11comp_targetILNS1_3genE10ELNS1_11target_archE1200ELNS1_3gpuE4ELNS1_3repE0EEENS1_30default_config_static_selectorELNS0_4arch9wavefront6targetE0EEEvSY_
		.amdhsa_group_segment_fixed_size 0
		.amdhsa_private_segment_fixed_size 0
		.amdhsa_kernarg_size 56
		.amdhsa_user_sgpr_count 6
		.amdhsa_user_sgpr_private_segment_buffer 1
		.amdhsa_user_sgpr_dispatch_ptr 0
		.amdhsa_user_sgpr_queue_ptr 0
		.amdhsa_user_sgpr_kernarg_segment_ptr 1
		.amdhsa_user_sgpr_dispatch_id 0
		.amdhsa_user_sgpr_flat_scratch_init 0
		.amdhsa_user_sgpr_private_segment_size 0
		.amdhsa_wavefront_size32 1
		.amdhsa_uses_dynamic_stack 0
		.amdhsa_system_sgpr_private_segment_wavefront_offset 0
		.amdhsa_system_sgpr_workgroup_id_x 1
		.amdhsa_system_sgpr_workgroup_id_y 0
		.amdhsa_system_sgpr_workgroup_id_z 0
		.amdhsa_system_sgpr_workgroup_info 0
		.amdhsa_system_vgpr_workitem_id 0
		.amdhsa_next_free_vgpr 1
		.amdhsa_next_free_sgpr 1
		.amdhsa_reserve_vcc 0
		.amdhsa_reserve_flat_scratch 0
		.amdhsa_float_round_mode_32 0
		.amdhsa_float_round_mode_16_64 0
		.amdhsa_float_denorm_mode_32 3
		.amdhsa_float_denorm_mode_16_64 3
		.amdhsa_dx10_clamp 1
		.amdhsa_ieee_mode 1
		.amdhsa_fp16_overflow 0
		.amdhsa_workgroup_processor_mode 1
		.amdhsa_memory_ordered 1
		.amdhsa_forward_progress 1
		.amdhsa_shared_vgpr_count 0
		.amdhsa_exception_fp_ieee_invalid_op 0
		.amdhsa_exception_fp_denorm_src 0
		.amdhsa_exception_fp_ieee_div_zero 0
		.amdhsa_exception_fp_ieee_overflow 0
		.amdhsa_exception_fp_ieee_underflow 0
		.amdhsa_exception_fp_ieee_inexact 0
		.amdhsa_exception_int_div_zero 0
	.end_amdhsa_kernel
	.section	.text._ZN7rocprim17ROCPRIM_400000_NS6detail17trampoline_kernelINS0_14default_configENS1_27upper_bound_config_selectorIilEEZNS1_14transform_implILb0ES3_S5_N6thrust23THRUST_200600_302600_NS6detail15normal_iteratorINS8_7pointerIiNS8_11hip_rocprim12par_nosync_tENS8_11use_defaultESE_EEEENSA_INSB_IlSD_SE_SE_EEEEZNS1_13binary_searchIS3_S5_NSA_INS8_10device_ptrIiEEEESG_SI_NS1_21upper_bound_search_opENS9_16wrapped_functionINS8_6system6detail7generic6detail18binary_search_lessEbEEEE10hipError_tPvRmT1_T2_T3_mmT4_T5_P12ihipStream_tbEUlRKiE_EESV_SZ_S10_mS11_S14_bEUlT_E_NS1_11comp_targetILNS1_3genE10ELNS1_11target_archE1200ELNS1_3gpuE4ELNS1_3repE0EEENS1_30default_config_static_selectorELNS0_4arch9wavefront6targetE0EEEvSY_,"axG",@progbits,_ZN7rocprim17ROCPRIM_400000_NS6detail17trampoline_kernelINS0_14default_configENS1_27upper_bound_config_selectorIilEEZNS1_14transform_implILb0ES3_S5_N6thrust23THRUST_200600_302600_NS6detail15normal_iteratorINS8_7pointerIiNS8_11hip_rocprim12par_nosync_tENS8_11use_defaultESE_EEEENSA_INSB_IlSD_SE_SE_EEEEZNS1_13binary_searchIS3_S5_NSA_INS8_10device_ptrIiEEEESG_SI_NS1_21upper_bound_search_opENS9_16wrapped_functionINS8_6system6detail7generic6detail18binary_search_lessEbEEEE10hipError_tPvRmT1_T2_T3_mmT4_T5_P12ihipStream_tbEUlRKiE_EESV_SZ_S10_mS11_S14_bEUlT_E_NS1_11comp_targetILNS1_3genE10ELNS1_11target_archE1200ELNS1_3gpuE4ELNS1_3repE0EEENS1_30default_config_static_selectorELNS0_4arch9wavefront6targetE0EEEvSY_,comdat
.Lfunc_end578:
	.size	_ZN7rocprim17ROCPRIM_400000_NS6detail17trampoline_kernelINS0_14default_configENS1_27upper_bound_config_selectorIilEEZNS1_14transform_implILb0ES3_S5_N6thrust23THRUST_200600_302600_NS6detail15normal_iteratorINS8_7pointerIiNS8_11hip_rocprim12par_nosync_tENS8_11use_defaultESE_EEEENSA_INSB_IlSD_SE_SE_EEEEZNS1_13binary_searchIS3_S5_NSA_INS8_10device_ptrIiEEEESG_SI_NS1_21upper_bound_search_opENS9_16wrapped_functionINS8_6system6detail7generic6detail18binary_search_lessEbEEEE10hipError_tPvRmT1_T2_T3_mmT4_T5_P12ihipStream_tbEUlRKiE_EESV_SZ_S10_mS11_S14_bEUlT_E_NS1_11comp_targetILNS1_3genE10ELNS1_11target_archE1200ELNS1_3gpuE4ELNS1_3repE0EEENS1_30default_config_static_selectorELNS0_4arch9wavefront6targetE0EEEvSY_, .Lfunc_end578-_ZN7rocprim17ROCPRIM_400000_NS6detail17trampoline_kernelINS0_14default_configENS1_27upper_bound_config_selectorIilEEZNS1_14transform_implILb0ES3_S5_N6thrust23THRUST_200600_302600_NS6detail15normal_iteratorINS8_7pointerIiNS8_11hip_rocprim12par_nosync_tENS8_11use_defaultESE_EEEENSA_INSB_IlSD_SE_SE_EEEEZNS1_13binary_searchIS3_S5_NSA_INS8_10device_ptrIiEEEESG_SI_NS1_21upper_bound_search_opENS9_16wrapped_functionINS8_6system6detail7generic6detail18binary_search_lessEbEEEE10hipError_tPvRmT1_T2_T3_mmT4_T5_P12ihipStream_tbEUlRKiE_EESV_SZ_S10_mS11_S14_bEUlT_E_NS1_11comp_targetILNS1_3genE10ELNS1_11target_archE1200ELNS1_3gpuE4ELNS1_3repE0EEENS1_30default_config_static_selectorELNS0_4arch9wavefront6targetE0EEEvSY_
                                        ; -- End function
	.set _ZN7rocprim17ROCPRIM_400000_NS6detail17trampoline_kernelINS0_14default_configENS1_27upper_bound_config_selectorIilEEZNS1_14transform_implILb0ES3_S5_N6thrust23THRUST_200600_302600_NS6detail15normal_iteratorINS8_7pointerIiNS8_11hip_rocprim12par_nosync_tENS8_11use_defaultESE_EEEENSA_INSB_IlSD_SE_SE_EEEEZNS1_13binary_searchIS3_S5_NSA_INS8_10device_ptrIiEEEESG_SI_NS1_21upper_bound_search_opENS9_16wrapped_functionINS8_6system6detail7generic6detail18binary_search_lessEbEEEE10hipError_tPvRmT1_T2_T3_mmT4_T5_P12ihipStream_tbEUlRKiE_EESV_SZ_S10_mS11_S14_bEUlT_E_NS1_11comp_targetILNS1_3genE10ELNS1_11target_archE1200ELNS1_3gpuE4ELNS1_3repE0EEENS1_30default_config_static_selectorELNS0_4arch9wavefront6targetE0EEEvSY_.num_vgpr, 0
	.set _ZN7rocprim17ROCPRIM_400000_NS6detail17trampoline_kernelINS0_14default_configENS1_27upper_bound_config_selectorIilEEZNS1_14transform_implILb0ES3_S5_N6thrust23THRUST_200600_302600_NS6detail15normal_iteratorINS8_7pointerIiNS8_11hip_rocprim12par_nosync_tENS8_11use_defaultESE_EEEENSA_INSB_IlSD_SE_SE_EEEEZNS1_13binary_searchIS3_S5_NSA_INS8_10device_ptrIiEEEESG_SI_NS1_21upper_bound_search_opENS9_16wrapped_functionINS8_6system6detail7generic6detail18binary_search_lessEbEEEE10hipError_tPvRmT1_T2_T3_mmT4_T5_P12ihipStream_tbEUlRKiE_EESV_SZ_S10_mS11_S14_bEUlT_E_NS1_11comp_targetILNS1_3genE10ELNS1_11target_archE1200ELNS1_3gpuE4ELNS1_3repE0EEENS1_30default_config_static_selectorELNS0_4arch9wavefront6targetE0EEEvSY_.num_agpr, 0
	.set _ZN7rocprim17ROCPRIM_400000_NS6detail17trampoline_kernelINS0_14default_configENS1_27upper_bound_config_selectorIilEEZNS1_14transform_implILb0ES3_S5_N6thrust23THRUST_200600_302600_NS6detail15normal_iteratorINS8_7pointerIiNS8_11hip_rocprim12par_nosync_tENS8_11use_defaultESE_EEEENSA_INSB_IlSD_SE_SE_EEEEZNS1_13binary_searchIS3_S5_NSA_INS8_10device_ptrIiEEEESG_SI_NS1_21upper_bound_search_opENS9_16wrapped_functionINS8_6system6detail7generic6detail18binary_search_lessEbEEEE10hipError_tPvRmT1_T2_T3_mmT4_T5_P12ihipStream_tbEUlRKiE_EESV_SZ_S10_mS11_S14_bEUlT_E_NS1_11comp_targetILNS1_3genE10ELNS1_11target_archE1200ELNS1_3gpuE4ELNS1_3repE0EEENS1_30default_config_static_selectorELNS0_4arch9wavefront6targetE0EEEvSY_.numbered_sgpr, 0
	.set _ZN7rocprim17ROCPRIM_400000_NS6detail17trampoline_kernelINS0_14default_configENS1_27upper_bound_config_selectorIilEEZNS1_14transform_implILb0ES3_S5_N6thrust23THRUST_200600_302600_NS6detail15normal_iteratorINS8_7pointerIiNS8_11hip_rocprim12par_nosync_tENS8_11use_defaultESE_EEEENSA_INSB_IlSD_SE_SE_EEEEZNS1_13binary_searchIS3_S5_NSA_INS8_10device_ptrIiEEEESG_SI_NS1_21upper_bound_search_opENS9_16wrapped_functionINS8_6system6detail7generic6detail18binary_search_lessEbEEEE10hipError_tPvRmT1_T2_T3_mmT4_T5_P12ihipStream_tbEUlRKiE_EESV_SZ_S10_mS11_S14_bEUlT_E_NS1_11comp_targetILNS1_3genE10ELNS1_11target_archE1200ELNS1_3gpuE4ELNS1_3repE0EEENS1_30default_config_static_selectorELNS0_4arch9wavefront6targetE0EEEvSY_.num_named_barrier, 0
	.set _ZN7rocprim17ROCPRIM_400000_NS6detail17trampoline_kernelINS0_14default_configENS1_27upper_bound_config_selectorIilEEZNS1_14transform_implILb0ES3_S5_N6thrust23THRUST_200600_302600_NS6detail15normal_iteratorINS8_7pointerIiNS8_11hip_rocprim12par_nosync_tENS8_11use_defaultESE_EEEENSA_INSB_IlSD_SE_SE_EEEEZNS1_13binary_searchIS3_S5_NSA_INS8_10device_ptrIiEEEESG_SI_NS1_21upper_bound_search_opENS9_16wrapped_functionINS8_6system6detail7generic6detail18binary_search_lessEbEEEE10hipError_tPvRmT1_T2_T3_mmT4_T5_P12ihipStream_tbEUlRKiE_EESV_SZ_S10_mS11_S14_bEUlT_E_NS1_11comp_targetILNS1_3genE10ELNS1_11target_archE1200ELNS1_3gpuE4ELNS1_3repE0EEENS1_30default_config_static_selectorELNS0_4arch9wavefront6targetE0EEEvSY_.private_seg_size, 0
	.set _ZN7rocprim17ROCPRIM_400000_NS6detail17trampoline_kernelINS0_14default_configENS1_27upper_bound_config_selectorIilEEZNS1_14transform_implILb0ES3_S5_N6thrust23THRUST_200600_302600_NS6detail15normal_iteratorINS8_7pointerIiNS8_11hip_rocprim12par_nosync_tENS8_11use_defaultESE_EEEENSA_INSB_IlSD_SE_SE_EEEEZNS1_13binary_searchIS3_S5_NSA_INS8_10device_ptrIiEEEESG_SI_NS1_21upper_bound_search_opENS9_16wrapped_functionINS8_6system6detail7generic6detail18binary_search_lessEbEEEE10hipError_tPvRmT1_T2_T3_mmT4_T5_P12ihipStream_tbEUlRKiE_EESV_SZ_S10_mS11_S14_bEUlT_E_NS1_11comp_targetILNS1_3genE10ELNS1_11target_archE1200ELNS1_3gpuE4ELNS1_3repE0EEENS1_30default_config_static_selectorELNS0_4arch9wavefront6targetE0EEEvSY_.uses_vcc, 0
	.set _ZN7rocprim17ROCPRIM_400000_NS6detail17trampoline_kernelINS0_14default_configENS1_27upper_bound_config_selectorIilEEZNS1_14transform_implILb0ES3_S5_N6thrust23THRUST_200600_302600_NS6detail15normal_iteratorINS8_7pointerIiNS8_11hip_rocprim12par_nosync_tENS8_11use_defaultESE_EEEENSA_INSB_IlSD_SE_SE_EEEEZNS1_13binary_searchIS3_S5_NSA_INS8_10device_ptrIiEEEESG_SI_NS1_21upper_bound_search_opENS9_16wrapped_functionINS8_6system6detail7generic6detail18binary_search_lessEbEEEE10hipError_tPvRmT1_T2_T3_mmT4_T5_P12ihipStream_tbEUlRKiE_EESV_SZ_S10_mS11_S14_bEUlT_E_NS1_11comp_targetILNS1_3genE10ELNS1_11target_archE1200ELNS1_3gpuE4ELNS1_3repE0EEENS1_30default_config_static_selectorELNS0_4arch9wavefront6targetE0EEEvSY_.uses_flat_scratch, 0
	.set _ZN7rocprim17ROCPRIM_400000_NS6detail17trampoline_kernelINS0_14default_configENS1_27upper_bound_config_selectorIilEEZNS1_14transform_implILb0ES3_S5_N6thrust23THRUST_200600_302600_NS6detail15normal_iteratorINS8_7pointerIiNS8_11hip_rocprim12par_nosync_tENS8_11use_defaultESE_EEEENSA_INSB_IlSD_SE_SE_EEEEZNS1_13binary_searchIS3_S5_NSA_INS8_10device_ptrIiEEEESG_SI_NS1_21upper_bound_search_opENS9_16wrapped_functionINS8_6system6detail7generic6detail18binary_search_lessEbEEEE10hipError_tPvRmT1_T2_T3_mmT4_T5_P12ihipStream_tbEUlRKiE_EESV_SZ_S10_mS11_S14_bEUlT_E_NS1_11comp_targetILNS1_3genE10ELNS1_11target_archE1200ELNS1_3gpuE4ELNS1_3repE0EEENS1_30default_config_static_selectorELNS0_4arch9wavefront6targetE0EEEvSY_.has_dyn_sized_stack, 0
	.set _ZN7rocprim17ROCPRIM_400000_NS6detail17trampoline_kernelINS0_14default_configENS1_27upper_bound_config_selectorIilEEZNS1_14transform_implILb0ES3_S5_N6thrust23THRUST_200600_302600_NS6detail15normal_iteratorINS8_7pointerIiNS8_11hip_rocprim12par_nosync_tENS8_11use_defaultESE_EEEENSA_INSB_IlSD_SE_SE_EEEEZNS1_13binary_searchIS3_S5_NSA_INS8_10device_ptrIiEEEESG_SI_NS1_21upper_bound_search_opENS9_16wrapped_functionINS8_6system6detail7generic6detail18binary_search_lessEbEEEE10hipError_tPvRmT1_T2_T3_mmT4_T5_P12ihipStream_tbEUlRKiE_EESV_SZ_S10_mS11_S14_bEUlT_E_NS1_11comp_targetILNS1_3genE10ELNS1_11target_archE1200ELNS1_3gpuE4ELNS1_3repE0EEENS1_30default_config_static_selectorELNS0_4arch9wavefront6targetE0EEEvSY_.has_recursion, 0
	.set _ZN7rocprim17ROCPRIM_400000_NS6detail17trampoline_kernelINS0_14default_configENS1_27upper_bound_config_selectorIilEEZNS1_14transform_implILb0ES3_S5_N6thrust23THRUST_200600_302600_NS6detail15normal_iteratorINS8_7pointerIiNS8_11hip_rocprim12par_nosync_tENS8_11use_defaultESE_EEEENSA_INSB_IlSD_SE_SE_EEEEZNS1_13binary_searchIS3_S5_NSA_INS8_10device_ptrIiEEEESG_SI_NS1_21upper_bound_search_opENS9_16wrapped_functionINS8_6system6detail7generic6detail18binary_search_lessEbEEEE10hipError_tPvRmT1_T2_T3_mmT4_T5_P12ihipStream_tbEUlRKiE_EESV_SZ_S10_mS11_S14_bEUlT_E_NS1_11comp_targetILNS1_3genE10ELNS1_11target_archE1200ELNS1_3gpuE4ELNS1_3repE0EEENS1_30default_config_static_selectorELNS0_4arch9wavefront6targetE0EEEvSY_.has_indirect_call, 0
	.section	.AMDGPU.csdata,"",@progbits
; Kernel info:
; codeLenInByte = 0
; TotalNumSgprs: 0
; NumVgprs: 0
; ScratchSize: 0
; MemoryBound: 0
; FloatMode: 240
; IeeeMode: 1
; LDSByteSize: 0 bytes/workgroup (compile time only)
; SGPRBlocks: 0
; VGPRBlocks: 0
; NumSGPRsForWavesPerEU: 1
; NumVGPRsForWavesPerEU: 1
; Occupancy: 16
; WaveLimiterHint : 0
; COMPUTE_PGM_RSRC2:SCRATCH_EN: 0
; COMPUTE_PGM_RSRC2:USER_SGPR: 6
; COMPUTE_PGM_RSRC2:TRAP_HANDLER: 0
; COMPUTE_PGM_RSRC2:TGID_X_EN: 1
; COMPUTE_PGM_RSRC2:TGID_Y_EN: 0
; COMPUTE_PGM_RSRC2:TGID_Z_EN: 0
; COMPUTE_PGM_RSRC2:TIDIG_COMP_CNT: 0
	.section	.text._ZN7rocprim17ROCPRIM_400000_NS6detail17trampoline_kernelINS0_14default_configENS1_27upper_bound_config_selectorIilEEZNS1_14transform_implILb0ES3_S5_N6thrust23THRUST_200600_302600_NS6detail15normal_iteratorINS8_7pointerIiNS8_11hip_rocprim12par_nosync_tENS8_11use_defaultESE_EEEENSA_INSB_IlSD_SE_SE_EEEEZNS1_13binary_searchIS3_S5_NSA_INS8_10device_ptrIiEEEESG_SI_NS1_21upper_bound_search_opENS9_16wrapped_functionINS8_6system6detail7generic6detail18binary_search_lessEbEEEE10hipError_tPvRmT1_T2_T3_mmT4_T5_P12ihipStream_tbEUlRKiE_EESV_SZ_S10_mS11_S14_bEUlT_E_NS1_11comp_targetILNS1_3genE9ELNS1_11target_archE1100ELNS1_3gpuE3ELNS1_3repE0EEENS1_30default_config_static_selectorELNS0_4arch9wavefront6targetE0EEEvSY_,"axG",@progbits,_ZN7rocprim17ROCPRIM_400000_NS6detail17trampoline_kernelINS0_14default_configENS1_27upper_bound_config_selectorIilEEZNS1_14transform_implILb0ES3_S5_N6thrust23THRUST_200600_302600_NS6detail15normal_iteratorINS8_7pointerIiNS8_11hip_rocprim12par_nosync_tENS8_11use_defaultESE_EEEENSA_INSB_IlSD_SE_SE_EEEEZNS1_13binary_searchIS3_S5_NSA_INS8_10device_ptrIiEEEESG_SI_NS1_21upper_bound_search_opENS9_16wrapped_functionINS8_6system6detail7generic6detail18binary_search_lessEbEEEE10hipError_tPvRmT1_T2_T3_mmT4_T5_P12ihipStream_tbEUlRKiE_EESV_SZ_S10_mS11_S14_bEUlT_E_NS1_11comp_targetILNS1_3genE9ELNS1_11target_archE1100ELNS1_3gpuE3ELNS1_3repE0EEENS1_30default_config_static_selectorELNS0_4arch9wavefront6targetE0EEEvSY_,comdat
	.protected	_ZN7rocprim17ROCPRIM_400000_NS6detail17trampoline_kernelINS0_14default_configENS1_27upper_bound_config_selectorIilEEZNS1_14transform_implILb0ES3_S5_N6thrust23THRUST_200600_302600_NS6detail15normal_iteratorINS8_7pointerIiNS8_11hip_rocprim12par_nosync_tENS8_11use_defaultESE_EEEENSA_INSB_IlSD_SE_SE_EEEEZNS1_13binary_searchIS3_S5_NSA_INS8_10device_ptrIiEEEESG_SI_NS1_21upper_bound_search_opENS9_16wrapped_functionINS8_6system6detail7generic6detail18binary_search_lessEbEEEE10hipError_tPvRmT1_T2_T3_mmT4_T5_P12ihipStream_tbEUlRKiE_EESV_SZ_S10_mS11_S14_bEUlT_E_NS1_11comp_targetILNS1_3genE9ELNS1_11target_archE1100ELNS1_3gpuE3ELNS1_3repE0EEENS1_30default_config_static_selectorELNS0_4arch9wavefront6targetE0EEEvSY_ ; -- Begin function _ZN7rocprim17ROCPRIM_400000_NS6detail17trampoline_kernelINS0_14default_configENS1_27upper_bound_config_selectorIilEEZNS1_14transform_implILb0ES3_S5_N6thrust23THRUST_200600_302600_NS6detail15normal_iteratorINS8_7pointerIiNS8_11hip_rocprim12par_nosync_tENS8_11use_defaultESE_EEEENSA_INSB_IlSD_SE_SE_EEEEZNS1_13binary_searchIS3_S5_NSA_INS8_10device_ptrIiEEEESG_SI_NS1_21upper_bound_search_opENS9_16wrapped_functionINS8_6system6detail7generic6detail18binary_search_lessEbEEEE10hipError_tPvRmT1_T2_T3_mmT4_T5_P12ihipStream_tbEUlRKiE_EESV_SZ_S10_mS11_S14_bEUlT_E_NS1_11comp_targetILNS1_3genE9ELNS1_11target_archE1100ELNS1_3gpuE3ELNS1_3repE0EEENS1_30default_config_static_selectorELNS0_4arch9wavefront6targetE0EEEvSY_
	.globl	_ZN7rocprim17ROCPRIM_400000_NS6detail17trampoline_kernelINS0_14default_configENS1_27upper_bound_config_selectorIilEEZNS1_14transform_implILb0ES3_S5_N6thrust23THRUST_200600_302600_NS6detail15normal_iteratorINS8_7pointerIiNS8_11hip_rocprim12par_nosync_tENS8_11use_defaultESE_EEEENSA_INSB_IlSD_SE_SE_EEEEZNS1_13binary_searchIS3_S5_NSA_INS8_10device_ptrIiEEEESG_SI_NS1_21upper_bound_search_opENS9_16wrapped_functionINS8_6system6detail7generic6detail18binary_search_lessEbEEEE10hipError_tPvRmT1_T2_T3_mmT4_T5_P12ihipStream_tbEUlRKiE_EESV_SZ_S10_mS11_S14_bEUlT_E_NS1_11comp_targetILNS1_3genE9ELNS1_11target_archE1100ELNS1_3gpuE3ELNS1_3repE0EEENS1_30default_config_static_selectorELNS0_4arch9wavefront6targetE0EEEvSY_
	.p2align	8
	.type	_ZN7rocprim17ROCPRIM_400000_NS6detail17trampoline_kernelINS0_14default_configENS1_27upper_bound_config_selectorIilEEZNS1_14transform_implILb0ES3_S5_N6thrust23THRUST_200600_302600_NS6detail15normal_iteratorINS8_7pointerIiNS8_11hip_rocprim12par_nosync_tENS8_11use_defaultESE_EEEENSA_INSB_IlSD_SE_SE_EEEEZNS1_13binary_searchIS3_S5_NSA_INS8_10device_ptrIiEEEESG_SI_NS1_21upper_bound_search_opENS9_16wrapped_functionINS8_6system6detail7generic6detail18binary_search_lessEbEEEE10hipError_tPvRmT1_T2_T3_mmT4_T5_P12ihipStream_tbEUlRKiE_EESV_SZ_S10_mS11_S14_bEUlT_E_NS1_11comp_targetILNS1_3genE9ELNS1_11target_archE1100ELNS1_3gpuE3ELNS1_3repE0EEENS1_30default_config_static_selectorELNS0_4arch9wavefront6targetE0EEEvSY_,@function
_ZN7rocprim17ROCPRIM_400000_NS6detail17trampoline_kernelINS0_14default_configENS1_27upper_bound_config_selectorIilEEZNS1_14transform_implILb0ES3_S5_N6thrust23THRUST_200600_302600_NS6detail15normal_iteratorINS8_7pointerIiNS8_11hip_rocprim12par_nosync_tENS8_11use_defaultESE_EEEENSA_INSB_IlSD_SE_SE_EEEEZNS1_13binary_searchIS3_S5_NSA_INS8_10device_ptrIiEEEESG_SI_NS1_21upper_bound_search_opENS9_16wrapped_functionINS8_6system6detail7generic6detail18binary_search_lessEbEEEE10hipError_tPvRmT1_T2_T3_mmT4_T5_P12ihipStream_tbEUlRKiE_EESV_SZ_S10_mS11_S14_bEUlT_E_NS1_11comp_targetILNS1_3genE9ELNS1_11target_archE1100ELNS1_3gpuE3ELNS1_3repE0EEENS1_30default_config_static_selectorELNS0_4arch9wavefront6targetE0EEEvSY_: ; @_ZN7rocprim17ROCPRIM_400000_NS6detail17trampoline_kernelINS0_14default_configENS1_27upper_bound_config_selectorIilEEZNS1_14transform_implILb0ES3_S5_N6thrust23THRUST_200600_302600_NS6detail15normal_iteratorINS8_7pointerIiNS8_11hip_rocprim12par_nosync_tENS8_11use_defaultESE_EEEENSA_INSB_IlSD_SE_SE_EEEEZNS1_13binary_searchIS3_S5_NSA_INS8_10device_ptrIiEEEESG_SI_NS1_21upper_bound_search_opENS9_16wrapped_functionINS8_6system6detail7generic6detail18binary_search_lessEbEEEE10hipError_tPvRmT1_T2_T3_mmT4_T5_P12ihipStream_tbEUlRKiE_EESV_SZ_S10_mS11_S14_bEUlT_E_NS1_11comp_targetILNS1_3genE9ELNS1_11target_archE1100ELNS1_3gpuE3ELNS1_3repE0EEENS1_30default_config_static_selectorELNS0_4arch9wavefront6targetE0EEEvSY_
; %bb.0:
	.section	.rodata,"a",@progbits
	.p2align	6, 0x0
	.amdhsa_kernel _ZN7rocprim17ROCPRIM_400000_NS6detail17trampoline_kernelINS0_14default_configENS1_27upper_bound_config_selectorIilEEZNS1_14transform_implILb0ES3_S5_N6thrust23THRUST_200600_302600_NS6detail15normal_iteratorINS8_7pointerIiNS8_11hip_rocprim12par_nosync_tENS8_11use_defaultESE_EEEENSA_INSB_IlSD_SE_SE_EEEEZNS1_13binary_searchIS3_S5_NSA_INS8_10device_ptrIiEEEESG_SI_NS1_21upper_bound_search_opENS9_16wrapped_functionINS8_6system6detail7generic6detail18binary_search_lessEbEEEE10hipError_tPvRmT1_T2_T3_mmT4_T5_P12ihipStream_tbEUlRKiE_EESV_SZ_S10_mS11_S14_bEUlT_E_NS1_11comp_targetILNS1_3genE9ELNS1_11target_archE1100ELNS1_3gpuE3ELNS1_3repE0EEENS1_30default_config_static_selectorELNS0_4arch9wavefront6targetE0EEEvSY_
		.amdhsa_group_segment_fixed_size 0
		.amdhsa_private_segment_fixed_size 0
		.amdhsa_kernarg_size 56
		.amdhsa_user_sgpr_count 6
		.amdhsa_user_sgpr_private_segment_buffer 1
		.amdhsa_user_sgpr_dispatch_ptr 0
		.amdhsa_user_sgpr_queue_ptr 0
		.amdhsa_user_sgpr_kernarg_segment_ptr 1
		.amdhsa_user_sgpr_dispatch_id 0
		.amdhsa_user_sgpr_flat_scratch_init 0
		.amdhsa_user_sgpr_private_segment_size 0
		.amdhsa_wavefront_size32 1
		.amdhsa_uses_dynamic_stack 0
		.amdhsa_system_sgpr_private_segment_wavefront_offset 0
		.amdhsa_system_sgpr_workgroup_id_x 1
		.amdhsa_system_sgpr_workgroup_id_y 0
		.amdhsa_system_sgpr_workgroup_id_z 0
		.amdhsa_system_sgpr_workgroup_info 0
		.amdhsa_system_vgpr_workitem_id 0
		.amdhsa_next_free_vgpr 1
		.amdhsa_next_free_sgpr 1
		.amdhsa_reserve_vcc 0
		.amdhsa_reserve_flat_scratch 0
		.amdhsa_float_round_mode_32 0
		.amdhsa_float_round_mode_16_64 0
		.amdhsa_float_denorm_mode_32 3
		.amdhsa_float_denorm_mode_16_64 3
		.amdhsa_dx10_clamp 1
		.amdhsa_ieee_mode 1
		.amdhsa_fp16_overflow 0
		.amdhsa_workgroup_processor_mode 1
		.amdhsa_memory_ordered 1
		.amdhsa_forward_progress 1
		.amdhsa_shared_vgpr_count 0
		.amdhsa_exception_fp_ieee_invalid_op 0
		.amdhsa_exception_fp_denorm_src 0
		.amdhsa_exception_fp_ieee_div_zero 0
		.amdhsa_exception_fp_ieee_overflow 0
		.amdhsa_exception_fp_ieee_underflow 0
		.amdhsa_exception_fp_ieee_inexact 0
		.amdhsa_exception_int_div_zero 0
	.end_amdhsa_kernel
	.section	.text._ZN7rocprim17ROCPRIM_400000_NS6detail17trampoline_kernelINS0_14default_configENS1_27upper_bound_config_selectorIilEEZNS1_14transform_implILb0ES3_S5_N6thrust23THRUST_200600_302600_NS6detail15normal_iteratorINS8_7pointerIiNS8_11hip_rocprim12par_nosync_tENS8_11use_defaultESE_EEEENSA_INSB_IlSD_SE_SE_EEEEZNS1_13binary_searchIS3_S5_NSA_INS8_10device_ptrIiEEEESG_SI_NS1_21upper_bound_search_opENS9_16wrapped_functionINS8_6system6detail7generic6detail18binary_search_lessEbEEEE10hipError_tPvRmT1_T2_T3_mmT4_T5_P12ihipStream_tbEUlRKiE_EESV_SZ_S10_mS11_S14_bEUlT_E_NS1_11comp_targetILNS1_3genE9ELNS1_11target_archE1100ELNS1_3gpuE3ELNS1_3repE0EEENS1_30default_config_static_selectorELNS0_4arch9wavefront6targetE0EEEvSY_,"axG",@progbits,_ZN7rocprim17ROCPRIM_400000_NS6detail17trampoline_kernelINS0_14default_configENS1_27upper_bound_config_selectorIilEEZNS1_14transform_implILb0ES3_S5_N6thrust23THRUST_200600_302600_NS6detail15normal_iteratorINS8_7pointerIiNS8_11hip_rocprim12par_nosync_tENS8_11use_defaultESE_EEEENSA_INSB_IlSD_SE_SE_EEEEZNS1_13binary_searchIS3_S5_NSA_INS8_10device_ptrIiEEEESG_SI_NS1_21upper_bound_search_opENS9_16wrapped_functionINS8_6system6detail7generic6detail18binary_search_lessEbEEEE10hipError_tPvRmT1_T2_T3_mmT4_T5_P12ihipStream_tbEUlRKiE_EESV_SZ_S10_mS11_S14_bEUlT_E_NS1_11comp_targetILNS1_3genE9ELNS1_11target_archE1100ELNS1_3gpuE3ELNS1_3repE0EEENS1_30default_config_static_selectorELNS0_4arch9wavefront6targetE0EEEvSY_,comdat
.Lfunc_end579:
	.size	_ZN7rocprim17ROCPRIM_400000_NS6detail17trampoline_kernelINS0_14default_configENS1_27upper_bound_config_selectorIilEEZNS1_14transform_implILb0ES3_S5_N6thrust23THRUST_200600_302600_NS6detail15normal_iteratorINS8_7pointerIiNS8_11hip_rocprim12par_nosync_tENS8_11use_defaultESE_EEEENSA_INSB_IlSD_SE_SE_EEEEZNS1_13binary_searchIS3_S5_NSA_INS8_10device_ptrIiEEEESG_SI_NS1_21upper_bound_search_opENS9_16wrapped_functionINS8_6system6detail7generic6detail18binary_search_lessEbEEEE10hipError_tPvRmT1_T2_T3_mmT4_T5_P12ihipStream_tbEUlRKiE_EESV_SZ_S10_mS11_S14_bEUlT_E_NS1_11comp_targetILNS1_3genE9ELNS1_11target_archE1100ELNS1_3gpuE3ELNS1_3repE0EEENS1_30default_config_static_selectorELNS0_4arch9wavefront6targetE0EEEvSY_, .Lfunc_end579-_ZN7rocprim17ROCPRIM_400000_NS6detail17trampoline_kernelINS0_14default_configENS1_27upper_bound_config_selectorIilEEZNS1_14transform_implILb0ES3_S5_N6thrust23THRUST_200600_302600_NS6detail15normal_iteratorINS8_7pointerIiNS8_11hip_rocprim12par_nosync_tENS8_11use_defaultESE_EEEENSA_INSB_IlSD_SE_SE_EEEEZNS1_13binary_searchIS3_S5_NSA_INS8_10device_ptrIiEEEESG_SI_NS1_21upper_bound_search_opENS9_16wrapped_functionINS8_6system6detail7generic6detail18binary_search_lessEbEEEE10hipError_tPvRmT1_T2_T3_mmT4_T5_P12ihipStream_tbEUlRKiE_EESV_SZ_S10_mS11_S14_bEUlT_E_NS1_11comp_targetILNS1_3genE9ELNS1_11target_archE1100ELNS1_3gpuE3ELNS1_3repE0EEENS1_30default_config_static_selectorELNS0_4arch9wavefront6targetE0EEEvSY_
                                        ; -- End function
	.set _ZN7rocprim17ROCPRIM_400000_NS6detail17trampoline_kernelINS0_14default_configENS1_27upper_bound_config_selectorIilEEZNS1_14transform_implILb0ES3_S5_N6thrust23THRUST_200600_302600_NS6detail15normal_iteratorINS8_7pointerIiNS8_11hip_rocprim12par_nosync_tENS8_11use_defaultESE_EEEENSA_INSB_IlSD_SE_SE_EEEEZNS1_13binary_searchIS3_S5_NSA_INS8_10device_ptrIiEEEESG_SI_NS1_21upper_bound_search_opENS9_16wrapped_functionINS8_6system6detail7generic6detail18binary_search_lessEbEEEE10hipError_tPvRmT1_T2_T3_mmT4_T5_P12ihipStream_tbEUlRKiE_EESV_SZ_S10_mS11_S14_bEUlT_E_NS1_11comp_targetILNS1_3genE9ELNS1_11target_archE1100ELNS1_3gpuE3ELNS1_3repE0EEENS1_30default_config_static_selectorELNS0_4arch9wavefront6targetE0EEEvSY_.num_vgpr, 0
	.set _ZN7rocprim17ROCPRIM_400000_NS6detail17trampoline_kernelINS0_14default_configENS1_27upper_bound_config_selectorIilEEZNS1_14transform_implILb0ES3_S5_N6thrust23THRUST_200600_302600_NS6detail15normal_iteratorINS8_7pointerIiNS8_11hip_rocprim12par_nosync_tENS8_11use_defaultESE_EEEENSA_INSB_IlSD_SE_SE_EEEEZNS1_13binary_searchIS3_S5_NSA_INS8_10device_ptrIiEEEESG_SI_NS1_21upper_bound_search_opENS9_16wrapped_functionINS8_6system6detail7generic6detail18binary_search_lessEbEEEE10hipError_tPvRmT1_T2_T3_mmT4_T5_P12ihipStream_tbEUlRKiE_EESV_SZ_S10_mS11_S14_bEUlT_E_NS1_11comp_targetILNS1_3genE9ELNS1_11target_archE1100ELNS1_3gpuE3ELNS1_3repE0EEENS1_30default_config_static_selectorELNS0_4arch9wavefront6targetE0EEEvSY_.num_agpr, 0
	.set _ZN7rocprim17ROCPRIM_400000_NS6detail17trampoline_kernelINS0_14default_configENS1_27upper_bound_config_selectorIilEEZNS1_14transform_implILb0ES3_S5_N6thrust23THRUST_200600_302600_NS6detail15normal_iteratorINS8_7pointerIiNS8_11hip_rocprim12par_nosync_tENS8_11use_defaultESE_EEEENSA_INSB_IlSD_SE_SE_EEEEZNS1_13binary_searchIS3_S5_NSA_INS8_10device_ptrIiEEEESG_SI_NS1_21upper_bound_search_opENS9_16wrapped_functionINS8_6system6detail7generic6detail18binary_search_lessEbEEEE10hipError_tPvRmT1_T2_T3_mmT4_T5_P12ihipStream_tbEUlRKiE_EESV_SZ_S10_mS11_S14_bEUlT_E_NS1_11comp_targetILNS1_3genE9ELNS1_11target_archE1100ELNS1_3gpuE3ELNS1_3repE0EEENS1_30default_config_static_selectorELNS0_4arch9wavefront6targetE0EEEvSY_.numbered_sgpr, 0
	.set _ZN7rocprim17ROCPRIM_400000_NS6detail17trampoline_kernelINS0_14default_configENS1_27upper_bound_config_selectorIilEEZNS1_14transform_implILb0ES3_S5_N6thrust23THRUST_200600_302600_NS6detail15normal_iteratorINS8_7pointerIiNS8_11hip_rocprim12par_nosync_tENS8_11use_defaultESE_EEEENSA_INSB_IlSD_SE_SE_EEEEZNS1_13binary_searchIS3_S5_NSA_INS8_10device_ptrIiEEEESG_SI_NS1_21upper_bound_search_opENS9_16wrapped_functionINS8_6system6detail7generic6detail18binary_search_lessEbEEEE10hipError_tPvRmT1_T2_T3_mmT4_T5_P12ihipStream_tbEUlRKiE_EESV_SZ_S10_mS11_S14_bEUlT_E_NS1_11comp_targetILNS1_3genE9ELNS1_11target_archE1100ELNS1_3gpuE3ELNS1_3repE0EEENS1_30default_config_static_selectorELNS0_4arch9wavefront6targetE0EEEvSY_.num_named_barrier, 0
	.set _ZN7rocprim17ROCPRIM_400000_NS6detail17trampoline_kernelINS0_14default_configENS1_27upper_bound_config_selectorIilEEZNS1_14transform_implILb0ES3_S5_N6thrust23THRUST_200600_302600_NS6detail15normal_iteratorINS8_7pointerIiNS8_11hip_rocprim12par_nosync_tENS8_11use_defaultESE_EEEENSA_INSB_IlSD_SE_SE_EEEEZNS1_13binary_searchIS3_S5_NSA_INS8_10device_ptrIiEEEESG_SI_NS1_21upper_bound_search_opENS9_16wrapped_functionINS8_6system6detail7generic6detail18binary_search_lessEbEEEE10hipError_tPvRmT1_T2_T3_mmT4_T5_P12ihipStream_tbEUlRKiE_EESV_SZ_S10_mS11_S14_bEUlT_E_NS1_11comp_targetILNS1_3genE9ELNS1_11target_archE1100ELNS1_3gpuE3ELNS1_3repE0EEENS1_30default_config_static_selectorELNS0_4arch9wavefront6targetE0EEEvSY_.private_seg_size, 0
	.set _ZN7rocprim17ROCPRIM_400000_NS6detail17trampoline_kernelINS0_14default_configENS1_27upper_bound_config_selectorIilEEZNS1_14transform_implILb0ES3_S5_N6thrust23THRUST_200600_302600_NS6detail15normal_iteratorINS8_7pointerIiNS8_11hip_rocprim12par_nosync_tENS8_11use_defaultESE_EEEENSA_INSB_IlSD_SE_SE_EEEEZNS1_13binary_searchIS3_S5_NSA_INS8_10device_ptrIiEEEESG_SI_NS1_21upper_bound_search_opENS9_16wrapped_functionINS8_6system6detail7generic6detail18binary_search_lessEbEEEE10hipError_tPvRmT1_T2_T3_mmT4_T5_P12ihipStream_tbEUlRKiE_EESV_SZ_S10_mS11_S14_bEUlT_E_NS1_11comp_targetILNS1_3genE9ELNS1_11target_archE1100ELNS1_3gpuE3ELNS1_3repE0EEENS1_30default_config_static_selectorELNS0_4arch9wavefront6targetE0EEEvSY_.uses_vcc, 0
	.set _ZN7rocprim17ROCPRIM_400000_NS6detail17trampoline_kernelINS0_14default_configENS1_27upper_bound_config_selectorIilEEZNS1_14transform_implILb0ES3_S5_N6thrust23THRUST_200600_302600_NS6detail15normal_iteratorINS8_7pointerIiNS8_11hip_rocprim12par_nosync_tENS8_11use_defaultESE_EEEENSA_INSB_IlSD_SE_SE_EEEEZNS1_13binary_searchIS3_S5_NSA_INS8_10device_ptrIiEEEESG_SI_NS1_21upper_bound_search_opENS9_16wrapped_functionINS8_6system6detail7generic6detail18binary_search_lessEbEEEE10hipError_tPvRmT1_T2_T3_mmT4_T5_P12ihipStream_tbEUlRKiE_EESV_SZ_S10_mS11_S14_bEUlT_E_NS1_11comp_targetILNS1_3genE9ELNS1_11target_archE1100ELNS1_3gpuE3ELNS1_3repE0EEENS1_30default_config_static_selectorELNS0_4arch9wavefront6targetE0EEEvSY_.uses_flat_scratch, 0
	.set _ZN7rocprim17ROCPRIM_400000_NS6detail17trampoline_kernelINS0_14default_configENS1_27upper_bound_config_selectorIilEEZNS1_14transform_implILb0ES3_S5_N6thrust23THRUST_200600_302600_NS6detail15normal_iteratorINS8_7pointerIiNS8_11hip_rocprim12par_nosync_tENS8_11use_defaultESE_EEEENSA_INSB_IlSD_SE_SE_EEEEZNS1_13binary_searchIS3_S5_NSA_INS8_10device_ptrIiEEEESG_SI_NS1_21upper_bound_search_opENS9_16wrapped_functionINS8_6system6detail7generic6detail18binary_search_lessEbEEEE10hipError_tPvRmT1_T2_T3_mmT4_T5_P12ihipStream_tbEUlRKiE_EESV_SZ_S10_mS11_S14_bEUlT_E_NS1_11comp_targetILNS1_3genE9ELNS1_11target_archE1100ELNS1_3gpuE3ELNS1_3repE0EEENS1_30default_config_static_selectorELNS0_4arch9wavefront6targetE0EEEvSY_.has_dyn_sized_stack, 0
	.set _ZN7rocprim17ROCPRIM_400000_NS6detail17trampoline_kernelINS0_14default_configENS1_27upper_bound_config_selectorIilEEZNS1_14transform_implILb0ES3_S5_N6thrust23THRUST_200600_302600_NS6detail15normal_iteratorINS8_7pointerIiNS8_11hip_rocprim12par_nosync_tENS8_11use_defaultESE_EEEENSA_INSB_IlSD_SE_SE_EEEEZNS1_13binary_searchIS3_S5_NSA_INS8_10device_ptrIiEEEESG_SI_NS1_21upper_bound_search_opENS9_16wrapped_functionINS8_6system6detail7generic6detail18binary_search_lessEbEEEE10hipError_tPvRmT1_T2_T3_mmT4_T5_P12ihipStream_tbEUlRKiE_EESV_SZ_S10_mS11_S14_bEUlT_E_NS1_11comp_targetILNS1_3genE9ELNS1_11target_archE1100ELNS1_3gpuE3ELNS1_3repE0EEENS1_30default_config_static_selectorELNS0_4arch9wavefront6targetE0EEEvSY_.has_recursion, 0
	.set _ZN7rocprim17ROCPRIM_400000_NS6detail17trampoline_kernelINS0_14default_configENS1_27upper_bound_config_selectorIilEEZNS1_14transform_implILb0ES3_S5_N6thrust23THRUST_200600_302600_NS6detail15normal_iteratorINS8_7pointerIiNS8_11hip_rocprim12par_nosync_tENS8_11use_defaultESE_EEEENSA_INSB_IlSD_SE_SE_EEEEZNS1_13binary_searchIS3_S5_NSA_INS8_10device_ptrIiEEEESG_SI_NS1_21upper_bound_search_opENS9_16wrapped_functionINS8_6system6detail7generic6detail18binary_search_lessEbEEEE10hipError_tPvRmT1_T2_T3_mmT4_T5_P12ihipStream_tbEUlRKiE_EESV_SZ_S10_mS11_S14_bEUlT_E_NS1_11comp_targetILNS1_3genE9ELNS1_11target_archE1100ELNS1_3gpuE3ELNS1_3repE0EEENS1_30default_config_static_selectorELNS0_4arch9wavefront6targetE0EEEvSY_.has_indirect_call, 0
	.section	.AMDGPU.csdata,"",@progbits
; Kernel info:
; codeLenInByte = 0
; TotalNumSgprs: 0
; NumVgprs: 0
; ScratchSize: 0
; MemoryBound: 0
; FloatMode: 240
; IeeeMode: 1
; LDSByteSize: 0 bytes/workgroup (compile time only)
; SGPRBlocks: 0
; VGPRBlocks: 0
; NumSGPRsForWavesPerEU: 1
; NumVGPRsForWavesPerEU: 1
; Occupancy: 16
; WaveLimiterHint : 0
; COMPUTE_PGM_RSRC2:SCRATCH_EN: 0
; COMPUTE_PGM_RSRC2:USER_SGPR: 6
; COMPUTE_PGM_RSRC2:TRAP_HANDLER: 0
; COMPUTE_PGM_RSRC2:TGID_X_EN: 1
; COMPUTE_PGM_RSRC2:TGID_Y_EN: 0
; COMPUTE_PGM_RSRC2:TGID_Z_EN: 0
; COMPUTE_PGM_RSRC2:TIDIG_COMP_CNT: 0
	.section	.text._ZN7rocprim17ROCPRIM_400000_NS6detail17trampoline_kernelINS0_14default_configENS1_27upper_bound_config_selectorIilEEZNS1_14transform_implILb0ES3_S5_N6thrust23THRUST_200600_302600_NS6detail15normal_iteratorINS8_7pointerIiNS8_11hip_rocprim12par_nosync_tENS8_11use_defaultESE_EEEENSA_INSB_IlSD_SE_SE_EEEEZNS1_13binary_searchIS3_S5_NSA_INS8_10device_ptrIiEEEESG_SI_NS1_21upper_bound_search_opENS9_16wrapped_functionINS8_6system6detail7generic6detail18binary_search_lessEbEEEE10hipError_tPvRmT1_T2_T3_mmT4_T5_P12ihipStream_tbEUlRKiE_EESV_SZ_S10_mS11_S14_bEUlT_E_NS1_11comp_targetILNS1_3genE8ELNS1_11target_archE1030ELNS1_3gpuE2ELNS1_3repE0EEENS1_30default_config_static_selectorELNS0_4arch9wavefront6targetE0EEEvSY_,"axG",@progbits,_ZN7rocprim17ROCPRIM_400000_NS6detail17trampoline_kernelINS0_14default_configENS1_27upper_bound_config_selectorIilEEZNS1_14transform_implILb0ES3_S5_N6thrust23THRUST_200600_302600_NS6detail15normal_iteratorINS8_7pointerIiNS8_11hip_rocprim12par_nosync_tENS8_11use_defaultESE_EEEENSA_INSB_IlSD_SE_SE_EEEEZNS1_13binary_searchIS3_S5_NSA_INS8_10device_ptrIiEEEESG_SI_NS1_21upper_bound_search_opENS9_16wrapped_functionINS8_6system6detail7generic6detail18binary_search_lessEbEEEE10hipError_tPvRmT1_T2_T3_mmT4_T5_P12ihipStream_tbEUlRKiE_EESV_SZ_S10_mS11_S14_bEUlT_E_NS1_11comp_targetILNS1_3genE8ELNS1_11target_archE1030ELNS1_3gpuE2ELNS1_3repE0EEENS1_30default_config_static_selectorELNS0_4arch9wavefront6targetE0EEEvSY_,comdat
	.protected	_ZN7rocprim17ROCPRIM_400000_NS6detail17trampoline_kernelINS0_14default_configENS1_27upper_bound_config_selectorIilEEZNS1_14transform_implILb0ES3_S5_N6thrust23THRUST_200600_302600_NS6detail15normal_iteratorINS8_7pointerIiNS8_11hip_rocprim12par_nosync_tENS8_11use_defaultESE_EEEENSA_INSB_IlSD_SE_SE_EEEEZNS1_13binary_searchIS3_S5_NSA_INS8_10device_ptrIiEEEESG_SI_NS1_21upper_bound_search_opENS9_16wrapped_functionINS8_6system6detail7generic6detail18binary_search_lessEbEEEE10hipError_tPvRmT1_T2_T3_mmT4_T5_P12ihipStream_tbEUlRKiE_EESV_SZ_S10_mS11_S14_bEUlT_E_NS1_11comp_targetILNS1_3genE8ELNS1_11target_archE1030ELNS1_3gpuE2ELNS1_3repE0EEENS1_30default_config_static_selectorELNS0_4arch9wavefront6targetE0EEEvSY_ ; -- Begin function _ZN7rocprim17ROCPRIM_400000_NS6detail17trampoline_kernelINS0_14default_configENS1_27upper_bound_config_selectorIilEEZNS1_14transform_implILb0ES3_S5_N6thrust23THRUST_200600_302600_NS6detail15normal_iteratorINS8_7pointerIiNS8_11hip_rocprim12par_nosync_tENS8_11use_defaultESE_EEEENSA_INSB_IlSD_SE_SE_EEEEZNS1_13binary_searchIS3_S5_NSA_INS8_10device_ptrIiEEEESG_SI_NS1_21upper_bound_search_opENS9_16wrapped_functionINS8_6system6detail7generic6detail18binary_search_lessEbEEEE10hipError_tPvRmT1_T2_T3_mmT4_T5_P12ihipStream_tbEUlRKiE_EESV_SZ_S10_mS11_S14_bEUlT_E_NS1_11comp_targetILNS1_3genE8ELNS1_11target_archE1030ELNS1_3gpuE2ELNS1_3repE0EEENS1_30default_config_static_selectorELNS0_4arch9wavefront6targetE0EEEvSY_
	.globl	_ZN7rocprim17ROCPRIM_400000_NS6detail17trampoline_kernelINS0_14default_configENS1_27upper_bound_config_selectorIilEEZNS1_14transform_implILb0ES3_S5_N6thrust23THRUST_200600_302600_NS6detail15normal_iteratorINS8_7pointerIiNS8_11hip_rocprim12par_nosync_tENS8_11use_defaultESE_EEEENSA_INSB_IlSD_SE_SE_EEEEZNS1_13binary_searchIS3_S5_NSA_INS8_10device_ptrIiEEEESG_SI_NS1_21upper_bound_search_opENS9_16wrapped_functionINS8_6system6detail7generic6detail18binary_search_lessEbEEEE10hipError_tPvRmT1_T2_T3_mmT4_T5_P12ihipStream_tbEUlRKiE_EESV_SZ_S10_mS11_S14_bEUlT_E_NS1_11comp_targetILNS1_3genE8ELNS1_11target_archE1030ELNS1_3gpuE2ELNS1_3repE0EEENS1_30default_config_static_selectorELNS0_4arch9wavefront6targetE0EEEvSY_
	.p2align	8
	.type	_ZN7rocprim17ROCPRIM_400000_NS6detail17trampoline_kernelINS0_14default_configENS1_27upper_bound_config_selectorIilEEZNS1_14transform_implILb0ES3_S5_N6thrust23THRUST_200600_302600_NS6detail15normal_iteratorINS8_7pointerIiNS8_11hip_rocprim12par_nosync_tENS8_11use_defaultESE_EEEENSA_INSB_IlSD_SE_SE_EEEEZNS1_13binary_searchIS3_S5_NSA_INS8_10device_ptrIiEEEESG_SI_NS1_21upper_bound_search_opENS9_16wrapped_functionINS8_6system6detail7generic6detail18binary_search_lessEbEEEE10hipError_tPvRmT1_T2_T3_mmT4_T5_P12ihipStream_tbEUlRKiE_EESV_SZ_S10_mS11_S14_bEUlT_E_NS1_11comp_targetILNS1_3genE8ELNS1_11target_archE1030ELNS1_3gpuE2ELNS1_3repE0EEENS1_30default_config_static_selectorELNS0_4arch9wavefront6targetE0EEEvSY_,@function
_ZN7rocprim17ROCPRIM_400000_NS6detail17trampoline_kernelINS0_14default_configENS1_27upper_bound_config_selectorIilEEZNS1_14transform_implILb0ES3_S5_N6thrust23THRUST_200600_302600_NS6detail15normal_iteratorINS8_7pointerIiNS8_11hip_rocprim12par_nosync_tENS8_11use_defaultESE_EEEENSA_INSB_IlSD_SE_SE_EEEEZNS1_13binary_searchIS3_S5_NSA_INS8_10device_ptrIiEEEESG_SI_NS1_21upper_bound_search_opENS9_16wrapped_functionINS8_6system6detail7generic6detail18binary_search_lessEbEEEE10hipError_tPvRmT1_T2_T3_mmT4_T5_P12ihipStream_tbEUlRKiE_EESV_SZ_S10_mS11_S14_bEUlT_E_NS1_11comp_targetILNS1_3genE8ELNS1_11target_archE1030ELNS1_3gpuE2ELNS1_3repE0EEENS1_30default_config_static_selectorELNS0_4arch9wavefront6targetE0EEEvSY_: ; @_ZN7rocprim17ROCPRIM_400000_NS6detail17trampoline_kernelINS0_14default_configENS1_27upper_bound_config_selectorIilEEZNS1_14transform_implILb0ES3_S5_N6thrust23THRUST_200600_302600_NS6detail15normal_iteratorINS8_7pointerIiNS8_11hip_rocprim12par_nosync_tENS8_11use_defaultESE_EEEENSA_INSB_IlSD_SE_SE_EEEEZNS1_13binary_searchIS3_S5_NSA_INS8_10device_ptrIiEEEESG_SI_NS1_21upper_bound_search_opENS9_16wrapped_functionINS8_6system6detail7generic6detail18binary_search_lessEbEEEE10hipError_tPvRmT1_T2_T3_mmT4_T5_P12ihipStream_tbEUlRKiE_EESV_SZ_S10_mS11_S14_bEUlT_E_NS1_11comp_targetILNS1_3genE8ELNS1_11target_archE1030ELNS1_3gpuE2ELNS1_3repE0EEENS1_30default_config_static_selectorELNS0_4arch9wavefront6targetE0EEEvSY_
; %bb.0:
	s_clause 0x3
	s_load_dwordx4 s[12:15], s[4:5], 0x0
	s_load_dwordx4 s[0:3], s[4:5], 0x18
	s_load_dword s16, s[4:5], 0x38
	s_load_dwordx2 s[10:11], s[4:5], 0x28
	s_waitcnt lgkmcnt(0)
	s_lshl_b64 s[8:9], s[14:15], 2
	s_add_u32 s12, s12, s8
	s_addc_u32 s13, s13, s9
	s_lshl_b64 s[8:9], s[14:15], 3
	s_add_u32 s7, s0, s8
	s_addc_u32 s1, s1, s9
	s_add_i32 s16, s16, -1
	s_lshl_b32 s8, s6, 8
	s_mov_b32 s9, 0
	s_cmp_lg_u32 s6, s16
	s_mov_b32 s0, -1
	s_cbranch_scc0 .LBB580_7
; %bb.1:
	s_cmp_eq_u64 s[10:11], 0
	s_cbranch_scc1 .LBB580_5
; %bb.2:
	v_lshlrev_b32_e32 v1, 2, v0
	s_lshl_b64 s[14:15], s[8:9], 2
	v_mov_b32_e32 v3, s10
	s_add_u32 s0, s12, s14
	s_addc_u32 s6, s13, s15
	v_add_co_u32 v1, s0, s0, v1
	v_add_co_ci_u32_e64 v2, null, s6, 0, s0
	v_mov_b32_e32 v4, s11
	s_mov_b32 s0, 0
	flat_load_dword v5, v[1:2]
	v_mov_b32_e32 v1, 0
	v_mov_b32_e32 v2, 0
	s_inst_prefetch 0x1
	.p2align	6
.LBB580_3:                              ; =>This Inner Loop Header: Depth=1
	v_sub_co_u32 v6, vcc_lo, v3, v1
	v_sub_co_ci_u32_e64 v7, null, v4, v2, vcc_lo
	v_lshrrev_b64 v[8:9], 1, v[6:7]
	v_lshrrev_b64 v[6:7], 6, v[6:7]
	v_add_co_u32 v8, vcc_lo, v8, v1
	v_add_co_ci_u32_e64 v9, null, v9, v2, vcc_lo
	v_add_co_u32 v6, vcc_lo, v8, v6
	v_add_co_ci_u32_e64 v7, null, v9, v7, vcc_lo
	v_lshlrev_b64 v[8:9], 2, v[6:7]
	v_add_co_u32 v8, vcc_lo, s2, v8
	v_add_co_ci_u32_e64 v9, null, s3, v9, vcc_lo
	global_load_dword v8, v[8:9], off
	v_add_co_u32 v9, vcc_lo, v6, 1
	v_add_co_ci_u32_e64 v10, null, 0, v7, vcc_lo
	s_waitcnt vmcnt(0) lgkmcnt(0)
	v_cmp_lt_i32_e32 vcc_lo, v5, v8
	v_cndmask_b32_e32 v4, v4, v7, vcc_lo
	v_cndmask_b32_e32 v3, v3, v6, vcc_lo
	;; [unrolled: 1-line block ×4, first 2 shown]
	v_cmp_ge_u64_e32 vcc_lo, v[1:2], v[3:4]
	s_or_b32 s0, vcc_lo, s0
	s_andn2_b32 exec_lo, exec_lo, s0
	s_cbranch_execnz .LBB580_3
; %bb.4:
	s_inst_prefetch 0x2
	s_or_b32 exec_lo, exec_lo, s0
	s_branch .LBB580_6
.LBB580_5:
	v_mov_b32_e32 v1, 0
	v_mov_b32_e32 v2, 0
.LBB580_6:
	v_lshlrev_b32_e32 v3, 3, v0
	s_lshl_b64 s[14:15], s[8:9], 3
	s_add_u32 s0, s7, s14
	s_addc_u32 s6, s1, s15
	v_add_co_u32 v3, s0, s0, v3
	v_add_co_ci_u32_e64 v4, null, s6, 0, s0
	s_mov_b32 s0, 0
	flat_store_dwordx2 v[3:4], v[1:2]
.LBB580_7:
	s_and_b32 vcc_lo, exec_lo, s0
	s_cbranch_vccz .LBB580_16
; %bb.8:
	s_load_dword s0, s[4:5], 0x10
                                        ; implicit-def: $vgpr5
	s_waitcnt lgkmcnt(0)
	s_sub_i32 s4, s0, s8
	v_cmp_le_u32_e64 s0, s4, v0
	v_cmp_gt_u32_e32 vcc_lo, s4, v0
	s_and_saveexec_b32 s4, vcc_lo
	s_cbranch_execz .LBB580_10
; %bb.9:
	v_lshlrev_b32_e32 v1, 2, v0
	s_lshl_b64 s[14:15], s[8:9], 2
	s_add_u32 s5, s12, s14
	s_addc_u32 s6, s13, s15
	v_add_co_u32 v1, s5, s5, v1
	v_add_co_ci_u32_e64 v2, null, s6, 0, s5
	flat_load_dword v5, v[1:2]
.LBB580_10:
	s_or_b32 exec_lo, exec_lo, s4
	s_cmp_lg_u64 s[10:11], 0
	v_mov_b32_e32 v1, 0
	v_mov_b32_e32 v2, 0
	s_cselect_b32 s4, -1, 0
	s_xor_b32 s0, s0, -1
	s_and_b32 s0, s0, s4
	s_and_saveexec_b32 s4, s0
	s_cbranch_execz .LBB580_14
; %bb.11:
	v_mov_b32_e32 v1, 0
	v_mov_b32_e32 v3, s10
	;; [unrolled: 1-line block ×4, first 2 shown]
	s_mov_b32 s5, 0
	s_inst_prefetch 0x1
	.p2align	6
.LBB580_12:                             ; =>This Inner Loop Header: Depth=1
	v_sub_co_u32 v6, s0, v3, v1
	v_sub_co_ci_u32_e64 v7, null, v4, v2, s0
	v_lshrrev_b64 v[8:9], 1, v[6:7]
	v_lshrrev_b64 v[6:7], 6, v[6:7]
	v_add_co_u32 v8, s0, v8, v1
	v_add_co_ci_u32_e64 v9, null, v9, v2, s0
	v_add_co_u32 v6, s0, v8, v6
	v_add_co_ci_u32_e64 v7, null, v9, v7, s0
	v_lshlrev_b64 v[8:9], 2, v[6:7]
	v_add_co_u32 v8, s0, s2, v8
	v_add_co_ci_u32_e64 v9, null, s3, v9, s0
	global_load_dword v8, v[8:9], off
	v_add_co_u32 v9, s0, v6, 1
	v_add_co_ci_u32_e64 v10, null, 0, v7, s0
	s_waitcnt vmcnt(0) lgkmcnt(0)
	v_cmp_lt_i32_e64 s0, v5, v8
	v_cndmask_b32_e64 v4, v4, v7, s0
	v_cndmask_b32_e64 v3, v3, v6, s0
	;; [unrolled: 1-line block ×4, first 2 shown]
	v_cmp_ge_u64_e64 s0, v[1:2], v[3:4]
	s_or_b32 s5, s0, s5
	s_andn2_b32 exec_lo, exec_lo, s5
	s_cbranch_execnz .LBB580_12
; %bb.13:
	s_inst_prefetch 0x2
	s_or_b32 exec_lo, exec_lo, s5
.LBB580_14:
	s_or_b32 exec_lo, exec_lo, s4
	s_and_saveexec_b32 s0, vcc_lo
	s_cbranch_execz .LBB580_16
; %bb.15:
	v_lshlrev_b32_e32 v0, 3, v0
	s_lshl_b64 s[2:3], s[8:9], 3
	s_add_u32 s0, s7, s2
	s_addc_u32 s1, s1, s3
	v_add_co_u32 v3, s0, s0, v0
	v_add_co_ci_u32_e64 v4, null, s1, 0, s0
	flat_store_dwordx2 v[3:4], v[1:2]
.LBB580_16:
	s_endpgm
	.section	.rodata,"a",@progbits
	.p2align	6, 0x0
	.amdhsa_kernel _ZN7rocprim17ROCPRIM_400000_NS6detail17trampoline_kernelINS0_14default_configENS1_27upper_bound_config_selectorIilEEZNS1_14transform_implILb0ES3_S5_N6thrust23THRUST_200600_302600_NS6detail15normal_iteratorINS8_7pointerIiNS8_11hip_rocprim12par_nosync_tENS8_11use_defaultESE_EEEENSA_INSB_IlSD_SE_SE_EEEEZNS1_13binary_searchIS3_S5_NSA_INS8_10device_ptrIiEEEESG_SI_NS1_21upper_bound_search_opENS9_16wrapped_functionINS8_6system6detail7generic6detail18binary_search_lessEbEEEE10hipError_tPvRmT1_T2_T3_mmT4_T5_P12ihipStream_tbEUlRKiE_EESV_SZ_S10_mS11_S14_bEUlT_E_NS1_11comp_targetILNS1_3genE8ELNS1_11target_archE1030ELNS1_3gpuE2ELNS1_3repE0EEENS1_30default_config_static_selectorELNS0_4arch9wavefront6targetE0EEEvSY_
		.amdhsa_group_segment_fixed_size 0
		.amdhsa_private_segment_fixed_size 0
		.amdhsa_kernarg_size 312
		.amdhsa_user_sgpr_count 6
		.amdhsa_user_sgpr_private_segment_buffer 1
		.amdhsa_user_sgpr_dispatch_ptr 0
		.amdhsa_user_sgpr_queue_ptr 0
		.amdhsa_user_sgpr_kernarg_segment_ptr 1
		.amdhsa_user_sgpr_dispatch_id 0
		.amdhsa_user_sgpr_flat_scratch_init 0
		.amdhsa_user_sgpr_private_segment_size 0
		.amdhsa_wavefront_size32 1
		.amdhsa_uses_dynamic_stack 0
		.amdhsa_system_sgpr_private_segment_wavefront_offset 0
		.amdhsa_system_sgpr_workgroup_id_x 1
		.amdhsa_system_sgpr_workgroup_id_y 0
		.amdhsa_system_sgpr_workgroup_id_z 0
		.amdhsa_system_sgpr_workgroup_info 0
		.amdhsa_system_vgpr_workitem_id 0
		.amdhsa_next_free_vgpr 11
		.amdhsa_next_free_sgpr 17
		.amdhsa_reserve_vcc 1
		.amdhsa_reserve_flat_scratch 0
		.amdhsa_float_round_mode_32 0
		.amdhsa_float_round_mode_16_64 0
		.amdhsa_float_denorm_mode_32 3
		.amdhsa_float_denorm_mode_16_64 3
		.amdhsa_dx10_clamp 1
		.amdhsa_ieee_mode 1
		.amdhsa_fp16_overflow 0
		.amdhsa_workgroup_processor_mode 1
		.amdhsa_memory_ordered 1
		.amdhsa_forward_progress 1
		.amdhsa_shared_vgpr_count 0
		.amdhsa_exception_fp_ieee_invalid_op 0
		.amdhsa_exception_fp_denorm_src 0
		.amdhsa_exception_fp_ieee_div_zero 0
		.amdhsa_exception_fp_ieee_overflow 0
		.amdhsa_exception_fp_ieee_underflow 0
		.amdhsa_exception_fp_ieee_inexact 0
		.amdhsa_exception_int_div_zero 0
	.end_amdhsa_kernel
	.section	.text._ZN7rocprim17ROCPRIM_400000_NS6detail17trampoline_kernelINS0_14default_configENS1_27upper_bound_config_selectorIilEEZNS1_14transform_implILb0ES3_S5_N6thrust23THRUST_200600_302600_NS6detail15normal_iteratorINS8_7pointerIiNS8_11hip_rocprim12par_nosync_tENS8_11use_defaultESE_EEEENSA_INSB_IlSD_SE_SE_EEEEZNS1_13binary_searchIS3_S5_NSA_INS8_10device_ptrIiEEEESG_SI_NS1_21upper_bound_search_opENS9_16wrapped_functionINS8_6system6detail7generic6detail18binary_search_lessEbEEEE10hipError_tPvRmT1_T2_T3_mmT4_T5_P12ihipStream_tbEUlRKiE_EESV_SZ_S10_mS11_S14_bEUlT_E_NS1_11comp_targetILNS1_3genE8ELNS1_11target_archE1030ELNS1_3gpuE2ELNS1_3repE0EEENS1_30default_config_static_selectorELNS0_4arch9wavefront6targetE0EEEvSY_,"axG",@progbits,_ZN7rocprim17ROCPRIM_400000_NS6detail17trampoline_kernelINS0_14default_configENS1_27upper_bound_config_selectorIilEEZNS1_14transform_implILb0ES3_S5_N6thrust23THRUST_200600_302600_NS6detail15normal_iteratorINS8_7pointerIiNS8_11hip_rocprim12par_nosync_tENS8_11use_defaultESE_EEEENSA_INSB_IlSD_SE_SE_EEEEZNS1_13binary_searchIS3_S5_NSA_INS8_10device_ptrIiEEEESG_SI_NS1_21upper_bound_search_opENS9_16wrapped_functionINS8_6system6detail7generic6detail18binary_search_lessEbEEEE10hipError_tPvRmT1_T2_T3_mmT4_T5_P12ihipStream_tbEUlRKiE_EESV_SZ_S10_mS11_S14_bEUlT_E_NS1_11comp_targetILNS1_3genE8ELNS1_11target_archE1030ELNS1_3gpuE2ELNS1_3repE0EEENS1_30default_config_static_selectorELNS0_4arch9wavefront6targetE0EEEvSY_,comdat
.Lfunc_end580:
	.size	_ZN7rocprim17ROCPRIM_400000_NS6detail17trampoline_kernelINS0_14default_configENS1_27upper_bound_config_selectorIilEEZNS1_14transform_implILb0ES3_S5_N6thrust23THRUST_200600_302600_NS6detail15normal_iteratorINS8_7pointerIiNS8_11hip_rocprim12par_nosync_tENS8_11use_defaultESE_EEEENSA_INSB_IlSD_SE_SE_EEEEZNS1_13binary_searchIS3_S5_NSA_INS8_10device_ptrIiEEEESG_SI_NS1_21upper_bound_search_opENS9_16wrapped_functionINS8_6system6detail7generic6detail18binary_search_lessEbEEEE10hipError_tPvRmT1_T2_T3_mmT4_T5_P12ihipStream_tbEUlRKiE_EESV_SZ_S10_mS11_S14_bEUlT_E_NS1_11comp_targetILNS1_3genE8ELNS1_11target_archE1030ELNS1_3gpuE2ELNS1_3repE0EEENS1_30default_config_static_selectorELNS0_4arch9wavefront6targetE0EEEvSY_, .Lfunc_end580-_ZN7rocprim17ROCPRIM_400000_NS6detail17trampoline_kernelINS0_14default_configENS1_27upper_bound_config_selectorIilEEZNS1_14transform_implILb0ES3_S5_N6thrust23THRUST_200600_302600_NS6detail15normal_iteratorINS8_7pointerIiNS8_11hip_rocprim12par_nosync_tENS8_11use_defaultESE_EEEENSA_INSB_IlSD_SE_SE_EEEEZNS1_13binary_searchIS3_S5_NSA_INS8_10device_ptrIiEEEESG_SI_NS1_21upper_bound_search_opENS9_16wrapped_functionINS8_6system6detail7generic6detail18binary_search_lessEbEEEE10hipError_tPvRmT1_T2_T3_mmT4_T5_P12ihipStream_tbEUlRKiE_EESV_SZ_S10_mS11_S14_bEUlT_E_NS1_11comp_targetILNS1_3genE8ELNS1_11target_archE1030ELNS1_3gpuE2ELNS1_3repE0EEENS1_30default_config_static_selectorELNS0_4arch9wavefront6targetE0EEEvSY_
                                        ; -- End function
	.set _ZN7rocprim17ROCPRIM_400000_NS6detail17trampoline_kernelINS0_14default_configENS1_27upper_bound_config_selectorIilEEZNS1_14transform_implILb0ES3_S5_N6thrust23THRUST_200600_302600_NS6detail15normal_iteratorINS8_7pointerIiNS8_11hip_rocprim12par_nosync_tENS8_11use_defaultESE_EEEENSA_INSB_IlSD_SE_SE_EEEEZNS1_13binary_searchIS3_S5_NSA_INS8_10device_ptrIiEEEESG_SI_NS1_21upper_bound_search_opENS9_16wrapped_functionINS8_6system6detail7generic6detail18binary_search_lessEbEEEE10hipError_tPvRmT1_T2_T3_mmT4_T5_P12ihipStream_tbEUlRKiE_EESV_SZ_S10_mS11_S14_bEUlT_E_NS1_11comp_targetILNS1_3genE8ELNS1_11target_archE1030ELNS1_3gpuE2ELNS1_3repE0EEENS1_30default_config_static_selectorELNS0_4arch9wavefront6targetE0EEEvSY_.num_vgpr, 11
	.set _ZN7rocprim17ROCPRIM_400000_NS6detail17trampoline_kernelINS0_14default_configENS1_27upper_bound_config_selectorIilEEZNS1_14transform_implILb0ES3_S5_N6thrust23THRUST_200600_302600_NS6detail15normal_iteratorINS8_7pointerIiNS8_11hip_rocprim12par_nosync_tENS8_11use_defaultESE_EEEENSA_INSB_IlSD_SE_SE_EEEEZNS1_13binary_searchIS3_S5_NSA_INS8_10device_ptrIiEEEESG_SI_NS1_21upper_bound_search_opENS9_16wrapped_functionINS8_6system6detail7generic6detail18binary_search_lessEbEEEE10hipError_tPvRmT1_T2_T3_mmT4_T5_P12ihipStream_tbEUlRKiE_EESV_SZ_S10_mS11_S14_bEUlT_E_NS1_11comp_targetILNS1_3genE8ELNS1_11target_archE1030ELNS1_3gpuE2ELNS1_3repE0EEENS1_30default_config_static_selectorELNS0_4arch9wavefront6targetE0EEEvSY_.num_agpr, 0
	.set _ZN7rocprim17ROCPRIM_400000_NS6detail17trampoline_kernelINS0_14default_configENS1_27upper_bound_config_selectorIilEEZNS1_14transform_implILb0ES3_S5_N6thrust23THRUST_200600_302600_NS6detail15normal_iteratorINS8_7pointerIiNS8_11hip_rocprim12par_nosync_tENS8_11use_defaultESE_EEEENSA_INSB_IlSD_SE_SE_EEEEZNS1_13binary_searchIS3_S5_NSA_INS8_10device_ptrIiEEEESG_SI_NS1_21upper_bound_search_opENS9_16wrapped_functionINS8_6system6detail7generic6detail18binary_search_lessEbEEEE10hipError_tPvRmT1_T2_T3_mmT4_T5_P12ihipStream_tbEUlRKiE_EESV_SZ_S10_mS11_S14_bEUlT_E_NS1_11comp_targetILNS1_3genE8ELNS1_11target_archE1030ELNS1_3gpuE2ELNS1_3repE0EEENS1_30default_config_static_selectorELNS0_4arch9wavefront6targetE0EEEvSY_.numbered_sgpr, 17
	.set _ZN7rocprim17ROCPRIM_400000_NS6detail17trampoline_kernelINS0_14default_configENS1_27upper_bound_config_selectorIilEEZNS1_14transform_implILb0ES3_S5_N6thrust23THRUST_200600_302600_NS6detail15normal_iteratorINS8_7pointerIiNS8_11hip_rocprim12par_nosync_tENS8_11use_defaultESE_EEEENSA_INSB_IlSD_SE_SE_EEEEZNS1_13binary_searchIS3_S5_NSA_INS8_10device_ptrIiEEEESG_SI_NS1_21upper_bound_search_opENS9_16wrapped_functionINS8_6system6detail7generic6detail18binary_search_lessEbEEEE10hipError_tPvRmT1_T2_T3_mmT4_T5_P12ihipStream_tbEUlRKiE_EESV_SZ_S10_mS11_S14_bEUlT_E_NS1_11comp_targetILNS1_3genE8ELNS1_11target_archE1030ELNS1_3gpuE2ELNS1_3repE0EEENS1_30default_config_static_selectorELNS0_4arch9wavefront6targetE0EEEvSY_.num_named_barrier, 0
	.set _ZN7rocprim17ROCPRIM_400000_NS6detail17trampoline_kernelINS0_14default_configENS1_27upper_bound_config_selectorIilEEZNS1_14transform_implILb0ES3_S5_N6thrust23THRUST_200600_302600_NS6detail15normal_iteratorINS8_7pointerIiNS8_11hip_rocprim12par_nosync_tENS8_11use_defaultESE_EEEENSA_INSB_IlSD_SE_SE_EEEEZNS1_13binary_searchIS3_S5_NSA_INS8_10device_ptrIiEEEESG_SI_NS1_21upper_bound_search_opENS9_16wrapped_functionINS8_6system6detail7generic6detail18binary_search_lessEbEEEE10hipError_tPvRmT1_T2_T3_mmT4_T5_P12ihipStream_tbEUlRKiE_EESV_SZ_S10_mS11_S14_bEUlT_E_NS1_11comp_targetILNS1_3genE8ELNS1_11target_archE1030ELNS1_3gpuE2ELNS1_3repE0EEENS1_30default_config_static_selectorELNS0_4arch9wavefront6targetE0EEEvSY_.private_seg_size, 0
	.set _ZN7rocprim17ROCPRIM_400000_NS6detail17trampoline_kernelINS0_14default_configENS1_27upper_bound_config_selectorIilEEZNS1_14transform_implILb0ES3_S5_N6thrust23THRUST_200600_302600_NS6detail15normal_iteratorINS8_7pointerIiNS8_11hip_rocprim12par_nosync_tENS8_11use_defaultESE_EEEENSA_INSB_IlSD_SE_SE_EEEEZNS1_13binary_searchIS3_S5_NSA_INS8_10device_ptrIiEEEESG_SI_NS1_21upper_bound_search_opENS9_16wrapped_functionINS8_6system6detail7generic6detail18binary_search_lessEbEEEE10hipError_tPvRmT1_T2_T3_mmT4_T5_P12ihipStream_tbEUlRKiE_EESV_SZ_S10_mS11_S14_bEUlT_E_NS1_11comp_targetILNS1_3genE8ELNS1_11target_archE1030ELNS1_3gpuE2ELNS1_3repE0EEENS1_30default_config_static_selectorELNS0_4arch9wavefront6targetE0EEEvSY_.uses_vcc, 1
	.set _ZN7rocprim17ROCPRIM_400000_NS6detail17trampoline_kernelINS0_14default_configENS1_27upper_bound_config_selectorIilEEZNS1_14transform_implILb0ES3_S5_N6thrust23THRUST_200600_302600_NS6detail15normal_iteratorINS8_7pointerIiNS8_11hip_rocprim12par_nosync_tENS8_11use_defaultESE_EEEENSA_INSB_IlSD_SE_SE_EEEEZNS1_13binary_searchIS3_S5_NSA_INS8_10device_ptrIiEEEESG_SI_NS1_21upper_bound_search_opENS9_16wrapped_functionINS8_6system6detail7generic6detail18binary_search_lessEbEEEE10hipError_tPvRmT1_T2_T3_mmT4_T5_P12ihipStream_tbEUlRKiE_EESV_SZ_S10_mS11_S14_bEUlT_E_NS1_11comp_targetILNS1_3genE8ELNS1_11target_archE1030ELNS1_3gpuE2ELNS1_3repE0EEENS1_30default_config_static_selectorELNS0_4arch9wavefront6targetE0EEEvSY_.uses_flat_scratch, 0
	.set _ZN7rocprim17ROCPRIM_400000_NS6detail17trampoline_kernelINS0_14default_configENS1_27upper_bound_config_selectorIilEEZNS1_14transform_implILb0ES3_S5_N6thrust23THRUST_200600_302600_NS6detail15normal_iteratorINS8_7pointerIiNS8_11hip_rocprim12par_nosync_tENS8_11use_defaultESE_EEEENSA_INSB_IlSD_SE_SE_EEEEZNS1_13binary_searchIS3_S5_NSA_INS8_10device_ptrIiEEEESG_SI_NS1_21upper_bound_search_opENS9_16wrapped_functionINS8_6system6detail7generic6detail18binary_search_lessEbEEEE10hipError_tPvRmT1_T2_T3_mmT4_T5_P12ihipStream_tbEUlRKiE_EESV_SZ_S10_mS11_S14_bEUlT_E_NS1_11comp_targetILNS1_3genE8ELNS1_11target_archE1030ELNS1_3gpuE2ELNS1_3repE0EEENS1_30default_config_static_selectorELNS0_4arch9wavefront6targetE0EEEvSY_.has_dyn_sized_stack, 0
	.set _ZN7rocprim17ROCPRIM_400000_NS6detail17trampoline_kernelINS0_14default_configENS1_27upper_bound_config_selectorIilEEZNS1_14transform_implILb0ES3_S5_N6thrust23THRUST_200600_302600_NS6detail15normal_iteratorINS8_7pointerIiNS8_11hip_rocprim12par_nosync_tENS8_11use_defaultESE_EEEENSA_INSB_IlSD_SE_SE_EEEEZNS1_13binary_searchIS3_S5_NSA_INS8_10device_ptrIiEEEESG_SI_NS1_21upper_bound_search_opENS9_16wrapped_functionINS8_6system6detail7generic6detail18binary_search_lessEbEEEE10hipError_tPvRmT1_T2_T3_mmT4_T5_P12ihipStream_tbEUlRKiE_EESV_SZ_S10_mS11_S14_bEUlT_E_NS1_11comp_targetILNS1_3genE8ELNS1_11target_archE1030ELNS1_3gpuE2ELNS1_3repE0EEENS1_30default_config_static_selectorELNS0_4arch9wavefront6targetE0EEEvSY_.has_recursion, 0
	.set _ZN7rocprim17ROCPRIM_400000_NS6detail17trampoline_kernelINS0_14default_configENS1_27upper_bound_config_selectorIilEEZNS1_14transform_implILb0ES3_S5_N6thrust23THRUST_200600_302600_NS6detail15normal_iteratorINS8_7pointerIiNS8_11hip_rocprim12par_nosync_tENS8_11use_defaultESE_EEEENSA_INSB_IlSD_SE_SE_EEEEZNS1_13binary_searchIS3_S5_NSA_INS8_10device_ptrIiEEEESG_SI_NS1_21upper_bound_search_opENS9_16wrapped_functionINS8_6system6detail7generic6detail18binary_search_lessEbEEEE10hipError_tPvRmT1_T2_T3_mmT4_T5_P12ihipStream_tbEUlRKiE_EESV_SZ_S10_mS11_S14_bEUlT_E_NS1_11comp_targetILNS1_3genE8ELNS1_11target_archE1030ELNS1_3gpuE2ELNS1_3repE0EEENS1_30default_config_static_selectorELNS0_4arch9wavefront6targetE0EEEvSY_.has_indirect_call, 0
	.section	.AMDGPU.csdata,"",@progbits
; Kernel info:
; codeLenInByte = 816
; TotalNumSgprs: 19
; NumVgprs: 11
; ScratchSize: 0
; MemoryBound: 0
; FloatMode: 240
; IeeeMode: 1
; LDSByteSize: 0 bytes/workgroup (compile time only)
; SGPRBlocks: 0
; VGPRBlocks: 1
; NumSGPRsForWavesPerEU: 19
; NumVGPRsForWavesPerEU: 11
; Occupancy: 16
; WaveLimiterHint : 0
; COMPUTE_PGM_RSRC2:SCRATCH_EN: 0
; COMPUTE_PGM_RSRC2:USER_SGPR: 6
; COMPUTE_PGM_RSRC2:TRAP_HANDLER: 0
; COMPUTE_PGM_RSRC2:TGID_X_EN: 1
; COMPUTE_PGM_RSRC2:TGID_Y_EN: 0
; COMPUTE_PGM_RSRC2:TGID_Z_EN: 0
; COMPUTE_PGM_RSRC2:TIDIG_COMP_CNT: 0
	.section	.text._ZN7rocprim17ROCPRIM_400000_NS6detail17trampoline_kernelINS0_14default_configENS1_27upper_bound_config_selectorIilEEZNS1_14transform_implILb0ES3_S5_N6thrust23THRUST_200600_302600_NS6detail15normal_iteratorINS8_7pointerIiNS8_11hip_rocprim5par_tENS8_11use_defaultESE_EEEENSA_INSB_IlSD_SE_SE_EEEEZNS1_13binary_searchIS3_S5_NSA_INS8_10device_ptrIiEEEESG_SI_NS1_21upper_bound_search_opENS9_16wrapped_functionINS8_6system6detail7generic6detail18binary_search_lessEbEEEE10hipError_tPvRmT1_T2_T3_mmT4_T5_P12ihipStream_tbEUlRKiE_EESV_SZ_S10_mS11_S14_bEUlT_E_NS1_11comp_targetILNS1_3genE0ELNS1_11target_archE4294967295ELNS1_3gpuE0ELNS1_3repE0EEENS1_30default_config_static_selectorELNS0_4arch9wavefront6targetE0EEEvSY_,"axG",@progbits,_ZN7rocprim17ROCPRIM_400000_NS6detail17trampoline_kernelINS0_14default_configENS1_27upper_bound_config_selectorIilEEZNS1_14transform_implILb0ES3_S5_N6thrust23THRUST_200600_302600_NS6detail15normal_iteratorINS8_7pointerIiNS8_11hip_rocprim5par_tENS8_11use_defaultESE_EEEENSA_INSB_IlSD_SE_SE_EEEEZNS1_13binary_searchIS3_S5_NSA_INS8_10device_ptrIiEEEESG_SI_NS1_21upper_bound_search_opENS9_16wrapped_functionINS8_6system6detail7generic6detail18binary_search_lessEbEEEE10hipError_tPvRmT1_T2_T3_mmT4_T5_P12ihipStream_tbEUlRKiE_EESV_SZ_S10_mS11_S14_bEUlT_E_NS1_11comp_targetILNS1_3genE0ELNS1_11target_archE4294967295ELNS1_3gpuE0ELNS1_3repE0EEENS1_30default_config_static_selectorELNS0_4arch9wavefront6targetE0EEEvSY_,comdat
	.protected	_ZN7rocprim17ROCPRIM_400000_NS6detail17trampoline_kernelINS0_14default_configENS1_27upper_bound_config_selectorIilEEZNS1_14transform_implILb0ES3_S5_N6thrust23THRUST_200600_302600_NS6detail15normal_iteratorINS8_7pointerIiNS8_11hip_rocprim5par_tENS8_11use_defaultESE_EEEENSA_INSB_IlSD_SE_SE_EEEEZNS1_13binary_searchIS3_S5_NSA_INS8_10device_ptrIiEEEESG_SI_NS1_21upper_bound_search_opENS9_16wrapped_functionINS8_6system6detail7generic6detail18binary_search_lessEbEEEE10hipError_tPvRmT1_T2_T3_mmT4_T5_P12ihipStream_tbEUlRKiE_EESV_SZ_S10_mS11_S14_bEUlT_E_NS1_11comp_targetILNS1_3genE0ELNS1_11target_archE4294967295ELNS1_3gpuE0ELNS1_3repE0EEENS1_30default_config_static_selectorELNS0_4arch9wavefront6targetE0EEEvSY_ ; -- Begin function _ZN7rocprim17ROCPRIM_400000_NS6detail17trampoline_kernelINS0_14default_configENS1_27upper_bound_config_selectorIilEEZNS1_14transform_implILb0ES3_S5_N6thrust23THRUST_200600_302600_NS6detail15normal_iteratorINS8_7pointerIiNS8_11hip_rocprim5par_tENS8_11use_defaultESE_EEEENSA_INSB_IlSD_SE_SE_EEEEZNS1_13binary_searchIS3_S5_NSA_INS8_10device_ptrIiEEEESG_SI_NS1_21upper_bound_search_opENS9_16wrapped_functionINS8_6system6detail7generic6detail18binary_search_lessEbEEEE10hipError_tPvRmT1_T2_T3_mmT4_T5_P12ihipStream_tbEUlRKiE_EESV_SZ_S10_mS11_S14_bEUlT_E_NS1_11comp_targetILNS1_3genE0ELNS1_11target_archE4294967295ELNS1_3gpuE0ELNS1_3repE0EEENS1_30default_config_static_selectorELNS0_4arch9wavefront6targetE0EEEvSY_
	.globl	_ZN7rocprim17ROCPRIM_400000_NS6detail17trampoline_kernelINS0_14default_configENS1_27upper_bound_config_selectorIilEEZNS1_14transform_implILb0ES3_S5_N6thrust23THRUST_200600_302600_NS6detail15normal_iteratorINS8_7pointerIiNS8_11hip_rocprim5par_tENS8_11use_defaultESE_EEEENSA_INSB_IlSD_SE_SE_EEEEZNS1_13binary_searchIS3_S5_NSA_INS8_10device_ptrIiEEEESG_SI_NS1_21upper_bound_search_opENS9_16wrapped_functionINS8_6system6detail7generic6detail18binary_search_lessEbEEEE10hipError_tPvRmT1_T2_T3_mmT4_T5_P12ihipStream_tbEUlRKiE_EESV_SZ_S10_mS11_S14_bEUlT_E_NS1_11comp_targetILNS1_3genE0ELNS1_11target_archE4294967295ELNS1_3gpuE0ELNS1_3repE0EEENS1_30default_config_static_selectorELNS0_4arch9wavefront6targetE0EEEvSY_
	.p2align	8
	.type	_ZN7rocprim17ROCPRIM_400000_NS6detail17trampoline_kernelINS0_14default_configENS1_27upper_bound_config_selectorIilEEZNS1_14transform_implILb0ES3_S5_N6thrust23THRUST_200600_302600_NS6detail15normal_iteratorINS8_7pointerIiNS8_11hip_rocprim5par_tENS8_11use_defaultESE_EEEENSA_INSB_IlSD_SE_SE_EEEEZNS1_13binary_searchIS3_S5_NSA_INS8_10device_ptrIiEEEESG_SI_NS1_21upper_bound_search_opENS9_16wrapped_functionINS8_6system6detail7generic6detail18binary_search_lessEbEEEE10hipError_tPvRmT1_T2_T3_mmT4_T5_P12ihipStream_tbEUlRKiE_EESV_SZ_S10_mS11_S14_bEUlT_E_NS1_11comp_targetILNS1_3genE0ELNS1_11target_archE4294967295ELNS1_3gpuE0ELNS1_3repE0EEENS1_30default_config_static_selectorELNS0_4arch9wavefront6targetE0EEEvSY_,@function
_ZN7rocprim17ROCPRIM_400000_NS6detail17trampoline_kernelINS0_14default_configENS1_27upper_bound_config_selectorIilEEZNS1_14transform_implILb0ES3_S5_N6thrust23THRUST_200600_302600_NS6detail15normal_iteratorINS8_7pointerIiNS8_11hip_rocprim5par_tENS8_11use_defaultESE_EEEENSA_INSB_IlSD_SE_SE_EEEEZNS1_13binary_searchIS3_S5_NSA_INS8_10device_ptrIiEEEESG_SI_NS1_21upper_bound_search_opENS9_16wrapped_functionINS8_6system6detail7generic6detail18binary_search_lessEbEEEE10hipError_tPvRmT1_T2_T3_mmT4_T5_P12ihipStream_tbEUlRKiE_EESV_SZ_S10_mS11_S14_bEUlT_E_NS1_11comp_targetILNS1_3genE0ELNS1_11target_archE4294967295ELNS1_3gpuE0ELNS1_3repE0EEENS1_30default_config_static_selectorELNS0_4arch9wavefront6targetE0EEEvSY_: ; @_ZN7rocprim17ROCPRIM_400000_NS6detail17trampoline_kernelINS0_14default_configENS1_27upper_bound_config_selectorIilEEZNS1_14transform_implILb0ES3_S5_N6thrust23THRUST_200600_302600_NS6detail15normal_iteratorINS8_7pointerIiNS8_11hip_rocprim5par_tENS8_11use_defaultESE_EEEENSA_INSB_IlSD_SE_SE_EEEEZNS1_13binary_searchIS3_S5_NSA_INS8_10device_ptrIiEEEESG_SI_NS1_21upper_bound_search_opENS9_16wrapped_functionINS8_6system6detail7generic6detail18binary_search_lessEbEEEE10hipError_tPvRmT1_T2_T3_mmT4_T5_P12ihipStream_tbEUlRKiE_EESV_SZ_S10_mS11_S14_bEUlT_E_NS1_11comp_targetILNS1_3genE0ELNS1_11target_archE4294967295ELNS1_3gpuE0ELNS1_3repE0EEENS1_30default_config_static_selectorELNS0_4arch9wavefront6targetE0EEEvSY_
; %bb.0:
	.section	.rodata,"a",@progbits
	.p2align	6, 0x0
	.amdhsa_kernel _ZN7rocprim17ROCPRIM_400000_NS6detail17trampoline_kernelINS0_14default_configENS1_27upper_bound_config_selectorIilEEZNS1_14transform_implILb0ES3_S5_N6thrust23THRUST_200600_302600_NS6detail15normal_iteratorINS8_7pointerIiNS8_11hip_rocprim5par_tENS8_11use_defaultESE_EEEENSA_INSB_IlSD_SE_SE_EEEEZNS1_13binary_searchIS3_S5_NSA_INS8_10device_ptrIiEEEESG_SI_NS1_21upper_bound_search_opENS9_16wrapped_functionINS8_6system6detail7generic6detail18binary_search_lessEbEEEE10hipError_tPvRmT1_T2_T3_mmT4_T5_P12ihipStream_tbEUlRKiE_EESV_SZ_S10_mS11_S14_bEUlT_E_NS1_11comp_targetILNS1_3genE0ELNS1_11target_archE4294967295ELNS1_3gpuE0ELNS1_3repE0EEENS1_30default_config_static_selectorELNS0_4arch9wavefront6targetE0EEEvSY_
		.amdhsa_group_segment_fixed_size 0
		.amdhsa_private_segment_fixed_size 0
		.amdhsa_kernarg_size 56
		.amdhsa_user_sgpr_count 6
		.amdhsa_user_sgpr_private_segment_buffer 1
		.amdhsa_user_sgpr_dispatch_ptr 0
		.amdhsa_user_sgpr_queue_ptr 0
		.amdhsa_user_sgpr_kernarg_segment_ptr 1
		.amdhsa_user_sgpr_dispatch_id 0
		.amdhsa_user_sgpr_flat_scratch_init 0
		.amdhsa_user_sgpr_private_segment_size 0
		.amdhsa_wavefront_size32 1
		.amdhsa_uses_dynamic_stack 0
		.amdhsa_system_sgpr_private_segment_wavefront_offset 0
		.amdhsa_system_sgpr_workgroup_id_x 1
		.amdhsa_system_sgpr_workgroup_id_y 0
		.amdhsa_system_sgpr_workgroup_id_z 0
		.amdhsa_system_sgpr_workgroup_info 0
		.amdhsa_system_vgpr_workitem_id 0
		.amdhsa_next_free_vgpr 1
		.amdhsa_next_free_sgpr 1
		.amdhsa_reserve_vcc 0
		.amdhsa_reserve_flat_scratch 0
		.amdhsa_float_round_mode_32 0
		.amdhsa_float_round_mode_16_64 0
		.amdhsa_float_denorm_mode_32 3
		.amdhsa_float_denorm_mode_16_64 3
		.amdhsa_dx10_clamp 1
		.amdhsa_ieee_mode 1
		.amdhsa_fp16_overflow 0
		.amdhsa_workgroup_processor_mode 1
		.amdhsa_memory_ordered 1
		.amdhsa_forward_progress 1
		.amdhsa_shared_vgpr_count 0
		.amdhsa_exception_fp_ieee_invalid_op 0
		.amdhsa_exception_fp_denorm_src 0
		.amdhsa_exception_fp_ieee_div_zero 0
		.amdhsa_exception_fp_ieee_overflow 0
		.amdhsa_exception_fp_ieee_underflow 0
		.amdhsa_exception_fp_ieee_inexact 0
		.amdhsa_exception_int_div_zero 0
	.end_amdhsa_kernel
	.section	.text._ZN7rocprim17ROCPRIM_400000_NS6detail17trampoline_kernelINS0_14default_configENS1_27upper_bound_config_selectorIilEEZNS1_14transform_implILb0ES3_S5_N6thrust23THRUST_200600_302600_NS6detail15normal_iteratorINS8_7pointerIiNS8_11hip_rocprim5par_tENS8_11use_defaultESE_EEEENSA_INSB_IlSD_SE_SE_EEEEZNS1_13binary_searchIS3_S5_NSA_INS8_10device_ptrIiEEEESG_SI_NS1_21upper_bound_search_opENS9_16wrapped_functionINS8_6system6detail7generic6detail18binary_search_lessEbEEEE10hipError_tPvRmT1_T2_T3_mmT4_T5_P12ihipStream_tbEUlRKiE_EESV_SZ_S10_mS11_S14_bEUlT_E_NS1_11comp_targetILNS1_3genE0ELNS1_11target_archE4294967295ELNS1_3gpuE0ELNS1_3repE0EEENS1_30default_config_static_selectorELNS0_4arch9wavefront6targetE0EEEvSY_,"axG",@progbits,_ZN7rocprim17ROCPRIM_400000_NS6detail17trampoline_kernelINS0_14default_configENS1_27upper_bound_config_selectorIilEEZNS1_14transform_implILb0ES3_S5_N6thrust23THRUST_200600_302600_NS6detail15normal_iteratorINS8_7pointerIiNS8_11hip_rocprim5par_tENS8_11use_defaultESE_EEEENSA_INSB_IlSD_SE_SE_EEEEZNS1_13binary_searchIS3_S5_NSA_INS8_10device_ptrIiEEEESG_SI_NS1_21upper_bound_search_opENS9_16wrapped_functionINS8_6system6detail7generic6detail18binary_search_lessEbEEEE10hipError_tPvRmT1_T2_T3_mmT4_T5_P12ihipStream_tbEUlRKiE_EESV_SZ_S10_mS11_S14_bEUlT_E_NS1_11comp_targetILNS1_3genE0ELNS1_11target_archE4294967295ELNS1_3gpuE0ELNS1_3repE0EEENS1_30default_config_static_selectorELNS0_4arch9wavefront6targetE0EEEvSY_,comdat
.Lfunc_end581:
	.size	_ZN7rocprim17ROCPRIM_400000_NS6detail17trampoline_kernelINS0_14default_configENS1_27upper_bound_config_selectorIilEEZNS1_14transform_implILb0ES3_S5_N6thrust23THRUST_200600_302600_NS6detail15normal_iteratorINS8_7pointerIiNS8_11hip_rocprim5par_tENS8_11use_defaultESE_EEEENSA_INSB_IlSD_SE_SE_EEEEZNS1_13binary_searchIS3_S5_NSA_INS8_10device_ptrIiEEEESG_SI_NS1_21upper_bound_search_opENS9_16wrapped_functionINS8_6system6detail7generic6detail18binary_search_lessEbEEEE10hipError_tPvRmT1_T2_T3_mmT4_T5_P12ihipStream_tbEUlRKiE_EESV_SZ_S10_mS11_S14_bEUlT_E_NS1_11comp_targetILNS1_3genE0ELNS1_11target_archE4294967295ELNS1_3gpuE0ELNS1_3repE0EEENS1_30default_config_static_selectorELNS0_4arch9wavefront6targetE0EEEvSY_, .Lfunc_end581-_ZN7rocprim17ROCPRIM_400000_NS6detail17trampoline_kernelINS0_14default_configENS1_27upper_bound_config_selectorIilEEZNS1_14transform_implILb0ES3_S5_N6thrust23THRUST_200600_302600_NS6detail15normal_iteratorINS8_7pointerIiNS8_11hip_rocprim5par_tENS8_11use_defaultESE_EEEENSA_INSB_IlSD_SE_SE_EEEEZNS1_13binary_searchIS3_S5_NSA_INS8_10device_ptrIiEEEESG_SI_NS1_21upper_bound_search_opENS9_16wrapped_functionINS8_6system6detail7generic6detail18binary_search_lessEbEEEE10hipError_tPvRmT1_T2_T3_mmT4_T5_P12ihipStream_tbEUlRKiE_EESV_SZ_S10_mS11_S14_bEUlT_E_NS1_11comp_targetILNS1_3genE0ELNS1_11target_archE4294967295ELNS1_3gpuE0ELNS1_3repE0EEENS1_30default_config_static_selectorELNS0_4arch9wavefront6targetE0EEEvSY_
                                        ; -- End function
	.set _ZN7rocprim17ROCPRIM_400000_NS6detail17trampoline_kernelINS0_14default_configENS1_27upper_bound_config_selectorIilEEZNS1_14transform_implILb0ES3_S5_N6thrust23THRUST_200600_302600_NS6detail15normal_iteratorINS8_7pointerIiNS8_11hip_rocprim5par_tENS8_11use_defaultESE_EEEENSA_INSB_IlSD_SE_SE_EEEEZNS1_13binary_searchIS3_S5_NSA_INS8_10device_ptrIiEEEESG_SI_NS1_21upper_bound_search_opENS9_16wrapped_functionINS8_6system6detail7generic6detail18binary_search_lessEbEEEE10hipError_tPvRmT1_T2_T3_mmT4_T5_P12ihipStream_tbEUlRKiE_EESV_SZ_S10_mS11_S14_bEUlT_E_NS1_11comp_targetILNS1_3genE0ELNS1_11target_archE4294967295ELNS1_3gpuE0ELNS1_3repE0EEENS1_30default_config_static_selectorELNS0_4arch9wavefront6targetE0EEEvSY_.num_vgpr, 0
	.set _ZN7rocprim17ROCPRIM_400000_NS6detail17trampoline_kernelINS0_14default_configENS1_27upper_bound_config_selectorIilEEZNS1_14transform_implILb0ES3_S5_N6thrust23THRUST_200600_302600_NS6detail15normal_iteratorINS8_7pointerIiNS8_11hip_rocprim5par_tENS8_11use_defaultESE_EEEENSA_INSB_IlSD_SE_SE_EEEEZNS1_13binary_searchIS3_S5_NSA_INS8_10device_ptrIiEEEESG_SI_NS1_21upper_bound_search_opENS9_16wrapped_functionINS8_6system6detail7generic6detail18binary_search_lessEbEEEE10hipError_tPvRmT1_T2_T3_mmT4_T5_P12ihipStream_tbEUlRKiE_EESV_SZ_S10_mS11_S14_bEUlT_E_NS1_11comp_targetILNS1_3genE0ELNS1_11target_archE4294967295ELNS1_3gpuE0ELNS1_3repE0EEENS1_30default_config_static_selectorELNS0_4arch9wavefront6targetE0EEEvSY_.num_agpr, 0
	.set _ZN7rocprim17ROCPRIM_400000_NS6detail17trampoline_kernelINS0_14default_configENS1_27upper_bound_config_selectorIilEEZNS1_14transform_implILb0ES3_S5_N6thrust23THRUST_200600_302600_NS6detail15normal_iteratorINS8_7pointerIiNS8_11hip_rocprim5par_tENS8_11use_defaultESE_EEEENSA_INSB_IlSD_SE_SE_EEEEZNS1_13binary_searchIS3_S5_NSA_INS8_10device_ptrIiEEEESG_SI_NS1_21upper_bound_search_opENS9_16wrapped_functionINS8_6system6detail7generic6detail18binary_search_lessEbEEEE10hipError_tPvRmT1_T2_T3_mmT4_T5_P12ihipStream_tbEUlRKiE_EESV_SZ_S10_mS11_S14_bEUlT_E_NS1_11comp_targetILNS1_3genE0ELNS1_11target_archE4294967295ELNS1_3gpuE0ELNS1_3repE0EEENS1_30default_config_static_selectorELNS0_4arch9wavefront6targetE0EEEvSY_.numbered_sgpr, 0
	.set _ZN7rocprim17ROCPRIM_400000_NS6detail17trampoline_kernelINS0_14default_configENS1_27upper_bound_config_selectorIilEEZNS1_14transform_implILb0ES3_S5_N6thrust23THRUST_200600_302600_NS6detail15normal_iteratorINS8_7pointerIiNS8_11hip_rocprim5par_tENS8_11use_defaultESE_EEEENSA_INSB_IlSD_SE_SE_EEEEZNS1_13binary_searchIS3_S5_NSA_INS8_10device_ptrIiEEEESG_SI_NS1_21upper_bound_search_opENS9_16wrapped_functionINS8_6system6detail7generic6detail18binary_search_lessEbEEEE10hipError_tPvRmT1_T2_T3_mmT4_T5_P12ihipStream_tbEUlRKiE_EESV_SZ_S10_mS11_S14_bEUlT_E_NS1_11comp_targetILNS1_3genE0ELNS1_11target_archE4294967295ELNS1_3gpuE0ELNS1_3repE0EEENS1_30default_config_static_selectorELNS0_4arch9wavefront6targetE0EEEvSY_.num_named_barrier, 0
	.set _ZN7rocprim17ROCPRIM_400000_NS6detail17trampoline_kernelINS0_14default_configENS1_27upper_bound_config_selectorIilEEZNS1_14transform_implILb0ES3_S5_N6thrust23THRUST_200600_302600_NS6detail15normal_iteratorINS8_7pointerIiNS8_11hip_rocprim5par_tENS8_11use_defaultESE_EEEENSA_INSB_IlSD_SE_SE_EEEEZNS1_13binary_searchIS3_S5_NSA_INS8_10device_ptrIiEEEESG_SI_NS1_21upper_bound_search_opENS9_16wrapped_functionINS8_6system6detail7generic6detail18binary_search_lessEbEEEE10hipError_tPvRmT1_T2_T3_mmT4_T5_P12ihipStream_tbEUlRKiE_EESV_SZ_S10_mS11_S14_bEUlT_E_NS1_11comp_targetILNS1_3genE0ELNS1_11target_archE4294967295ELNS1_3gpuE0ELNS1_3repE0EEENS1_30default_config_static_selectorELNS0_4arch9wavefront6targetE0EEEvSY_.private_seg_size, 0
	.set _ZN7rocprim17ROCPRIM_400000_NS6detail17trampoline_kernelINS0_14default_configENS1_27upper_bound_config_selectorIilEEZNS1_14transform_implILb0ES3_S5_N6thrust23THRUST_200600_302600_NS6detail15normal_iteratorINS8_7pointerIiNS8_11hip_rocprim5par_tENS8_11use_defaultESE_EEEENSA_INSB_IlSD_SE_SE_EEEEZNS1_13binary_searchIS3_S5_NSA_INS8_10device_ptrIiEEEESG_SI_NS1_21upper_bound_search_opENS9_16wrapped_functionINS8_6system6detail7generic6detail18binary_search_lessEbEEEE10hipError_tPvRmT1_T2_T3_mmT4_T5_P12ihipStream_tbEUlRKiE_EESV_SZ_S10_mS11_S14_bEUlT_E_NS1_11comp_targetILNS1_3genE0ELNS1_11target_archE4294967295ELNS1_3gpuE0ELNS1_3repE0EEENS1_30default_config_static_selectorELNS0_4arch9wavefront6targetE0EEEvSY_.uses_vcc, 0
	.set _ZN7rocprim17ROCPRIM_400000_NS6detail17trampoline_kernelINS0_14default_configENS1_27upper_bound_config_selectorIilEEZNS1_14transform_implILb0ES3_S5_N6thrust23THRUST_200600_302600_NS6detail15normal_iteratorINS8_7pointerIiNS8_11hip_rocprim5par_tENS8_11use_defaultESE_EEEENSA_INSB_IlSD_SE_SE_EEEEZNS1_13binary_searchIS3_S5_NSA_INS8_10device_ptrIiEEEESG_SI_NS1_21upper_bound_search_opENS9_16wrapped_functionINS8_6system6detail7generic6detail18binary_search_lessEbEEEE10hipError_tPvRmT1_T2_T3_mmT4_T5_P12ihipStream_tbEUlRKiE_EESV_SZ_S10_mS11_S14_bEUlT_E_NS1_11comp_targetILNS1_3genE0ELNS1_11target_archE4294967295ELNS1_3gpuE0ELNS1_3repE0EEENS1_30default_config_static_selectorELNS0_4arch9wavefront6targetE0EEEvSY_.uses_flat_scratch, 0
	.set _ZN7rocprim17ROCPRIM_400000_NS6detail17trampoline_kernelINS0_14default_configENS1_27upper_bound_config_selectorIilEEZNS1_14transform_implILb0ES3_S5_N6thrust23THRUST_200600_302600_NS6detail15normal_iteratorINS8_7pointerIiNS8_11hip_rocprim5par_tENS8_11use_defaultESE_EEEENSA_INSB_IlSD_SE_SE_EEEEZNS1_13binary_searchIS3_S5_NSA_INS8_10device_ptrIiEEEESG_SI_NS1_21upper_bound_search_opENS9_16wrapped_functionINS8_6system6detail7generic6detail18binary_search_lessEbEEEE10hipError_tPvRmT1_T2_T3_mmT4_T5_P12ihipStream_tbEUlRKiE_EESV_SZ_S10_mS11_S14_bEUlT_E_NS1_11comp_targetILNS1_3genE0ELNS1_11target_archE4294967295ELNS1_3gpuE0ELNS1_3repE0EEENS1_30default_config_static_selectorELNS0_4arch9wavefront6targetE0EEEvSY_.has_dyn_sized_stack, 0
	.set _ZN7rocprim17ROCPRIM_400000_NS6detail17trampoline_kernelINS0_14default_configENS1_27upper_bound_config_selectorIilEEZNS1_14transform_implILb0ES3_S5_N6thrust23THRUST_200600_302600_NS6detail15normal_iteratorINS8_7pointerIiNS8_11hip_rocprim5par_tENS8_11use_defaultESE_EEEENSA_INSB_IlSD_SE_SE_EEEEZNS1_13binary_searchIS3_S5_NSA_INS8_10device_ptrIiEEEESG_SI_NS1_21upper_bound_search_opENS9_16wrapped_functionINS8_6system6detail7generic6detail18binary_search_lessEbEEEE10hipError_tPvRmT1_T2_T3_mmT4_T5_P12ihipStream_tbEUlRKiE_EESV_SZ_S10_mS11_S14_bEUlT_E_NS1_11comp_targetILNS1_3genE0ELNS1_11target_archE4294967295ELNS1_3gpuE0ELNS1_3repE0EEENS1_30default_config_static_selectorELNS0_4arch9wavefront6targetE0EEEvSY_.has_recursion, 0
	.set _ZN7rocprim17ROCPRIM_400000_NS6detail17trampoline_kernelINS0_14default_configENS1_27upper_bound_config_selectorIilEEZNS1_14transform_implILb0ES3_S5_N6thrust23THRUST_200600_302600_NS6detail15normal_iteratorINS8_7pointerIiNS8_11hip_rocprim5par_tENS8_11use_defaultESE_EEEENSA_INSB_IlSD_SE_SE_EEEEZNS1_13binary_searchIS3_S5_NSA_INS8_10device_ptrIiEEEESG_SI_NS1_21upper_bound_search_opENS9_16wrapped_functionINS8_6system6detail7generic6detail18binary_search_lessEbEEEE10hipError_tPvRmT1_T2_T3_mmT4_T5_P12ihipStream_tbEUlRKiE_EESV_SZ_S10_mS11_S14_bEUlT_E_NS1_11comp_targetILNS1_3genE0ELNS1_11target_archE4294967295ELNS1_3gpuE0ELNS1_3repE0EEENS1_30default_config_static_selectorELNS0_4arch9wavefront6targetE0EEEvSY_.has_indirect_call, 0
	.section	.AMDGPU.csdata,"",@progbits
; Kernel info:
; codeLenInByte = 0
; TotalNumSgprs: 0
; NumVgprs: 0
; ScratchSize: 0
; MemoryBound: 0
; FloatMode: 240
; IeeeMode: 1
; LDSByteSize: 0 bytes/workgroup (compile time only)
; SGPRBlocks: 0
; VGPRBlocks: 0
; NumSGPRsForWavesPerEU: 1
; NumVGPRsForWavesPerEU: 1
; Occupancy: 16
; WaveLimiterHint : 0
; COMPUTE_PGM_RSRC2:SCRATCH_EN: 0
; COMPUTE_PGM_RSRC2:USER_SGPR: 6
; COMPUTE_PGM_RSRC2:TRAP_HANDLER: 0
; COMPUTE_PGM_RSRC2:TGID_X_EN: 1
; COMPUTE_PGM_RSRC2:TGID_Y_EN: 0
; COMPUTE_PGM_RSRC2:TGID_Z_EN: 0
; COMPUTE_PGM_RSRC2:TIDIG_COMP_CNT: 0
	.section	.text._ZN7rocprim17ROCPRIM_400000_NS6detail17trampoline_kernelINS0_14default_configENS1_27upper_bound_config_selectorIilEEZNS1_14transform_implILb0ES3_S5_N6thrust23THRUST_200600_302600_NS6detail15normal_iteratorINS8_7pointerIiNS8_11hip_rocprim5par_tENS8_11use_defaultESE_EEEENSA_INSB_IlSD_SE_SE_EEEEZNS1_13binary_searchIS3_S5_NSA_INS8_10device_ptrIiEEEESG_SI_NS1_21upper_bound_search_opENS9_16wrapped_functionINS8_6system6detail7generic6detail18binary_search_lessEbEEEE10hipError_tPvRmT1_T2_T3_mmT4_T5_P12ihipStream_tbEUlRKiE_EESV_SZ_S10_mS11_S14_bEUlT_E_NS1_11comp_targetILNS1_3genE5ELNS1_11target_archE942ELNS1_3gpuE9ELNS1_3repE0EEENS1_30default_config_static_selectorELNS0_4arch9wavefront6targetE0EEEvSY_,"axG",@progbits,_ZN7rocprim17ROCPRIM_400000_NS6detail17trampoline_kernelINS0_14default_configENS1_27upper_bound_config_selectorIilEEZNS1_14transform_implILb0ES3_S5_N6thrust23THRUST_200600_302600_NS6detail15normal_iteratorINS8_7pointerIiNS8_11hip_rocprim5par_tENS8_11use_defaultESE_EEEENSA_INSB_IlSD_SE_SE_EEEEZNS1_13binary_searchIS3_S5_NSA_INS8_10device_ptrIiEEEESG_SI_NS1_21upper_bound_search_opENS9_16wrapped_functionINS8_6system6detail7generic6detail18binary_search_lessEbEEEE10hipError_tPvRmT1_T2_T3_mmT4_T5_P12ihipStream_tbEUlRKiE_EESV_SZ_S10_mS11_S14_bEUlT_E_NS1_11comp_targetILNS1_3genE5ELNS1_11target_archE942ELNS1_3gpuE9ELNS1_3repE0EEENS1_30default_config_static_selectorELNS0_4arch9wavefront6targetE0EEEvSY_,comdat
	.protected	_ZN7rocprim17ROCPRIM_400000_NS6detail17trampoline_kernelINS0_14default_configENS1_27upper_bound_config_selectorIilEEZNS1_14transform_implILb0ES3_S5_N6thrust23THRUST_200600_302600_NS6detail15normal_iteratorINS8_7pointerIiNS8_11hip_rocprim5par_tENS8_11use_defaultESE_EEEENSA_INSB_IlSD_SE_SE_EEEEZNS1_13binary_searchIS3_S5_NSA_INS8_10device_ptrIiEEEESG_SI_NS1_21upper_bound_search_opENS9_16wrapped_functionINS8_6system6detail7generic6detail18binary_search_lessEbEEEE10hipError_tPvRmT1_T2_T3_mmT4_T5_P12ihipStream_tbEUlRKiE_EESV_SZ_S10_mS11_S14_bEUlT_E_NS1_11comp_targetILNS1_3genE5ELNS1_11target_archE942ELNS1_3gpuE9ELNS1_3repE0EEENS1_30default_config_static_selectorELNS0_4arch9wavefront6targetE0EEEvSY_ ; -- Begin function _ZN7rocprim17ROCPRIM_400000_NS6detail17trampoline_kernelINS0_14default_configENS1_27upper_bound_config_selectorIilEEZNS1_14transform_implILb0ES3_S5_N6thrust23THRUST_200600_302600_NS6detail15normal_iteratorINS8_7pointerIiNS8_11hip_rocprim5par_tENS8_11use_defaultESE_EEEENSA_INSB_IlSD_SE_SE_EEEEZNS1_13binary_searchIS3_S5_NSA_INS8_10device_ptrIiEEEESG_SI_NS1_21upper_bound_search_opENS9_16wrapped_functionINS8_6system6detail7generic6detail18binary_search_lessEbEEEE10hipError_tPvRmT1_T2_T3_mmT4_T5_P12ihipStream_tbEUlRKiE_EESV_SZ_S10_mS11_S14_bEUlT_E_NS1_11comp_targetILNS1_3genE5ELNS1_11target_archE942ELNS1_3gpuE9ELNS1_3repE0EEENS1_30default_config_static_selectorELNS0_4arch9wavefront6targetE0EEEvSY_
	.globl	_ZN7rocprim17ROCPRIM_400000_NS6detail17trampoline_kernelINS0_14default_configENS1_27upper_bound_config_selectorIilEEZNS1_14transform_implILb0ES3_S5_N6thrust23THRUST_200600_302600_NS6detail15normal_iteratorINS8_7pointerIiNS8_11hip_rocprim5par_tENS8_11use_defaultESE_EEEENSA_INSB_IlSD_SE_SE_EEEEZNS1_13binary_searchIS3_S5_NSA_INS8_10device_ptrIiEEEESG_SI_NS1_21upper_bound_search_opENS9_16wrapped_functionINS8_6system6detail7generic6detail18binary_search_lessEbEEEE10hipError_tPvRmT1_T2_T3_mmT4_T5_P12ihipStream_tbEUlRKiE_EESV_SZ_S10_mS11_S14_bEUlT_E_NS1_11comp_targetILNS1_3genE5ELNS1_11target_archE942ELNS1_3gpuE9ELNS1_3repE0EEENS1_30default_config_static_selectorELNS0_4arch9wavefront6targetE0EEEvSY_
	.p2align	8
	.type	_ZN7rocprim17ROCPRIM_400000_NS6detail17trampoline_kernelINS0_14default_configENS1_27upper_bound_config_selectorIilEEZNS1_14transform_implILb0ES3_S5_N6thrust23THRUST_200600_302600_NS6detail15normal_iteratorINS8_7pointerIiNS8_11hip_rocprim5par_tENS8_11use_defaultESE_EEEENSA_INSB_IlSD_SE_SE_EEEEZNS1_13binary_searchIS3_S5_NSA_INS8_10device_ptrIiEEEESG_SI_NS1_21upper_bound_search_opENS9_16wrapped_functionINS8_6system6detail7generic6detail18binary_search_lessEbEEEE10hipError_tPvRmT1_T2_T3_mmT4_T5_P12ihipStream_tbEUlRKiE_EESV_SZ_S10_mS11_S14_bEUlT_E_NS1_11comp_targetILNS1_3genE5ELNS1_11target_archE942ELNS1_3gpuE9ELNS1_3repE0EEENS1_30default_config_static_selectorELNS0_4arch9wavefront6targetE0EEEvSY_,@function
_ZN7rocprim17ROCPRIM_400000_NS6detail17trampoline_kernelINS0_14default_configENS1_27upper_bound_config_selectorIilEEZNS1_14transform_implILb0ES3_S5_N6thrust23THRUST_200600_302600_NS6detail15normal_iteratorINS8_7pointerIiNS8_11hip_rocprim5par_tENS8_11use_defaultESE_EEEENSA_INSB_IlSD_SE_SE_EEEEZNS1_13binary_searchIS3_S5_NSA_INS8_10device_ptrIiEEEESG_SI_NS1_21upper_bound_search_opENS9_16wrapped_functionINS8_6system6detail7generic6detail18binary_search_lessEbEEEE10hipError_tPvRmT1_T2_T3_mmT4_T5_P12ihipStream_tbEUlRKiE_EESV_SZ_S10_mS11_S14_bEUlT_E_NS1_11comp_targetILNS1_3genE5ELNS1_11target_archE942ELNS1_3gpuE9ELNS1_3repE0EEENS1_30default_config_static_selectorELNS0_4arch9wavefront6targetE0EEEvSY_: ; @_ZN7rocprim17ROCPRIM_400000_NS6detail17trampoline_kernelINS0_14default_configENS1_27upper_bound_config_selectorIilEEZNS1_14transform_implILb0ES3_S5_N6thrust23THRUST_200600_302600_NS6detail15normal_iteratorINS8_7pointerIiNS8_11hip_rocprim5par_tENS8_11use_defaultESE_EEEENSA_INSB_IlSD_SE_SE_EEEEZNS1_13binary_searchIS3_S5_NSA_INS8_10device_ptrIiEEEESG_SI_NS1_21upper_bound_search_opENS9_16wrapped_functionINS8_6system6detail7generic6detail18binary_search_lessEbEEEE10hipError_tPvRmT1_T2_T3_mmT4_T5_P12ihipStream_tbEUlRKiE_EESV_SZ_S10_mS11_S14_bEUlT_E_NS1_11comp_targetILNS1_3genE5ELNS1_11target_archE942ELNS1_3gpuE9ELNS1_3repE0EEENS1_30default_config_static_selectorELNS0_4arch9wavefront6targetE0EEEvSY_
; %bb.0:
	.section	.rodata,"a",@progbits
	.p2align	6, 0x0
	.amdhsa_kernel _ZN7rocprim17ROCPRIM_400000_NS6detail17trampoline_kernelINS0_14default_configENS1_27upper_bound_config_selectorIilEEZNS1_14transform_implILb0ES3_S5_N6thrust23THRUST_200600_302600_NS6detail15normal_iteratorINS8_7pointerIiNS8_11hip_rocprim5par_tENS8_11use_defaultESE_EEEENSA_INSB_IlSD_SE_SE_EEEEZNS1_13binary_searchIS3_S5_NSA_INS8_10device_ptrIiEEEESG_SI_NS1_21upper_bound_search_opENS9_16wrapped_functionINS8_6system6detail7generic6detail18binary_search_lessEbEEEE10hipError_tPvRmT1_T2_T3_mmT4_T5_P12ihipStream_tbEUlRKiE_EESV_SZ_S10_mS11_S14_bEUlT_E_NS1_11comp_targetILNS1_3genE5ELNS1_11target_archE942ELNS1_3gpuE9ELNS1_3repE0EEENS1_30default_config_static_selectorELNS0_4arch9wavefront6targetE0EEEvSY_
		.amdhsa_group_segment_fixed_size 0
		.amdhsa_private_segment_fixed_size 0
		.amdhsa_kernarg_size 56
		.amdhsa_user_sgpr_count 6
		.amdhsa_user_sgpr_private_segment_buffer 1
		.amdhsa_user_sgpr_dispatch_ptr 0
		.amdhsa_user_sgpr_queue_ptr 0
		.amdhsa_user_sgpr_kernarg_segment_ptr 1
		.amdhsa_user_sgpr_dispatch_id 0
		.amdhsa_user_sgpr_flat_scratch_init 0
		.amdhsa_user_sgpr_private_segment_size 0
		.amdhsa_wavefront_size32 1
		.amdhsa_uses_dynamic_stack 0
		.amdhsa_system_sgpr_private_segment_wavefront_offset 0
		.amdhsa_system_sgpr_workgroup_id_x 1
		.amdhsa_system_sgpr_workgroup_id_y 0
		.amdhsa_system_sgpr_workgroup_id_z 0
		.amdhsa_system_sgpr_workgroup_info 0
		.amdhsa_system_vgpr_workitem_id 0
		.amdhsa_next_free_vgpr 1
		.amdhsa_next_free_sgpr 1
		.amdhsa_reserve_vcc 0
		.amdhsa_reserve_flat_scratch 0
		.amdhsa_float_round_mode_32 0
		.amdhsa_float_round_mode_16_64 0
		.amdhsa_float_denorm_mode_32 3
		.amdhsa_float_denorm_mode_16_64 3
		.amdhsa_dx10_clamp 1
		.amdhsa_ieee_mode 1
		.amdhsa_fp16_overflow 0
		.amdhsa_workgroup_processor_mode 1
		.amdhsa_memory_ordered 1
		.amdhsa_forward_progress 1
		.amdhsa_shared_vgpr_count 0
		.amdhsa_exception_fp_ieee_invalid_op 0
		.amdhsa_exception_fp_denorm_src 0
		.amdhsa_exception_fp_ieee_div_zero 0
		.amdhsa_exception_fp_ieee_overflow 0
		.amdhsa_exception_fp_ieee_underflow 0
		.amdhsa_exception_fp_ieee_inexact 0
		.amdhsa_exception_int_div_zero 0
	.end_amdhsa_kernel
	.section	.text._ZN7rocprim17ROCPRIM_400000_NS6detail17trampoline_kernelINS0_14default_configENS1_27upper_bound_config_selectorIilEEZNS1_14transform_implILb0ES3_S5_N6thrust23THRUST_200600_302600_NS6detail15normal_iteratorINS8_7pointerIiNS8_11hip_rocprim5par_tENS8_11use_defaultESE_EEEENSA_INSB_IlSD_SE_SE_EEEEZNS1_13binary_searchIS3_S5_NSA_INS8_10device_ptrIiEEEESG_SI_NS1_21upper_bound_search_opENS9_16wrapped_functionINS8_6system6detail7generic6detail18binary_search_lessEbEEEE10hipError_tPvRmT1_T2_T3_mmT4_T5_P12ihipStream_tbEUlRKiE_EESV_SZ_S10_mS11_S14_bEUlT_E_NS1_11comp_targetILNS1_3genE5ELNS1_11target_archE942ELNS1_3gpuE9ELNS1_3repE0EEENS1_30default_config_static_selectorELNS0_4arch9wavefront6targetE0EEEvSY_,"axG",@progbits,_ZN7rocprim17ROCPRIM_400000_NS6detail17trampoline_kernelINS0_14default_configENS1_27upper_bound_config_selectorIilEEZNS1_14transform_implILb0ES3_S5_N6thrust23THRUST_200600_302600_NS6detail15normal_iteratorINS8_7pointerIiNS8_11hip_rocprim5par_tENS8_11use_defaultESE_EEEENSA_INSB_IlSD_SE_SE_EEEEZNS1_13binary_searchIS3_S5_NSA_INS8_10device_ptrIiEEEESG_SI_NS1_21upper_bound_search_opENS9_16wrapped_functionINS8_6system6detail7generic6detail18binary_search_lessEbEEEE10hipError_tPvRmT1_T2_T3_mmT4_T5_P12ihipStream_tbEUlRKiE_EESV_SZ_S10_mS11_S14_bEUlT_E_NS1_11comp_targetILNS1_3genE5ELNS1_11target_archE942ELNS1_3gpuE9ELNS1_3repE0EEENS1_30default_config_static_selectorELNS0_4arch9wavefront6targetE0EEEvSY_,comdat
.Lfunc_end582:
	.size	_ZN7rocprim17ROCPRIM_400000_NS6detail17trampoline_kernelINS0_14default_configENS1_27upper_bound_config_selectorIilEEZNS1_14transform_implILb0ES3_S5_N6thrust23THRUST_200600_302600_NS6detail15normal_iteratorINS8_7pointerIiNS8_11hip_rocprim5par_tENS8_11use_defaultESE_EEEENSA_INSB_IlSD_SE_SE_EEEEZNS1_13binary_searchIS3_S5_NSA_INS8_10device_ptrIiEEEESG_SI_NS1_21upper_bound_search_opENS9_16wrapped_functionINS8_6system6detail7generic6detail18binary_search_lessEbEEEE10hipError_tPvRmT1_T2_T3_mmT4_T5_P12ihipStream_tbEUlRKiE_EESV_SZ_S10_mS11_S14_bEUlT_E_NS1_11comp_targetILNS1_3genE5ELNS1_11target_archE942ELNS1_3gpuE9ELNS1_3repE0EEENS1_30default_config_static_selectorELNS0_4arch9wavefront6targetE0EEEvSY_, .Lfunc_end582-_ZN7rocprim17ROCPRIM_400000_NS6detail17trampoline_kernelINS0_14default_configENS1_27upper_bound_config_selectorIilEEZNS1_14transform_implILb0ES3_S5_N6thrust23THRUST_200600_302600_NS6detail15normal_iteratorINS8_7pointerIiNS8_11hip_rocprim5par_tENS8_11use_defaultESE_EEEENSA_INSB_IlSD_SE_SE_EEEEZNS1_13binary_searchIS3_S5_NSA_INS8_10device_ptrIiEEEESG_SI_NS1_21upper_bound_search_opENS9_16wrapped_functionINS8_6system6detail7generic6detail18binary_search_lessEbEEEE10hipError_tPvRmT1_T2_T3_mmT4_T5_P12ihipStream_tbEUlRKiE_EESV_SZ_S10_mS11_S14_bEUlT_E_NS1_11comp_targetILNS1_3genE5ELNS1_11target_archE942ELNS1_3gpuE9ELNS1_3repE0EEENS1_30default_config_static_selectorELNS0_4arch9wavefront6targetE0EEEvSY_
                                        ; -- End function
	.set _ZN7rocprim17ROCPRIM_400000_NS6detail17trampoline_kernelINS0_14default_configENS1_27upper_bound_config_selectorIilEEZNS1_14transform_implILb0ES3_S5_N6thrust23THRUST_200600_302600_NS6detail15normal_iteratorINS8_7pointerIiNS8_11hip_rocprim5par_tENS8_11use_defaultESE_EEEENSA_INSB_IlSD_SE_SE_EEEEZNS1_13binary_searchIS3_S5_NSA_INS8_10device_ptrIiEEEESG_SI_NS1_21upper_bound_search_opENS9_16wrapped_functionINS8_6system6detail7generic6detail18binary_search_lessEbEEEE10hipError_tPvRmT1_T2_T3_mmT4_T5_P12ihipStream_tbEUlRKiE_EESV_SZ_S10_mS11_S14_bEUlT_E_NS1_11comp_targetILNS1_3genE5ELNS1_11target_archE942ELNS1_3gpuE9ELNS1_3repE0EEENS1_30default_config_static_selectorELNS0_4arch9wavefront6targetE0EEEvSY_.num_vgpr, 0
	.set _ZN7rocprim17ROCPRIM_400000_NS6detail17trampoline_kernelINS0_14default_configENS1_27upper_bound_config_selectorIilEEZNS1_14transform_implILb0ES3_S5_N6thrust23THRUST_200600_302600_NS6detail15normal_iteratorINS8_7pointerIiNS8_11hip_rocprim5par_tENS8_11use_defaultESE_EEEENSA_INSB_IlSD_SE_SE_EEEEZNS1_13binary_searchIS3_S5_NSA_INS8_10device_ptrIiEEEESG_SI_NS1_21upper_bound_search_opENS9_16wrapped_functionINS8_6system6detail7generic6detail18binary_search_lessEbEEEE10hipError_tPvRmT1_T2_T3_mmT4_T5_P12ihipStream_tbEUlRKiE_EESV_SZ_S10_mS11_S14_bEUlT_E_NS1_11comp_targetILNS1_3genE5ELNS1_11target_archE942ELNS1_3gpuE9ELNS1_3repE0EEENS1_30default_config_static_selectorELNS0_4arch9wavefront6targetE0EEEvSY_.num_agpr, 0
	.set _ZN7rocprim17ROCPRIM_400000_NS6detail17trampoline_kernelINS0_14default_configENS1_27upper_bound_config_selectorIilEEZNS1_14transform_implILb0ES3_S5_N6thrust23THRUST_200600_302600_NS6detail15normal_iteratorINS8_7pointerIiNS8_11hip_rocprim5par_tENS8_11use_defaultESE_EEEENSA_INSB_IlSD_SE_SE_EEEEZNS1_13binary_searchIS3_S5_NSA_INS8_10device_ptrIiEEEESG_SI_NS1_21upper_bound_search_opENS9_16wrapped_functionINS8_6system6detail7generic6detail18binary_search_lessEbEEEE10hipError_tPvRmT1_T2_T3_mmT4_T5_P12ihipStream_tbEUlRKiE_EESV_SZ_S10_mS11_S14_bEUlT_E_NS1_11comp_targetILNS1_3genE5ELNS1_11target_archE942ELNS1_3gpuE9ELNS1_3repE0EEENS1_30default_config_static_selectorELNS0_4arch9wavefront6targetE0EEEvSY_.numbered_sgpr, 0
	.set _ZN7rocprim17ROCPRIM_400000_NS6detail17trampoline_kernelINS0_14default_configENS1_27upper_bound_config_selectorIilEEZNS1_14transform_implILb0ES3_S5_N6thrust23THRUST_200600_302600_NS6detail15normal_iteratorINS8_7pointerIiNS8_11hip_rocprim5par_tENS8_11use_defaultESE_EEEENSA_INSB_IlSD_SE_SE_EEEEZNS1_13binary_searchIS3_S5_NSA_INS8_10device_ptrIiEEEESG_SI_NS1_21upper_bound_search_opENS9_16wrapped_functionINS8_6system6detail7generic6detail18binary_search_lessEbEEEE10hipError_tPvRmT1_T2_T3_mmT4_T5_P12ihipStream_tbEUlRKiE_EESV_SZ_S10_mS11_S14_bEUlT_E_NS1_11comp_targetILNS1_3genE5ELNS1_11target_archE942ELNS1_3gpuE9ELNS1_3repE0EEENS1_30default_config_static_selectorELNS0_4arch9wavefront6targetE0EEEvSY_.num_named_barrier, 0
	.set _ZN7rocprim17ROCPRIM_400000_NS6detail17trampoline_kernelINS0_14default_configENS1_27upper_bound_config_selectorIilEEZNS1_14transform_implILb0ES3_S5_N6thrust23THRUST_200600_302600_NS6detail15normal_iteratorINS8_7pointerIiNS8_11hip_rocprim5par_tENS8_11use_defaultESE_EEEENSA_INSB_IlSD_SE_SE_EEEEZNS1_13binary_searchIS3_S5_NSA_INS8_10device_ptrIiEEEESG_SI_NS1_21upper_bound_search_opENS9_16wrapped_functionINS8_6system6detail7generic6detail18binary_search_lessEbEEEE10hipError_tPvRmT1_T2_T3_mmT4_T5_P12ihipStream_tbEUlRKiE_EESV_SZ_S10_mS11_S14_bEUlT_E_NS1_11comp_targetILNS1_3genE5ELNS1_11target_archE942ELNS1_3gpuE9ELNS1_3repE0EEENS1_30default_config_static_selectorELNS0_4arch9wavefront6targetE0EEEvSY_.private_seg_size, 0
	.set _ZN7rocprim17ROCPRIM_400000_NS6detail17trampoline_kernelINS0_14default_configENS1_27upper_bound_config_selectorIilEEZNS1_14transform_implILb0ES3_S5_N6thrust23THRUST_200600_302600_NS6detail15normal_iteratorINS8_7pointerIiNS8_11hip_rocprim5par_tENS8_11use_defaultESE_EEEENSA_INSB_IlSD_SE_SE_EEEEZNS1_13binary_searchIS3_S5_NSA_INS8_10device_ptrIiEEEESG_SI_NS1_21upper_bound_search_opENS9_16wrapped_functionINS8_6system6detail7generic6detail18binary_search_lessEbEEEE10hipError_tPvRmT1_T2_T3_mmT4_T5_P12ihipStream_tbEUlRKiE_EESV_SZ_S10_mS11_S14_bEUlT_E_NS1_11comp_targetILNS1_3genE5ELNS1_11target_archE942ELNS1_3gpuE9ELNS1_3repE0EEENS1_30default_config_static_selectorELNS0_4arch9wavefront6targetE0EEEvSY_.uses_vcc, 0
	.set _ZN7rocprim17ROCPRIM_400000_NS6detail17trampoline_kernelINS0_14default_configENS1_27upper_bound_config_selectorIilEEZNS1_14transform_implILb0ES3_S5_N6thrust23THRUST_200600_302600_NS6detail15normal_iteratorINS8_7pointerIiNS8_11hip_rocprim5par_tENS8_11use_defaultESE_EEEENSA_INSB_IlSD_SE_SE_EEEEZNS1_13binary_searchIS3_S5_NSA_INS8_10device_ptrIiEEEESG_SI_NS1_21upper_bound_search_opENS9_16wrapped_functionINS8_6system6detail7generic6detail18binary_search_lessEbEEEE10hipError_tPvRmT1_T2_T3_mmT4_T5_P12ihipStream_tbEUlRKiE_EESV_SZ_S10_mS11_S14_bEUlT_E_NS1_11comp_targetILNS1_3genE5ELNS1_11target_archE942ELNS1_3gpuE9ELNS1_3repE0EEENS1_30default_config_static_selectorELNS0_4arch9wavefront6targetE0EEEvSY_.uses_flat_scratch, 0
	.set _ZN7rocprim17ROCPRIM_400000_NS6detail17trampoline_kernelINS0_14default_configENS1_27upper_bound_config_selectorIilEEZNS1_14transform_implILb0ES3_S5_N6thrust23THRUST_200600_302600_NS6detail15normal_iteratorINS8_7pointerIiNS8_11hip_rocprim5par_tENS8_11use_defaultESE_EEEENSA_INSB_IlSD_SE_SE_EEEEZNS1_13binary_searchIS3_S5_NSA_INS8_10device_ptrIiEEEESG_SI_NS1_21upper_bound_search_opENS9_16wrapped_functionINS8_6system6detail7generic6detail18binary_search_lessEbEEEE10hipError_tPvRmT1_T2_T3_mmT4_T5_P12ihipStream_tbEUlRKiE_EESV_SZ_S10_mS11_S14_bEUlT_E_NS1_11comp_targetILNS1_3genE5ELNS1_11target_archE942ELNS1_3gpuE9ELNS1_3repE0EEENS1_30default_config_static_selectorELNS0_4arch9wavefront6targetE0EEEvSY_.has_dyn_sized_stack, 0
	.set _ZN7rocprim17ROCPRIM_400000_NS6detail17trampoline_kernelINS0_14default_configENS1_27upper_bound_config_selectorIilEEZNS1_14transform_implILb0ES3_S5_N6thrust23THRUST_200600_302600_NS6detail15normal_iteratorINS8_7pointerIiNS8_11hip_rocprim5par_tENS8_11use_defaultESE_EEEENSA_INSB_IlSD_SE_SE_EEEEZNS1_13binary_searchIS3_S5_NSA_INS8_10device_ptrIiEEEESG_SI_NS1_21upper_bound_search_opENS9_16wrapped_functionINS8_6system6detail7generic6detail18binary_search_lessEbEEEE10hipError_tPvRmT1_T2_T3_mmT4_T5_P12ihipStream_tbEUlRKiE_EESV_SZ_S10_mS11_S14_bEUlT_E_NS1_11comp_targetILNS1_3genE5ELNS1_11target_archE942ELNS1_3gpuE9ELNS1_3repE0EEENS1_30default_config_static_selectorELNS0_4arch9wavefront6targetE0EEEvSY_.has_recursion, 0
	.set _ZN7rocprim17ROCPRIM_400000_NS6detail17trampoline_kernelINS0_14default_configENS1_27upper_bound_config_selectorIilEEZNS1_14transform_implILb0ES3_S5_N6thrust23THRUST_200600_302600_NS6detail15normal_iteratorINS8_7pointerIiNS8_11hip_rocprim5par_tENS8_11use_defaultESE_EEEENSA_INSB_IlSD_SE_SE_EEEEZNS1_13binary_searchIS3_S5_NSA_INS8_10device_ptrIiEEEESG_SI_NS1_21upper_bound_search_opENS9_16wrapped_functionINS8_6system6detail7generic6detail18binary_search_lessEbEEEE10hipError_tPvRmT1_T2_T3_mmT4_T5_P12ihipStream_tbEUlRKiE_EESV_SZ_S10_mS11_S14_bEUlT_E_NS1_11comp_targetILNS1_3genE5ELNS1_11target_archE942ELNS1_3gpuE9ELNS1_3repE0EEENS1_30default_config_static_selectorELNS0_4arch9wavefront6targetE0EEEvSY_.has_indirect_call, 0
	.section	.AMDGPU.csdata,"",@progbits
; Kernel info:
; codeLenInByte = 0
; TotalNumSgprs: 0
; NumVgprs: 0
; ScratchSize: 0
; MemoryBound: 0
; FloatMode: 240
; IeeeMode: 1
; LDSByteSize: 0 bytes/workgroup (compile time only)
; SGPRBlocks: 0
; VGPRBlocks: 0
; NumSGPRsForWavesPerEU: 1
; NumVGPRsForWavesPerEU: 1
; Occupancy: 16
; WaveLimiterHint : 0
; COMPUTE_PGM_RSRC2:SCRATCH_EN: 0
; COMPUTE_PGM_RSRC2:USER_SGPR: 6
; COMPUTE_PGM_RSRC2:TRAP_HANDLER: 0
; COMPUTE_PGM_RSRC2:TGID_X_EN: 1
; COMPUTE_PGM_RSRC2:TGID_Y_EN: 0
; COMPUTE_PGM_RSRC2:TGID_Z_EN: 0
; COMPUTE_PGM_RSRC2:TIDIG_COMP_CNT: 0
	.section	.text._ZN7rocprim17ROCPRIM_400000_NS6detail17trampoline_kernelINS0_14default_configENS1_27upper_bound_config_selectorIilEEZNS1_14transform_implILb0ES3_S5_N6thrust23THRUST_200600_302600_NS6detail15normal_iteratorINS8_7pointerIiNS8_11hip_rocprim5par_tENS8_11use_defaultESE_EEEENSA_INSB_IlSD_SE_SE_EEEEZNS1_13binary_searchIS3_S5_NSA_INS8_10device_ptrIiEEEESG_SI_NS1_21upper_bound_search_opENS9_16wrapped_functionINS8_6system6detail7generic6detail18binary_search_lessEbEEEE10hipError_tPvRmT1_T2_T3_mmT4_T5_P12ihipStream_tbEUlRKiE_EESV_SZ_S10_mS11_S14_bEUlT_E_NS1_11comp_targetILNS1_3genE4ELNS1_11target_archE910ELNS1_3gpuE8ELNS1_3repE0EEENS1_30default_config_static_selectorELNS0_4arch9wavefront6targetE0EEEvSY_,"axG",@progbits,_ZN7rocprim17ROCPRIM_400000_NS6detail17trampoline_kernelINS0_14default_configENS1_27upper_bound_config_selectorIilEEZNS1_14transform_implILb0ES3_S5_N6thrust23THRUST_200600_302600_NS6detail15normal_iteratorINS8_7pointerIiNS8_11hip_rocprim5par_tENS8_11use_defaultESE_EEEENSA_INSB_IlSD_SE_SE_EEEEZNS1_13binary_searchIS3_S5_NSA_INS8_10device_ptrIiEEEESG_SI_NS1_21upper_bound_search_opENS9_16wrapped_functionINS8_6system6detail7generic6detail18binary_search_lessEbEEEE10hipError_tPvRmT1_T2_T3_mmT4_T5_P12ihipStream_tbEUlRKiE_EESV_SZ_S10_mS11_S14_bEUlT_E_NS1_11comp_targetILNS1_3genE4ELNS1_11target_archE910ELNS1_3gpuE8ELNS1_3repE0EEENS1_30default_config_static_selectorELNS0_4arch9wavefront6targetE0EEEvSY_,comdat
	.protected	_ZN7rocprim17ROCPRIM_400000_NS6detail17trampoline_kernelINS0_14default_configENS1_27upper_bound_config_selectorIilEEZNS1_14transform_implILb0ES3_S5_N6thrust23THRUST_200600_302600_NS6detail15normal_iteratorINS8_7pointerIiNS8_11hip_rocprim5par_tENS8_11use_defaultESE_EEEENSA_INSB_IlSD_SE_SE_EEEEZNS1_13binary_searchIS3_S5_NSA_INS8_10device_ptrIiEEEESG_SI_NS1_21upper_bound_search_opENS9_16wrapped_functionINS8_6system6detail7generic6detail18binary_search_lessEbEEEE10hipError_tPvRmT1_T2_T3_mmT4_T5_P12ihipStream_tbEUlRKiE_EESV_SZ_S10_mS11_S14_bEUlT_E_NS1_11comp_targetILNS1_3genE4ELNS1_11target_archE910ELNS1_3gpuE8ELNS1_3repE0EEENS1_30default_config_static_selectorELNS0_4arch9wavefront6targetE0EEEvSY_ ; -- Begin function _ZN7rocprim17ROCPRIM_400000_NS6detail17trampoline_kernelINS0_14default_configENS1_27upper_bound_config_selectorIilEEZNS1_14transform_implILb0ES3_S5_N6thrust23THRUST_200600_302600_NS6detail15normal_iteratorINS8_7pointerIiNS8_11hip_rocprim5par_tENS8_11use_defaultESE_EEEENSA_INSB_IlSD_SE_SE_EEEEZNS1_13binary_searchIS3_S5_NSA_INS8_10device_ptrIiEEEESG_SI_NS1_21upper_bound_search_opENS9_16wrapped_functionINS8_6system6detail7generic6detail18binary_search_lessEbEEEE10hipError_tPvRmT1_T2_T3_mmT4_T5_P12ihipStream_tbEUlRKiE_EESV_SZ_S10_mS11_S14_bEUlT_E_NS1_11comp_targetILNS1_3genE4ELNS1_11target_archE910ELNS1_3gpuE8ELNS1_3repE0EEENS1_30default_config_static_selectorELNS0_4arch9wavefront6targetE0EEEvSY_
	.globl	_ZN7rocprim17ROCPRIM_400000_NS6detail17trampoline_kernelINS0_14default_configENS1_27upper_bound_config_selectorIilEEZNS1_14transform_implILb0ES3_S5_N6thrust23THRUST_200600_302600_NS6detail15normal_iteratorINS8_7pointerIiNS8_11hip_rocprim5par_tENS8_11use_defaultESE_EEEENSA_INSB_IlSD_SE_SE_EEEEZNS1_13binary_searchIS3_S5_NSA_INS8_10device_ptrIiEEEESG_SI_NS1_21upper_bound_search_opENS9_16wrapped_functionINS8_6system6detail7generic6detail18binary_search_lessEbEEEE10hipError_tPvRmT1_T2_T3_mmT4_T5_P12ihipStream_tbEUlRKiE_EESV_SZ_S10_mS11_S14_bEUlT_E_NS1_11comp_targetILNS1_3genE4ELNS1_11target_archE910ELNS1_3gpuE8ELNS1_3repE0EEENS1_30default_config_static_selectorELNS0_4arch9wavefront6targetE0EEEvSY_
	.p2align	8
	.type	_ZN7rocprim17ROCPRIM_400000_NS6detail17trampoline_kernelINS0_14default_configENS1_27upper_bound_config_selectorIilEEZNS1_14transform_implILb0ES3_S5_N6thrust23THRUST_200600_302600_NS6detail15normal_iteratorINS8_7pointerIiNS8_11hip_rocprim5par_tENS8_11use_defaultESE_EEEENSA_INSB_IlSD_SE_SE_EEEEZNS1_13binary_searchIS3_S5_NSA_INS8_10device_ptrIiEEEESG_SI_NS1_21upper_bound_search_opENS9_16wrapped_functionINS8_6system6detail7generic6detail18binary_search_lessEbEEEE10hipError_tPvRmT1_T2_T3_mmT4_T5_P12ihipStream_tbEUlRKiE_EESV_SZ_S10_mS11_S14_bEUlT_E_NS1_11comp_targetILNS1_3genE4ELNS1_11target_archE910ELNS1_3gpuE8ELNS1_3repE0EEENS1_30default_config_static_selectorELNS0_4arch9wavefront6targetE0EEEvSY_,@function
_ZN7rocprim17ROCPRIM_400000_NS6detail17trampoline_kernelINS0_14default_configENS1_27upper_bound_config_selectorIilEEZNS1_14transform_implILb0ES3_S5_N6thrust23THRUST_200600_302600_NS6detail15normal_iteratorINS8_7pointerIiNS8_11hip_rocprim5par_tENS8_11use_defaultESE_EEEENSA_INSB_IlSD_SE_SE_EEEEZNS1_13binary_searchIS3_S5_NSA_INS8_10device_ptrIiEEEESG_SI_NS1_21upper_bound_search_opENS9_16wrapped_functionINS8_6system6detail7generic6detail18binary_search_lessEbEEEE10hipError_tPvRmT1_T2_T3_mmT4_T5_P12ihipStream_tbEUlRKiE_EESV_SZ_S10_mS11_S14_bEUlT_E_NS1_11comp_targetILNS1_3genE4ELNS1_11target_archE910ELNS1_3gpuE8ELNS1_3repE0EEENS1_30default_config_static_selectorELNS0_4arch9wavefront6targetE0EEEvSY_: ; @_ZN7rocprim17ROCPRIM_400000_NS6detail17trampoline_kernelINS0_14default_configENS1_27upper_bound_config_selectorIilEEZNS1_14transform_implILb0ES3_S5_N6thrust23THRUST_200600_302600_NS6detail15normal_iteratorINS8_7pointerIiNS8_11hip_rocprim5par_tENS8_11use_defaultESE_EEEENSA_INSB_IlSD_SE_SE_EEEEZNS1_13binary_searchIS3_S5_NSA_INS8_10device_ptrIiEEEESG_SI_NS1_21upper_bound_search_opENS9_16wrapped_functionINS8_6system6detail7generic6detail18binary_search_lessEbEEEE10hipError_tPvRmT1_T2_T3_mmT4_T5_P12ihipStream_tbEUlRKiE_EESV_SZ_S10_mS11_S14_bEUlT_E_NS1_11comp_targetILNS1_3genE4ELNS1_11target_archE910ELNS1_3gpuE8ELNS1_3repE0EEENS1_30default_config_static_selectorELNS0_4arch9wavefront6targetE0EEEvSY_
; %bb.0:
	.section	.rodata,"a",@progbits
	.p2align	6, 0x0
	.amdhsa_kernel _ZN7rocprim17ROCPRIM_400000_NS6detail17trampoline_kernelINS0_14default_configENS1_27upper_bound_config_selectorIilEEZNS1_14transform_implILb0ES3_S5_N6thrust23THRUST_200600_302600_NS6detail15normal_iteratorINS8_7pointerIiNS8_11hip_rocprim5par_tENS8_11use_defaultESE_EEEENSA_INSB_IlSD_SE_SE_EEEEZNS1_13binary_searchIS3_S5_NSA_INS8_10device_ptrIiEEEESG_SI_NS1_21upper_bound_search_opENS9_16wrapped_functionINS8_6system6detail7generic6detail18binary_search_lessEbEEEE10hipError_tPvRmT1_T2_T3_mmT4_T5_P12ihipStream_tbEUlRKiE_EESV_SZ_S10_mS11_S14_bEUlT_E_NS1_11comp_targetILNS1_3genE4ELNS1_11target_archE910ELNS1_3gpuE8ELNS1_3repE0EEENS1_30default_config_static_selectorELNS0_4arch9wavefront6targetE0EEEvSY_
		.amdhsa_group_segment_fixed_size 0
		.amdhsa_private_segment_fixed_size 0
		.amdhsa_kernarg_size 56
		.amdhsa_user_sgpr_count 6
		.amdhsa_user_sgpr_private_segment_buffer 1
		.amdhsa_user_sgpr_dispatch_ptr 0
		.amdhsa_user_sgpr_queue_ptr 0
		.amdhsa_user_sgpr_kernarg_segment_ptr 1
		.amdhsa_user_sgpr_dispatch_id 0
		.amdhsa_user_sgpr_flat_scratch_init 0
		.amdhsa_user_sgpr_private_segment_size 0
		.amdhsa_wavefront_size32 1
		.amdhsa_uses_dynamic_stack 0
		.amdhsa_system_sgpr_private_segment_wavefront_offset 0
		.amdhsa_system_sgpr_workgroup_id_x 1
		.amdhsa_system_sgpr_workgroup_id_y 0
		.amdhsa_system_sgpr_workgroup_id_z 0
		.amdhsa_system_sgpr_workgroup_info 0
		.amdhsa_system_vgpr_workitem_id 0
		.amdhsa_next_free_vgpr 1
		.amdhsa_next_free_sgpr 1
		.amdhsa_reserve_vcc 0
		.amdhsa_reserve_flat_scratch 0
		.amdhsa_float_round_mode_32 0
		.amdhsa_float_round_mode_16_64 0
		.amdhsa_float_denorm_mode_32 3
		.amdhsa_float_denorm_mode_16_64 3
		.amdhsa_dx10_clamp 1
		.amdhsa_ieee_mode 1
		.amdhsa_fp16_overflow 0
		.amdhsa_workgroup_processor_mode 1
		.amdhsa_memory_ordered 1
		.amdhsa_forward_progress 1
		.amdhsa_shared_vgpr_count 0
		.amdhsa_exception_fp_ieee_invalid_op 0
		.amdhsa_exception_fp_denorm_src 0
		.amdhsa_exception_fp_ieee_div_zero 0
		.amdhsa_exception_fp_ieee_overflow 0
		.amdhsa_exception_fp_ieee_underflow 0
		.amdhsa_exception_fp_ieee_inexact 0
		.amdhsa_exception_int_div_zero 0
	.end_amdhsa_kernel
	.section	.text._ZN7rocprim17ROCPRIM_400000_NS6detail17trampoline_kernelINS0_14default_configENS1_27upper_bound_config_selectorIilEEZNS1_14transform_implILb0ES3_S5_N6thrust23THRUST_200600_302600_NS6detail15normal_iteratorINS8_7pointerIiNS8_11hip_rocprim5par_tENS8_11use_defaultESE_EEEENSA_INSB_IlSD_SE_SE_EEEEZNS1_13binary_searchIS3_S5_NSA_INS8_10device_ptrIiEEEESG_SI_NS1_21upper_bound_search_opENS9_16wrapped_functionINS8_6system6detail7generic6detail18binary_search_lessEbEEEE10hipError_tPvRmT1_T2_T3_mmT4_T5_P12ihipStream_tbEUlRKiE_EESV_SZ_S10_mS11_S14_bEUlT_E_NS1_11comp_targetILNS1_3genE4ELNS1_11target_archE910ELNS1_3gpuE8ELNS1_3repE0EEENS1_30default_config_static_selectorELNS0_4arch9wavefront6targetE0EEEvSY_,"axG",@progbits,_ZN7rocprim17ROCPRIM_400000_NS6detail17trampoline_kernelINS0_14default_configENS1_27upper_bound_config_selectorIilEEZNS1_14transform_implILb0ES3_S5_N6thrust23THRUST_200600_302600_NS6detail15normal_iteratorINS8_7pointerIiNS8_11hip_rocprim5par_tENS8_11use_defaultESE_EEEENSA_INSB_IlSD_SE_SE_EEEEZNS1_13binary_searchIS3_S5_NSA_INS8_10device_ptrIiEEEESG_SI_NS1_21upper_bound_search_opENS9_16wrapped_functionINS8_6system6detail7generic6detail18binary_search_lessEbEEEE10hipError_tPvRmT1_T2_T3_mmT4_T5_P12ihipStream_tbEUlRKiE_EESV_SZ_S10_mS11_S14_bEUlT_E_NS1_11comp_targetILNS1_3genE4ELNS1_11target_archE910ELNS1_3gpuE8ELNS1_3repE0EEENS1_30default_config_static_selectorELNS0_4arch9wavefront6targetE0EEEvSY_,comdat
.Lfunc_end583:
	.size	_ZN7rocprim17ROCPRIM_400000_NS6detail17trampoline_kernelINS0_14default_configENS1_27upper_bound_config_selectorIilEEZNS1_14transform_implILb0ES3_S5_N6thrust23THRUST_200600_302600_NS6detail15normal_iteratorINS8_7pointerIiNS8_11hip_rocprim5par_tENS8_11use_defaultESE_EEEENSA_INSB_IlSD_SE_SE_EEEEZNS1_13binary_searchIS3_S5_NSA_INS8_10device_ptrIiEEEESG_SI_NS1_21upper_bound_search_opENS9_16wrapped_functionINS8_6system6detail7generic6detail18binary_search_lessEbEEEE10hipError_tPvRmT1_T2_T3_mmT4_T5_P12ihipStream_tbEUlRKiE_EESV_SZ_S10_mS11_S14_bEUlT_E_NS1_11comp_targetILNS1_3genE4ELNS1_11target_archE910ELNS1_3gpuE8ELNS1_3repE0EEENS1_30default_config_static_selectorELNS0_4arch9wavefront6targetE0EEEvSY_, .Lfunc_end583-_ZN7rocprim17ROCPRIM_400000_NS6detail17trampoline_kernelINS0_14default_configENS1_27upper_bound_config_selectorIilEEZNS1_14transform_implILb0ES3_S5_N6thrust23THRUST_200600_302600_NS6detail15normal_iteratorINS8_7pointerIiNS8_11hip_rocprim5par_tENS8_11use_defaultESE_EEEENSA_INSB_IlSD_SE_SE_EEEEZNS1_13binary_searchIS3_S5_NSA_INS8_10device_ptrIiEEEESG_SI_NS1_21upper_bound_search_opENS9_16wrapped_functionINS8_6system6detail7generic6detail18binary_search_lessEbEEEE10hipError_tPvRmT1_T2_T3_mmT4_T5_P12ihipStream_tbEUlRKiE_EESV_SZ_S10_mS11_S14_bEUlT_E_NS1_11comp_targetILNS1_3genE4ELNS1_11target_archE910ELNS1_3gpuE8ELNS1_3repE0EEENS1_30default_config_static_selectorELNS0_4arch9wavefront6targetE0EEEvSY_
                                        ; -- End function
	.set _ZN7rocprim17ROCPRIM_400000_NS6detail17trampoline_kernelINS0_14default_configENS1_27upper_bound_config_selectorIilEEZNS1_14transform_implILb0ES3_S5_N6thrust23THRUST_200600_302600_NS6detail15normal_iteratorINS8_7pointerIiNS8_11hip_rocprim5par_tENS8_11use_defaultESE_EEEENSA_INSB_IlSD_SE_SE_EEEEZNS1_13binary_searchIS3_S5_NSA_INS8_10device_ptrIiEEEESG_SI_NS1_21upper_bound_search_opENS9_16wrapped_functionINS8_6system6detail7generic6detail18binary_search_lessEbEEEE10hipError_tPvRmT1_T2_T3_mmT4_T5_P12ihipStream_tbEUlRKiE_EESV_SZ_S10_mS11_S14_bEUlT_E_NS1_11comp_targetILNS1_3genE4ELNS1_11target_archE910ELNS1_3gpuE8ELNS1_3repE0EEENS1_30default_config_static_selectorELNS0_4arch9wavefront6targetE0EEEvSY_.num_vgpr, 0
	.set _ZN7rocprim17ROCPRIM_400000_NS6detail17trampoline_kernelINS0_14default_configENS1_27upper_bound_config_selectorIilEEZNS1_14transform_implILb0ES3_S5_N6thrust23THRUST_200600_302600_NS6detail15normal_iteratorINS8_7pointerIiNS8_11hip_rocprim5par_tENS8_11use_defaultESE_EEEENSA_INSB_IlSD_SE_SE_EEEEZNS1_13binary_searchIS3_S5_NSA_INS8_10device_ptrIiEEEESG_SI_NS1_21upper_bound_search_opENS9_16wrapped_functionINS8_6system6detail7generic6detail18binary_search_lessEbEEEE10hipError_tPvRmT1_T2_T3_mmT4_T5_P12ihipStream_tbEUlRKiE_EESV_SZ_S10_mS11_S14_bEUlT_E_NS1_11comp_targetILNS1_3genE4ELNS1_11target_archE910ELNS1_3gpuE8ELNS1_3repE0EEENS1_30default_config_static_selectorELNS0_4arch9wavefront6targetE0EEEvSY_.num_agpr, 0
	.set _ZN7rocprim17ROCPRIM_400000_NS6detail17trampoline_kernelINS0_14default_configENS1_27upper_bound_config_selectorIilEEZNS1_14transform_implILb0ES3_S5_N6thrust23THRUST_200600_302600_NS6detail15normal_iteratorINS8_7pointerIiNS8_11hip_rocprim5par_tENS8_11use_defaultESE_EEEENSA_INSB_IlSD_SE_SE_EEEEZNS1_13binary_searchIS3_S5_NSA_INS8_10device_ptrIiEEEESG_SI_NS1_21upper_bound_search_opENS9_16wrapped_functionINS8_6system6detail7generic6detail18binary_search_lessEbEEEE10hipError_tPvRmT1_T2_T3_mmT4_T5_P12ihipStream_tbEUlRKiE_EESV_SZ_S10_mS11_S14_bEUlT_E_NS1_11comp_targetILNS1_3genE4ELNS1_11target_archE910ELNS1_3gpuE8ELNS1_3repE0EEENS1_30default_config_static_selectorELNS0_4arch9wavefront6targetE0EEEvSY_.numbered_sgpr, 0
	.set _ZN7rocprim17ROCPRIM_400000_NS6detail17trampoline_kernelINS0_14default_configENS1_27upper_bound_config_selectorIilEEZNS1_14transform_implILb0ES3_S5_N6thrust23THRUST_200600_302600_NS6detail15normal_iteratorINS8_7pointerIiNS8_11hip_rocprim5par_tENS8_11use_defaultESE_EEEENSA_INSB_IlSD_SE_SE_EEEEZNS1_13binary_searchIS3_S5_NSA_INS8_10device_ptrIiEEEESG_SI_NS1_21upper_bound_search_opENS9_16wrapped_functionINS8_6system6detail7generic6detail18binary_search_lessEbEEEE10hipError_tPvRmT1_T2_T3_mmT4_T5_P12ihipStream_tbEUlRKiE_EESV_SZ_S10_mS11_S14_bEUlT_E_NS1_11comp_targetILNS1_3genE4ELNS1_11target_archE910ELNS1_3gpuE8ELNS1_3repE0EEENS1_30default_config_static_selectorELNS0_4arch9wavefront6targetE0EEEvSY_.num_named_barrier, 0
	.set _ZN7rocprim17ROCPRIM_400000_NS6detail17trampoline_kernelINS0_14default_configENS1_27upper_bound_config_selectorIilEEZNS1_14transform_implILb0ES3_S5_N6thrust23THRUST_200600_302600_NS6detail15normal_iteratorINS8_7pointerIiNS8_11hip_rocprim5par_tENS8_11use_defaultESE_EEEENSA_INSB_IlSD_SE_SE_EEEEZNS1_13binary_searchIS3_S5_NSA_INS8_10device_ptrIiEEEESG_SI_NS1_21upper_bound_search_opENS9_16wrapped_functionINS8_6system6detail7generic6detail18binary_search_lessEbEEEE10hipError_tPvRmT1_T2_T3_mmT4_T5_P12ihipStream_tbEUlRKiE_EESV_SZ_S10_mS11_S14_bEUlT_E_NS1_11comp_targetILNS1_3genE4ELNS1_11target_archE910ELNS1_3gpuE8ELNS1_3repE0EEENS1_30default_config_static_selectorELNS0_4arch9wavefront6targetE0EEEvSY_.private_seg_size, 0
	.set _ZN7rocprim17ROCPRIM_400000_NS6detail17trampoline_kernelINS0_14default_configENS1_27upper_bound_config_selectorIilEEZNS1_14transform_implILb0ES3_S5_N6thrust23THRUST_200600_302600_NS6detail15normal_iteratorINS8_7pointerIiNS8_11hip_rocprim5par_tENS8_11use_defaultESE_EEEENSA_INSB_IlSD_SE_SE_EEEEZNS1_13binary_searchIS3_S5_NSA_INS8_10device_ptrIiEEEESG_SI_NS1_21upper_bound_search_opENS9_16wrapped_functionINS8_6system6detail7generic6detail18binary_search_lessEbEEEE10hipError_tPvRmT1_T2_T3_mmT4_T5_P12ihipStream_tbEUlRKiE_EESV_SZ_S10_mS11_S14_bEUlT_E_NS1_11comp_targetILNS1_3genE4ELNS1_11target_archE910ELNS1_3gpuE8ELNS1_3repE0EEENS1_30default_config_static_selectorELNS0_4arch9wavefront6targetE0EEEvSY_.uses_vcc, 0
	.set _ZN7rocprim17ROCPRIM_400000_NS6detail17trampoline_kernelINS0_14default_configENS1_27upper_bound_config_selectorIilEEZNS1_14transform_implILb0ES3_S5_N6thrust23THRUST_200600_302600_NS6detail15normal_iteratorINS8_7pointerIiNS8_11hip_rocprim5par_tENS8_11use_defaultESE_EEEENSA_INSB_IlSD_SE_SE_EEEEZNS1_13binary_searchIS3_S5_NSA_INS8_10device_ptrIiEEEESG_SI_NS1_21upper_bound_search_opENS9_16wrapped_functionINS8_6system6detail7generic6detail18binary_search_lessEbEEEE10hipError_tPvRmT1_T2_T3_mmT4_T5_P12ihipStream_tbEUlRKiE_EESV_SZ_S10_mS11_S14_bEUlT_E_NS1_11comp_targetILNS1_3genE4ELNS1_11target_archE910ELNS1_3gpuE8ELNS1_3repE0EEENS1_30default_config_static_selectorELNS0_4arch9wavefront6targetE0EEEvSY_.uses_flat_scratch, 0
	.set _ZN7rocprim17ROCPRIM_400000_NS6detail17trampoline_kernelINS0_14default_configENS1_27upper_bound_config_selectorIilEEZNS1_14transform_implILb0ES3_S5_N6thrust23THRUST_200600_302600_NS6detail15normal_iteratorINS8_7pointerIiNS8_11hip_rocprim5par_tENS8_11use_defaultESE_EEEENSA_INSB_IlSD_SE_SE_EEEEZNS1_13binary_searchIS3_S5_NSA_INS8_10device_ptrIiEEEESG_SI_NS1_21upper_bound_search_opENS9_16wrapped_functionINS8_6system6detail7generic6detail18binary_search_lessEbEEEE10hipError_tPvRmT1_T2_T3_mmT4_T5_P12ihipStream_tbEUlRKiE_EESV_SZ_S10_mS11_S14_bEUlT_E_NS1_11comp_targetILNS1_3genE4ELNS1_11target_archE910ELNS1_3gpuE8ELNS1_3repE0EEENS1_30default_config_static_selectorELNS0_4arch9wavefront6targetE0EEEvSY_.has_dyn_sized_stack, 0
	.set _ZN7rocprim17ROCPRIM_400000_NS6detail17trampoline_kernelINS0_14default_configENS1_27upper_bound_config_selectorIilEEZNS1_14transform_implILb0ES3_S5_N6thrust23THRUST_200600_302600_NS6detail15normal_iteratorINS8_7pointerIiNS8_11hip_rocprim5par_tENS8_11use_defaultESE_EEEENSA_INSB_IlSD_SE_SE_EEEEZNS1_13binary_searchIS3_S5_NSA_INS8_10device_ptrIiEEEESG_SI_NS1_21upper_bound_search_opENS9_16wrapped_functionINS8_6system6detail7generic6detail18binary_search_lessEbEEEE10hipError_tPvRmT1_T2_T3_mmT4_T5_P12ihipStream_tbEUlRKiE_EESV_SZ_S10_mS11_S14_bEUlT_E_NS1_11comp_targetILNS1_3genE4ELNS1_11target_archE910ELNS1_3gpuE8ELNS1_3repE0EEENS1_30default_config_static_selectorELNS0_4arch9wavefront6targetE0EEEvSY_.has_recursion, 0
	.set _ZN7rocprim17ROCPRIM_400000_NS6detail17trampoline_kernelINS0_14default_configENS1_27upper_bound_config_selectorIilEEZNS1_14transform_implILb0ES3_S5_N6thrust23THRUST_200600_302600_NS6detail15normal_iteratorINS8_7pointerIiNS8_11hip_rocprim5par_tENS8_11use_defaultESE_EEEENSA_INSB_IlSD_SE_SE_EEEEZNS1_13binary_searchIS3_S5_NSA_INS8_10device_ptrIiEEEESG_SI_NS1_21upper_bound_search_opENS9_16wrapped_functionINS8_6system6detail7generic6detail18binary_search_lessEbEEEE10hipError_tPvRmT1_T2_T3_mmT4_T5_P12ihipStream_tbEUlRKiE_EESV_SZ_S10_mS11_S14_bEUlT_E_NS1_11comp_targetILNS1_3genE4ELNS1_11target_archE910ELNS1_3gpuE8ELNS1_3repE0EEENS1_30default_config_static_selectorELNS0_4arch9wavefront6targetE0EEEvSY_.has_indirect_call, 0
	.section	.AMDGPU.csdata,"",@progbits
; Kernel info:
; codeLenInByte = 0
; TotalNumSgprs: 0
; NumVgprs: 0
; ScratchSize: 0
; MemoryBound: 0
; FloatMode: 240
; IeeeMode: 1
; LDSByteSize: 0 bytes/workgroup (compile time only)
; SGPRBlocks: 0
; VGPRBlocks: 0
; NumSGPRsForWavesPerEU: 1
; NumVGPRsForWavesPerEU: 1
; Occupancy: 16
; WaveLimiterHint : 0
; COMPUTE_PGM_RSRC2:SCRATCH_EN: 0
; COMPUTE_PGM_RSRC2:USER_SGPR: 6
; COMPUTE_PGM_RSRC2:TRAP_HANDLER: 0
; COMPUTE_PGM_RSRC2:TGID_X_EN: 1
; COMPUTE_PGM_RSRC2:TGID_Y_EN: 0
; COMPUTE_PGM_RSRC2:TGID_Z_EN: 0
; COMPUTE_PGM_RSRC2:TIDIG_COMP_CNT: 0
	.section	.text._ZN7rocprim17ROCPRIM_400000_NS6detail17trampoline_kernelINS0_14default_configENS1_27upper_bound_config_selectorIilEEZNS1_14transform_implILb0ES3_S5_N6thrust23THRUST_200600_302600_NS6detail15normal_iteratorINS8_7pointerIiNS8_11hip_rocprim5par_tENS8_11use_defaultESE_EEEENSA_INSB_IlSD_SE_SE_EEEEZNS1_13binary_searchIS3_S5_NSA_INS8_10device_ptrIiEEEESG_SI_NS1_21upper_bound_search_opENS9_16wrapped_functionINS8_6system6detail7generic6detail18binary_search_lessEbEEEE10hipError_tPvRmT1_T2_T3_mmT4_T5_P12ihipStream_tbEUlRKiE_EESV_SZ_S10_mS11_S14_bEUlT_E_NS1_11comp_targetILNS1_3genE3ELNS1_11target_archE908ELNS1_3gpuE7ELNS1_3repE0EEENS1_30default_config_static_selectorELNS0_4arch9wavefront6targetE0EEEvSY_,"axG",@progbits,_ZN7rocprim17ROCPRIM_400000_NS6detail17trampoline_kernelINS0_14default_configENS1_27upper_bound_config_selectorIilEEZNS1_14transform_implILb0ES3_S5_N6thrust23THRUST_200600_302600_NS6detail15normal_iteratorINS8_7pointerIiNS8_11hip_rocprim5par_tENS8_11use_defaultESE_EEEENSA_INSB_IlSD_SE_SE_EEEEZNS1_13binary_searchIS3_S5_NSA_INS8_10device_ptrIiEEEESG_SI_NS1_21upper_bound_search_opENS9_16wrapped_functionINS8_6system6detail7generic6detail18binary_search_lessEbEEEE10hipError_tPvRmT1_T2_T3_mmT4_T5_P12ihipStream_tbEUlRKiE_EESV_SZ_S10_mS11_S14_bEUlT_E_NS1_11comp_targetILNS1_3genE3ELNS1_11target_archE908ELNS1_3gpuE7ELNS1_3repE0EEENS1_30default_config_static_selectorELNS0_4arch9wavefront6targetE0EEEvSY_,comdat
	.protected	_ZN7rocprim17ROCPRIM_400000_NS6detail17trampoline_kernelINS0_14default_configENS1_27upper_bound_config_selectorIilEEZNS1_14transform_implILb0ES3_S5_N6thrust23THRUST_200600_302600_NS6detail15normal_iteratorINS8_7pointerIiNS8_11hip_rocprim5par_tENS8_11use_defaultESE_EEEENSA_INSB_IlSD_SE_SE_EEEEZNS1_13binary_searchIS3_S5_NSA_INS8_10device_ptrIiEEEESG_SI_NS1_21upper_bound_search_opENS9_16wrapped_functionINS8_6system6detail7generic6detail18binary_search_lessEbEEEE10hipError_tPvRmT1_T2_T3_mmT4_T5_P12ihipStream_tbEUlRKiE_EESV_SZ_S10_mS11_S14_bEUlT_E_NS1_11comp_targetILNS1_3genE3ELNS1_11target_archE908ELNS1_3gpuE7ELNS1_3repE0EEENS1_30default_config_static_selectorELNS0_4arch9wavefront6targetE0EEEvSY_ ; -- Begin function _ZN7rocprim17ROCPRIM_400000_NS6detail17trampoline_kernelINS0_14default_configENS1_27upper_bound_config_selectorIilEEZNS1_14transform_implILb0ES3_S5_N6thrust23THRUST_200600_302600_NS6detail15normal_iteratorINS8_7pointerIiNS8_11hip_rocprim5par_tENS8_11use_defaultESE_EEEENSA_INSB_IlSD_SE_SE_EEEEZNS1_13binary_searchIS3_S5_NSA_INS8_10device_ptrIiEEEESG_SI_NS1_21upper_bound_search_opENS9_16wrapped_functionINS8_6system6detail7generic6detail18binary_search_lessEbEEEE10hipError_tPvRmT1_T2_T3_mmT4_T5_P12ihipStream_tbEUlRKiE_EESV_SZ_S10_mS11_S14_bEUlT_E_NS1_11comp_targetILNS1_3genE3ELNS1_11target_archE908ELNS1_3gpuE7ELNS1_3repE0EEENS1_30default_config_static_selectorELNS0_4arch9wavefront6targetE0EEEvSY_
	.globl	_ZN7rocprim17ROCPRIM_400000_NS6detail17trampoline_kernelINS0_14default_configENS1_27upper_bound_config_selectorIilEEZNS1_14transform_implILb0ES3_S5_N6thrust23THRUST_200600_302600_NS6detail15normal_iteratorINS8_7pointerIiNS8_11hip_rocprim5par_tENS8_11use_defaultESE_EEEENSA_INSB_IlSD_SE_SE_EEEEZNS1_13binary_searchIS3_S5_NSA_INS8_10device_ptrIiEEEESG_SI_NS1_21upper_bound_search_opENS9_16wrapped_functionINS8_6system6detail7generic6detail18binary_search_lessEbEEEE10hipError_tPvRmT1_T2_T3_mmT4_T5_P12ihipStream_tbEUlRKiE_EESV_SZ_S10_mS11_S14_bEUlT_E_NS1_11comp_targetILNS1_3genE3ELNS1_11target_archE908ELNS1_3gpuE7ELNS1_3repE0EEENS1_30default_config_static_selectorELNS0_4arch9wavefront6targetE0EEEvSY_
	.p2align	8
	.type	_ZN7rocprim17ROCPRIM_400000_NS6detail17trampoline_kernelINS0_14default_configENS1_27upper_bound_config_selectorIilEEZNS1_14transform_implILb0ES3_S5_N6thrust23THRUST_200600_302600_NS6detail15normal_iteratorINS8_7pointerIiNS8_11hip_rocprim5par_tENS8_11use_defaultESE_EEEENSA_INSB_IlSD_SE_SE_EEEEZNS1_13binary_searchIS3_S5_NSA_INS8_10device_ptrIiEEEESG_SI_NS1_21upper_bound_search_opENS9_16wrapped_functionINS8_6system6detail7generic6detail18binary_search_lessEbEEEE10hipError_tPvRmT1_T2_T3_mmT4_T5_P12ihipStream_tbEUlRKiE_EESV_SZ_S10_mS11_S14_bEUlT_E_NS1_11comp_targetILNS1_3genE3ELNS1_11target_archE908ELNS1_3gpuE7ELNS1_3repE0EEENS1_30default_config_static_selectorELNS0_4arch9wavefront6targetE0EEEvSY_,@function
_ZN7rocprim17ROCPRIM_400000_NS6detail17trampoline_kernelINS0_14default_configENS1_27upper_bound_config_selectorIilEEZNS1_14transform_implILb0ES3_S5_N6thrust23THRUST_200600_302600_NS6detail15normal_iteratorINS8_7pointerIiNS8_11hip_rocprim5par_tENS8_11use_defaultESE_EEEENSA_INSB_IlSD_SE_SE_EEEEZNS1_13binary_searchIS3_S5_NSA_INS8_10device_ptrIiEEEESG_SI_NS1_21upper_bound_search_opENS9_16wrapped_functionINS8_6system6detail7generic6detail18binary_search_lessEbEEEE10hipError_tPvRmT1_T2_T3_mmT4_T5_P12ihipStream_tbEUlRKiE_EESV_SZ_S10_mS11_S14_bEUlT_E_NS1_11comp_targetILNS1_3genE3ELNS1_11target_archE908ELNS1_3gpuE7ELNS1_3repE0EEENS1_30default_config_static_selectorELNS0_4arch9wavefront6targetE0EEEvSY_: ; @_ZN7rocprim17ROCPRIM_400000_NS6detail17trampoline_kernelINS0_14default_configENS1_27upper_bound_config_selectorIilEEZNS1_14transform_implILb0ES3_S5_N6thrust23THRUST_200600_302600_NS6detail15normal_iteratorINS8_7pointerIiNS8_11hip_rocprim5par_tENS8_11use_defaultESE_EEEENSA_INSB_IlSD_SE_SE_EEEEZNS1_13binary_searchIS3_S5_NSA_INS8_10device_ptrIiEEEESG_SI_NS1_21upper_bound_search_opENS9_16wrapped_functionINS8_6system6detail7generic6detail18binary_search_lessEbEEEE10hipError_tPvRmT1_T2_T3_mmT4_T5_P12ihipStream_tbEUlRKiE_EESV_SZ_S10_mS11_S14_bEUlT_E_NS1_11comp_targetILNS1_3genE3ELNS1_11target_archE908ELNS1_3gpuE7ELNS1_3repE0EEENS1_30default_config_static_selectorELNS0_4arch9wavefront6targetE0EEEvSY_
; %bb.0:
	.section	.rodata,"a",@progbits
	.p2align	6, 0x0
	.amdhsa_kernel _ZN7rocprim17ROCPRIM_400000_NS6detail17trampoline_kernelINS0_14default_configENS1_27upper_bound_config_selectorIilEEZNS1_14transform_implILb0ES3_S5_N6thrust23THRUST_200600_302600_NS6detail15normal_iteratorINS8_7pointerIiNS8_11hip_rocprim5par_tENS8_11use_defaultESE_EEEENSA_INSB_IlSD_SE_SE_EEEEZNS1_13binary_searchIS3_S5_NSA_INS8_10device_ptrIiEEEESG_SI_NS1_21upper_bound_search_opENS9_16wrapped_functionINS8_6system6detail7generic6detail18binary_search_lessEbEEEE10hipError_tPvRmT1_T2_T3_mmT4_T5_P12ihipStream_tbEUlRKiE_EESV_SZ_S10_mS11_S14_bEUlT_E_NS1_11comp_targetILNS1_3genE3ELNS1_11target_archE908ELNS1_3gpuE7ELNS1_3repE0EEENS1_30default_config_static_selectorELNS0_4arch9wavefront6targetE0EEEvSY_
		.amdhsa_group_segment_fixed_size 0
		.amdhsa_private_segment_fixed_size 0
		.amdhsa_kernarg_size 56
		.amdhsa_user_sgpr_count 6
		.amdhsa_user_sgpr_private_segment_buffer 1
		.amdhsa_user_sgpr_dispatch_ptr 0
		.amdhsa_user_sgpr_queue_ptr 0
		.amdhsa_user_sgpr_kernarg_segment_ptr 1
		.amdhsa_user_sgpr_dispatch_id 0
		.amdhsa_user_sgpr_flat_scratch_init 0
		.amdhsa_user_sgpr_private_segment_size 0
		.amdhsa_wavefront_size32 1
		.amdhsa_uses_dynamic_stack 0
		.amdhsa_system_sgpr_private_segment_wavefront_offset 0
		.amdhsa_system_sgpr_workgroup_id_x 1
		.amdhsa_system_sgpr_workgroup_id_y 0
		.amdhsa_system_sgpr_workgroup_id_z 0
		.amdhsa_system_sgpr_workgroup_info 0
		.amdhsa_system_vgpr_workitem_id 0
		.amdhsa_next_free_vgpr 1
		.amdhsa_next_free_sgpr 1
		.amdhsa_reserve_vcc 0
		.amdhsa_reserve_flat_scratch 0
		.amdhsa_float_round_mode_32 0
		.amdhsa_float_round_mode_16_64 0
		.amdhsa_float_denorm_mode_32 3
		.amdhsa_float_denorm_mode_16_64 3
		.amdhsa_dx10_clamp 1
		.amdhsa_ieee_mode 1
		.amdhsa_fp16_overflow 0
		.amdhsa_workgroup_processor_mode 1
		.amdhsa_memory_ordered 1
		.amdhsa_forward_progress 1
		.amdhsa_shared_vgpr_count 0
		.amdhsa_exception_fp_ieee_invalid_op 0
		.amdhsa_exception_fp_denorm_src 0
		.amdhsa_exception_fp_ieee_div_zero 0
		.amdhsa_exception_fp_ieee_overflow 0
		.amdhsa_exception_fp_ieee_underflow 0
		.amdhsa_exception_fp_ieee_inexact 0
		.amdhsa_exception_int_div_zero 0
	.end_amdhsa_kernel
	.section	.text._ZN7rocprim17ROCPRIM_400000_NS6detail17trampoline_kernelINS0_14default_configENS1_27upper_bound_config_selectorIilEEZNS1_14transform_implILb0ES3_S5_N6thrust23THRUST_200600_302600_NS6detail15normal_iteratorINS8_7pointerIiNS8_11hip_rocprim5par_tENS8_11use_defaultESE_EEEENSA_INSB_IlSD_SE_SE_EEEEZNS1_13binary_searchIS3_S5_NSA_INS8_10device_ptrIiEEEESG_SI_NS1_21upper_bound_search_opENS9_16wrapped_functionINS8_6system6detail7generic6detail18binary_search_lessEbEEEE10hipError_tPvRmT1_T2_T3_mmT4_T5_P12ihipStream_tbEUlRKiE_EESV_SZ_S10_mS11_S14_bEUlT_E_NS1_11comp_targetILNS1_3genE3ELNS1_11target_archE908ELNS1_3gpuE7ELNS1_3repE0EEENS1_30default_config_static_selectorELNS0_4arch9wavefront6targetE0EEEvSY_,"axG",@progbits,_ZN7rocprim17ROCPRIM_400000_NS6detail17trampoline_kernelINS0_14default_configENS1_27upper_bound_config_selectorIilEEZNS1_14transform_implILb0ES3_S5_N6thrust23THRUST_200600_302600_NS6detail15normal_iteratorINS8_7pointerIiNS8_11hip_rocprim5par_tENS8_11use_defaultESE_EEEENSA_INSB_IlSD_SE_SE_EEEEZNS1_13binary_searchIS3_S5_NSA_INS8_10device_ptrIiEEEESG_SI_NS1_21upper_bound_search_opENS9_16wrapped_functionINS8_6system6detail7generic6detail18binary_search_lessEbEEEE10hipError_tPvRmT1_T2_T3_mmT4_T5_P12ihipStream_tbEUlRKiE_EESV_SZ_S10_mS11_S14_bEUlT_E_NS1_11comp_targetILNS1_3genE3ELNS1_11target_archE908ELNS1_3gpuE7ELNS1_3repE0EEENS1_30default_config_static_selectorELNS0_4arch9wavefront6targetE0EEEvSY_,comdat
.Lfunc_end584:
	.size	_ZN7rocprim17ROCPRIM_400000_NS6detail17trampoline_kernelINS0_14default_configENS1_27upper_bound_config_selectorIilEEZNS1_14transform_implILb0ES3_S5_N6thrust23THRUST_200600_302600_NS6detail15normal_iteratorINS8_7pointerIiNS8_11hip_rocprim5par_tENS8_11use_defaultESE_EEEENSA_INSB_IlSD_SE_SE_EEEEZNS1_13binary_searchIS3_S5_NSA_INS8_10device_ptrIiEEEESG_SI_NS1_21upper_bound_search_opENS9_16wrapped_functionINS8_6system6detail7generic6detail18binary_search_lessEbEEEE10hipError_tPvRmT1_T2_T3_mmT4_T5_P12ihipStream_tbEUlRKiE_EESV_SZ_S10_mS11_S14_bEUlT_E_NS1_11comp_targetILNS1_3genE3ELNS1_11target_archE908ELNS1_3gpuE7ELNS1_3repE0EEENS1_30default_config_static_selectorELNS0_4arch9wavefront6targetE0EEEvSY_, .Lfunc_end584-_ZN7rocprim17ROCPRIM_400000_NS6detail17trampoline_kernelINS0_14default_configENS1_27upper_bound_config_selectorIilEEZNS1_14transform_implILb0ES3_S5_N6thrust23THRUST_200600_302600_NS6detail15normal_iteratorINS8_7pointerIiNS8_11hip_rocprim5par_tENS8_11use_defaultESE_EEEENSA_INSB_IlSD_SE_SE_EEEEZNS1_13binary_searchIS3_S5_NSA_INS8_10device_ptrIiEEEESG_SI_NS1_21upper_bound_search_opENS9_16wrapped_functionINS8_6system6detail7generic6detail18binary_search_lessEbEEEE10hipError_tPvRmT1_T2_T3_mmT4_T5_P12ihipStream_tbEUlRKiE_EESV_SZ_S10_mS11_S14_bEUlT_E_NS1_11comp_targetILNS1_3genE3ELNS1_11target_archE908ELNS1_3gpuE7ELNS1_3repE0EEENS1_30default_config_static_selectorELNS0_4arch9wavefront6targetE0EEEvSY_
                                        ; -- End function
	.set _ZN7rocprim17ROCPRIM_400000_NS6detail17trampoline_kernelINS0_14default_configENS1_27upper_bound_config_selectorIilEEZNS1_14transform_implILb0ES3_S5_N6thrust23THRUST_200600_302600_NS6detail15normal_iteratorINS8_7pointerIiNS8_11hip_rocprim5par_tENS8_11use_defaultESE_EEEENSA_INSB_IlSD_SE_SE_EEEEZNS1_13binary_searchIS3_S5_NSA_INS8_10device_ptrIiEEEESG_SI_NS1_21upper_bound_search_opENS9_16wrapped_functionINS8_6system6detail7generic6detail18binary_search_lessEbEEEE10hipError_tPvRmT1_T2_T3_mmT4_T5_P12ihipStream_tbEUlRKiE_EESV_SZ_S10_mS11_S14_bEUlT_E_NS1_11comp_targetILNS1_3genE3ELNS1_11target_archE908ELNS1_3gpuE7ELNS1_3repE0EEENS1_30default_config_static_selectorELNS0_4arch9wavefront6targetE0EEEvSY_.num_vgpr, 0
	.set _ZN7rocprim17ROCPRIM_400000_NS6detail17trampoline_kernelINS0_14default_configENS1_27upper_bound_config_selectorIilEEZNS1_14transform_implILb0ES3_S5_N6thrust23THRUST_200600_302600_NS6detail15normal_iteratorINS8_7pointerIiNS8_11hip_rocprim5par_tENS8_11use_defaultESE_EEEENSA_INSB_IlSD_SE_SE_EEEEZNS1_13binary_searchIS3_S5_NSA_INS8_10device_ptrIiEEEESG_SI_NS1_21upper_bound_search_opENS9_16wrapped_functionINS8_6system6detail7generic6detail18binary_search_lessEbEEEE10hipError_tPvRmT1_T2_T3_mmT4_T5_P12ihipStream_tbEUlRKiE_EESV_SZ_S10_mS11_S14_bEUlT_E_NS1_11comp_targetILNS1_3genE3ELNS1_11target_archE908ELNS1_3gpuE7ELNS1_3repE0EEENS1_30default_config_static_selectorELNS0_4arch9wavefront6targetE0EEEvSY_.num_agpr, 0
	.set _ZN7rocprim17ROCPRIM_400000_NS6detail17trampoline_kernelINS0_14default_configENS1_27upper_bound_config_selectorIilEEZNS1_14transform_implILb0ES3_S5_N6thrust23THRUST_200600_302600_NS6detail15normal_iteratorINS8_7pointerIiNS8_11hip_rocprim5par_tENS8_11use_defaultESE_EEEENSA_INSB_IlSD_SE_SE_EEEEZNS1_13binary_searchIS3_S5_NSA_INS8_10device_ptrIiEEEESG_SI_NS1_21upper_bound_search_opENS9_16wrapped_functionINS8_6system6detail7generic6detail18binary_search_lessEbEEEE10hipError_tPvRmT1_T2_T3_mmT4_T5_P12ihipStream_tbEUlRKiE_EESV_SZ_S10_mS11_S14_bEUlT_E_NS1_11comp_targetILNS1_3genE3ELNS1_11target_archE908ELNS1_3gpuE7ELNS1_3repE0EEENS1_30default_config_static_selectorELNS0_4arch9wavefront6targetE0EEEvSY_.numbered_sgpr, 0
	.set _ZN7rocprim17ROCPRIM_400000_NS6detail17trampoline_kernelINS0_14default_configENS1_27upper_bound_config_selectorIilEEZNS1_14transform_implILb0ES3_S5_N6thrust23THRUST_200600_302600_NS6detail15normal_iteratorINS8_7pointerIiNS8_11hip_rocprim5par_tENS8_11use_defaultESE_EEEENSA_INSB_IlSD_SE_SE_EEEEZNS1_13binary_searchIS3_S5_NSA_INS8_10device_ptrIiEEEESG_SI_NS1_21upper_bound_search_opENS9_16wrapped_functionINS8_6system6detail7generic6detail18binary_search_lessEbEEEE10hipError_tPvRmT1_T2_T3_mmT4_T5_P12ihipStream_tbEUlRKiE_EESV_SZ_S10_mS11_S14_bEUlT_E_NS1_11comp_targetILNS1_3genE3ELNS1_11target_archE908ELNS1_3gpuE7ELNS1_3repE0EEENS1_30default_config_static_selectorELNS0_4arch9wavefront6targetE0EEEvSY_.num_named_barrier, 0
	.set _ZN7rocprim17ROCPRIM_400000_NS6detail17trampoline_kernelINS0_14default_configENS1_27upper_bound_config_selectorIilEEZNS1_14transform_implILb0ES3_S5_N6thrust23THRUST_200600_302600_NS6detail15normal_iteratorINS8_7pointerIiNS8_11hip_rocprim5par_tENS8_11use_defaultESE_EEEENSA_INSB_IlSD_SE_SE_EEEEZNS1_13binary_searchIS3_S5_NSA_INS8_10device_ptrIiEEEESG_SI_NS1_21upper_bound_search_opENS9_16wrapped_functionINS8_6system6detail7generic6detail18binary_search_lessEbEEEE10hipError_tPvRmT1_T2_T3_mmT4_T5_P12ihipStream_tbEUlRKiE_EESV_SZ_S10_mS11_S14_bEUlT_E_NS1_11comp_targetILNS1_3genE3ELNS1_11target_archE908ELNS1_3gpuE7ELNS1_3repE0EEENS1_30default_config_static_selectorELNS0_4arch9wavefront6targetE0EEEvSY_.private_seg_size, 0
	.set _ZN7rocprim17ROCPRIM_400000_NS6detail17trampoline_kernelINS0_14default_configENS1_27upper_bound_config_selectorIilEEZNS1_14transform_implILb0ES3_S5_N6thrust23THRUST_200600_302600_NS6detail15normal_iteratorINS8_7pointerIiNS8_11hip_rocprim5par_tENS8_11use_defaultESE_EEEENSA_INSB_IlSD_SE_SE_EEEEZNS1_13binary_searchIS3_S5_NSA_INS8_10device_ptrIiEEEESG_SI_NS1_21upper_bound_search_opENS9_16wrapped_functionINS8_6system6detail7generic6detail18binary_search_lessEbEEEE10hipError_tPvRmT1_T2_T3_mmT4_T5_P12ihipStream_tbEUlRKiE_EESV_SZ_S10_mS11_S14_bEUlT_E_NS1_11comp_targetILNS1_3genE3ELNS1_11target_archE908ELNS1_3gpuE7ELNS1_3repE0EEENS1_30default_config_static_selectorELNS0_4arch9wavefront6targetE0EEEvSY_.uses_vcc, 0
	.set _ZN7rocprim17ROCPRIM_400000_NS6detail17trampoline_kernelINS0_14default_configENS1_27upper_bound_config_selectorIilEEZNS1_14transform_implILb0ES3_S5_N6thrust23THRUST_200600_302600_NS6detail15normal_iteratorINS8_7pointerIiNS8_11hip_rocprim5par_tENS8_11use_defaultESE_EEEENSA_INSB_IlSD_SE_SE_EEEEZNS1_13binary_searchIS3_S5_NSA_INS8_10device_ptrIiEEEESG_SI_NS1_21upper_bound_search_opENS9_16wrapped_functionINS8_6system6detail7generic6detail18binary_search_lessEbEEEE10hipError_tPvRmT1_T2_T3_mmT4_T5_P12ihipStream_tbEUlRKiE_EESV_SZ_S10_mS11_S14_bEUlT_E_NS1_11comp_targetILNS1_3genE3ELNS1_11target_archE908ELNS1_3gpuE7ELNS1_3repE0EEENS1_30default_config_static_selectorELNS0_4arch9wavefront6targetE0EEEvSY_.uses_flat_scratch, 0
	.set _ZN7rocprim17ROCPRIM_400000_NS6detail17trampoline_kernelINS0_14default_configENS1_27upper_bound_config_selectorIilEEZNS1_14transform_implILb0ES3_S5_N6thrust23THRUST_200600_302600_NS6detail15normal_iteratorINS8_7pointerIiNS8_11hip_rocprim5par_tENS8_11use_defaultESE_EEEENSA_INSB_IlSD_SE_SE_EEEEZNS1_13binary_searchIS3_S5_NSA_INS8_10device_ptrIiEEEESG_SI_NS1_21upper_bound_search_opENS9_16wrapped_functionINS8_6system6detail7generic6detail18binary_search_lessEbEEEE10hipError_tPvRmT1_T2_T3_mmT4_T5_P12ihipStream_tbEUlRKiE_EESV_SZ_S10_mS11_S14_bEUlT_E_NS1_11comp_targetILNS1_3genE3ELNS1_11target_archE908ELNS1_3gpuE7ELNS1_3repE0EEENS1_30default_config_static_selectorELNS0_4arch9wavefront6targetE0EEEvSY_.has_dyn_sized_stack, 0
	.set _ZN7rocprim17ROCPRIM_400000_NS6detail17trampoline_kernelINS0_14default_configENS1_27upper_bound_config_selectorIilEEZNS1_14transform_implILb0ES3_S5_N6thrust23THRUST_200600_302600_NS6detail15normal_iteratorINS8_7pointerIiNS8_11hip_rocprim5par_tENS8_11use_defaultESE_EEEENSA_INSB_IlSD_SE_SE_EEEEZNS1_13binary_searchIS3_S5_NSA_INS8_10device_ptrIiEEEESG_SI_NS1_21upper_bound_search_opENS9_16wrapped_functionINS8_6system6detail7generic6detail18binary_search_lessEbEEEE10hipError_tPvRmT1_T2_T3_mmT4_T5_P12ihipStream_tbEUlRKiE_EESV_SZ_S10_mS11_S14_bEUlT_E_NS1_11comp_targetILNS1_3genE3ELNS1_11target_archE908ELNS1_3gpuE7ELNS1_3repE0EEENS1_30default_config_static_selectorELNS0_4arch9wavefront6targetE0EEEvSY_.has_recursion, 0
	.set _ZN7rocprim17ROCPRIM_400000_NS6detail17trampoline_kernelINS0_14default_configENS1_27upper_bound_config_selectorIilEEZNS1_14transform_implILb0ES3_S5_N6thrust23THRUST_200600_302600_NS6detail15normal_iteratorINS8_7pointerIiNS8_11hip_rocprim5par_tENS8_11use_defaultESE_EEEENSA_INSB_IlSD_SE_SE_EEEEZNS1_13binary_searchIS3_S5_NSA_INS8_10device_ptrIiEEEESG_SI_NS1_21upper_bound_search_opENS9_16wrapped_functionINS8_6system6detail7generic6detail18binary_search_lessEbEEEE10hipError_tPvRmT1_T2_T3_mmT4_T5_P12ihipStream_tbEUlRKiE_EESV_SZ_S10_mS11_S14_bEUlT_E_NS1_11comp_targetILNS1_3genE3ELNS1_11target_archE908ELNS1_3gpuE7ELNS1_3repE0EEENS1_30default_config_static_selectorELNS0_4arch9wavefront6targetE0EEEvSY_.has_indirect_call, 0
	.section	.AMDGPU.csdata,"",@progbits
; Kernel info:
; codeLenInByte = 0
; TotalNumSgprs: 0
; NumVgprs: 0
; ScratchSize: 0
; MemoryBound: 0
; FloatMode: 240
; IeeeMode: 1
; LDSByteSize: 0 bytes/workgroup (compile time only)
; SGPRBlocks: 0
; VGPRBlocks: 0
; NumSGPRsForWavesPerEU: 1
; NumVGPRsForWavesPerEU: 1
; Occupancy: 16
; WaveLimiterHint : 0
; COMPUTE_PGM_RSRC2:SCRATCH_EN: 0
; COMPUTE_PGM_RSRC2:USER_SGPR: 6
; COMPUTE_PGM_RSRC2:TRAP_HANDLER: 0
; COMPUTE_PGM_RSRC2:TGID_X_EN: 1
; COMPUTE_PGM_RSRC2:TGID_Y_EN: 0
; COMPUTE_PGM_RSRC2:TGID_Z_EN: 0
; COMPUTE_PGM_RSRC2:TIDIG_COMP_CNT: 0
	.section	.text._ZN7rocprim17ROCPRIM_400000_NS6detail17trampoline_kernelINS0_14default_configENS1_27upper_bound_config_selectorIilEEZNS1_14transform_implILb0ES3_S5_N6thrust23THRUST_200600_302600_NS6detail15normal_iteratorINS8_7pointerIiNS8_11hip_rocprim5par_tENS8_11use_defaultESE_EEEENSA_INSB_IlSD_SE_SE_EEEEZNS1_13binary_searchIS3_S5_NSA_INS8_10device_ptrIiEEEESG_SI_NS1_21upper_bound_search_opENS9_16wrapped_functionINS8_6system6detail7generic6detail18binary_search_lessEbEEEE10hipError_tPvRmT1_T2_T3_mmT4_T5_P12ihipStream_tbEUlRKiE_EESV_SZ_S10_mS11_S14_bEUlT_E_NS1_11comp_targetILNS1_3genE2ELNS1_11target_archE906ELNS1_3gpuE6ELNS1_3repE0EEENS1_30default_config_static_selectorELNS0_4arch9wavefront6targetE0EEEvSY_,"axG",@progbits,_ZN7rocprim17ROCPRIM_400000_NS6detail17trampoline_kernelINS0_14default_configENS1_27upper_bound_config_selectorIilEEZNS1_14transform_implILb0ES3_S5_N6thrust23THRUST_200600_302600_NS6detail15normal_iteratorINS8_7pointerIiNS8_11hip_rocprim5par_tENS8_11use_defaultESE_EEEENSA_INSB_IlSD_SE_SE_EEEEZNS1_13binary_searchIS3_S5_NSA_INS8_10device_ptrIiEEEESG_SI_NS1_21upper_bound_search_opENS9_16wrapped_functionINS8_6system6detail7generic6detail18binary_search_lessEbEEEE10hipError_tPvRmT1_T2_T3_mmT4_T5_P12ihipStream_tbEUlRKiE_EESV_SZ_S10_mS11_S14_bEUlT_E_NS1_11comp_targetILNS1_3genE2ELNS1_11target_archE906ELNS1_3gpuE6ELNS1_3repE0EEENS1_30default_config_static_selectorELNS0_4arch9wavefront6targetE0EEEvSY_,comdat
	.protected	_ZN7rocprim17ROCPRIM_400000_NS6detail17trampoline_kernelINS0_14default_configENS1_27upper_bound_config_selectorIilEEZNS1_14transform_implILb0ES3_S5_N6thrust23THRUST_200600_302600_NS6detail15normal_iteratorINS8_7pointerIiNS8_11hip_rocprim5par_tENS8_11use_defaultESE_EEEENSA_INSB_IlSD_SE_SE_EEEEZNS1_13binary_searchIS3_S5_NSA_INS8_10device_ptrIiEEEESG_SI_NS1_21upper_bound_search_opENS9_16wrapped_functionINS8_6system6detail7generic6detail18binary_search_lessEbEEEE10hipError_tPvRmT1_T2_T3_mmT4_T5_P12ihipStream_tbEUlRKiE_EESV_SZ_S10_mS11_S14_bEUlT_E_NS1_11comp_targetILNS1_3genE2ELNS1_11target_archE906ELNS1_3gpuE6ELNS1_3repE0EEENS1_30default_config_static_selectorELNS0_4arch9wavefront6targetE0EEEvSY_ ; -- Begin function _ZN7rocprim17ROCPRIM_400000_NS6detail17trampoline_kernelINS0_14default_configENS1_27upper_bound_config_selectorIilEEZNS1_14transform_implILb0ES3_S5_N6thrust23THRUST_200600_302600_NS6detail15normal_iteratorINS8_7pointerIiNS8_11hip_rocprim5par_tENS8_11use_defaultESE_EEEENSA_INSB_IlSD_SE_SE_EEEEZNS1_13binary_searchIS3_S5_NSA_INS8_10device_ptrIiEEEESG_SI_NS1_21upper_bound_search_opENS9_16wrapped_functionINS8_6system6detail7generic6detail18binary_search_lessEbEEEE10hipError_tPvRmT1_T2_T3_mmT4_T5_P12ihipStream_tbEUlRKiE_EESV_SZ_S10_mS11_S14_bEUlT_E_NS1_11comp_targetILNS1_3genE2ELNS1_11target_archE906ELNS1_3gpuE6ELNS1_3repE0EEENS1_30default_config_static_selectorELNS0_4arch9wavefront6targetE0EEEvSY_
	.globl	_ZN7rocprim17ROCPRIM_400000_NS6detail17trampoline_kernelINS0_14default_configENS1_27upper_bound_config_selectorIilEEZNS1_14transform_implILb0ES3_S5_N6thrust23THRUST_200600_302600_NS6detail15normal_iteratorINS8_7pointerIiNS8_11hip_rocprim5par_tENS8_11use_defaultESE_EEEENSA_INSB_IlSD_SE_SE_EEEEZNS1_13binary_searchIS3_S5_NSA_INS8_10device_ptrIiEEEESG_SI_NS1_21upper_bound_search_opENS9_16wrapped_functionINS8_6system6detail7generic6detail18binary_search_lessEbEEEE10hipError_tPvRmT1_T2_T3_mmT4_T5_P12ihipStream_tbEUlRKiE_EESV_SZ_S10_mS11_S14_bEUlT_E_NS1_11comp_targetILNS1_3genE2ELNS1_11target_archE906ELNS1_3gpuE6ELNS1_3repE0EEENS1_30default_config_static_selectorELNS0_4arch9wavefront6targetE0EEEvSY_
	.p2align	8
	.type	_ZN7rocprim17ROCPRIM_400000_NS6detail17trampoline_kernelINS0_14default_configENS1_27upper_bound_config_selectorIilEEZNS1_14transform_implILb0ES3_S5_N6thrust23THRUST_200600_302600_NS6detail15normal_iteratorINS8_7pointerIiNS8_11hip_rocprim5par_tENS8_11use_defaultESE_EEEENSA_INSB_IlSD_SE_SE_EEEEZNS1_13binary_searchIS3_S5_NSA_INS8_10device_ptrIiEEEESG_SI_NS1_21upper_bound_search_opENS9_16wrapped_functionINS8_6system6detail7generic6detail18binary_search_lessEbEEEE10hipError_tPvRmT1_T2_T3_mmT4_T5_P12ihipStream_tbEUlRKiE_EESV_SZ_S10_mS11_S14_bEUlT_E_NS1_11comp_targetILNS1_3genE2ELNS1_11target_archE906ELNS1_3gpuE6ELNS1_3repE0EEENS1_30default_config_static_selectorELNS0_4arch9wavefront6targetE0EEEvSY_,@function
_ZN7rocprim17ROCPRIM_400000_NS6detail17trampoline_kernelINS0_14default_configENS1_27upper_bound_config_selectorIilEEZNS1_14transform_implILb0ES3_S5_N6thrust23THRUST_200600_302600_NS6detail15normal_iteratorINS8_7pointerIiNS8_11hip_rocprim5par_tENS8_11use_defaultESE_EEEENSA_INSB_IlSD_SE_SE_EEEEZNS1_13binary_searchIS3_S5_NSA_INS8_10device_ptrIiEEEESG_SI_NS1_21upper_bound_search_opENS9_16wrapped_functionINS8_6system6detail7generic6detail18binary_search_lessEbEEEE10hipError_tPvRmT1_T2_T3_mmT4_T5_P12ihipStream_tbEUlRKiE_EESV_SZ_S10_mS11_S14_bEUlT_E_NS1_11comp_targetILNS1_3genE2ELNS1_11target_archE906ELNS1_3gpuE6ELNS1_3repE0EEENS1_30default_config_static_selectorELNS0_4arch9wavefront6targetE0EEEvSY_: ; @_ZN7rocprim17ROCPRIM_400000_NS6detail17trampoline_kernelINS0_14default_configENS1_27upper_bound_config_selectorIilEEZNS1_14transform_implILb0ES3_S5_N6thrust23THRUST_200600_302600_NS6detail15normal_iteratorINS8_7pointerIiNS8_11hip_rocprim5par_tENS8_11use_defaultESE_EEEENSA_INSB_IlSD_SE_SE_EEEEZNS1_13binary_searchIS3_S5_NSA_INS8_10device_ptrIiEEEESG_SI_NS1_21upper_bound_search_opENS9_16wrapped_functionINS8_6system6detail7generic6detail18binary_search_lessEbEEEE10hipError_tPvRmT1_T2_T3_mmT4_T5_P12ihipStream_tbEUlRKiE_EESV_SZ_S10_mS11_S14_bEUlT_E_NS1_11comp_targetILNS1_3genE2ELNS1_11target_archE906ELNS1_3gpuE6ELNS1_3repE0EEENS1_30default_config_static_selectorELNS0_4arch9wavefront6targetE0EEEvSY_
; %bb.0:
	.section	.rodata,"a",@progbits
	.p2align	6, 0x0
	.amdhsa_kernel _ZN7rocprim17ROCPRIM_400000_NS6detail17trampoline_kernelINS0_14default_configENS1_27upper_bound_config_selectorIilEEZNS1_14transform_implILb0ES3_S5_N6thrust23THRUST_200600_302600_NS6detail15normal_iteratorINS8_7pointerIiNS8_11hip_rocprim5par_tENS8_11use_defaultESE_EEEENSA_INSB_IlSD_SE_SE_EEEEZNS1_13binary_searchIS3_S5_NSA_INS8_10device_ptrIiEEEESG_SI_NS1_21upper_bound_search_opENS9_16wrapped_functionINS8_6system6detail7generic6detail18binary_search_lessEbEEEE10hipError_tPvRmT1_T2_T3_mmT4_T5_P12ihipStream_tbEUlRKiE_EESV_SZ_S10_mS11_S14_bEUlT_E_NS1_11comp_targetILNS1_3genE2ELNS1_11target_archE906ELNS1_3gpuE6ELNS1_3repE0EEENS1_30default_config_static_selectorELNS0_4arch9wavefront6targetE0EEEvSY_
		.amdhsa_group_segment_fixed_size 0
		.amdhsa_private_segment_fixed_size 0
		.amdhsa_kernarg_size 56
		.amdhsa_user_sgpr_count 6
		.amdhsa_user_sgpr_private_segment_buffer 1
		.amdhsa_user_sgpr_dispatch_ptr 0
		.amdhsa_user_sgpr_queue_ptr 0
		.amdhsa_user_sgpr_kernarg_segment_ptr 1
		.amdhsa_user_sgpr_dispatch_id 0
		.amdhsa_user_sgpr_flat_scratch_init 0
		.amdhsa_user_sgpr_private_segment_size 0
		.amdhsa_wavefront_size32 1
		.amdhsa_uses_dynamic_stack 0
		.amdhsa_system_sgpr_private_segment_wavefront_offset 0
		.amdhsa_system_sgpr_workgroup_id_x 1
		.amdhsa_system_sgpr_workgroup_id_y 0
		.amdhsa_system_sgpr_workgroup_id_z 0
		.amdhsa_system_sgpr_workgroup_info 0
		.amdhsa_system_vgpr_workitem_id 0
		.amdhsa_next_free_vgpr 1
		.amdhsa_next_free_sgpr 1
		.amdhsa_reserve_vcc 0
		.amdhsa_reserve_flat_scratch 0
		.amdhsa_float_round_mode_32 0
		.amdhsa_float_round_mode_16_64 0
		.amdhsa_float_denorm_mode_32 3
		.amdhsa_float_denorm_mode_16_64 3
		.amdhsa_dx10_clamp 1
		.amdhsa_ieee_mode 1
		.amdhsa_fp16_overflow 0
		.amdhsa_workgroup_processor_mode 1
		.amdhsa_memory_ordered 1
		.amdhsa_forward_progress 1
		.amdhsa_shared_vgpr_count 0
		.amdhsa_exception_fp_ieee_invalid_op 0
		.amdhsa_exception_fp_denorm_src 0
		.amdhsa_exception_fp_ieee_div_zero 0
		.amdhsa_exception_fp_ieee_overflow 0
		.amdhsa_exception_fp_ieee_underflow 0
		.amdhsa_exception_fp_ieee_inexact 0
		.amdhsa_exception_int_div_zero 0
	.end_amdhsa_kernel
	.section	.text._ZN7rocprim17ROCPRIM_400000_NS6detail17trampoline_kernelINS0_14default_configENS1_27upper_bound_config_selectorIilEEZNS1_14transform_implILb0ES3_S5_N6thrust23THRUST_200600_302600_NS6detail15normal_iteratorINS8_7pointerIiNS8_11hip_rocprim5par_tENS8_11use_defaultESE_EEEENSA_INSB_IlSD_SE_SE_EEEEZNS1_13binary_searchIS3_S5_NSA_INS8_10device_ptrIiEEEESG_SI_NS1_21upper_bound_search_opENS9_16wrapped_functionINS8_6system6detail7generic6detail18binary_search_lessEbEEEE10hipError_tPvRmT1_T2_T3_mmT4_T5_P12ihipStream_tbEUlRKiE_EESV_SZ_S10_mS11_S14_bEUlT_E_NS1_11comp_targetILNS1_3genE2ELNS1_11target_archE906ELNS1_3gpuE6ELNS1_3repE0EEENS1_30default_config_static_selectorELNS0_4arch9wavefront6targetE0EEEvSY_,"axG",@progbits,_ZN7rocprim17ROCPRIM_400000_NS6detail17trampoline_kernelINS0_14default_configENS1_27upper_bound_config_selectorIilEEZNS1_14transform_implILb0ES3_S5_N6thrust23THRUST_200600_302600_NS6detail15normal_iteratorINS8_7pointerIiNS8_11hip_rocprim5par_tENS8_11use_defaultESE_EEEENSA_INSB_IlSD_SE_SE_EEEEZNS1_13binary_searchIS3_S5_NSA_INS8_10device_ptrIiEEEESG_SI_NS1_21upper_bound_search_opENS9_16wrapped_functionINS8_6system6detail7generic6detail18binary_search_lessEbEEEE10hipError_tPvRmT1_T2_T3_mmT4_T5_P12ihipStream_tbEUlRKiE_EESV_SZ_S10_mS11_S14_bEUlT_E_NS1_11comp_targetILNS1_3genE2ELNS1_11target_archE906ELNS1_3gpuE6ELNS1_3repE0EEENS1_30default_config_static_selectorELNS0_4arch9wavefront6targetE0EEEvSY_,comdat
.Lfunc_end585:
	.size	_ZN7rocprim17ROCPRIM_400000_NS6detail17trampoline_kernelINS0_14default_configENS1_27upper_bound_config_selectorIilEEZNS1_14transform_implILb0ES3_S5_N6thrust23THRUST_200600_302600_NS6detail15normal_iteratorINS8_7pointerIiNS8_11hip_rocprim5par_tENS8_11use_defaultESE_EEEENSA_INSB_IlSD_SE_SE_EEEEZNS1_13binary_searchIS3_S5_NSA_INS8_10device_ptrIiEEEESG_SI_NS1_21upper_bound_search_opENS9_16wrapped_functionINS8_6system6detail7generic6detail18binary_search_lessEbEEEE10hipError_tPvRmT1_T2_T3_mmT4_T5_P12ihipStream_tbEUlRKiE_EESV_SZ_S10_mS11_S14_bEUlT_E_NS1_11comp_targetILNS1_3genE2ELNS1_11target_archE906ELNS1_3gpuE6ELNS1_3repE0EEENS1_30default_config_static_selectorELNS0_4arch9wavefront6targetE0EEEvSY_, .Lfunc_end585-_ZN7rocprim17ROCPRIM_400000_NS6detail17trampoline_kernelINS0_14default_configENS1_27upper_bound_config_selectorIilEEZNS1_14transform_implILb0ES3_S5_N6thrust23THRUST_200600_302600_NS6detail15normal_iteratorINS8_7pointerIiNS8_11hip_rocprim5par_tENS8_11use_defaultESE_EEEENSA_INSB_IlSD_SE_SE_EEEEZNS1_13binary_searchIS3_S5_NSA_INS8_10device_ptrIiEEEESG_SI_NS1_21upper_bound_search_opENS9_16wrapped_functionINS8_6system6detail7generic6detail18binary_search_lessEbEEEE10hipError_tPvRmT1_T2_T3_mmT4_T5_P12ihipStream_tbEUlRKiE_EESV_SZ_S10_mS11_S14_bEUlT_E_NS1_11comp_targetILNS1_3genE2ELNS1_11target_archE906ELNS1_3gpuE6ELNS1_3repE0EEENS1_30default_config_static_selectorELNS0_4arch9wavefront6targetE0EEEvSY_
                                        ; -- End function
	.set _ZN7rocprim17ROCPRIM_400000_NS6detail17trampoline_kernelINS0_14default_configENS1_27upper_bound_config_selectorIilEEZNS1_14transform_implILb0ES3_S5_N6thrust23THRUST_200600_302600_NS6detail15normal_iteratorINS8_7pointerIiNS8_11hip_rocprim5par_tENS8_11use_defaultESE_EEEENSA_INSB_IlSD_SE_SE_EEEEZNS1_13binary_searchIS3_S5_NSA_INS8_10device_ptrIiEEEESG_SI_NS1_21upper_bound_search_opENS9_16wrapped_functionINS8_6system6detail7generic6detail18binary_search_lessEbEEEE10hipError_tPvRmT1_T2_T3_mmT4_T5_P12ihipStream_tbEUlRKiE_EESV_SZ_S10_mS11_S14_bEUlT_E_NS1_11comp_targetILNS1_3genE2ELNS1_11target_archE906ELNS1_3gpuE6ELNS1_3repE0EEENS1_30default_config_static_selectorELNS0_4arch9wavefront6targetE0EEEvSY_.num_vgpr, 0
	.set _ZN7rocprim17ROCPRIM_400000_NS6detail17trampoline_kernelINS0_14default_configENS1_27upper_bound_config_selectorIilEEZNS1_14transform_implILb0ES3_S5_N6thrust23THRUST_200600_302600_NS6detail15normal_iteratorINS8_7pointerIiNS8_11hip_rocprim5par_tENS8_11use_defaultESE_EEEENSA_INSB_IlSD_SE_SE_EEEEZNS1_13binary_searchIS3_S5_NSA_INS8_10device_ptrIiEEEESG_SI_NS1_21upper_bound_search_opENS9_16wrapped_functionINS8_6system6detail7generic6detail18binary_search_lessEbEEEE10hipError_tPvRmT1_T2_T3_mmT4_T5_P12ihipStream_tbEUlRKiE_EESV_SZ_S10_mS11_S14_bEUlT_E_NS1_11comp_targetILNS1_3genE2ELNS1_11target_archE906ELNS1_3gpuE6ELNS1_3repE0EEENS1_30default_config_static_selectorELNS0_4arch9wavefront6targetE0EEEvSY_.num_agpr, 0
	.set _ZN7rocprim17ROCPRIM_400000_NS6detail17trampoline_kernelINS0_14default_configENS1_27upper_bound_config_selectorIilEEZNS1_14transform_implILb0ES3_S5_N6thrust23THRUST_200600_302600_NS6detail15normal_iteratorINS8_7pointerIiNS8_11hip_rocprim5par_tENS8_11use_defaultESE_EEEENSA_INSB_IlSD_SE_SE_EEEEZNS1_13binary_searchIS3_S5_NSA_INS8_10device_ptrIiEEEESG_SI_NS1_21upper_bound_search_opENS9_16wrapped_functionINS8_6system6detail7generic6detail18binary_search_lessEbEEEE10hipError_tPvRmT1_T2_T3_mmT4_T5_P12ihipStream_tbEUlRKiE_EESV_SZ_S10_mS11_S14_bEUlT_E_NS1_11comp_targetILNS1_3genE2ELNS1_11target_archE906ELNS1_3gpuE6ELNS1_3repE0EEENS1_30default_config_static_selectorELNS0_4arch9wavefront6targetE0EEEvSY_.numbered_sgpr, 0
	.set _ZN7rocprim17ROCPRIM_400000_NS6detail17trampoline_kernelINS0_14default_configENS1_27upper_bound_config_selectorIilEEZNS1_14transform_implILb0ES3_S5_N6thrust23THRUST_200600_302600_NS6detail15normal_iteratorINS8_7pointerIiNS8_11hip_rocprim5par_tENS8_11use_defaultESE_EEEENSA_INSB_IlSD_SE_SE_EEEEZNS1_13binary_searchIS3_S5_NSA_INS8_10device_ptrIiEEEESG_SI_NS1_21upper_bound_search_opENS9_16wrapped_functionINS8_6system6detail7generic6detail18binary_search_lessEbEEEE10hipError_tPvRmT1_T2_T3_mmT4_T5_P12ihipStream_tbEUlRKiE_EESV_SZ_S10_mS11_S14_bEUlT_E_NS1_11comp_targetILNS1_3genE2ELNS1_11target_archE906ELNS1_3gpuE6ELNS1_3repE0EEENS1_30default_config_static_selectorELNS0_4arch9wavefront6targetE0EEEvSY_.num_named_barrier, 0
	.set _ZN7rocprim17ROCPRIM_400000_NS6detail17trampoline_kernelINS0_14default_configENS1_27upper_bound_config_selectorIilEEZNS1_14transform_implILb0ES3_S5_N6thrust23THRUST_200600_302600_NS6detail15normal_iteratorINS8_7pointerIiNS8_11hip_rocprim5par_tENS8_11use_defaultESE_EEEENSA_INSB_IlSD_SE_SE_EEEEZNS1_13binary_searchIS3_S5_NSA_INS8_10device_ptrIiEEEESG_SI_NS1_21upper_bound_search_opENS9_16wrapped_functionINS8_6system6detail7generic6detail18binary_search_lessEbEEEE10hipError_tPvRmT1_T2_T3_mmT4_T5_P12ihipStream_tbEUlRKiE_EESV_SZ_S10_mS11_S14_bEUlT_E_NS1_11comp_targetILNS1_3genE2ELNS1_11target_archE906ELNS1_3gpuE6ELNS1_3repE0EEENS1_30default_config_static_selectorELNS0_4arch9wavefront6targetE0EEEvSY_.private_seg_size, 0
	.set _ZN7rocprim17ROCPRIM_400000_NS6detail17trampoline_kernelINS0_14default_configENS1_27upper_bound_config_selectorIilEEZNS1_14transform_implILb0ES3_S5_N6thrust23THRUST_200600_302600_NS6detail15normal_iteratorINS8_7pointerIiNS8_11hip_rocprim5par_tENS8_11use_defaultESE_EEEENSA_INSB_IlSD_SE_SE_EEEEZNS1_13binary_searchIS3_S5_NSA_INS8_10device_ptrIiEEEESG_SI_NS1_21upper_bound_search_opENS9_16wrapped_functionINS8_6system6detail7generic6detail18binary_search_lessEbEEEE10hipError_tPvRmT1_T2_T3_mmT4_T5_P12ihipStream_tbEUlRKiE_EESV_SZ_S10_mS11_S14_bEUlT_E_NS1_11comp_targetILNS1_3genE2ELNS1_11target_archE906ELNS1_3gpuE6ELNS1_3repE0EEENS1_30default_config_static_selectorELNS0_4arch9wavefront6targetE0EEEvSY_.uses_vcc, 0
	.set _ZN7rocprim17ROCPRIM_400000_NS6detail17trampoline_kernelINS0_14default_configENS1_27upper_bound_config_selectorIilEEZNS1_14transform_implILb0ES3_S5_N6thrust23THRUST_200600_302600_NS6detail15normal_iteratorINS8_7pointerIiNS8_11hip_rocprim5par_tENS8_11use_defaultESE_EEEENSA_INSB_IlSD_SE_SE_EEEEZNS1_13binary_searchIS3_S5_NSA_INS8_10device_ptrIiEEEESG_SI_NS1_21upper_bound_search_opENS9_16wrapped_functionINS8_6system6detail7generic6detail18binary_search_lessEbEEEE10hipError_tPvRmT1_T2_T3_mmT4_T5_P12ihipStream_tbEUlRKiE_EESV_SZ_S10_mS11_S14_bEUlT_E_NS1_11comp_targetILNS1_3genE2ELNS1_11target_archE906ELNS1_3gpuE6ELNS1_3repE0EEENS1_30default_config_static_selectorELNS0_4arch9wavefront6targetE0EEEvSY_.uses_flat_scratch, 0
	.set _ZN7rocprim17ROCPRIM_400000_NS6detail17trampoline_kernelINS0_14default_configENS1_27upper_bound_config_selectorIilEEZNS1_14transform_implILb0ES3_S5_N6thrust23THRUST_200600_302600_NS6detail15normal_iteratorINS8_7pointerIiNS8_11hip_rocprim5par_tENS8_11use_defaultESE_EEEENSA_INSB_IlSD_SE_SE_EEEEZNS1_13binary_searchIS3_S5_NSA_INS8_10device_ptrIiEEEESG_SI_NS1_21upper_bound_search_opENS9_16wrapped_functionINS8_6system6detail7generic6detail18binary_search_lessEbEEEE10hipError_tPvRmT1_T2_T3_mmT4_T5_P12ihipStream_tbEUlRKiE_EESV_SZ_S10_mS11_S14_bEUlT_E_NS1_11comp_targetILNS1_3genE2ELNS1_11target_archE906ELNS1_3gpuE6ELNS1_3repE0EEENS1_30default_config_static_selectorELNS0_4arch9wavefront6targetE0EEEvSY_.has_dyn_sized_stack, 0
	.set _ZN7rocprim17ROCPRIM_400000_NS6detail17trampoline_kernelINS0_14default_configENS1_27upper_bound_config_selectorIilEEZNS1_14transform_implILb0ES3_S5_N6thrust23THRUST_200600_302600_NS6detail15normal_iteratorINS8_7pointerIiNS8_11hip_rocprim5par_tENS8_11use_defaultESE_EEEENSA_INSB_IlSD_SE_SE_EEEEZNS1_13binary_searchIS3_S5_NSA_INS8_10device_ptrIiEEEESG_SI_NS1_21upper_bound_search_opENS9_16wrapped_functionINS8_6system6detail7generic6detail18binary_search_lessEbEEEE10hipError_tPvRmT1_T2_T3_mmT4_T5_P12ihipStream_tbEUlRKiE_EESV_SZ_S10_mS11_S14_bEUlT_E_NS1_11comp_targetILNS1_3genE2ELNS1_11target_archE906ELNS1_3gpuE6ELNS1_3repE0EEENS1_30default_config_static_selectorELNS0_4arch9wavefront6targetE0EEEvSY_.has_recursion, 0
	.set _ZN7rocprim17ROCPRIM_400000_NS6detail17trampoline_kernelINS0_14default_configENS1_27upper_bound_config_selectorIilEEZNS1_14transform_implILb0ES3_S5_N6thrust23THRUST_200600_302600_NS6detail15normal_iteratorINS8_7pointerIiNS8_11hip_rocprim5par_tENS8_11use_defaultESE_EEEENSA_INSB_IlSD_SE_SE_EEEEZNS1_13binary_searchIS3_S5_NSA_INS8_10device_ptrIiEEEESG_SI_NS1_21upper_bound_search_opENS9_16wrapped_functionINS8_6system6detail7generic6detail18binary_search_lessEbEEEE10hipError_tPvRmT1_T2_T3_mmT4_T5_P12ihipStream_tbEUlRKiE_EESV_SZ_S10_mS11_S14_bEUlT_E_NS1_11comp_targetILNS1_3genE2ELNS1_11target_archE906ELNS1_3gpuE6ELNS1_3repE0EEENS1_30default_config_static_selectorELNS0_4arch9wavefront6targetE0EEEvSY_.has_indirect_call, 0
	.section	.AMDGPU.csdata,"",@progbits
; Kernel info:
; codeLenInByte = 0
; TotalNumSgprs: 0
; NumVgprs: 0
; ScratchSize: 0
; MemoryBound: 0
; FloatMode: 240
; IeeeMode: 1
; LDSByteSize: 0 bytes/workgroup (compile time only)
; SGPRBlocks: 0
; VGPRBlocks: 0
; NumSGPRsForWavesPerEU: 1
; NumVGPRsForWavesPerEU: 1
; Occupancy: 16
; WaveLimiterHint : 0
; COMPUTE_PGM_RSRC2:SCRATCH_EN: 0
; COMPUTE_PGM_RSRC2:USER_SGPR: 6
; COMPUTE_PGM_RSRC2:TRAP_HANDLER: 0
; COMPUTE_PGM_RSRC2:TGID_X_EN: 1
; COMPUTE_PGM_RSRC2:TGID_Y_EN: 0
; COMPUTE_PGM_RSRC2:TGID_Z_EN: 0
; COMPUTE_PGM_RSRC2:TIDIG_COMP_CNT: 0
	.section	.text._ZN7rocprim17ROCPRIM_400000_NS6detail17trampoline_kernelINS0_14default_configENS1_27upper_bound_config_selectorIilEEZNS1_14transform_implILb0ES3_S5_N6thrust23THRUST_200600_302600_NS6detail15normal_iteratorINS8_7pointerIiNS8_11hip_rocprim5par_tENS8_11use_defaultESE_EEEENSA_INSB_IlSD_SE_SE_EEEEZNS1_13binary_searchIS3_S5_NSA_INS8_10device_ptrIiEEEESG_SI_NS1_21upper_bound_search_opENS9_16wrapped_functionINS8_6system6detail7generic6detail18binary_search_lessEbEEEE10hipError_tPvRmT1_T2_T3_mmT4_T5_P12ihipStream_tbEUlRKiE_EESV_SZ_S10_mS11_S14_bEUlT_E_NS1_11comp_targetILNS1_3genE10ELNS1_11target_archE1201ELNS1_3gpuE5ELNS1_3repE0EEENS1_30default_config_static_selectorELNS0_4arch9wavefront6targetE0EEEvSY_,"axG",@progbits,_ZN7rocprim17ROCPRIM_400000_NS6detail17trampoline_kernelINS0_14default_configENS1_27upper_bound_config_selectorIilEEZNS1_14transform_implILb0ES3_S5_N6thrust23THRUST_200600_302600_NS6detail15normal_iteratorINS8_7pointerIiNS8_11hip_rocprim5par_tENS8_11use_defaultESE_EEEENSA_INSB_IlSD_SE_SE_EEEEZNS1_13binary_searchIS3_S5_NSA_INS8_10device_ptrIiEEEESG_SI_NS1_21upper_bound_search_opENS9_16wrapped_functionINS8_6system6detail7generic6detail18binary_search_lessEbEEEE10hipError_tPvRmT1_T2_T3_mmT4_T5_P12ihipStream_tbEUlRKiE_EESV_SZ_S10_mS11_S14_bEUlT_E_NS1_11comp_targetILNS1_3genE10ELNS1_11target_archE1201ELNS1_3gpuE5ELNS1_3repE0EEENS1_30default_config_static_selectorELNS0_4arch9wavefront6targetE0EEEvSY_,comdat
	.protected	_ZN7rocprim17ROCPRIM_400000_NS6detail17trampoline_kernelINS0_14default_configENS1_27upper_bound_config_selectorIilEEZNS1_14transform_implILb0ES3_S5_N6thrust23THRUST_200600_302600_NS6detail15normal_iteratorINS8_7pointerIiNS8_11hip_rocprim5par_tENS8_11use_defaultESE_EEEENSA_INSB_IlSD_SE_SE_EEEEZNS1_13binary_searchIS3_S5_NSA_INS8_10device_ptrIiEEEESG_SI_NS1_21upper_bound_search_opENS9_16wrapped_functionINS8_6system6detail7generic6detail18binary_search_lessEbEEEE10hipError_tPvRmT1_T2_T3_mmT4_T5_P12ihipStream_tbEUlRKiE_EESV_SZ_S10_mS11_S14_bEUlT_E_NS1_11comp_targetILNS1_3genE10ELNS1_11target_archE1201ELNS1_3gpuE5ELNS1_3repE0EEENS1_30default_config_static_selectorELNS0_4arch9wavefront6targetE0EEEvSY_ ; -- Begin function _ZN7rocprim17ROCPRIM_400000_NS6detail17trampoline_kernelINS0_14default_configENS1_27upper_bound_config_selectorIilEEZNS1_14transform_implILb0ES3_S5_N6thrust23THRUST_200600_302600_NS6detail15normal_iteratorINS8_7pointerIiNS8_11hip_rocprim5par_tENS8_11use_defaultESE_EEEENSA_INSB_IlSD_SE_SE_EEEEZNS1_13binary_searchIS3_S5_NSA_INS8_10device_ptrIiEEEESG_SI_NS1_21upper_bound_search_opENS9_16wrapped_functionINS8_6system6detail7generic6detail18binary_search_lessEbEEEE10hipError_tPvRmT1_T2_T3_mmT4_T5_P12ihipStream_tbEUlRKiE_EESV_SZ_S10_mS11_S14_bEUlT_E_NS1_11comp_targetILNS1_3genE10ELNS1_11target_archE1201ELNS1_3gpuE5ELNS1_3repE0EEENS1_30default_config_static_selectorELNS0_4arch9wavefront6targetE0EEEvSY_
	.globl	_ZN7rocprim17ROCPRIM_400000_NS6detail17trampoline_kernelINS0_14default_configENS1_27upper_bound_config_selectorIilEEZNS1_14transform_implILb0ES3_S5_N6thrust23THRUST_200600_302600_NS6detail15normal_iteratorINS8_7pointerIiNS8_11hip_rocprim5par_tENS8_11use_defaultESE_EEEENSA_INSB_IlSD_SE_SE_EEEEZNS1_13binary_searchIS3_S5_NSA_INS8_10device_ptrIiEEEESG_SI_NS1_21upper_bound_search_opENS9_16wrapped_functionINS8_6system6detail7generic6detail18binary_search_lessEbEEEE10hipError_tPvRmT1_T2_T3_mmT4_T5_P12ihipStream_tbEUlRKiE_EESV_SZ_S10_mS11_S14_bEUlT_E_NS1_11comp_targetILNS1_3genE10ELNS1_11target_archE1201ELNS1_3gpuE5ELNS1_3repE0EEENS1_30default_config_static_selectorELNS0_4arch9wavefront6targetE0EEEvSY_
	.p2align	8
	.type	_ZN7rocprim17ROCPRIM_400000_NS6detail17trampoline_kernelINS0_14default_configENS1_27upper_bound_config_selectorIilEEZNS1_14transform_implILb0ES3_S5_N6thrust23THRUST_200600_302600_NS6detail15normal_iteratorINS8_7pointerIiNS8_11hip_rocprim5par_tENS8_11use_defaultESE_EEEENSA_INSB_IlSD_SE_SE_EEEEZNS1_13binary_searchIS3_S5_NSA_INS8_10device_ptrIiEEEESG_SI_NS1_21upper_bound_search_opENS9_16wrapped_functionINS8_6system6detail7generic6detail18binary_search_lessEbEEEE10hipError_tPvRmT1_T2_T3_mmT4_T5_P12ihipStream_tbEUlRKiE_EESV_SZ_S10_mS11_S14_bEUlT_E_NS1_11comp_targetILNS1_3genE10ELNS1_11target_archE1201ELNS1_3gpuE5ELNS1_3repE0EEENS1_30default_config_static_selectorELNS0_4arch9wavefront6targetE0EEEvSY_,@function
_ZN7rocprim17ROCPRIM_400000_NS6detail17trampoline_kernelINS0_14default_configENS1_27upper_bound_config_selectorIilEEZNS1_14transform_implILb0ES3_S5_N6thrust23THRUST_200600_302600_NS6detail15normal_iteratorINS8_7pointerIiNS8_11hip_rocprim5par_tENS8_11use_defaultESE_EEEENSA_INSB_IlSD_SE_SE_EEEEZNS1_13binary_searchIS3_S5_NSA_INS8_10device_ptrIiEEEESG_SI_NS1_21upper_bound_search_opENS9_16wrapped_functionINS8_6system6detail7generic6detail18binary_search_lessEbEEEE10hipError_tPvRmT1_T2_T3_mmT4_T5_P12ihipStream_tbEUlRKiE_EESV_SZ_S10_mS11_S14_bEUlT_E_NS1_11comp_targetILNS1_3genE10ELNS1_11target_archE1201ELNS1_3gpuE5ELNS1_3repE0EEENS1_30default_config_static_selectorELNS0_4arch9wavefront6targetE0EEEvSY_: ; @_ZN7rocprim17ROCPRIM_400000_NS6detail17trampoline_kernelINS0_14default_configENS1_27upper_bound_config_selectorIilEEZNS1_14transform_implILb0ES3_S5_N6thrust23THRUST_200600_302600_NS6detail15normal_iteratorINS8_7pointerIiNS8_11hip_rocprim5par_tENS8_11use_defaultESE_EEEENSA_INSB_IlSD_SE_SE_EEEEZNS1_13binary_searchIS3_S5_NSA_INS8_10device_ptrIiEEEESG_SI_NS1_21upper_bound_search_opENS9_16wrapped_functionINS8_6system6detail7generic6detail18binary_search_lessEbEEEE10hipError_tPvRmT1_T2_T3_mmT4_T5_P12ihipStream_tbEUlRKiE_EESV_SZ_S10_mS11_S14_bEUlT_E_NS1_11comp_targetILNS1_3genE10ELNS1_11target_archE1201ELNS1_3gpuE5ELNS1_3repE0EEENS1_30default_config_static_selectorELNS0_4arch9wavefront6targetE0EEEvSY_
; %bb.0:
	.section	.rodata,"a",@progbits
	.p2align	6, 0x0
	.amdhsa_kernel _ZN7rocprim17ROCPRIM_400000_NS6detail17trampoline_kernelINS0_14default_configENS1_27upper_bound_config_selectorIilEEZNS1_14transform_implILb0ES3_S5_N6thrust23THRUST_200600_302600_NS6detail15normal_iteratorINS8_7pointerIiNS8_11hip_rocprim5par_tENS8_11use_defaultESE_EEEENSA_INSB_IlSD_SE_SE_EEEEZNS1_13binary_searchIS3_S5_NSA_INS8_10device_ptrIiEEEESG_SI_NS1_21upper_bound_search_opENS9_16wrapped_functionINS8_6system6detail7generic6detail18binary_search_lessEbEEEE10hipError_tPvRmT1_T2_T3_mmT4_T5_P12ihipStream_tbEUlRKiE_EESV_SZ_S10_mS11_S14_bEUlT_E_NS1_11comp_targetILNS1_3genE10ELNS1_11target_archE1201ELNS1_3gpuE5ELNS1_3repE0EEENS1_30default_config_static_selectorELNS0_4arch9wavefront6targetE0EEEvSY_
		.amdhsa_group_segment_fixed_size 0
		.amdhsa_private_segment_fixed_size 0
		.amdhsa_kernarg_size 56
		.amdhsa_user_sgpr_count 6
		.amdhsa_user_sgpr_private_segment_buffer 1
		.amdhsa_user_sgpr_dispatch_ptr 0
		.amdhsa_user_sgpr_queue_ptr 0
		.amdhsa_user_sgpr_kernarg_segment_ptr 1
		.amdhsa_user_sgpr_dispatch_id 0
		.amdhsa_user_sgpr_flat_scratch_init 0
		.amdhsa_user_sgpr_private_segment_size 0
		.amdhsa_wavefront_size32 1
		.amdhsa_uses_dynamic_stack 0
		.amdhsa_system_sgpr_private_segment_wavefront_offset 0
		.amdhsa_system_sgpr_workgroup_id_x 1
		.amdhsa_system_sgpr_workgroup_id_y 0
		.amdhsa_system_sgpr_workgroup_id_z 0
		.amdhsa_system_sgpr_workgroup_info 0
		.amdhsa_system_vgpr_workitem_id 0
		.amdhsa_next_free_vgpr 1
		.amdhsa_next_free_sgpr 1
		.amdhsa_reserve_vcc 0
		.amdhsa_reserve_flat_scratch 0
		.amdhsa_float_round_mode_32 0
		.amdhsa_float_round_mode_16_64 0
		.amdhsa_float_denorm_mode_32 3
		.amdhsa_float_denorm_mode_16_64 3
		.amdhsa_dx10_clamp 1
		.amdhsa_ieee_mode 1
		.amdhsa_fp16_overflow 0
		.amdhsa_workgroup_processor_mode 1
		.amdhsa_memory_ordered 1
		.amdhsa_forward_progress 1
		.amdhsa_shared_vgpr_count 0
		.amdhsa_exception_fp_ieee_invalid_op 0
		.amdhsa_exception_fp_denorm_src 0
		.amdhsa_exception_fp_ieee_div_zero 0
		.amdhsa_exception_fp_ieee_overflow 0
		.amdhsa_exception_fp_ieee_underflow 0
		.amdhsa_exception_fp_ieee_inexact 0
		.amdhsa_exception_int_div_zero 0
	.end_amdhsa_kernel
	.section	.text._ZN7rocprim17ROCPRIM_400000_NS6detail17trampoline_kernelINS0_14default_configENS1_27upper_bound_config_selectorIilEEZNS1_14transform_implILb0ES3_S5_N6thrust23THRUST_200600_302600_NS6detail15normal_iteratorINS8_7pointerIiNS8_11hip_rocprim5par_tENS8_11use_defaultESE_EEEENSA_INSB_IlSD_SE_SE_EEEEZNS1_13binary_searchIS3_S5_NSA_INS8_10device_ptrIiEEEESG_SI_NS1_21upper_bound_search_opENS9_16wrapped_functionINS8_6system6detail7generic6detail18binary_search_lessEbEEEE10hipError_tPvRmT1_T2_T3_mmT4_T5_P12ihipStream_tbEUlRKiE_EESV_SZ_S10_mS11_S14_bEUlT_E_NS1_11comp_targetILNS1_3genE10ELNS1_11target_archE1201ELNS1_3gpuE5ELNS1_3repE0EEENS1_30default_config_static_selectorELNS0_4arch9wavefront6targetE0EEEvSY_,"axG",@progbits,_ZN7rocprim17ROCPRIM_400000_NS6detail17trampoline_kernelINS0_14default_configENS1_27upper_bound_config_selectorIilEEZNS1_14transform_implILb0ES3_S5_N6thrust23THRUST_200600_302600_NS6detail15normal_iteratorINS8_7pointerIiNS8_11hip_rocprim5par_tENS8_11use_defaultESE_EEEENSA_INSB_IlSD_SE_SE_EEEEZNS1_13binary_searchIS3_S5_NSA_INS8_10device_ptrIiEEEESG_SI_NS1_21upper_bound_search_opENS9_16wrapped_functionINS8_6system6detail7generic6detail18binary_search_lessEbEEEE10hipError_tPvRmT1_T2_T3_mmT4_T5_P12ihipStream_tbEUlRKiE_EESV_SZ_S10_mS11_S14_bEUlT_E_NS1_11comp_targetILNS1_3genE10ELNS1_11target_archE1201ELNS1_3gpuE5ELNS1_3repE0EEENS1_30default_config_static_selectorELNS0_4arch9wavefront6targetE0EEEvSY_,comdat
.Lfunc_end586:
	.size	_ZN7rocprim17ROCPRIM_400000_NS6detail17trampoline_kernelINS0_14default_configENS1_27upper_bound_config_selectorIilEEZNS1_14transform_implILb0ES3_S5_N6thrust23THRUST_200600_302600_NS6detail15normal_iteratorINS8_7pointerIiNS8_11hip_rocprim5par_tENS8_11use_defaultESE_EEEENSA_INSB_IlSD_SE_SE_EEEEZNS1_13binary_searchIS3_S5_NSA_INS8_10device_ptrIiEEEESG_SI_NS1_21upper_bound_search_opENS9_16wrapped_functionINS8_6system6detail7generic6detail18binary_search_lessEbEEEE10hipError_tPvRmT1_T2_T3_mmT4_T5_P12ihipStream_tbEUlRKiE_EESV_SZ_S10_mS11_S14_bEUlT_E_NS1_11comp_targetILNS1_3genE10ELNS1_11target_archE1201ELNS1_3gpuE5ELNS1_3repE0EEENS1_30default_config_static_selectorELNS0_4arch9wavefront6targetE0EEEvSY_, .Lfunc_end586-_ZN7rocprim17ROCPRIM_400000_NS6detail17trampoline_kernelINS0_14default_configENS1_27upper_bound_config_selectorIilEEZNS1_14transform_implILb0ES3_S5_N6thrust23THRUST_200600_302600_NS6detail15normal_iteratorINS8_7pointerIiNS8_11hip_rocprim5par_tENS8_11use_defaultESE_EEEENSA_INSB_IlSD_SE_SE_EEEEZNS1_13binary_searchIS3_S5_NSA_INS8_10device_ptrIiEEEESG_SI_NS1_21upper_bound_search_opENS9_16wrapped_functionINS8_6system6detail7generic6detail18binary_search_lessEbEEEE10hipError_tPvRmT1_T2_T3_mmT4_T5_P12ihipStream_tbEUlRKiE_EESV_SZ_S10_mS11_S14_bEUlT_E_NS1_11comp_targetILNS1_3genE10ELNS1_11target_archE1201ELNS1_3gpuE5ELNS1_3repE0EEENS1_30default_config_static_selectorELNS0_4arch9wavefront6targetE0EEEvSY_
                                        ; -- End function
	.set _ZN7rocprim17ROCPRIM_400000_NS6detail17trampoline_kernelINS0_14default_configENS1_27upper_bound_config_selectorIilEEZNS1_14transform_implILb0ES3_S5_N6thrust23THRUST_200600_302600_NS6detail15normal_iteratorINS8_7pointerIiNS8_11hip_rocprim5par_tENS8_11use_defaultESE_EEEENSA_INSB_IlSD_SE_SE_EEEEZNS1_13binary_searchIS3_S5_NSA_INS8_10device_ptrIiEEEESG_SI_NS1_21upper_bound_search_opENS9_16wrapped_functionINS8_6system6detail7generic6detail18binary_search_lessEbEEEE10hipError_tPvRmT1_T2_T3_mmT4_T5_P12ihipStream_tbEUlRKiE_EESV_SZ_S10_mS11_S14_bEUlT_E_NS1_11comp_targetILNS1_3genE10ELNS1_11target_archE1201ELNS1_3gpuE5ELNS1_3repE0EEENS1_30default_config_static_selectorELNS0_4arch9wavefront6targetE0EEEvSY_.num_vgpr, 0
	.set _ZN7rocprim17ROCPRIM_400000_NS6detail17trampoline_kernelINS0_14default_configENS1_27upper_bound_config_selectorIilEEZNS1_14transform_implILb0ES3_S5_N6thrust23THRUST_200600_302600_NS6detail15normal_iteratorINS8_7pointerIiNS8_11hip_rocprim5par_tENS8_11use_defaultESE_EEEENSA_INSB_IlSD_SE_SE_EEEEZNS1_13binary_searchIS3_S5_NSA_INS8_10device_ptrIiEEEESG_SI_NS1_21upper_bound_search_opENS9_16wrapped_functionINS8_6system6detail7generic6detail18binary_search_lessEbEEEE10hipError_tPvRmT1_T2_T3_mmT4_T5_P12ihipStream_tbEUlRKiE_EESV_SZ_S10_mS11_S14_bEUlT_E_NS1_11comp_targetILNS1_3genE10ELNS1_11target_archE1201ELNS1_3gpuE5ELNS1_3repE0EEENS1_30default_config_static_selectorELNS0_4arch9wavefront6targetE0EEEvSY_.num_agpr, 0
	.set _ZN7rocprim17ROCPRIM_400000_NS6detail17trampoline_kernelINS0_14default_configENS1_27upper_bound_config_selectorIilEEZNS1_14transform_implILb0ES3_S5_N6thrust23THRUST_200600_302600_NS6detail15normal_iteratorINS8_7pointerIiNS8_11hip_rocprim5par_tENS8_11use_defaultESE_EEEENSA_INSB_IlSD_SE_SE_EEEEZNS1_13binary_searchIS3_S5_NSA_INS8_10device_ptrIiEEEESG_SI_NS1_21upper_bound_search_opENS9_16wrapped_functionINS8_6system6detail7generic6detail18binary_search_lessEbEEEE10hipError_tPvRmT1_T2_T3_mmT4_T5_P12ihipStream_tbEUlRKiE_EESV_SZ_S10_mS11_S14_bEUlT_E_NS1_11comp_targetILNS1_3genE10ELNS1_11target_archE1201ELNS1_3gpuE5ELNS1_3repE0EEENS1_30default_config_static_selectorELNS0_4arch9wavefront6targetE0EEEvSY_.numbered_sgpr, 0
	.set _ZN7rocprim17ROCPRIM_400000_NS6detail17trampoline_kernelINS0_14default_configENS1_27upper_bound_config_selectorIilEEZNS1_14transform_implILb0ES3_S5_N6thrust23THRUST_200600_302600_NS6detail15normal_iteratorINS8_7pointerIiNS8_11hip_rocprim5par_tENS8_11use_defaultESE_EEEENSA_INSB_IlSD_SE_SE_EEEEZNS1_13binary_searchIS3_S5_NSA_INS8_10device_ptrIiEEEESG_SI_NS1_21upper_bound_search_opENS9_16wrapped_functionINS8_6system6detail7generic6detail18binary_search_lessEbEEEE10hipError_tPvRmT1_T2_T3_mmT4_T5_P12ihipStream_tbEUlRKiE_EESV_SZ_S10_mS11_S14_bEUlT_E_NS1_11comp_targetILNS1_3genE10ELNS1_11target_archE1201ELNS1_3gpuE5ELNS1_3repE0EEENS1_30default_config_static_selectorELNS0_4arch9wavefront6targetE0EEEvSY_.num_named_barrier, 0
	.set _ZN7rocprim17ROCPRIM_400000_NS6detail17trampoline_kernelINS0_14default_configENS1_27upper_bound_config_selectorIilEEZNS1_14transform_implILb0ES3_S5_N6thrust23THRUST_200600_302600_NS6detail15normal_iteratorINS8_7pointerIiNS8_11hip_rocprim5par_tENS8_11use_defaultESE_EEEENSA_INSB_IlSD_SE_SE_EEEEZNS1_13binary_searchIS3_S5_NSA_INS8_10device_ptrIiEEEESG_SI_NS1_21upper_bound_search_opENS9_16wrapped_functionINS8_6system6detail7generic6detail18binary_search_lessEbEEEE10hipError_tPvRmT1_T2_T3_mmT4_T5_P12ihipStream_tbEUlRKiE_EESV_SZ_S10_mS11_S14_bEUlT_E_NS1_11comp_targetILNS1_3genE10ELNS1_11target_archE1201ELNS1_3gpuE5ELNS1_3repE0EEENS1_30default_config_static_selectorELNS0_4arch9wavefront6targetE0EEEvSY_.private_seg_size, 0
	.set _ZN7rocprim17ROCPRIM_400000_NS6detail17trampoline_kernelINS0_14default_configENS1_27upper_bound_config_selectorIilEEZNS1_14transform_implILb0ES3_S5_N6thrust23THRUST_200600_302600_NS6detail15normal_iteratorINS8_7pointerIiNS8_11hip_rocprim5par_tENS8_11use_defaultESE_EEEENSA_INSB_IlSD_SE_SE_EEEEZNS1_13binary_searchIS3_S5_NSA_INS8_10device_ptrIiEEEESG_SI_NS1_21upper_bound_search_opENS9_16wrapped_functionINS8_6system6detail7generic6detail18binary_search_lessEbEEEE10hipError_tPvRmT1_T2_T3_mmT4_T5_P12ihipStream_tbEUlRKiE_EESV_SZ_S10_mS11_S14_bEUlT_E_NS1_11comp_targetILNS1_3genE10ELNS1_11target_archE1201ELNS1_3gpuE5ELNS1_3repE0EEENS1_30default_config_static_selectorELNS0_4arch9wavefront6targetE0EEEvSY_.uses_vcc, 0
	.set _ZN7rocprim17ROCPRIM_400000_NS6detail17trampoline_kernelINS0_14default_configENS1_27upper_bound_config_selectorIilEEZNS1_14transform_implILb0ES3_S5_N6thrust23THRUST_200600_302600_NS6detail15normal_iteratorINS8_7pointerIiNS8_11hip_rocprim5par_tENS8_11use_defaultESE_EEEENSA_INSB_IlSD_SE_SE_EEEEZNS1_13binary_searchIS3_S5_NSA_INS8_10device_ptrIiEEEESG_SI_NS1_21upper_bound_search_opENS9_16wrapped_functionINS8_6system6detail7generic6detail18binary_search_lessEbEEEE10hipError_tPvRmT1_T2_T3_mmT4_T5_P12ihipStream_tbEUlRKiE_EESV_SZ_S10_mS11_S14_bEUlT_E_NS1_11comp_targetILNS1_3genE10ELNS1_11target_archE1201ELNS1_3gpuE5ELNS1_3repE0EEENS1_30default_config_static_selectorELNS0_4arch9wavefront6targetE0EEEvSY_.uses_flat_scratch, 0
	.set _ZN7rocprim17ROCPRIM_400000_NS6detail17trampoline_kernelINS0_14default_configENS1_27upper_bound_config_selectorIilEEZNS1_14transform_implILb0ES3_S5_N6thrust23THRUST_200600_302600_NS6detail15normal_iteratorINS8_7pointerIiNS8_11hip_rocprim5par_tENS8_11use_defaultESE_EEEENSA_INSB_IlSD_SE_SE_EEEEZNS1_13binary_searchIS3_S5_NSA_INS8_10device_ptrIiEEEESG_SI_NS1_21upper_bound_search_opENS9_16wrapped_functionINS8_6system6detail7generic6detail18binary_search_lessEbEEEE10hipError_tPvRmT1_T2_T3_mmT4_T5_P12ihipStream_tbEUlRKiE_EESV_SZ_S10_mS11_S14_bEUlT_E_NS1_11comp_targetILNS1_3genE10ELNS1_11target_archE1201ELNS1_3gpuE5ELNS1_3repE0EEENS1_30default_config_static_selectorELNS0_4arch9wavefront6targetE0EEEvSY_.has_dyn_sized_stack, 0
	.set _ZN7rocprim17ROCPRIM_400000_NS6detail17trampoline_kernelINS0_14default_configENS1_27upper_bound_config_selectorIilEEZNS1_14transform_implILb0ES3_S5_N6thrust23THRUST_200600_302600_NS6detail15normal_iteratorINS8_7pointerIiNS8_11hip_rocprim5par_tENS8_11use_defaultESE_EEEENSA_INSB_IlSD_SE_SE_EEEEZNS1_13binary_searchIS3_S5_NSA_INS8_10device_ptrIiEEEESG_SI_NS1_21upper_bound_search_opENS9_16wrapped_functionINS8_6system6detail7generic6detail18binary_search_lessEbEEEE10hipError_tPvRmT1_T2_T3_mmT4_T5_P12ihipStream_tbEUlRKiE_EESV_SZ_S10_mS11_S14_bEUlT_E_NS1_11comp_targetILNS1_3genE10ELNS1_11target_archE1201ELNS1_3gpuE5ELNS1_3repE0EEENS1_30default_config_static_selectorELNS0_4arch9wavefront6targetE0EEEvSY_.has_recursion, 0
	.set _ZN7rocprim17ROCPRIM_400000_NS6detail17trampoline_kernelINS0_14default_configENS1_27upper_bound_config_selectorIilEEZNS1_14transform_implILb0ES3_S5_N6thrust23THRUST_200600_302600_NS6detail15normal_iteratorINS8_7pointerIiNS8_11hip_rocprim5par_tENS8_11use_defaultESE_EEEENSA_INSB_IlSD_SE_SE_EEEEZNS1_13binary_searchIS3_S5_NSA_INS8_10device_ptrIiEEEESG_SI_NS1_21upper_bound_search_opENS9_16wrapped_functionINS8_6system6detail7generic6detail18binary_search_lessEbEEEE10hipError_tPvRmT1_T2_T3_mmT4_T5_P12ihipStream_tbEUlRKiE_EESV_SZ_S10_mS11_S14_bEUlT_E_NS1_11comp_targetILNS1_3genE10ELNS1_11target_archE1201ELNS1_3gpuE5ELNS1_3repE0EEENS1_30default_config_static_selectorELNS0_4arch9wavefront6targetE0EEEvSY_.has_indirect_call, 0
	.section	.AMDGPU.csdata,"",@progbits
; Kernel info:
; codeLenInByte = 0
; TotalNumSgprs: 0
; NumVgprs: 0
; ScratchSize: 0
; MemoryBound: 0
; FloatMode: 240
; IeeeMode: 1
; LDSByteSize: 0 bytes/workgroup (compile time only)
; SGPRBlocks: 0
; VGPRBlocks: 0
; NumSGPRsForWavesPerEU: 1
; NumVGPRsForWavesPerEU: 1
; Occupancy: 16
; WaveLimiterHint : 0
; COMPUTE_PGM_RSRC2:SCRATCH_EN: 0
; COMPUTE_PGM_RSRC2:USER_SGPR: 6
; COMPUTE_PGM_RSRC2:TRAP_HANDLER: 0
; COMPUTE_PGM_RSRC2:TGID_X_EN: 1
; COMPUTE_PGM_RSRC2:TGID_Y_EN: 0
; COMPUTE_PGM_RSRC2:TGID_Z_EN: 0
; COMPUTE_PGM_RSRC2:TIDIG_COMP_CNT: 0
	.section	.text._ZN7rocprim17ROCPRIM_400000_NS6detail17trampoline_kernelINS0_14default_configENS1_27upper_bound_config_selectorIilEEZNS1_14transform_implILb0ES3_S5_N6thrust23THRUST_200600_302600_NS6detail15normal_iteratorINS8_7pointerIiNS8_11hip_rocprim5par_tENS8_11use_defaultESE_EEEENSA_INSB_IlSD_SE_SE_EEEEZNS1_13binary_searchIS3_S5_NSA_INS8_10device_ptrIiEEEESG_SI_NS1_21upper_bound_search_opENS9_16wrapped_functionINS8_6system6detail7generic6detail18binary_search_lessEbEEEE10hipError_tPvRmT1_T2_T3_mmT4_T5_P12ihipStream_tbEUlRKiE_EESV_SZ_S10_mS11_S14_bEUlT_E_NS1_11comp_targetILNS1_3genE10ELNS1_11target_archE1200ELNS1_3gpuE4ELNS1_3repE0EEENS1_30default_config_static_selectorELNS0_4arch9wavefront6targetE0EEEvSY_,"axG",@progbits,_ZN7rocprim17ROCPRIM_400000_NS6detail17trampoline_kernelINS0_14default_configENS1_27upper_bound_config_selectorIilEEZNS1_14transform_implILb0ES3_S5_N6thrust23THRUST_200600_302600_NS6detail15normal_iteratorINS8_7pointerIiNS8_11hip_rocprim5par_tENS8_11use_defaultESE_EEEENSA_INSB_IlSD_SE_SE_EEEEZNS1_13binary_searchIS3_S5_NSA_INS8_10device_ptrIiEEEESG_SI_NS1_21upper_bound_search_opENS9_16wrapped_functionINS8_6system6detail7generic6detail18binary_search_lessEbEEEE10hipError_tPvRmT1_T2_T3_mmT4_T5_P12ihipStream_tbEUlRKiE_EESV_SZ_S10_mS11_S14_bEUlT_E_NS1_11comp_targetILNS1_3genE10ELNS1_11target_archE1200ELNS1_3gpuE4ELNS1_3repE0EEENS1_30default_config_static_selectorELNS0_4arch9wavefront6targetE0EEEvSY_,comdat
	.protected	_ZN7rocprim17ROCPRIM_400000_NS6detail17trampoline_kernelINS0_14default_configENS1_27upper_bound_config_selectorIilEEZNS1_14transform_implILb0ES3_S5_N6thrust23THRUST_200600_302600_NS6detail15normal_iteratorINS8_7pointerIiNS8_11hip_rocprim5par_tENS8_11use_defaultESE_EEEENSA_INSB_IlSD_SE_SE_EEEEZNS1_13binary_searchIS3_S5_NSA_INS8_10device_ptrIiEEEESG_SI_NS1_21upper_bound_search_opENS9_16wrapped_functionINS8_6system6detail7generic6detail18binary_search_lessEbEEEE10hipError_tPvRmT1_T2_T3_mmT4_T5_P12ihipStream_tbEUlRKiE_EESV_SZ_S10_mS11_S14_bEUlT_E_NS1_11comp_targetILNS1_3genE10ELNS1_11target_archE1200ELNS1_3gpuE4ELNS1_3repE0EEENS1_30default_config_static_selectorELNS0_4arch9wavefront6targetE0EEEvSY_ ; -- Begin function _ZN7rocprim17ROCPRIM_400000_NS6detail17trampoline_kernelINS0_14default_configENS1_27upper_bound_config_selectorIilEEZNS1_14transform_implILb0ES3_S5_N6thrust23THRUST_200600_302600_NS6detail15normal_iteratorINS8_7pointerIiNS8_11hip_rocprim5par_tENS8_11use_defaultESE_EEEENSA_INSB_IlSD_SE_SE_EEEEZNS1_13binary_searchIS3_S5_NSA_INS8_10device_ptrIiEEEESG_SI_NS1_21upper_bound_search_opENS9_16wrapped_functionINS8_6system6detail7generic6detail18binary_search_lessEbEEEE10hipError_tPvRmT1_T2_T3_mmT4_T5_P12ihipStream_tbEUlRKiE_EESV_SZ_S10_mS11_S14_bEUlT_E_NS1_11comp_targetILNS1_3genE10ELNS1_11target_archE1200ELNS1_3gpuE4ELNS1_3repE0EEENS1_30default_config_static_selectorELNS0_4arch9wavefront6targetE0EEEvSY_
	.globl	_ZN7rocprim17ROCPRIM_400000_NS6detail17trampoline_kernelINS0_14default_configENS1_27upper_bound_config_selectorIilEEZNS1_14transform_implILb0ES3_S5_N6thrust23THRUST_200600_302600_NS6detail15normal_iteratorINS8_7pointerIiNS8_11hip_rocprim5par_tENS8_11use_defaultESE_EEEENSA_INSB_IlSD_SE_SE_EEEEZNS1_13binary_searchIS3_S5_NSA_INS8_10device_ptrIiEEEESG_SI_NS1_21upper_bound_search_opENS9_16wrapped_functionINS8_6system6detail7generic6detail18binary_search_lessEbEEEE10hipError_tPvRmT1_T2_T3_mmT4_T5_P12ihipStream_tbEUlRKiE_EESV_SZ_S10_mS11_S14_bEUlT_E_NS1_11comp_targetILNS1_3genE10ELNS1_11target_archE1200ELNS1_3gpuE4ELNS1_3repE0EEENS1_30default_config_static_selectorELNS0_4arch9wavefront6targetE0EEEvSY_
	.p2align	8
	.type	_ZN7rocprim17ROCPRIM_400000_NS6detail17trampoline_kernelINS0_14default_configENS1_27upper_bound_config_selectorIilEEZNS1_14transform_implILb0ES3_S5_N6thrust23THRUST_200600_302600_NS6detail15normal_iteratorINS8_7pointerIiNS8_11hip_rocprim5par_tENS8_11use_defaultESE_EEEENSA_INSB_IlSD_SE_SE_EEEEZNS1_13binary_searchIS3_S5_NSA_INS8_10device_ptrIiEEEESG_SI_NS1_21upper_bound_search_opENS9_16wrapped_functionINS8_6system6detail7generic6detail18binary_search_lessEbEEEE10hipError_tPvRmT1_T2_T3_mmT4_T5_P12ihipStream_tbEUlRKiE_EESV_SZ_S10_mS11_S14_bEUlT_E_NS1_11comp_targetILNS1_3genE10ELNS1_11target_archE1200ELNS1_3gpuE4ELNS1_3repE0EEENS1_30default_config_static_selectorELNS0_4arch9wavefront6targetE0EEEvSY_,@function
_ZN7rocprim17ROCPRIM_400000_NS6detail17trampoline_kernelINS0_14default_configENS1_27upper_bound_config_selectorIilEEZNS1_14transform_implILb0ES3_S5_N6thrust23THRUST_200600_302600_NS6detail15normal_iteratorINS8_7pointerIiNS8_11hip_rocprim5par_tENS8_11use_defaultESE_EEEENSA_INSB_IlSD_SE_SE_EEEEZNS1_13binary_searchIS3_S5_NSA_INS8_10device_ptrIiEEEESG_SI_NS1_21upper_bound_search_opENS9_16wrapped_functionINS8_6system6detail7generic6detail18binary_search_lessEbEEEE10hipError_tPvRmT1_T2_T3_mmT4_T5_P12ihipStream_tbEUlRKiE_EESV_SZ_S10_mS11_S14_bEUlT_E_NS1_11comp_targetILNS1_3genE10ELNS1_11target_archE1200ELNS1_3gpuE4ELNS1_3repE0EEENS1_30default_config_static_selectorELNS0_4arch9wavefront6targetE0EEEvSY_: ; @_ZN7rocprim17ROCPRIM_400000_NS6detail17trampoline_kernelINS0_14default_configENS1_27upper_bound_config_selectorIilEEZNS1_14transform_implILb0ES3_S5_N6thrust23THRUST_200600_302600_NS6detail15normal_iteratorINS8_7pointerIiNS8_11hip_rocprim5par_tENS8_11use_defaultESE_EEEENSA_INSB_IlSD_SE_SE_EEEEZNS1_13binary_searchIS3_S5_NSA_INS8_10device_ptrIiEEEESG_SI_NS1_21upper_bound_search_opENS9_16wrapped_functionINS8_6system6detail7generic6detail18binary_search_lessEbEEEE10hipError_tPvRmT1_T2_T3_mmT4_T5_P12ihipStream_tbEUlRKiE_EESV_SZ_S10_mS11_S14_bEUlT_E_NS1_11comp_targetILNS1_3genE10ELNS1_11target_archE1200ELNS1_3gpuE4ELNS1_3repE0EEENS1_30default_config_static_selectorELNS0_4arch9wavefront6targetE0EEEvSY_
; %bb.0:
	.section	.rodata,"a",@progbits
	.p2align	6, 0x0
	.amdhsa_kernel _ZN7rocprim17ROCPRIM_400000_NS6detail17trampoline_kernelINS0_14default_configENS1_27upper_bound_config_selectorIilEEZNS1_14transform_implILb0ES3_S5_N6thrust23THRUST_200600_302600_NS6detail15normal_iteratorINS8_7pointerIiNS8_11hip_rocprim5par_tENS8_11use_defaultESE_EEEENSA_INSB_IlSD_SE_SE_EEEEZNS1_13binary_searchIS3_S5_NSA_INS8_10device_ptrIiEEEESG_SI_NS1_21upper_bound_search_opENS9_16wrapped_functionINS8_6system6detail7generic6detail18binary_search_lessEbEEEE10hipError_tPvRmT1_T2_T3_mmT4_T5_P12ihipStream_tbEUlRKiE_EESV_SZ_S10_mS11_S14_bEUlT_E_NS1_11comp_targetILNS1_3genE10ELNS1_11target_archE1200ELNS1_3gpuE4ELNS1_3repE0EEENS1_30default_config_static_selectorELNS0_4arch9wavefront6targetE0EEEvSY_
		.amdhsa_group_segment_fixed_size 0
		.amdhsa_private_segment_fixed_size 0
		.amdhsa_kernarg_size 56
		.amdhsa_user_sgpr_count 6
		.amdhsa_user_sgpr_private_segment_buffer 1
		.amdhsa_user_sgpr_dispatch_ptr 0
		.amdhsa_user_sgpr_queue_ptr 0
		.amdhsa_user_sgpr_kernarg_segment_ptr 1
		.amdhsa_user_sgpr_dispatch_id 0
		.amdhsa_user_sgpr_flat_scratch_init 0
		.amdhsa_user_sgpr_private_segment_size 0
		.amdhsa_wavefront_size32 1
		.amdhsa_uses_dynamic_stack 0
		.amdhsa_system_sgpr_private_segment_wavefront_offset 0
		.amdhsa_system_sgpr_workgroup_id_x 1
		.amdhsa_system_sgpr_workgroup_id_y 0
		.amdhsa_system_sgpr_workgroup_id_z 0
		.amdhsa_system_sgpr_workgroup_info 0
		.amdhsa_system_vgpr_workitem_id 0
		.amdhsa_next_free_vgpr 1
		.amdhsa_next_free_sgpr 1
		.amdhsa_reserve_vcc 0
		.amdhsa_reserve_flat_scratch 0
		.amdhsa_float_round_mode_32 0
		.amdhsa_float_round_mode_16_64 0
		.amdhsa_float_denorm_mode_32 3
		.amdhsa_float_denorm_mode_16_64 3
		.amdhsa_dx10_clamp 1
		.amdhsa_ieee_mode 1
		.amdhsa_fp16_overflow 0
		.amdhsa_workgroup_processor_mode 1
		.amdhsa_memory_ordered 1
		.amdhsa_forward_progress 1
		.amdhsa_shared_vgpr_count 0
		.amdhsa_exception_fp_ieee_invalid_op 0
		.amdhsa_exception_fp_denorm_src 0
		.amdhsa_exception_fp_ieee_div_zero 0
		.amdhsa_exception_fp_ieee_overflow 0
		.amdhsa_exception_fp_ieee_underflow 0
		.amdhsa_exception_fp_ieee_inexact 0
		.amdhsa_exception_int_div_zero 0
	.end_amdhsa_kernel
	.section	.text._ZN7rocprim17ROCPRIM_400000_NS6detail17trampoline_kernelINS0_14default_configENS1_27upper_bound_config_selectorIilEEZNS1_14transform_implILb0ES3_S5_N6thrust23THRUST_200600_302600_NS6detail15normal_iteratorINS8_7pointerIiNS8_11hip_rocprim5par_tENS8_11use_defaultESE_EEEENSA_INSB_IlSD_SE_SE_EEEEZNS1_13binary_searchIS3_S5_NSA_INS8_10device_ptrIiEEEESG_SI_NS1_21upper_bound_search_opENS9_16wrapped_functionINS8_6system6detail7generic6detail18binary_search_lessEbEEEE10hipError_tPvRmT1_T2_T3_mmT4_T5_P12ihipStream_tbEUlRKiE_EESV_SZ_S10_mS11_S14_bEUlT_E_NS1_11comp_targetILNS1_3genE10ELNS1_11target_archE1200ELNS1_3gpuE4ELNS1_3repE0EEENS1_30default_config_static_selectorELNS0_4arch9wavefront6targetE0EEEvSY_,"axG",@progbits,_ZN7rocprim17ROCPRIM_400000_NS6detail17trampoline_kernelINS0_14default_configENS1_27upper_bound_config_selectorIilEEZNS1_14transform_implILb0ES3_S5_N6thrust23THRUST_200600_302600_NS6detail15normal_iteratorINS8_7pointerIiNS8_11hip_rocprim5par_tENS8_11use_defaultESE_EEEENSA_INSB_IlSD_SE_SE_EEEEZNS1_13binary_searchIS3_S5_NSA_INS8_10device_ptrIiEEEESG_SI_NS1_21upper_bound_search_opENS9_16wrapped_functionINS8_6system6detail7generic6detail18binary_search_lessEbEEEE10hipError_tPvRmT1_T2_T3_mmT4_T5_P12ihipStream_tbEUlRKiE_EESV_SZ_S10_mS11_S14_bEUlT_E_NS1_11comp_targetILNS1_3genE10ELNS1_11target_archE1200ELNS1_3gpuE4ELNS1_3repE0EEENS1_30default_config_static_selectorELNS0_4arch9wavefront6targetE0EEEvSY_,comdat
.Lfunc_end587:
	.size	_ZN7rocprim17ROCPRIM_400000_NS6detail17trampoline_kernelINS0_14default_configENS1_27upper_bound_config_selectorIilEEZNS1_14transform_implILb0ES3_S5_N6thrust23THRUST_200600_302600_NS6detail15normal_iteratorINS8_7pointerIiNS8_11hip_rocprim5par_tENS8_11use_defaultESE_EEEENSA_INSB_IlSD_SE_SE_EEEEZNS1_13binary_searchIS3_S5_NSA_INS8_10device_ptrIiEEEESG_SI_NS1_21upper_bound_search_opENS9_16wrapped_functionINS8_6system6detail7generic6detail18binary_search_lessEbEEEE10hipError_tPvRmT1_T2_T3_mmT4_T5_P12ihipStream_tbEUlRKiE_EESV_SZ_S10_mS11_S14_bEUlT_E_NS1_11comp_targetILNS1_3genE10ELNS1_11target_archE1200ELNS1_3gpuE4ELNS1_3repE0EEENS1_30default_config_static_selectorELNS0_4arch9wavefront6targetE0EEEvSY_, .Lfunc_end587-_ZN7rocprim17ROCPRIM_400000_NS6detail17trampoline_kernelINS0_14default_configENS1_27upper_bound_config_selectorIilEEZNS1_14transform_implILb0ES3_S5_N6thrust23THRUST_200600_302600_NS6detail15normal_iteratorINS8_7pointerIiNS8_11hip_rocprim5par_tENS8_11use_defaultESE_EEEENSA_INSB_IlSD_SE_SE_EEEEZNS1_13binary_searchIS3_S5_NSA_INS8_10device_ptrIiEEEESG_SI_NS1_21upper_bound_search_opENS9_16wrapped_functionINS8_6system6detail7generic6detail18binary_search_lessEbEEEE10hipError_tPvRmT1_T2_T3_mmT4_T5_P12ihipStream_tbEUlRKiE_EESV_SZ_S10_mS11_S14_bEUlT_E_NS1_11comp_targetILNS1_3genE10ELNS1_11target_archE1200ELNS1_3gpuE4ELNS1_3repE0EEENS1_30default_config_static_selectorELNS0_4arch9wavefront6targetE0EEEvSY_
                                        ; -- End function
	.set _ZN7rocprim17ROCPRIM_400000_NS6detail17trampoline_kernelINS0_14default_configENS1_27upper_bound_config_selectorIilEEZNS1_14transform_implILb0ES3_S5_N6thrust23THRUST_200600_302600_NS6detail15normal_iteratorINS8_7pointerIiNS8_11hip_rocprim5par_tENS8_11use_defaultESE_EEEENSA_INSB_IlSD_SE_SE_EEEEZNS1_13binary_searchIS3_S5_NSA_INS8_10device_ptrIiEEEESG_SI_NS1_21upper_bound_search_opENS9_16wrapped_functionINS8_6system6detail7generic6detail18binary_search_lessEbEEEE10hipError_tPvRmT1_T2_T3_mmT4_T5_P12ihipStream_tbEUlRKiE_EESV_SZ_S10_mS11_S14_bEUlT_E_NS1_11comp_targetILNS1_3genE10ELNS1_11target_archE1200ELNS1_3gpuE4ELNS1_3repE0EEENS1_30default_config_static_selectorELNS0_4arch9wavefront6targetE0EEEvSY_.num_vgpr, 0
	.set _ZN7rocprim17ROCPRIM_400000_NS6detail17trampoline_kernelINS0_14default_configENS1_27upper_bound_config_selectorIilEEZNS1_14transform_implILb0ES3_S5_N6thrust23THRUST_200600_302600_NS6detail15normal_iteratorINS8_7pointerIiNS8_11hip_rocprim5par_tENS8_11use_defaultESE_EEEENSA_INSB_IlSD_SE_SE_EEEEZNS1_13binary_searchIS3_S5_NSA_INS8_10device_ptrIiEEEESG_SI_NS1_21upper_bound_search_opENS9_16wrapped_functionINS8_6system6detail7generic6detail18binary_search_lessEbEEEE10hipError_tPvRmT1_T2_T3_mmT4_T5_P12ihipStream_tbEUlRKiE_EESV_SZ_S10_mS11_S14_bEUlT_E_NS1_11comp_targetILNS1_3genE10ELNS1_11target_archE1200ELNS1_3gpuE4ELNS1_3repE0EEENS1_30default_config_static_selectorELNS0_4arch9wavefront6targetE0EEEvSY_.num_agpr, 0
	.set _ZN7rocprim17ROCPRIM_400000_NS6detail17trampoline_kernelINS0_14default_configENS1_27upper_bound_config_selectorIilEEZNS1_14transform_implILb0ES3_S5_N6thrust23THRUST_200600_302600_NS6detail15normal_iteratorINS8_7pointerIiNS8_11hip_rocprim5par_tENS8_11use_defaultESE_EEEENSA_INSB_IlSD_SE_SE_EEEEZNS1_13binary_searchIS3_S5_NSA_INS8_10device_ptrIiEEEESG_SI_NS1_21upper_bound_search_opENS9_16wrapped_functionINS8_6system6detail7generic6detail18binary_search_lessEbEEEE10hipError_tPvRmT1_T2_T3_mmT4_T5_P12ihipStream_tbEUlRKiE_EESV_SZ_S10_mS11_S14_bEUlT_E_NS1_11comp_targetILNS1_3genE10ELNS1_11target_archE1200ELNS1_3gpuE4ELNS1_3repE0EEENS1_30default_config_static_selectorELNS0_4arch9wavefront6targetE0EEEvSY_.numbered_sgpr, 0
	.set _ZN7rocprim17ROCPRIM_400000_NS6detail17trampoline_kernelINS0_14default_configENS1_27upper_bound_config_selectorIilEEZNS1_14transform_implILb0ES3_S5_N6thrust23THRUST_200600_302600_NS6detail15normal_iteratorINS8_7pointerIiNS8_11hip_rocprim5par_tENS8_11use_defaultESE_EEEENSA_INSB_IlSD_SE_SE_EEEEZNS1_13binary_searchIS3_S5_NSA_INS8_10device_ptrIiEEEESG_SI_NS1_21upper_bound_search_opENS9_16wrapped_functionINS8_6system6detail7generic6detail18binary_search_lessEbEEEE10hipError_tPvRmT1_T2_T3_mmT4_T5_P12ihipStream_tbEUlRKiE_EESV_SZ_S10_mS11_S14_bEUlT_E_NS1_11comp_targetILNS1_3genE10ELNS1_11target_archE1200ELNS1_3gpuE4ELNS1_3repE0EEENS1_30default_config_static_selectorELNS0_4arch9wavefront6targetE0EEEvSY_.num_named_barrier, 0
	.set _ZN7rocprim17ROCPRIM_400000_NS6detail17trampoline_kernelINS0_14default_configENS1_27upper_bound_config_selectorIilEEZNS1_14transform_implILb0ES3_S5_N6thrust23THRUST_200600_302600_NS6detail15normal_iteratorINS8_7pointerIiNS8_11hip_rocprim5par_tENS8_11use_defaultESE_EEEENSA_INSB_IlSD_SE_SE_EEEEZNS1_13binary_searchIS3_S5_NSA_INS8_10device_ptrIiEEEESG_SI_NS1_21upper_bound_search_opENS9_16wrapped_functionINS8_6system6detail7generic6detail18binary_search_lessEbEEEE10hipError_tPvRmT1_T2_T3_mmT4_T5_P12ihipStream_tbEUlRKiE_EESV_SZ_S10_mS11_S14_bEUlT_E_NS1_11comp_targetILNS1_3genE10ELNS1_11target_archE1200ELNS1_3gpuE4ELNS1_3repE0EEENS1_30default_config_static_selectorELNS0_4arch9wavefront6targetE0EEEvSY_.private_seg_size, 0
	.set _ZN7rocprim17ROCPRIM_400000_NS6detail17trampoline_kernelINS0_14default_configENS1_27upper_bound_config_selectorIilEEZNS1_14transform_implILb0ES3_S5_N6thrust23THRUST_200600_302600_NS6detail15normal_iteratorINS8_7pointerIiNS8_11hip_rocprim5par_tENS8_11use_defaultESE_EEEENSA_INSB_IlSD_SE_SE_EEEEZNS1_13binary_searchIS3_S5_NSA_INS8_10device_ptrIiEEEESG_SI_NS1_21upper_bound_search_opENS9_16wrapped_functionINS8_6system6detail7generic6detail18binary_search_lessEbEEEE10hipError_tPvRmT1_T2_T3_mmT4_T5_P12ihipStream_tbEUlRKiE_EESV_SZ_S10_mS11_S14_bEUlT_E_NS1_11comp_targetILNS1_3genE10ELNS1_11target_archE1200ELNS1_3gpuE4ELNS1_3repE0EEENS1_30default_config_static_selectorELNS0_4arch9wavefront6targetE0EEEvSY_.uses_vcc, 0
	.set _ZN7rocprim17ROCPRIM_400000_NS6detail17trampoline_kernelINS0_14default_configENS1_27upper_bound_config_selectorIilEEZNS1_14transform_implILb0ES3_S5_N6thrust23THRUST_200600_302600_NS6detail15normal_iteratorINS8_7pointerIiNS8_11hip_rocprim5par_tENS8_11use_defaultESE_EEEENSA_INSB_IlSD_SE_SE_EEEEZNS1_13binary_searchIS3_S5_NSA_INS8_10device_ptrIiEEEESG_SI_NS1_21upper_bound_search_opENS9_16wrapped_functionINS8_6system6detail7generic6detail18binary_search_lessEbEEEE10hipError_tPvRmT1_T2_T3_mmT4_T5_P12ihipStream_tbEUlRKiE_EESV_SZ_S10_mS11_S14_bEUlT_E_NS1_11comp_targetILNS1_3genE10ELNS1_11target_archE1200ELNS1_3gpuE4ELNS1_3repE0EEENS1_30default_config_static_selectorELNS0_4arch9wavefront6targetE0EEEvSY_.uses_flat_scratch, 0
	.set _ZN7rocprim17ROCPRIM_400000_NS6detail17trampoline_kernelINS0_14default_configENS1_27upper_bound_config_selectorIilEEZNS1_14transform_implILb0ES3_S5_N6thrust23THRUST_200600_302600_NS6detail15normal_iteratorINS8_7pointerIiNS8_11hip_rocprim5par_tENS8_11use_defaultESE_EEEENSA_INSB_IlSD_SE_SE_EEEEZNS1_13binary_searchIS3_S5_NSA_INS8_10device_ptrIiEEEESG_SI_NS1_21upper_bound_search_opENS9_16wrapped_functionINS8_6system6detail7generic6detail18binary_search_lessEbEEEE10hipError_tPvRmT1_T2_T3_mmT4_T5_P12ihipStream_tbEUlRKiE_EESV_SZ_S10_mS11_S14_bEUlT_E_NS1_11comp_targetILNS1_3genE10ELNS1_11target_archE1200ELNS1_3gpuE4ELNS1_3repE0EEENS1_30default_config_static_selectorELNS0_4arch9wavefront6targetE0EEEvSY_.has_dyn_sized_stack, 0
	.set _ZN7rocprim17ROCPRIM_400000_NS6detail17trampoline_kernelINS0_14default_configENS1_27upper_bound_config_selectorIilEEZNS1_14transform_implILb0ES3_S5_N6thrust23THRUST_200600_302600_NS6detail15normal_iteratorINS8_7pointerIiNS8_11hip_rocprim5par_tENS8_11use_defaultESE_EEEENSA_INSB_IlSD_SE_SE_EEEEZNS1_13binary_searchIS3_S5_NSA_INS8_10device_ptrIiEEEESG_SI_NS1_21upper_bound_search_opENS9_16wrapped_functionINS8_6system6detail7generic6detail18binary_search_lessEbEEEE10hipError_tPvRmT1_T2_T3_mmT4_T5_P12ihipStream_tbEUlRKiE_EESV_SZ_S10_mS11_S14_bEUlT_E_NS1_11comp_targetILNS1_3genE10ELNS1_11target_archE1200ELNS1_3gpuE4ELNS1_3repE0EEENS1_30default_config_static_selectorELNS0_4arch9wavefront6targetE0EEEvSY_.has_recursion, 0
	.set _ZN7rocprim17ROCPRIM_400000_NS6detail17trampoline_kernelINS0_14default_configENS1_27upper_bound_config_selectorIilEEZNS1_14transform_implILb0ES3_S5_N6thrust23THRUST_200600_302600_NS6detail15normal_iteratorINS8_7pointerIiNS8_11hip_rocprim5par_tENS8_11use_defaultESE_EEEENSA_INSB_IlSD_SE_SE_EEEEZNS1_13binary_searchIS3_S5_NSA_INS8_10device_ptrIiEEEESG_SI_NS1_21upper_bound_search_opENS9_16wrapped_functionINS8_6system6detail7generic6detail18binary_search_lessEbEEEE10hipError_tPvRmT1_T2_T3_mmT4_T5_P12ihipStream_tbEUlRKiE_EESV_SZ_S10_mS11_S14_bEUlT_E_NS1_11comp_targetILNS1_3genE10ELNS1_11target_archE1200ELNS1_3gpuE4ELNS1_3repE0EEENS1_30default_config_static_selectorELNS0_4arch9wavefront6targetE0EEEvSY_.has_indirect_call, 0
	.section	.AMDGPU.csdata,"",@progbits
; Kernel info:
; codeLenInByte = 0
; TotalNumSgprs: 0
; NumVgprs: 0
; ScratchSize: 0
; MemoryBound: 0
; FloatMode: 240
; IeeeMode: 1
; LDSByteSize: 0 bytes/workgroup (compile time only)
; SGPRBlocks: 0
; VGPRBlocks: 0
; NumSGPRsForWavesPerEU: 1
; NumVGPRsForWavesPerEU: 1
; Occupancy: 16
; WaveLimiterHint : 0
; COMPUTE_PGM_RSRC2:SCRATCH_EN: 0
; COMPUTE_PGM_RSRC2:USER_SGPR: 6
; COMPUTE_PGM_RSRC2:TRAP_HANDLER: 0
; COMPUTE_PGM_RSRC2:TGID_X_EN: 1
; COMPUTE_PGM_RSRC2:TGID_Y_EN: 0
; COMPUTE_PGM_RSRC2:TGID_Z_EN: 0
; COMPUTE_PGM_RSRC2:TIDIG_COMP_CNT: 0
	.section	.text._ZN7rocprim17ROCPRIM_400000_NS6detail17trampoline_kernelINS0_14default_configENS1_27upper_bound_config_selectorIilEEZNS1_14transform_implILb0ES3_S5_N6thrust23THRUST_200600_302600_NS6detail15normal_iteratorINS8_7pointerIiNS8_11hip_rocprim5par_tENS8_11use_defaultESE_EEEENSA_INSB_IlSD_SE_SE_EEEEZNS1_13binary_searchIS3_S5_NSA_INS8_10device_ptrIiEEEESG_SI_NS1_21upper_bound_search_opENS9_16wrapped_functionINS8_6system6detail7generic6detail18binary_search_lessEbEEEE10hipError_tPvRmT1_T2_T3_mmT4_T5_P12ihipStream_tbEUlRKiE_EESV_SZ_S10_mS11_S14_bEUlT_E_NS1_11comp_targetILNS1_3genE9ELNS1_11target_archE1100ELNS1_3gpuE3ELNS1_3repE0EEENS1_30default_config_static_selectorELNS0_4arch9wavefront6targetE0EEEvSY_,"axG",@progbits,_ZN7rocprim17ROCPRIM_400000_NS6detail17trampoline_kernelINS0_14default_configENS1_27upper_bound_config_selectorIilEEZNS1_14transform_implILb0ES3_S5_N6thrust23THRUST_200600_302600_NS6detail15normal_iteratorINS8_7pointerIiNS8_11hip_rocprim5par_tENS8_11use_defaultESE_EEEENSA_INSB_IlSD_SE_SE_EEEEZNS1_13binary_searchIS3_S5_NSA_INS8_10device_ptrIiEEEESG_SI_NS1_21upper_bound_search_opENS9_16wrapped_functionINS8_6system6detail7generic6detail18binary_search_lessEbEEEE10hipError_tPvRmT1_T2_T3_mmT4_T5_P12ihipStream_tbEUlRKiE_EESV_SZ_S10_mS11_S14_bEUlT_E_NS1_11comp_targetILNS1_3genE9ELNS1_11target_archE1100ELNS1_3gpuE3ELNS1_3repE0EEENS1_30default_config_static_selectorELNS0_4arch9wavefront6targetE0EEEvSY_,comdat
	.protected	_ZN7rocprim17ROCPRIM_400000_NS6detail17trampoline_kernelINS0_14default_configENS1_27upper_bound_config_selectorIilEEZNS1_14transform_implILb0ES3_S5_N6thrust23THRUST_200600_302600_NS6detail15normal_iteratorINS8_7pointerIiNS8_11hip_rocprim5par_tENS8_11use_defaultESE_EEEENSA_INSB_IlSD_SE_SE_EEEEZNS1_13binary_searchIS3_S5_NSA_INS8_10device_ptrIiEEEESG_SI_NS1_21upper_bound_search_opENS9_16wrapped_functionINS8_6system6detail7generic6detail18binary_search_lessEbEEEE10hipError_tPvRmT1_T2_T3_mmT4_T5_P12ihipStream_tbEUlRKiE_EESV_SZ_S10_mS11_S14_bEUlT_E_NS1_11comp_targetILNS1_3genE9ELNS1_11target_archE1100ELNS1_3gpuE3ELNS1_3repE0EEENS1_30default_config_static_selectorELNS0_4arch9wavefront6targetE0EEEvSY_ ; -- Begin function _ZN7rocprim17ROCPRIM_400000_NS6detail17trampoline_kernelINS0_14default_configENS1_27upper_bound_config_selectorIilEEZNS1_14transform_implILb0ES3_S5_N6thrust23THRUST_200600_302600_NS6detail15normal_iteratorINS8_7pointerIiNS8_11hip_rocprim5par_tENS8_11use_defaultESE_EEEENSA_INSB_IlSD_SE_SE_EEEEZNS1_13binary_searchIS3_S5_NSA_INS8_10device_ptrIiEEEESG_SI_NS1_21upper_bound_search_opENS9_16wrapped_functionINS8_6system6detail7generic6detail18binary_search_lessEbEEEE10hipError_tPvRmT1_T2_T3_mmT4_T5_P12ihipStream_tbEUlRKiE_EESV_SZ_S10_mS11_S14_bEUlT_E_NS1_11comp_targetILNS1_3genE9ELNS1_11target_archE1100ELNS1_3gpuE3ELNS1_3repE0EEENS1_30default_config_static_selectorELNS0_4arch9wavefront6targetE0EEEvSY_
	.globl	_ZN7rocprim17ROCPRIM_400000_NS6detail17trampoline_kernelINS0_14default_configENS1_27upper_bound_config_selectorIilEEZNS1_14transform_implILb0ES3_S5_N6thrust23THRUST_200600_302600_NS6detail15normal_iteratorINS8_7pointerIiNS8_11hip_rocprim5par_tENS8_11use_defaultESE_EEEENSA_INSB_IlSD_SE_SE_EEEEZNS1_13binary_searchIS3_S5_NSA_INS8_10device_ptrIiEEEESG_SI_NS1_21upper_bound_search_opENS9_16wrapped_functionINS8_6system6detail7generic6detail18binary_search_lessEbEEEE10hipError_tPvRmT1_T2_T3_mmT4_T5_P12ihipStream_tbEUlRKiE_EESV_SZ_S10_mS11_S14_bEUlT_E_NS1_11comp_targetILNS1_3genE9ELNS1_11target_archE1100ELNS1_3gpuE3ELNS1_3repE0EEENS1_30default_config_static_selectorELNS0_4arch9wavefront6targetE0EEEvSY_
	.p2align	8
	.type	_ZN7rocprim17ROCPRIM_400000_NS6detail17trampoline_kernelINS0_14default_configENS1_27upper_bound_config_selectorIilEEZNS1_14transform_implILb0ES3_S5_N6thrust23THRUST_200600_302600_NS6detail15normal_iteratorINS8_7pointerIiNS8_11hip_rocprim5par_tENS8_11use_defaultESE_EEEENSA_INSB_IlSD_SE_SE_EEEEZNS1_13binary_searchIS3_S5_NSA_INS8_10device_ptrIiEEEESG_SI_NS1_21upper_bound_search_opENS9_16wrapped_functionINS8_6system6detail7generic6detail18binary_search_lessEbEEEE10hipError_tPvRmT1_T2_T3_mmT4_T5_P12ihipStream_tbEUlRKiE_EESV_SZ_S10_mS11_S14_bEUlT_E_NS1_11comp_targetILNS1_3genE9ELNS1_11target_archE1100ELNS1_3gpuE3ELNS1_3repE0EEENS1_30default_config_static_selectorELNS0_4arch9wavefront6targetE0EEEvSY_,@function
_ZN7rocprim17ROCPRIM_400000_NS6detail17trampoline_kernelINS0_14default_configENS1_27upper_bound_config_selectorIilEEZNS1_14transform_implILb0ES3_S5_N6thrust23THRUST_200600_302600_NS6detail15normal_iteratorINS8_7pointerIiNS8_11hip_rocprim5par_tENS8_11use_defaultESE_EEEENSA_INSB_IlSD_SE_SE_EEEEZNS1_13binary_searchIS3_S5_NSA_INS8_10device_ptrIiEEEESG_SI_NS1_21upper_bound_search_opENS9_16wrapped_functionINS8_6system6detail7generic6detail18binary_search_lessEbEEEE10hipError_tPvRmT1_T2_T3_mmT4_T5_P12ihipStream_tbEUlRKiE_EESV_SZ_S10_mS11_S14_bEUlT_E_NS1_11comp_targetILNS1_3genE9ELNS1_11target_archE1100ELNS1_3gpuE3ELNS1_3repE0EEENS1_30default_config_static_selectorELNS0_4arch9wavefront6targetE0EEEvSY_: ; @_ZN7rocprim17ROCPRIM_400000_NS6detail17trampoline_kernelINS0_14default_configENS1_27upper_bound_config_selectorIilEEZNS1_14transform_implILb0ES3_S5_N6thrust23THRUST_200600_302600_NS6detail15normal_iteratorINS8_7pointerIiNS8_11hip_rocprim5par_tENS8_11use_defaultESE_EEEENSA_INSB_IlSD_SE_SE_EEEEZNS1_13binary_searchIS3_S5_NSA_INS8_10device_ptrIiEEEESG_SI_NS1_21upper_bound_search_opENS9_16wrapped_functionINS8_6system6detail7generic6detail18binary_search_lessEbEEEE10hipError_tPvRmT1_T2_T3_mmT4_T5_P12ihipStream_tbEUlRKiE_EESV_SZ_S10_mS11_S14_bEUlT_E_NS1_11comp_targetILNS1_3genE9ELNS1_11target_archE1100ELNS1_3gpuE3ELNS1_3repE0EEENS1_30default_config_static_selectorELNS0_4arch9wavefront6targetE0EEEvSY_
; %bb.0:
	.section	.rodata,"a",@progbits
	.p2align	6, 0x0
	.amdhsa_kernel _ZN7rocprim17ROCPRIM_400000_NS6detail17trampoline_kernelINS0_14default_configENS1_27upper_bound_config_selectorIilEEZNS1_14transform_implILb0ES3_S5_N6thrust23THRUST_200600_302600_NS6detail15normal_iteratorINS8_7pointerIiNS8_11hip_rocprim5par_tENS8_11use_defaultESE_EEEENSA_INSB_IlSD_SE_SE_EEEEZNS1_13binary_searchIS3_S5_NSA_INS8_10device_ptrIiEEEESG_SI_NS1_21upper_bound_search_opENS9_16wrapped_functionINS8_6system6detail7generic6detail18binary_search_lessEbEEEE10hipError_tPvRmT1_T2_T3_mmT4_T5_P12ihipStream_tbEUlRKiE_EESV_SZ_S10_mS11_S14_bEUlT_E_NS1_11comp_targetILNS1_3genE9ELNS1_11target_archE1100ELNS1_3gpuE3ELNS1_3repE0EEENS1_30default_config_static_selectorELNS0_4arch9wavefront6targetE0EEEvSY_
		.amdhsa_group_segment_fixed_size 0
		.amdhsa_private_segment_fixed_size 0
		.amdhsa_kernarg_size 56
		.amdhsa_user_sgpr_count 6
		.amdhsa_user_sgpr_private_segment_buffer 1
		.amdhsa_user_sgpr_dispatch_ptr 0
		.amdhsa_user_sgpr_queue_ptr 0
		.amdhsa_user_sgpr_kernarg_segment_ptr 1
		.amdhsa_user_sgpr_dispatch_id 0
		.amdhsa_user_sgpr_flat_scratch_init 0
		.amdhsa_user_sgpr_private_segment_size 0
		.amdhsa_wavefront_size32 1
		.amdhsa_uses_dynamic_stack 0
		.amdhsa_system_sgpr_private_segment_wavefront_offset 0
		.amdhsa_system_sgpr_workgroup_id_x 1
		.amdhsa_system_sgpr_workgroup_id_y 0
		.amdhsa_system_sgpr_workgroup_id_z 0
		.amdhsa_system_sgpr_workgroup_info 0
		.amdhsa_system_vgpr_workitem_id 0
		.amdhsa_next_free_vgpr 1
		.amdhsa_next_free_sgpr 1
		.amdhsa_reserve_vcc 0
		.amdhsa_reserve_flat_scratch 0
		.amdhsa_float_round_mode_32 0
		.amdhsa_float_round_mode_16_64 0
		.amdhsa_float_denorm_mode_32 3
		.amdhsa_float_denorm_mode_16_64 3
		.amdhsa_dx10_clamp 1
		.amdhsa_ieee_mode 1
		.amdhsa_fp16_overflow 0
		.amdhsa_workgroup_processor_mode 1
		.amdhsa_memory_ordered 1
		.amdhsa_forward_progress 1
		.amdhsa_shared_vgpr_count 0
		.amdhsa_exception_fp_ieee_invalid_op 0
		.amdhsa_exception_fp_denorm_src 0
		.amdhsa_exception_fp_ieee_div_zero 0
		.amdhsa_exception_fp_ieee_overflow 0
		.amdhsa_exception_fp_ieee_underflow 0
		.amdhsa_exception_fp_ieee_inexact 0
		.amdhsa_exception_int_div_zero 0
	.end_amdhsa_kernel
	.section	.text._ZN7rocprim17ROCPRIM_400000_NS6detail17trampoline_kernelINS0_14default_configENS1_27upper_bound_config_selectorIilEEZNS1_14transform_implILb0ES3_S5_N6thrust23THRUST_200600_302600_NS6detail15normal_iteratorINS8_7pointerIiNS8_11hip_rocprim5par_tENS8_11use_defaultESE_EEEENSA_INSB_IlSD_SE_SE_EEEEZNS1_13binary_searchIS3_S5_NSA_INS8_10device_ptrIiEEEESG_SI_NS1_21upper_bound_search_opENS9_16wrapped_functionINS8_6system6detail7generic6detail18binary_search_lessEbEEEE10hipError_tPvRmT1_T2_T3_mmT4_T5_P12ihipStream_tbEUlRKiE_EESV_SZ_S10_mS11_S14_bEUlT_E_NS1_11comp_targetILNS1_3genE9ELNS1_11target_archE1100ELNS1_3gpuE3ELNS1_3repE0EEENS1_30default_config_static_selectorELNS0_4arch9wavefront6targetE0EEEvSY_,"axG",@progbits,_ZN7rocprim17ROCPRIM_400000_NS6detail17trampoline_kernelINS0_14default_configENS1_27upper_bound_config_selectorIilEEZNS1_14transform_implILb0ES3_S5_N6thrust23THRUST_200600_302600_NS6detail15normal_iteratorINS8_7pointerIiNS8_11hip_rocprim5par_tENS8_11use_defaultESE_EEEENSA_INSB_IlSD_SE_SE_EEEEZNS1_13binary_searchIS3_S5_NSA_INS8_10device_ptrIiEEEESG_SI_NS1_21upper_bound_search_opENS9_16wrapped_functionINS8_6system6detail7generic6detail18binary_search_lessEbEEEE10hipError_tPvRmT1_T2_T3_mmT4_T5_P12ihipStream_tbEUlRKiE_EESV_SZ_S10_mS11_S14_bEUlT_E_NS1_11comp_targetILNS1_3genE9ELNS1_11target_archE1100ELNS1_3gpuE3ELNS1_3repE0EEENS1_30default_config_static_selectorELNS0_4arch9wavefront6targetE0EEEvSY_,comdat
.Lfunc_end588:
	.size	_ZN7rocprim17ROCPRIM_400000_NS6detail17trampoline_kernelINS0_14default_configENS1_27upper_bound_config_selectorIilEEZNS1_14transform_implILb0ES3_S5_N6thrust23THRUST_200600_302600_NS6detail15normal_iteratorINS8_7pointerIiNS8_11hip_rocprim5par_tENS8_11use_defaultESE_EEEENSA_INSB_IlSD_SE_SE_EEEEZNS1_13binary_searchIS3_S5_NSA_INS8_10device_ptrIiEEEESG_SI_NS1_21upper_bound_search_opENS9_16wrapped_functionINS8_6system6detail7generic6detail18binary_search_lessEbEEEE10hipError_tPvRmT1_T2_T3_mmT4_T5_P12ihipStream_tbEUlRKiE_EESV_SZ_S10_mS11_S14_bEUlT_E_NS1_11comp_targetILNS1_3genE9ELNS1_11target_archE1100ELNS1_3gpuE3ELNS1_3repE0EEENS1_30default_config_static_selectorELNS0_4arch9wavefront6targetE0EEEvSY_, .Lfunc_end588-_ZN7rocprim17ROCPRIM_400000_NS6detail17trampoline_kernelINS0_14default_configENS1_27upper_bound_config_selectorIilEEZNS1_14transform_implILb0ES3_S5_N6thrust23THRUST_200600_302600_NS6detail15normal_iteratorINS8_7pointerIiNS8_11hip_rocprim5par_tENS8_11use_defaultESE_EEEENSA_INSB_IlSD_SE_SE_EEEEZNS1_13binary_searchIS3_S5_NSA_INS8_10device_ptrIiEEEESG_SI_NS1_21upper_bound_search_opENS9_16wrapped_functionINS8_6system6detail7generic6detail18binary_search_lessEbEEEE10hipError_tPvRmT1_T2_T3_mmT4_T5_P12ihipStream_tbEUlRKiE_EESV_SZ_S10_mS11_S14_bEUlT_E_NS1_11comp_targetILNS1_3genE9ELNS1_11target_archE1100ELNS1_3gpuE3ELNS1_3repE0EEENS1_30default_config_static_selectorELNS0_4arch9wavefront6targetE0EEEvSY_
                                        ; -- End function
	.set _ZN7rocprim17ROCPRIM_400000_NS6detail17trampoline_kernelINS0_14default_configENS1_27upper_bound_config_selectorIilEEZNS1_14transform_implILb0ES3_S5_N6thrust23THRUST_200600_302600_NS6detail15normal_iteratorINS8_7pointerIiNS8_11hip_rocprim5par_tENS8_11use_defaultESE_EEEENSA_INSB_IlSD_SE_SE_EEEEZNS1_13binary_searchIS3_S5_NSA_INS8_10device_ptrIiEEEESG_SI_NS1_21upper_bound_search_opENS9_16wrapped_functionINS8_6system6detail7generic6detail18binary_search_lessEbEEEE10hipError_tPvRmT1_T2_T3_mmT4_T5_P12ihipStream_tbEUlRKiE_EESV_SZ_S10_mS11_S14_bEUlT_E_NS1_11comp_targetILNS1_3genE9ELNS1_11target_archE1100ELNS1_3gpuE3ELNS1_3repE0EEENS1_30default_config_static_selectorELNS0_4arch9wavefront6targetE0EEEvSY_.num_vgpr, 0
	.set _ZN7rocprim17ROCPRIM_400000_NS6detail17trampoline_kernelINS0_14default_configENS1_27upper_bound_config_selectorIilEEZNS1_14transform_implILb0ES3_S5_N6thrust23THRUST_200600_302600_NS6detail15normal_iteratorINS8_7pointerIiNS8_11hip_rocprim5par_tENS8_11use_defaultESE_EEEENSA_INSB_IlSD_SE_SE_EEEEZNS1_13binary_searchIS3_S5_NSA_INS8_10device_ptrIiEEEESG_SI_NS1_21upper_bound_search_opENS9_16wrapped_functionINS8_6system6detail7generic6detail18binary_search_lessEbEEEE10hipError_tPvRmT1_T2_T3_mmT4_T5_P12ihipStream_tbEUlRKiE_EESV_SZ_S10_mS11_S14_bEUlT_E_NS1_11comp_targetILNS1_3genE9ELNS1_11target_archE1100ELNS1_3gpuE3ELNS1_3repE0EEENS1_30default_config_static_selectorELNS0_4arch9wavefront6targetE0EEEvSY_.num_agpr, 0
	.set _ZN7rocprim17ROCPRIM_400000_NS6detail17trampoline_kernelINS0_14default_configENS1_27upper_bound_config_selectorIilEEZNS1_14transform_implILb0ES3_S5_N6thrust23THRUST_200600_302600_NS6detail15normal_iteratorINS8_7pointerIiNS8_11hip_rocprim5par_tENS8_11use_defaultESE_EEEENSA_INSB_IlSD_SE_SE_EEEEZNS1_13binary_searchIS3_S5_NSA_INS8_10device_ptrIiEEEESG_SI_NS1_21upper_bound_search_opENS9_16wrapped_functionINS8_6system6detail7generic6detail18binary_search_lessEbEEEE10hipError_tPvRmT1_T2_T3_mmT4_T5_P12ihipStream_tbEUlRKiE_EESV_SZ_S10_mS11_S14_bEUlT_E_NS1_11comp_targetILNS1_3genE9ELNS1_11target_archE1100ELNS1_3gpuE3ELNS1_3repE0EEENS1_30default_config_static_selectorELNS0_4arch9wavefront6targetE0EEEvSY_.numbered_sgpr, 0
	.set _ZN7rocprim17ROCPRIM_400000_NS6detail17trampoline_kernelINS0_14default_configENS1_27upper_bound_config_selectorIilEEZNS1_14transform_implILb0ES3_S5_N6thrust23THRUST_200600_302600_NS6detail15normal_iteratorINS8_7pointerIiNS8_11hip_rocprim5par_tENS8_11use_defaultESE_EEEENSA_INSB_IlSD_SE_SE_EEEEZNS1_13binary_searchIS3_S5_NSA_INS8_10device_ptrIiEEEESG_SI_NS1_21upper_bound_search_opENS9_16wrapped_functionINS8_6system6detail7generic6detail18binary_search_lessEbEEEE10hipError_tPvRmT1_T2_T3_mmT4_T5_P12ihipStream_tbEUlRKiE_EESV_SZ_S10_mS11_S14_bEUlT_E_NS1_11comp_targetILNS1_3genE9ELNS1_11target_archE1100ELNS1_3gpuE3ELNS1_3repE0EEENS1_30default_config_static_selectorELNS0_4arch9wavefront6targetE0EEEvSY_.num_named_barrier, 0
	.set _ZN7rocprim17ROCPRIM_400000_NS6detail17trampoline_kernelINS0_14default_configENS1_27upper_bound_config_selectorIilEEZNS1_14transform_implILb0ES3_S5_N6thrust23THRUST_200600_302600_NS6detail15normal_iteratorINS8_7pointerIiNS8_11hip_rocprim5par_tENS8_11use_defaultESE_EEEENSA_INSB_IlSD_SE_SE_EEEEZNS1_13binary_searchIS3_S5_NSA_INS8_10device_ptrIiEEEESG_SI_NS1_21upper_bound_search_opENS9_16wrapped_functionINS8_6system6detail7generic6detail18binary_search_lessEbEEEE10hipError_tPvRmT1_T2_T3_mmT4_T5_P12ihipStream_tbEUlRKiE_EESV_SZ_S10_mS11_S14_bEUlT_E_NS1_11comp_targetILNS1_3genE9ELNS1_11target_archE1100ELNS1_3gpuE3ELNS1_3repE0EEENS1_30default_config_static_selectorELNS0_4arch9wavefront6targetE0EEEvSY_.private_seg_size, 0
	.set _ZN7rocprim17ROCPRIM_400000_NS6detail17trampoline_kernelINS0_14default_configENS1_27upper_bound_config_selectorIilEEZNS1_14transform_implILb0ES3_S5_N6thrust23THRUST_200600_302600_NS6detail15normal_iteratorINS8_7pointerIiNS8_11hip_rocprim5par_tENS8_11use_defaultESE_EEEENSA_INSB_IlSD_SE_SE_EEEEZNS1_13binary_searchIS3_S5_NSA_INS8_10device_ptrIiEEEESG_SI_NS1_21upper_bound_search_opENS9_16wrapped_functionINS8_6system6detail7generic6detail18binary_search_lessEbEEEE10hipError_tPvRmT1_T2_T3_mmT4_T5_P12ihipStream_tbEUlRKiE_EESV_SZ_S10_mS11_S14_bEUlT_E_NS1_11comp_targetILNS1_3genE9ELNS1_11target_archE1100ELNS1_3gpuE3ELNS1_3repE0EEENS1_30default_config_static_selectorELNS0_4arch9wavefront6targetE0EEEvSY_.uses_vcc, 0
	.set _ZN7rocprim17ROCPRIM_400000_NS6detail17trampoline_kernelINS0_14default_configENS1_27upper_bound_config_selectorIilEEZNS1_14transform_implILb0ES3_S5_N6thrust23THRUST_200600_302600_NS6detail15normal_iteratorINS8_7pointerIiNS8_11hip_rocprim5par_tENS8_11use_defaultESE_EEEENSA_INSB_IlSD_SE_SE_EEEEZNS1_13binary_searchIS3_S5_NSA_INS8_10device_ptrIiEEEESG_SI_NS1_21upper_bound_search_opENS9_16wrapped_functionINS8_6system6detail7generic6detail18binary_search_lessEbEEEE10hipError_tPvRmT1_T2_T3_mmT4_T5_P12ihipStream_tbEUlRKiE_EESV_SZ_S10_mS11_S14_bEUlT_E_NS1_11comp_targetILNS1_3genE9ELNS1_11target_archE1100ELNS1_3gpuE3ELNS1_3repE0EEENS1_30default_config_static_selectorELNS0_4arch9wavefront6targetE0EEEvSY_.uses_flat_scratch, 0
	.set _ZN7rocprim17ROCPRIM_400000_NS6detail17trampoline_kernelINS0_14default_configENS1_27upper_bound_config_selectorIilEEZNS1_14transform_implILb0ES3_S5_N6thrust23THRUST_200600_302600_NS6detail15normal_iteratorINS8_7pointerIiNS8_11hip_rocprim5par_tENS8_11use_defaultESE_EEEENSA_INSB_IlSD_SE_SE_EEEEZNS1_13binary_searchIS3_S5_NSA_INS8_10device_ptrIiEEEESG_SI_NS1_21upper_bound_search_opENS9_16wrapped_functionINS8_6system6detail7generic6detail18binary_search_lessEbEEEE10hipError_tPvRmT1_T2_T3_mmT4_T5_P12ihipStream_tbEUlRKiE_EESV_SZ_S10_mS11_S14_bEUlT_E_NS1_11comp_targetILNS1_3genE9ELNS1_11target_archE1100ELNS1_3gpuE3ELNS1_3repE0EEENS1_30default_config_static_selectorELNS0_4arch9wavefront6targetE0EEEvSY_.has_dyn_sized_stack, 0
	.set _ZN7rocprim17ROCPRIM_400000_NS6detail17trampoline_kernelINS0_14default_configENS1_27upper_bound_config_selectorIilEEZNS1_14transform_implILb0ES3_S5_N6thrust23THRUST_200600_302600_NS6detail15normal_iteratorINS8_7pointerIiNS8_11hip_rocprim5par_tENS8_11use_defaultESE_EEEENSA_INSB_IlSD_SE_SE_EEEEZNS1_13binary_searchIS3_S5_NSA_INS8_10device_ptrIiEEEESG_SI_NS1_21upper_bound_search_opENS9_16wrapped_functionINS8_6system6detail7generic6detail18binary_search_lessEbEEEE10hipError_tPvRmT1_T2_T3_mmT4_T5_P12ihipStream_tbEUlRKiE_EESV_SZ_S10_mS11_S14_bEUlT_E_NS1_11comp_targetILNS1_3genE9ELNS1_11target_archE1100ELNS1_3gpuE3ELNS1_3repE0EEENS1_30default_config_static_selectorELNS0_4arch9wavefront6targetE0EEEvSY_.has_recursion, 0
	.set _ZN7rocprim17ROCPRIM_400000_NS6detail17trampoline_kernelINS0_14default_configENS1_27upper_bound_config_selectorIilEEZNS1_14transform_implILb0ES3_S5_N6thrust23THRUST_200600_302600_NS6detail15normal_iteratorINS8_7pointerIiNS8_11hip_rocprim5par_tENS8_11use_defaultESE_EEEENSA_INSB_IlSD_SE_SE_EEEEZNS1_13binary_searchIS3_S5_NSA_INS8_10device_ptrIiEEEESG_SI_NS1_21upper_bound_search_opENS9_16wrapped_functionINS8_6system6detail7generic6detail18binary_search_lessEbEEEE10hipError_tPvRmT1_T2_T3_mmT4_T5_P12ihipStream_tbEUlRKiE_EESV_SZ_S10_mS11_S14_bEUlT_E_NS1_11comp_targetILNS1_3genE9ELNS1_11target_archE1100ELNS1_3gpuE3ELNS1_3repE0EEENS1_30default_config_static_selectorELNS0_4arch9wavefront6targetE0EEEvSY_.has_indirect_call, 0
	.section	.AMDGPU.csdata,"",@progbits
; Kernel info:
; codeLenInByte = 0
; TotalNumSgprs: 0
; NumVgprs: 0
; ScratchSize: 0
; MemoryBound: 0
; FloatMode: 240
; IeeeMode: 1
; LDSByteSize: 0 bytes/workgroup (compile time only)
; SGPRBlocks: 0
; VGPRBlocks: 0
; NumSGPRsForWavesPerEU: 1
; NumVGPRsForWavesPerEU: 1
; Occupancy: 16
; WaveLimiterHint : 0
; COMPUTE_PGM_RSRC2:SCRATCH_EN: 0
; COMPUTE_PGM_RSRC2:USER_SGPR: 6
; COMPUTE_PGM_RSRC2:TRAP_HANDLER: 0
; COMPUTE_PGM_RSRC2:TGID_X_EN: 1
; COMPUTE_PGM_RSRC2:TGID_Y_EN: 0
; COMPUTE_PGM_RSRC2:TGID_Z_EN: 0
; COMPUTE_PGM_RSRC2:TIDIG_COMP_CNT: 0
	.section	.text._ZN7rocprim17ROCPRIM_400000_NS6detail17trampoline_kernelINS0_14default_configENS1_27upper_bound_config_selectorIilEEZNS1_14transform_implILb0ES3_S5_N6thrust23THRUST_200600_302600_NS6detail15normal_iteratorINS8_7pointerIiNS8_11hip_rocprim5par_tENS8_11use_defaultESE_EEEENSA_INSB_IlSD_SE_SE_EEEEZNS1_13binary_searchIS3_S5_NSA_INS8_10device_ptrIiEEEESG_SI_NS1_21upper_bound_search_opENS9_16wrapped_functionINS8_6system6detail7generic6detail18binary_search_lessEbEEEE10hipError_tPvRmT1_T2_T3_mmT4_T5_P12ihipStream_tbEUlRKiE_EESV_SZ_S10_mS11_S14_bEUlT_E_NS1_11comp_targetILNS1_3genE8ELNS1_11target_archE1030ELNS1_3gpuE2ELNS1_3repE0EEENS1_30default_config_static_selectorELNS0_4arch9wavefront6targetE0EEEvSY_,"axG",@progbits,_ZN7rocprim17ROCPRIM_400000_NS6detail17trampoline_kernelINS0_14default_configENS1_27upper_bound_config_selectorIilEEZNS1_14transform_implILb0ES3_S5_N6thrust23THRUST_200600_302600_NS6detail15normal_iteratorINS8_7pointerIiNS8_11hip_rocprim5par_tENS8_11use_defaultESE_EEEENSA_INSB_IlSD_SE_SE_EEEEZNS1_13binary_searchIS3_S5_NSA_INS8_10device_ptrIiEEEESG_SI_NS1_21upper_bound_search_opENS9_16wrapped_functionINS8_6system6detail7generic6detail18binary_search_lessEbEEEE10hipError_tPvRmT1_T2_T3_mmT4_T5_P12ihipStream_tbEUlRKiE_EESV_SZ_S10_mS11_S14_bEUlT_E_NS1_11comp_targetILNS1_3genE8ELNS1_11target_archE1030ELNS1_3gpuE2ELNS1_3repE0EEENS1_30default_config_static_selectorELNS0_4arch9wavefront6targetE0EEEvSY_,comdat
	.protected	_ZN7rocprim17ROCPRIM_400000_NS6detail17trampoline_kernelINS0_14default_configENS1_27upper_bound_config_selectorIilEEZNS1_14transform_implILb0ES3_S5_N6thrust23THRUST_200600_302600_NS6detail15normal_iteratorINS8_7pointerIiNS8_11hip_rocprim5par_tENS8_11use_defaultESE_EEEENSA_INSB_IlSD_SE_SE_EEEEZNS1_13binary_searchIS3_S5_NSA_INS8_10device_ptrIiEEEESG_SI_NS1_21upper_bound_search_opENS9_16wrapped_functionINS8_6system6detail7generic6detail18binary_search_lessEbEEEE10hipError_tPvRmT1_T2_T3_mmT4_T5_P12ihipStream_tbEUlRKiE_EESV_SZ_S10_mS11_S14_bEUlT_E_NS1_11comp_targetILNS1_3genE8ELNS1_11target_archE1030ELNS1_3gpuE2ELNS1_3repE0EEENS1_30default_config_static_selectorELNS0_4arch9wavefront6targetE0EEEvSY_ ; -- Begin function _ZN7rocprim17ROCPRIM_400000_NS6detail17trampoline_kernelINS0_14default_configENS1_27upper_bound_config_selectorIilEEZNS1_14transform_implILb0ES3_S5_N6thrust23THRUST_200600_302600_NS6detail15normal_iteratorINS8_7pointerIiNS8_11hip_rocprim5par_tENS8_11use_defaultESE_EEEENSA_INSB_IlSD_SE_SE_EEEEZNS1_13binary_searchIS3_S5_NSA_INS8_10device_ptrIiEEEESG_SI_NS1_21upper_bound_search_opENS9_16wrapped_functionINS8_6system6detail7generic6detail18binary_search_lessEbEEEE10hipError_tPvRmT1_T2_T3_mmT4_T5_P12ihipStream_tbEUlRKiE_EESV_SZ_S10_mS11_S14_bEUlT_E_NS1_11comp_targetILNS1_3genE8ELNS1_11target_archE1030ELNS1_3gpuE2ELNS1_3repE0EEENS1_30default_config_static_selectorELNS0_4arch9wavefront6targetE0EEEvSY_
	.globl	_ZN7rocprim17ROCPRIM_400000_NS6detail17trampoline_kernelINS0_14default_configENS1_27upper_bound_config_selectorIilEEZNS1_14transform_implILb0ES3_S5_N6thrust23THRUST_200600_302600_NS6detail15normal_iteratorINS8_7pointerIiNS8_11hip_rocprim5par_tENS8_11use_defaultESE_EEEENSA_INSB_IlSD_SE_SE_EEEEZNS1_13binary_searchIS3_S5_NSA_INS8_10device_ptrIiEEEESG_SI_NS1_21upper_bound_search_opENS9_16wrapped_functionINS8_6system6detail7generic6detail18binary_search_lessEbEEEE10hipError_tPvRmT1_T2_T3_mmT4_T5_P12ihipStream_tbEUlRKiE_EESV_SZ_S10_mS11_S14_bEUlT_E_NS1_11comp_targetILNS1_3genE8ELNS1_11target_archE1030ELNS1_3gpuE2ELNS1_3repE0EEENS1_30default_config_static_selectorELNS0_4arch9wavefront6targetE0EEEvSY_
	.p2align	8
	.type	_ZN7rocprim17ROCPRIM_400000_NS6detail17trampoline_kernelINS0_14default_configENS1_27upper_bound_config_selectorIilEEZNS1_14transform_implILb0ES3_S5_N6thrust23THRUST_200600_302600_NS6detail15normal_iteratorINS8_7pointerIiNS8_11hip_rocprim5par_tENS8_11use_defaultESE_EEEENSA_INSB_IlSD_SE_SE_EEEEZNS1_13binary_searchIS3_S5_NSA_INS8_10device_ptrIiEEEESG_SI_NS1_21upper_bound_search_opENS9_16wrapped_functionINS8_6system6detail7generic6detail18binary_search_lessEbEEEE10hipError_tPvRmT1_T2_T3_mmT4_T5_P12ihipStream_tbEUlRKiE_EESV_SZ_S10_mS11_S14_bEUlT_E_NS1_11comp_targetILNS1_3genE8ELNS1_11target_archE1030ELNS1_3gpuE2ELNS1_3repE0EEENS1_30default_config_static_selectorELNS0_4arch9wavefront6targetE0EEEvSY_,@function
_ZN7rocprim17ROCPRIM_400000_NS6detail17trampoline_kernelINS0_14default_configENS1_27upper_bound_config_selectorIilEEZNS1_14transform_implILb0ES3_S5_N6thrust23THRUST_200600_302600_NS6detail15normal_iteratorINS8_7pointerIiNS8_11hip_rocprim5par_tENS8_11use_defaultESE_EEEENSA_INSB_IlSD_SE_SE_EEEEZNS1_13binary_searchIS3_S5_NSA_INS8_10device_ptrIiEEEESG_SI_NS1_21upper_bound_search_opENS9_16wrapped_functionINS8_6system6detail7generic6detail18binary_search_lessEbEEEE10hipError_tPvRmT1_T2_T3_mmT4_T5_P12ihipStream_tbEUlRKiE_EESV_SZ_S10_mS11_S14_bEUlT_E_NS1_11comp_targetILNS1_3genE8ELNS1_11target_archE1030ELNS1_3gpuE2ELNS1_3repE0EEENS1_30default_config_static_selectorELNS0_4arch9wavefront6targetE0EEEvSY_: ; @_ZN7rocprim17ROCPRIM_400000_NS6detail17trampoline_kernelINS0_14default_configENS1_27upper_bound_config_selectorIilEEZNS1_14transform_implILb0ES3_S5_N6thrust23THRUST_200600_302600_NS6detail15normal_iteratorINS8_7pointerIiNS8_11hip_rocprim5par_tENS8_11use_defaultESE_EEEENSA_INSB_IlSD_SE_SE_EEEEZNS1_13binary_searchIS3_S5_NSA_INS8_10device_ptrIiEEEESG_SI_NS1_21upper_bound_search_opENS9_16wrapped_functionINS8_6system6detail7generic6detail18binary_search_lessEbEEEE10hipError_tPvRmT1_T2_T3_mmT4_T5_P12ihipStream_tbEUlRKiE_EESV_SZ_S10_mS11_S14_bEUlT_E_NS1_11comp_targetILNS1_3genE8ELNS1_11target_archE1030ELNS1_3gpuE2ELNS1_3repE0EEENS1_30default_config_static_selectorELNS0_4arch9wavefront6targetE0EEEvSY_
; %bb.0:
	s_clause 0x3
	s_load_dwordx4 s[12:15], s[4:5], 0x0
	s_load_dwordx4 s[0:3], s[4:5], 0x18
	s_load_dword s16, s[4:5], 0x38
	s_load_dwordx2 s[10:11], s[4:5], 0x28
	s_waitcnt lgkmcnt(0)
	s_lshl_b64 s[8:9], s[14:15], 2
	s_add_u32 s12, s12, s8
	s_addc_u32 s13, s13, s9
	s_lshl_b64 s[8:9], s[14:15], 3
	s_add_u32 s7, s0, s8
	s_addc_u32 s1, s1, s9
	s_add_i32 s16, s16, -1
	s_lshl_b32 s8, s6, 8
	s_mov_b32 s9, 0
	s_cmp_lg_u32 s6, s16
	s_mov_b32 s0, -1
	s_cbranch_scc0 .LBB589_7
; %bb.1:
	s_cmp_eq_u64 s[10:11], 0
	s_cbranch_scc1 .LBB589_5
; %bb.2:
	v_lshlrev_b32_e32 v1, 2, v0
	s_lshl_b64 s[14:15], s[8:9], 2
	v_mov_b32_e32 v3, s10
	s_add_u32 s0, s12, s14
	s_addc_u32 s6, s13, s15
	v_add_co_u32 v1, s0, s0, v1
	v_add_co_ci_u32_e64 v2, null, s6, 0, s0
	v_mov_b32_e32 v4, s11
	s_mov_b32 s0, 0
	flat_load_dword v5, v[1:2]
	v_mov_b32_e32 v1, 0
	v_mov_b32_e32 v2, 0
	s_inst_prefetch 0x1
	.p2align	6
.LBB589_3:                              ; =>This Inner Loop Header: Depth=1
	v_sub_co_u32 v6, vcc_lo, v3, v1
	v_sub_co_ci_u32_e64 v7, null, v4, v2, vcc_lo
	v_lshrrev_b64 v[8:9], 1, v[6:7]
	v_lshrrev_b64 v[6:7], 6, v[6:7]
	v_add_co_u32 v8, vcc_lo, v8, v1
	v_add_co_ci_u32_e64 v9, null, v9, v2, vcc_lo
	v_add_co_u32 v6, vcc_lo, v8, v6
	v_add_co_ci_u32_e64 v7, null, v9, v7, vcc_lo
	v_lshlrev_b64 v[8:9], 2, v[6:7]
	v_add_co_u32 v8, vcc_lo, s2, v8
	v_add_co_ci_u32_e64 v9, null, s3, v9, vcc_lo
	global_load_dword v8, v[8:9], off
	v_add_co_u32 v9, vcc_lo, v6, 1
	v_add_co_ci_u32_e64 v10, null, 0, v7, vcc_lo
	s_waitcnt vmcnt(0) lgkmcnt(0)
	v_cmp_lt_i32_e32 vcc_lo, v5, v8
	v_cndmask_b32_e32 v4, v4, v7, vcc_lo
	v_cndmask_b32_e32 v3, v3, v6, vcc_lo
	v_cndmask_b32_e32 v2, v10, v2, vcc_lo
	v_cndmask_b32_e32 v1, v9, v1, vcc_lo
	v_cmp_ge_u64_e32 vcc_lo, v[1:2], v[3:4]
	s_or_b32 s0, vcc_lo, s0
	s_andn2_b32 exec_lo, exec_lo, s0
	s_cbranch_execnz .LBB589_3
; %bb.4:
	s_inst_prefetch 0x2
	s_or_b32 exec_lo, exec_lo, s0
	s_branch .LBB589_6
.LBB589_5:
	v_mov_b32_e32 v1, 0
	v_mov_b32_e32 v2, 0
.LBB589_6:
	v_lshlrev_b32_e32 v3, 3, v0
	s_lshl_b64 s[14:15], s[8:9], 3
	s_add_u32 s0, s7, s14
	s_addc_u32 s6, s1, s15
	v_add_co_u32 v3, s0, s0, v3
	v_add_co_ci_u32_e64 v4, null, s6, 0, s0
	s_mov_b32 s0, 0
	flat_store_dwordx2 v[3:4], v[1:2]
.LBB589_7:
	s_and_b32 vcc_lo, exec_lo, s0
	s_cbranch_vccz .LBB589_16
; %bb.8:
	s_load_dword s0, s[4:5], 0x10
                                        ; implicit-def: $vgpr5
	s_waitcnt lgkmcnt(0)
	s_sub_i32 s4, s0, s8
	v_cmp_le_u32_e64 s0, s4, v0
	v_cmp_gt_u32_e32 vcc_lo, s4, v0
	s_and_saveexec_b32 s4, vcc_lo
	s_cbranch_execz .LBB589_10
; %bb.9:
	v_lshlrev_b32_e32 v1, 2, v0
	s_lshl_b64 s[14:15], s[8:9], 2
	s_add_u32 s5, s12, s14
	s_addc_u32 s6, s13, s15
	v_add_co_u32 v1, s5, s5, v1
	v_add_co_ci_u32_e64 v2, null, s6, 0, s5
	flat_load_dword v5, v[1:2]
.LBB589_10:
	s_or_b32 exec_lo, exec_lo, s4
	s_cmp_lg_u64 s[10:11], 0
	v_mov_b32_e32 v1, 0
	v_mov_b32_e32 v2, 0
	s_cselect_b32 s4, -1, 0
	s_xor_b32 s0, s0, -1
	s_and_b32 s0, s0, s4
	s_and_saveexec_b32 s4, s0
	s_cbranch_execz .LBB589_14
; %bb.11:
	v_mov_b32_e32 v1, 0
	v_mov_b32_e32 v3, s10
	;; [unrolled: 1-line block ×4, first 2 shown]
	s_mov_b32 s5, 0
	s_inst_prefetch 0x1
	.p2align	6
.LBB589_12:                             ; =>This Inner Loop Header: Depth=1
	v_sub_co_u32 v6, s0, v3, v1
	v_sub_co_ci_u32_e64 v7, null, v4, v2, s0
	v_lshrrev_b64 v[8:9], 1, v[6:7]
	v_lshrrev_b64 v[6:7], 6, v[6:7]
	v_add_co_u32 v8, s0, v8, v1
	v_add_co_ci_u32_e64 v9, null, v9, v2, s0
	v_add_co_u32 v6, s0, v8, v6
	v_add_co_ci_u32_e64 v7, null, v9, v7, s0
	v_lshlrev_b64 v[8:9], 2, v[6:7]
	v_add_co_u32 v8, s0, s2, v8
	v_add_co_ci_u32_e64 v9, null, s3, v9, s0
	global_load_dword v8, v[8:9], off
	v_add_co_u32 v9, s0, v6, 1
	v_add_co_ci_u32_e64 v10, null, 0, v7, s0
	s_waitcnt vmcnt(0) lgkmcnt(0)
	v_cmp_lt_i32_e64 s0, v5, v8
	v_cndmask_b32_e64 v4, v4, v7, s0
	v_cndmask_b32_e64 v3, v3, v6, s0
	;; [unrolled: 1-line block ×4, first 2 shown]
	v_cmp_ge_u64_e64 s0, v[1:2], v[3:4]
	s_or_b32 s5, s0, s5
	s_andn2_b32 exec_lo, exec_lo, s5
	s_cbranch_execnz .LBB589_12
; %bb.13:
	s_inst_prefetch 0x2
	s_or_b32 exec_lo, exec_lo, s5
.LBB589_14:
	s_or_b32 exec_lo, exec_lo, s4
	s_and_saveexec_b32 s0, vcc_lo
	s_cbranch_execz .LBB589_16
; %bb.15:
	v_lshlrev_b32_e32 v0, 3, v0
	s_lshl_b64 s[2:3], s[8:9], 3
	s_add_u32 s0, s7, s2
	s_addc_u32 s1, s1, s3
	v_add_co_u32 v3, s0, s0, v0
	v_add_co_ci_u32_e64 v4, null, s1, 0, s0
	flat_store_dwordx2 v[3:4], v[1:2]
.LBB589_16:
	s_endpgm
	.section	.rodata,"a",@progbits
	.p2align	6, 0x0
	.amdhsa_kernel _ZN7rocprim17ROCPRIM_400000_NS6detail17trampoline_kernelINS0_14default_configENS1_27upper_bound_config_selectorIilEEZNS1_14transform_implILb0ES3_S5_N6thrust23THRUST_200600_302600_NS6detail15normal_iteratorINS8_7pointerIiNS8_11hip_rocprim5par_tENS8_11use_defaultESE_EEEENSA_INSB_IlSD_SE_SE_EEEEZNS1_13binary_searchIS3_S5_NSA_INS8_10device_ptrIiEEEESG_SI_NS1_21upper_bound_search_opENS9_16wrapped_functionINS8_6system6detail7generic6detail18binary_search_lessEbEEEE10hipError_tPvRmT1_T2_T3_mmT4_T5_P12ihipStream_tbEUlRKiE_EESV_SZ_S10_mS11_S14_bEUlT_E_NS1_11comp_targetILNS1_3genE8ELNS1_11target_archE1030ELNS1_3gpuE2ELNS1_3repE0EEENS1_30default_config_static_selectorELNS0_4arch9wavefront6targetE0EEEvSY_
		.amdhsa_group_segment_fixed_size 0
		.amdhsa_private_segment_fixed_size 0
		.amdhsa_kernarg_size 312
		.amdhsa_user_sgpr_count 6
		.amdhsa_user_sgpr_private_segment_buffer 1
		.amdhsa_user_sgpr_dispatch_ptr 0
		.amdhsa_user_sgpr_queue_ptr 0
		.amdhsa_user_sgpr_kernarg_segment_ptr 1
		.amdhsa_user_sgpr_dispatch_id 0
		.amdhsa_user_sgpr_flat_scratch_init 0
		.amdhsa_user_sgpr_private_segment_size 0
		.amdhsa_wavefront_size32 1
		.amdhsa_uses_dynamic_stack 0
		.amdhsa_system_sgpr_private_segment_wavefront_offset 0
		.amdhsa_system_sgpr_workgroup_id_x 1
		.amdhsa_system_sgpr_workgroup_id_y 0
		.amdhsa_system_sgpr_workgroup_id_z 0
		.amdhsa_system_sgpr_workgroup_info 0
		.amdhsa_system_vgpr_workitem_id 0
		.amdhsa_next_free_vgpr 11
		.amdhsa_next_free_sgpr 17
		.amdhsa_reserve_vcc 1
		.amdhsa_reserve_flat_scratch 0
		.amdhsa_float_round_mode_32 0
		.amdhsa_float_round_mode_16_64 0
		.amdhsa_float_denorm_mode_32 3
		.amdhsa_float_denorm_mode_16_64 3
		.amdhsa_dx10_clamp 1
		.amdhsa_ieee_mode 1
		.amdhsa_fp16_overflow 0
		.amdhsa_workgroup_processor_mode 1
		.amdhsa_memory_ordered 1
		.amdhsa_forward_progress 1
		.amdhsa_shared_vgpr_count 0
		.amdhsa_exception_fp_ieee_invalid_op 0
		.amdhsa_exception_fp_denorm_src 0
		.amdhsa_exception_fp_ieee_div_zero 0
		.amdhsa_exception_fp_ieee_overflow 0
		.amdhsa_exception_fp_ieee_underflow 0
		.amdhsa_exception_fp_ieee_inexact 0
		.amdhsa_exception_int_div_zero 0
	.end_amdhsa_kernel
	.section	.text._ZN7rocprim17ROCPRIM_400000_NS6detail17trampoline_kernelINS0_14default_configENS1_27upper_bound_config_selectorIilEEZNS1_14transform_implILb0ES3_S5_N6thrust23THRUST_200600_302600_NS6detail15normal_iteratorINS8_7pointerIiNS8_11hip_rocprim5par_tENS8_11use_defaultESE_EEEENSA_INSB_IlSD_SE_SE_EEEEZNS1_13binary_searchIS3_S5_NSA_INS8_10device_ptrIiEEEESG_SI_NS1_21upper_bound_search_opENS9_16wrapped_functionINS8_6system6detail7generic6detail18binary_search_lessEbEEEE10hipError_tPvRmT1_T2_T3_mmT4_T5_P12ihipStream_tbEUlRKiE_EESV_SZ_S10_mS11_S14_bEUlT_E_NS1_11comp_targetILNS1_3genE8ELNS1_11target_archE1030ELNS1_3gpuE2ELNS1_3repE0EEENS1_30default_config_static_selectorELNS0_4arch9wavefront6targetE0EEEvSY_,"axG",@progbits,_ZN7rocprim17ROCPRIM_400000_NS6detail17trampoline_kernelINS0_14default_configENS1_27upper_bound_config_selectorIilEEZNS1_14transform_implILb0ES3_S5_N6thrust23THRUST_200600_302600_NS6detail15normal_iteratorINS8_7pointerIiNS8_11hip_rocprim5par_tENS8_11use_defaultESE_EEEENSA_INSB_IlSD_SE_SE_EEEEZNS1_13binary_searchIS3_S5_NSA_INS8_10device_ptrIiEEEESG_SI_NS1_21upper_bound_search_opENS9_16wrapped_functionINS8_6system6detail7generic6detail18binary_search_lessEbEEEE10hipError_tPvRmT1_T2_T3_mmT4_T5_P12ihipStream_tbEUlRKiE_EESV_SZ_S10_mS11_S14_bEUlT_E_NS1_11comp_targetILNS1_3genE8ELNS1_11target_archE1030ELNS1_3gpuE2ELNS1_3repE0EEENS1_30default_config_static_selectorELNS0_4arch9wavefront6targetE0EEEvSY_,comdat
.Lfunc_end589:
	.size	_ZN7rocprim17ROCPRIM_400000_NS6detail17trampoline_kernelINS0_14default_configENS1_27upper_bound_config_selectorIilEEZNS1_14transform_implILb0ES3_S5_N6thrust23THRUST_200600_302600_NS6detail15normal_iteratorINS8_7pointerIiNS8_11hip_rocprim5par_tENS8_11use_defaultESE_EEEENSA_INSB_IlSD_SE_SE_EEEEZNS1_13binary_searchIS3_S5_NSA_INS8_10device_ptrIiEEEESG_SI_NS1_21upper_bound_search_opENS9_16wrapped_functionINS8_6system6detail7generic6detail18binary_search_lessEbEEEE10hipError_tPvRmT1_T2_T3_mmT4_T5_P12ihipStream_tbEUlRKiE_EESV_SZ_S10_mS11_S14_bEUlT_E_NS1_11comp_targetILNS1_3genE8ELNS1_11target_archE1030ELNS1_3gpuE2ELNS1_3repE0EEENS1_30default_config_static_selectorELNS0_4arch9wavefront6targetE0EEEvSY_, .Lfunc_end589-_ZN7rocprim17ROCPRIM_400000_NS6detail17trampoline_kernelINS0_14default_configENS1_27upper_bound_config_selectorIilEEZNS1_14transform_implILb0ES3_S5_N6thrust23THRUST_200600_302600_NS6detail15normal_iteratorINS8_7pointerIiNS8_11hip_rocprim5par_tENS8_11use_defaultESE_EEEENSA_INSB_IlSD_SE_SE_EEEEZNS1_13binary_searchIS3_S5_NSA_INS8_10device_ptrIiEEEESG_SI_NS1_21upper_bound_search_opENS9_16wrapped_functionINS8_6system6detail7generic6detail18binary_search_lessEbEEEE10hipError_tPvRmT1_T2_T3_mmT4_T5_P12ihipStream_tbEUlRKiE_EESV_SZ_S10_mS11_S14_bEUlT_E_NS1_11comp_targetILNS1_3genE8ELNS1_11target_archE1030ELNS1_3gpuE2ELNS1_3repE0EEENS1_30default_config_static_selectorELNS0_4arch9wavefront6targetE0EEEvSY_
                                        ; -- End function
	.set _ZN7rocprim17ROCPRIM_400000_NS6detail17trampoline_kernelINS0_14default_configENS1_27upper_bound_config_selectorIilEEZNS1_14transform_implILb0ES3_S5_N6thrust23THRUST_200600_302600_NS6detail15normal_iteratorINS8_7pointerIiNS8_11hip_rocprim5par_tENS8_11use_defaultESE_EEEENSA_INSB_IlSD_SE_SE_EEEEZNS1_13binary_searchIS3_S5_NSA_INS8_10device_ptrIiEEEESG_SI_NS1_21upper_bound_search_opENS9_16wrapped_functionINS8_6system6detail7generic6detail18binary_search_lessEbEEEE10hipError_tPvRmT1_T2_T3_mmT4_T5_P12ihipStream_tbEUlRKiE_EESV_SZ_S10_mS11_S14_bEUlT_E_NS1_11comp_targetILNS1_3genE8ELNS1_11target_archE1030ELNS1_3gpuE2ELNS1_3repE0EEENS1_30default_config_static_selectorELNS0_4arch9wavefront6targetE0EEEvSY_.num_vgpr, 11
	.set _ZN7rocprim17ROCPRIM_400000_NS6detail17trampoline_kernelINS0_14default_configENS1_27upper_bound_config_selectorIilEEZNS1_14transform_implILb0ES3_S5_N6thrust23THRUST_200600_302600_NS6detail15normal_iteratorINS8_7pointerIiNS8_11hip_rocprim5par_tENS8_11use_defaultESE_EEEENSA_INSB_IlSD_SE_SE_EEEEZNS1_13binary_searchIS3_S5_NSA_INS8_10device_ptrIiEEEESG_SI_NS1_21upper_bound_search_opENS9_16wrapped_functionINS8_6system6detail7generic6detail18binary_search_lessEbEEEE10hipError_tPvRmT1_T2_T3_mmT4_T5_P12ihipStream_tbEUlRKiE_EESV_SZ_S10_mS11_S14_bEUlT_E_NS1_11comp_targetILNS1_3genE8ELNS1_11target_archE1030ELNS1_3gpuE2ELNS1_3repE0EEENS1_30default_config_static_selectorELNS0_4arch9wavefront6targetE0EEEvSY_.num_agpr, 0
	.set _ZN7rocprim17ROCPRIM_400000_NS6detail17trampoline_kernelINS0_14default_configENS1_27upper_bound_config_selectorIilEEZNS1_14transform_implILb0ES3_S5_N6thrust23THRUST_200600_302600_NS6detail15normal_iteratorINS8_7pointerIiNS8_11hip_rocprim5par_tENS8_11use_defaultESE_EEEENSA_INSB_IlSD_SE_SE_EEEEZNS1_13binary_searchIS3_S5_NSA_INS8_10device_ptrIiEEEESG_SI_NS1_21upper_bound_search_opENS9_16wrapped_functionINS8_6system6detail7generic6detail18binary_search_lessEbEEEE10hipError_tPvRmT1_T2_T3_mmT4_T5_P12ihipStream_tbEUlRKiE_EESV_SZ_S10_mS11_S14_bEUlT_E_NS1_11comp_targetILNS1_3genE8ELNS1_11target_archE1030ELNS1_3gpuE2ELNS1_3repE0EEENS1_30default_config_static_selectorELNS0_4arch9wavefront6targetE0EEEvSY_.numbered_sgpr, 17
	.set _ZN7rocprim17ROCPRIM_400000_NS6detail17trampoline_kernelINS0_14default_configENS1_27upper_bound_config_selectorIilEEZNS1_14transform_implILb0ES3_S5_N6thrust23THRUST_200600_302600_NS6detail15normal_iteratorINS8_7pointerIiNS8_11hip_rocprim5par_tENS8_11use_defaultESE_EEEENSA_INSB_IlSD_SE_SE_EEEEZNS1_13binary_searchIS3_S5_NSA_INS8_10device_ptrIiEEEESG_SI_NS1_21upper_bound_search_opENS9_16wrapped_functionINS8_6system6detail7generic6detail18binary_search_lessEbEEEE10hipError_tPvRmT1_T2_T3_mmT4_T5_P12ihipStream_tbEUlRKiE_EESV_SZ_S10_mS11_S14_bEUlT_E_NS1_11comp_targetILNS1_3genE8ELNS1_11target_archE1030ELNS1_3gpuE2ELNS1_3repE0EEENS1_30default_config_static_selectorELNS0_4arch9wavefront6targetE0EEEvSY_.num_named_barrier, 0
	.set _ZN7rocprim17ROCPRIM_400000_NS6detail17trampoline_kernelINS0_14default_configENS1_27upper_bound_config_selectorIilEEZNS1_14transform_implILb0ES3_S5_N6thrust23THRUST_200600_302600_NS6detail15normal_iteratorINS8_7pointerIiNS8_11hip_rocprim5par_tENS8_11use_defaultESE_EEEENSA_INSB_IlSD_SE_SE_EEEEZNS1_13binary_searchIS3_S5_NSA_INS8_10device_ptrIiEEEESG_SI_NS1_21upper_bound_search_opENS9_16wrapped_functionINS8_6system6detail7generic6detail18binary_search_lessEbEEEE10hipError_tPvRmT1_T2_T3_mmT4_T5_P12ihipStream_tbEUlRKiE_EESV_SZ_S10_mS11_S14_bEUlT_E_NS1_11comp_targetILNS1_3genE8ELNS1_11target_archE1030ELNS1_3gpuE2ELNS1_3repE0EEENS1_30default_config_static_selectorELNS0_4arch9wavefront6targetE0EEEvSY_.private_seg_size, 0
	.set _ZN7rocprim17ROCPRIM_400000_NS6detail17trampoline_kernelINS0_14default_configENS1_27upper_bound_config_selectorIilEEZNS1_14transform_implILb0ES3_S5_N6thrust23THRUST_200600_302600_NS6detail15normal_iteratorINS8_7pointerIiNS8_11hip_rocprim5par_tENS8_11use_defaultESE_EEEENSA_INSB_IlSD_SE_SE_EEEEZNS1_13binary_searchIS3_S5_NSA_INS8_10device_ptrIiEEEESG_SI_NS1_21upper_bound_search_opENS9_16wrapped_functionINS8_6system6detail7generic6detail18binary_search_lessEbEEEE10hipError_tPvRmT1_T2_T3_mmT4_T5_P12ihipStream_tbEUlRKiE_EESV_SZ_S10_mS11_S14_bEUlT_E_NS1_11comp_targetILNS1_3genE8ELNS1_11target_archE1030ELNS1_3gpuE2ELNS1_3repE0EEENS1_30default_config_static_selectorELNS0_4arch9wavefront6targetE0EEEvSY_.uses_vcc, 1
	.set _ZN7rocprim17ROCPRIM_400000_NS6detail17trampoline_kernelINS0_14default_configENS1_27upper_bound_config_selectorIilEEZNS1_14transform_implILb0ES3_S5_N6thrust23THRUST_200600_302600_NS6detail15normal_iteratorINS8_7pointerIiNS8_11hip_rocprim5par_tENS8_11use_defaultESE_EEEENSA_INSB_IlSD_SE_SE_EEEEZNS1_13binary_searchIS3_S5_NSA_INS8_10device_ptrIiEEEESG_SI_NS1_21upper_bound_search_opENS9_16wrapped_functionINS8_6system6detail7generic6detail18binary_search_lessEbEEEE10hipError_tPvRmT1_T2_T3_mmT4_T5_P12ihipStream_tbEUlRKiE_EESV_SZ_S10_mS11_S14_bEUlT_E_NS1_11comp_targetILNS1_3genE8ELNS1_11target_archE1030ELNS1_3gpuE2ELNS1_3repE0EEENS1_30default_config_static_selectorELNS0_4arch9wavefront6targetE0EEEvSY_.uses_flat_scratch, 0
	.set _ZN7rocprim17ROCPRIM_400000_NS6detail17trampoline_kernelINS0_14default_configENS1_27upper_bound_config_selectorIilEEZNS1_14transform_implILb0ES3_S5_N6thrust23THRUST_200600_302600_NS6detail15normal_iteratorINS8_7pointerIiNS8_11hip_rocprim5par_tENS8_11use_defaultESE_EEEENSA_INSB_IlSD_SE_SE_EEEEZNS1_13binary_searchIS3_S5_NSA_INS8_10device_ptrIiEEEESG_SI_NS1_21upper_bound_search_opENS9_16wrapped_functionINS8_6system6detail7generic6detail18binary_search_lessEbEEEE10hipError_tPvRmT1_T2_T3_mmT4_T5_P12ihipStream_tbEUlRKiE_EESV_SZ_S10_mS11_S14_bEUlT_E_NS1_11comp_targetILNS1_3genE8ELNS1_11target_archE1030ELNS1_3gpuE2ELNS1_3repE0EEENS1_30default_config_static_selectorELNS0_4arch9wavefront6targetE0EEEvSY_.has_dyn_sized_stack, 0
	.set _ZN7rocprim17ROCPRIM_400000_NS6detail17trampoline_kernelINS0_14default_configENS1_27upper_bound_config_selectorIilEEZNS1_14transform_implILb0ES3_S5_N6thrust23THRUST_200600_302600_NS6detail15normal_iteratorINS8_7pointerIiNS8_11hip_rocprim5par_tENS8_11use_defaultESE_EEEENSA_INSB_IlSD_SE_SE_EEEEZNS1_13binary_searchIS3_S5_NSA_INS8_10device_ptrIiEEEESG_SI_NS1_21upper_bound_search_opENS9_16wrapped_functionINS8_6system6detail7generic6detail18binary_search_lessEbEEEE10hipError_tPvRmT1_T2_T3_mmT4_T5_P12ihipStream_tbEUlRKiE_EESV_SZ_S10_mS11_S14_bEUlT_E_NS1_11comp_targetILNS1_3genE8ELNS1_11target_archE1030ELNS1_3gpuE2ELNS1_3repE0EEENS1_30default_config_static_selectorELNS0_4arch9wavefront6targetE0EEEvSY_.has_recursion, 0
	.set _ZN7rocprim17ROCPRIM_400000_NS6detail17trampoline_kernelINS0_14default_configENS1_27upper_bound_config_selectorIilEEZNS1_14transform_implILb0ES3_S5_N6thrust23THRUST_200600_302600_NS6detail15normal_iteratorINS8_7pointerIiNS8_11hip_rocprim5par_tENS8_11use_defaultESE_EEEENSA_INSB_IlSD_SE_SE_EEEEZNS1_13binary_searchIS3_S5_NSA_INS8_10device_ptrIiEEEESG_SI_NS1_21upper_bound_search_opENS9_16wrapped_functionINS8_6system6detail7generic6detail18binary_search_lessEbEEEE10hipError_tPvRmT1_T2_T3_mmT4_T5_P12ihipStream_tbEUlRKiE_EESV_SZ_S10_mS11_S14_bEUlT_E_NS1_11comp_targetILNS1_3genE8ELNS1_11target_archE1030ELNS1_3gpuE2ELNS1_3repE0EEENS1_30default_config_static_selectorELNS0_4arch9wavefront6targetE0EEEvSY_.has_indirect_call, 0
	.section	.AMDGPU.csdata,"",@progbits
; Kernel info:
; codeLenInByte = 816
; TotalNumSgprs: 19
; NumVgprs: 11
; ScratchSize: 0
; MemoryBound: 0
; FloatMode: 240
; IeeeMode: 1
; LDSByteSize: 0 bytes/workgroup (compile time only)
; SGPRBlocks: 0
; VGPRBlocks: 1
; NumSGPRsForWavesPerEU: 19
; NumVGPRsForWavesPerEU: 11
; Occupancy: 16
; WaveLimiterHint : 0
; COMPUTE_PGM_RSRC2:SCRATCH_EN: 0
; COMPUTE_PGM_RSRC2:USER_SGPR: 6
; COMPUTE_PGM_RSRC2:TRAP_HANDLER: 0
; COMPUTE_PGM_RSRC2:TGID_X_EN: 1
; COMPUTE_PGM_RSRC2:TGID_Y_EN: 0
; COMPUTE_PGM_RSRC2:TGID_Z_EN: 0
; COMPUTE_PGM_RSRC2:TIDIG_COMP_CNT: 0
	.section	.text._ZN7rocprim17ROCPRIM_400000_NS6detail17trampoline_kernelINS0_14default_configENS1_27upper_bound_config_selectorIslEEZNS1_14transform_implILb0ES3_S5_N6thrust23THRUST_200600_302600_NS6detail15normal_iteratorINS8_7pointerIsNS8_11hip_rocprim5par_tENS8_11use_defaultESE_EEEENSA_INSB_IlSD_SE_SE_EEEEZNS1_13binary_searchIS3_S5_NSA_INS8_10device_ptrIsEEEESG_SI_NS1_21upper_bound_search_opENS9_16wrapped_functionINS8_6system6detail7generic6detail18binary_search_lessEbEEEE10hipError_tPvRmT1_T2_T3_mmT4_T5_P12ihipStream_tbEUlRKsE_EESV_SZ_S10_mS11_S14_bEUlT_E_NS1_11comp_targetILNS1_3genE0ELNS1_11target_archE4294967295ELNS1_3gpuE0ELNS1_3repE0EEENS1_30default_config_static_selectorELNS0_4arch9wavefront6targetE0EEEvSY_,"axG",@progbits,_ZN7rocprim17ROCPRIM_400000_NS6detail17trampoline_kernelINS0_14default_configENS1_27upper_bound_config_selectorIslEEZNS1_14transform_implILb0ES3_S5_N6thrust23THRUST_200600_302600_NS6detail15normal_iteratorINS8_7pointerIsNS8_11hip_rocprim5par_tENS8_11use_defaultESE_EEEENSA_INSB_IlSD_SE_SE_EEEEZNS1_13binary_searchIS3_S5_NSA_INS8_10device_ptrIsEEEESG_SI_NS1_21upper_bound_search_opENS9_16wrapped_functionINS8_6system6detail7generic6detail18binary_search_lessEbEEEE10hipError_tPvRmT1_T2_T3_mmT4_T5_P12ihipStream_tbEUlRKsE_EESV_SZ_S10_mS11_S14_bEUlT_E_NS1_11comp_targetILNS1_3genE0ELNS1_11target_archE4294967295ELNS1_3gpuE0ELNS1_3repE0EEENS1_30default_config_static_selectorELNS0_4arch9wavefront6targetE0EEEvSY_,comdat
	.protected	_ZN7rocprim17ROCPRIM_400000_NS6detail17trampoline_kernelINS0_14default_configENS1_27upper_bound_config_selectorIslEEZNS1_14transform_implILb0ES3_S5_N6thrust23THRUST_200600_302600_NS6detail15normal_iteratorINS8_7pointerIsNS8_11hip_rocprim5par_tENS8_11use_defaultESE_EEEENSA_INSB_IlSD_SE_SE_EEEEZNS1_13binary_searchIS3_S5_NSA_INS8_10device_ptrIsEEEESG_SI_NS1_21upper_bound_search_opENS9_16wrapped_functionINS8_6system6detail7generic6detail18binary_search_lessEbEEEE10hipError_tPvRmT1_T2_T3_mmT4_T5_P12ihipStream_tbEUlRKsE_EESV_SZ_S10_mS11_S14_bEUlT_E_NS1_11comp_targetILNS1_3genE0ELNS1_11target_archE4294967295ELNS1_3gpuE0ELNS1_3repE0EEENS1_30default_config_static_selectorELNS0_4arch9wavefront6targetE0EEEvSY_ ; -- Begin function _ZN7rocprim17ROCPRIM_400000_NS6detail17trampoline_kernelINS0_14default_configENS1_27upper_bound_config_selectorIslEEZNS1_14transform_implILb0ES3_S5_N6thrust23THRUST_200600_302600_NS6detail15normal_iteratorINS8_7pointerIsNS8_11hip_rocprim5par_tENS8_11use_defaultESE_EEEENSA_INSB_IlSD_SE_SE_EEEEZNS1_13binary_searchIS3_S5_NSA_INS8_10device_ptrIsEEEESG_SI_NS1_21upper_bound_search_opENS9_16wrapped_functionINS8_6system6detail7generic6detail18binary_search_lessEbEEEE10hipError_tPvRmT1_T2_T3_mmT4_T5_P12ihipStream_tbEUlRKsE_EESV_SZ_S10_mS11_S14_bEUlT_E_NS1_11comp_targetILNS1_3genE0ELNS1_11target_archE4294967295ELNS1_3gpuE0ELNS1_3repE0EEENS1_30default_config_static_selectorELNS0_4arch9wavefront6targetE0EEEvSY_
	.globl	_ZN7rocprim17ROCPRIM_400000_NS6detail17trampoline_kernelINS0_14default_configENS1_27upper_bound_config_selectorIslEEZNS1_14transform_implILb0ES3_S5_N6thrust23THRUST_200600_302600_NS6detail15normal_iteratorINS8_7pointerIsNS8_11hip_rocprim5par_tENS8_11use_defaultESE_EEEENSA_INSB_IlSD_SE_SE_EEEEZNS1_13binary_searchIS3_S5_NSA_INS8_10device_ptrIsEEEESG_SI_NS1_21upper_bound_search_opENS9_16wrapped_functionINS8_6system6detail7generic6detail18binary_search_lessEbEEEE10hipError_tPvRmT1_T2_T3_mmT4_T5_P12ihipStream_tbEUlRKsE_EESV_SZ_S10_mS11_S14_bEUlT_E_NS1_11comp_targetILNS1_3genE0ELNS1_11target_archE4294967295ELNS1_3gpuE0ELNS1_3repE0EEENS1_30default_config_static_selectorELNS0_4arch9wavefront6targetE0EEEvSY_
	.p2align	8
	.type	_ZN7rocprim17ROCPRIM_400000_NS6detail17trampoline_kernelINS0_14default_configENS1_27upper_bound_config_selectorIslEEZNS1_14transform_implILb0ES3_S5_N6thrust23THRUST_200600_302600_NS6detail15normal_iteratorINS8_7pointerIsNS8_11hip_rocprim5par_tENS8_11use_defaultESE_EEEENSA_INSB_IlSD_SE_SE_EEEEZNS1_13binary_searchIS3_S5_NSA_INS8_10device_ptrIsEEEESG_SI_NS1_21upper_bound_search_opENS9_16wrapped_functionINS8_6system6detail7generic6detail18binary_search_lessEbEEEE10hipError_tPvRmT1_T2_T3_mmT4_T5_P12ihipStream_tbEUlRKsE_EESV_SZ_S10_mS11_S14_bEUlT_E_NS1_11comp_targetILNS1_3genE0ELNS1_11target_archE4294967295ELNS1_3gpuE0ELNS1_3repE0EEENS1_30default_config_static_selectorELNS0_4arch9wavefront6targetE0EEEvSY_,@function
_ZN7rocprim17ROCPRIM_400000_NS6detail17trampoline_kernelINS0_14default_configENS1_27upper_bound_config_selectorIslEEZNS1_14transform_implILb0ES3_S5_N6thrust23THRUST_200600_302600_NS6detail15normal_iteratorINS8_7pointerIsNS8_11hip_rocprim5par_tENS8_11use_defaultESE_EEEENSA_INSB_IlSD_SE_SE_EEEEZNS1_13binary_searchIS3_S5_NSA_INS8_10device_ptrIsEEEESG_SI_NS1_21upper_bound_search_opENS9_16wrapped_functionINS8_6system6detail7generic6detail18binary_search_lessEbEEEE10hipError_tPvRmT1_T2_T3_mmT4_T5_P12ihipStream_tbEUlRKsE_EESV_SZ_S10_mS11_S14_bEUlT_E_NS1_11comp_targetILNS1_3genE0ELNS1_11target_archE4294967295ELNS1_3gpuE0ELNS1_3repE0EEENS1_30default_config_static_selectorELNS0_4arch9wavefront6targetE0EEEvSY_: ; @_ZN7rocprim17ROCPRIM_400000_NS6detail17trampoline_kernelINS0_14default_configENS1_27upper_bound_config_selectorIslEEZNS1_14transform_implILb0ES3_S5_N6thrust23THRUST_200600_302600_NS6detail15normal_iteratorINS8_7pointerIsNS8_11hip_rocprim5par_tENS8_11use_defaultESE_EEEENSA_INSB_IlSD_SE_SE_EEEEZNS1_13binary_searchIS3_S5_NSA_INS8_10device_ptrIsEEEESG_SI_NS1_21upper_bound_search_opENS9_16wrapped_functionINS8_6system6detail7generic6detail18binary_search_lessEbEEEE10hipError_tPvRmT1_T2_T3_mmT4_T5_P12ihipStream_tbEUlRKsE_EESV_SZ_S10_mS11_S14_bEUlT_E_NS1_11comp_targetILNS1_3genE0ELNS1_11target_archE4294967295ELNS1_3gpuE0ELNS1_3repE0EEENS1_30default_config_static_selectorELNS0_4arch9wavefront6targetE0EEEvSY_
; %bb.0:
	.section	.rodata,"a",@progbits
	.p2align	6, 0x0
	.amdhsa_kernel _ZN7rocprim17ROCPRIM_400000_NS6detail17trampoline_kernelINS0_14default_configENS1_27upper_bound_config_selectorIslEEZNS1_14transform_implILb0ES3_S5_N6thrust23THRUST_200600_302600_NS6detail15normal_iteratorINS8_7pointerIsNS8_11hip_rocprim5par_tENS8_11use_defaultESE_EEEENSA_INSB_IlSD_SE_SE_EEEEZNS1_13binary_searchIS3_S5_NSA_INS8_10device_ptrIsEEEESG_SI_NS1_21upper_bound_search_opENS9_16wrapped_functionINS8_6system6detail7generic6detail18binary_search_lessEbEEEE10hipError_tPvRmT1_T2_T3_mmT4_T5_P12ihipStream_tbEUlRKsE_EESV_SZ_S10_mS11_S14_bEUlT_E_NS1_11comp_targetILNS1_3genE0ELNS1_11target_archE4294967295ELNS1_3gpuE0ELNS1_3repE0EEENS1_30default_config_static_selectorELNS0_4arch9wavefront6targetE0EEEvSY_
		.amdhsa_group_segment_fixed_size 0
		.amdhsa_private_segment_fixed_size 0
		.amdhsa_kernarg_size 56
		.amdhsa_user_sgpr_count 6
		.amdhsa_user_sgpr_private_segment_buffer 1
		.amdhsa_user_sgpr_dispatch_ptr 0
		.amdhsa_user_sgpr_queue_ptr 0
		.amdhsa_user_sgpr_kernarg_segment_ptr 1
		.amdhsa_user_sgpr_dispatch_id 0
		.amdhsa_user_sgpr_flat_scratch_init 0
		.amdhsa_user_sgpr_private_segment_size 0
		.amdhsa_wavefront_size32 1
		.amdhsa_uses_dynamic_stack 0
		.amdhsa_system_sgpr_private_segment_wavefront_offset 0
		.amdhsa_system_sgpr_workgroup_id_x 1
		.amdhsa_system_sgpr_workgroup_id_y 0
		.amdhsa_system_sgpr_workgroup_id_z 0
		.amdhsa_system_sgpr_workgroup_info 0
		.amdhsa_system_vgpr_workitem_id 0
		.amdhsa_next_free_vgpr 1
		.amdhsa_next_free_sgpr 1
		.amdhsa_reserve_vcc 0
		.amdhsa_reserve_flat_scratch 0
		.amdhsa_float_round_mode_32 0
		.amdhsa_float_round_mode_16_64 0
		.amdhsa_float_denorm_mode_32 3
		.amdhsa_float_denorm_mode_16_64 3
		.amdhsa_dx10_clamp 1
		.amdhsa_ieee_mode 1
		.amdhsa_fp16_overflow 0
		.amdhsa_workgroup_processor_mode 1
		.amdhsa_memory_ordered 1
		.amdhsa_forward_progress 1
		.amdhsa_shared_vgpr_count 0
		.amdhsa_exception_fp_ieee_invalid_op 0
		.amdhsa_exception_fp_denorm_src 0
		.amdhsa_exception_fp_ieee_div_zero 0
		.amdhsa_exception_fp_ieee_overflow 0
		.amdhsa_exception_fp_ieee_underflow 0
		.amdhsa_exception_fp_ieee_inexact 0
		.amdhsa_exception_int_div_zero 0
	.end_amdhsa_kernel
	.section	.text._ZN7rocprim17ROCPRIM_400000_NS6detail17trampoline_kernelINS0_14default_configENS1_27upper_bound_config_selectorIslEEZNS1_14transform_implILb0ES3_S5_N6thrust23THRUST_200600_302600_NS6detail15normal_iteratorINS8_7pointerIsNS8_11hip_rocprim5par_tENS8_11use_defaultESE_EEEENSA_INSB_IlSD_SE_SE_EEEEZNS1_13binary_searchIS3_S5_NSA_INS8_10device_ptrIsEEEESG_SI_NS1_21upper_bound_search_opENS9_16wrapped_functionINS8_6system6detail7generic6detail18binary_search_lessEbEEEE10hipError_tPvRmT1_T2_T3_mmT4_T5_P12ihipStream_tbEUlRKsE_EESV_SZ_S10_mS11_S14_bEUlT_E_NS1_11comp_targetILNS1_3genE0ELNS1_11target_archE4294967295ELNS1_3gpuE0ELNS1_3repE0EEENS1_30default_config_static_selectorELNS0_4arch9wavefront6targetE0EEEvSY_,"axG",@progbits,_ZN7rocprim17ROCPRIM_400000_NS6detail17trampoline_kernelINS0_14default_configENS1_27upper_bound_config_selectorIslEEZNS1_14transform_implILb0ES3_S5_N6thrust23THRUST_200600_302600_NS6detail15normal_iteratorINS8_7pointerIsNS8_11hip_rocprim5par_tENS8_11use_defaultESE_EEEENSA_INSB_IlSD_SE_SE_EEEEZNS1_13binary_searchIS3_S5_NSA_INS8_10device_ptrIsEEEESG_SI_NS1_21upper_bound_search_opENS9_16wrapped_functionINS8_6system6detail7generic6detail18binary_search_lessEbEEEE10hipError_tPvRmT1_T2_T3_mmT4_T5_P12ihipStream_tbEUlRKsE_EESV_SZ_S10_mS11_S14_bEUlT_E_NS1_11comp_targetILNS1_3genE0ELNS1_11target_archE4294967295ELNS1_3gpuE0ELNS1_3repE0EEENS1_30default_config_static_selectorELNS0_4arch9wavefront6targetE0EEEvSY_,comdat
.Lfunc_end590:
	.size	_ZN7rocprim17ROCPRIM_400000_NS6detail17trampoline_kernelINS0_14default_configENS1_27upper_bound_config_selectorIslEEZNS1_14transform_implILb0ES3_S5_N6thrust23THRUST_200600_302600_NS6detail15normal_iteratorINS8_7pointerIsNS8_11hip_rocprim5par_tENS8_11use_defaultESE_EEEENSA_INSB_IlSD_SE_SE_EEEEZNS1_13binary_searchIS3_S5_NSA_INS8_10device_ptrIsEEEESG_SI_NS1_21upper_bound_search_opENS9_16wrapped_functionINS8_6system6detail7generic6detail18binary_search_lessEbEEEE10hipError_tPvRmT1_T2_T3_mmT4_T5_P12ihipStream_tbEUlRKsE_EESV_SZ_S10_mS11_S14_bEUlT_E_NS1_11comp_targetILNS1_3genE0ELNS1_11target_archE4294967295ELNS1_3gpuE0ELNS1_3repE0EEENS1_30default_config_static_selectorELNS0_4arch9wavefront6targetE0EEEvSY_, .Lfunc_end590-_ZN7rocprim17ROCPRIM_400000_NS6detail17trampoline_kernelINS0_14default_configENS1_27upper_bound_config_selectorIslEEZNS1_14transform_implILb0ES3_S5_N6thrust23THRUST_200600_302600_NS6detail15normal_iteratorINS8_7pointerIsNS8_11hip_rocprim5par_tENS8_11use_defaultESE_EEEENSA_INSB_IlSD_SE_SE_EEEEZNS1_13binary_searchIS3_S5_NSA_INS8_10device_ptrIsEEEESG_SI_NS1_21upper_bound_search_opENS9_16wrapped_functionINS8_6system6detail7generic6detail18binary_search_lessEbEEEE10hipError_tPvRmT1_T2_T3_mmT4_T5_P12ihipStream_tbEUlRKsE_EESV_SZ_S10_mS11_S14_bEUlT_E_NS1_11comp_targetILNS1_3genE0ELNS1_11target_archE4294967295ELNS1_3gpuE0ELNS1_3repE0EEENS1_30default_config_static_selectorELNS0_4arch9wavefront6targetE0EEEvSY_
                                        ; -- End function
	.set _ZN7rocprim17ROCPRIM_400000_NS6detail17trampoline_kernelINS0_14default_configENS1_27upper_bound_config_selectorIslEEZNS1_14transform_implILb0ES3_S5_N6thrust23THRUST_200600_302600_NS6detail15normal_iteratorINS8_7pointerIsNS8_11hip_rocprim5par_tENS8_11use_defaultESE_EEEENSA_INSB_IlSD_SE_SE_EEEEZNS1_13binary_searchIS3_S5_NSA_INS8_10device_ptrIsEEEESG_SI_NS1_21upper_bound_search_opENS9_16wrapped_functionINS8_6system6detail7generic6detail18binary_search_lessEbEEEE10hipError_tPvRmT1_T2_T3_mmT4_T5_P12ihipStream_tbEUlRKsE_EESV_SZ_S10_mS11_S14_bEUlT_E_NS1_11comp_targetILNS1_3genE0ELNS1_11target_archE4294967295ELNS1_3gpuE0ELNS1_3repE0EEENS1_30default_config_static_selectorELNS0_4arch9wavefront6targetE0EEEvSY_.num_vgpr, 0
	.set _ZN7rocprim17ROCPRIM_400000_NS6detail17trampoline_kernelINS0_14default_configENS1_27upper_bound_config_selectorIslEEZNS1_14transform_implILb0ES3_S5_N6thrust23THRUST_200600_302600_NS6detail15normal_iteratorINS8_7pointerIsNS8_11hip_rocprim5par_tENS8_11use_defaultESE_EEEENSA_INSB_IlSD_SE_SE_EEEEZNS1_13binary_searchIS3_S5_NSA_INS8_10device_ptrIsEEEESG_SI_NS1_21upper_bound_search_opENS9_16wrapped_functionINS8_6system6detail7generic6detail18binary_search_lessEbEEEE10hipError_tPvRmT1_T2_T3_mmT4_T5_P12ihipStream_tbEUlRKsE_EESV_SZ_S10_mS11_S14_bEUlT_E_NS1_11comp_targetILNS1_3genE0ELNS1_11target_archE4294967295ELNS1_3gpuE0ELNS1_3repE0EEENS1_30default_config_static_selectorELNS0_4arch9wavefront6targetE0EEEvSY_.num_agpr, 0
	.set _ZN7rocprim17ROCPRIM_400000_NS6detail17trampoline_kernelINS0_14default_configENS1_27upper_bound_config_selectorIslEEZNS1_14transform_implILb0ES3_S5_N6thrust23THRUST_200600_302600_NS6detail15normal_iteratorINS8_7pointerIsNS8_11hip_rocprim5par_tENS8_11use_defaultESE_EEEENSA_INSB_IlSD_SE_SE_EEEEZNS1_13binary_searchIS3_S5_NSA_INS8_10device_ptrIsEEEESG_SI_NS1_21upper_bound_search_opENS9_16wrapped_functionINS8_6system6detail7generic6detail18binary_search_lessEbEEEE10hipError_tPvRmT1_T2_T3_mmT4_T5_P12ihipStream_tbEUlRKsE_EESV_SZ_S10_mS11_S14_bEUlT_E_NS1_11comp_targetILNS1_3genE0ELNS1_11target_archE4294967295ELNS1_3gpuE0ELNS1_3repE0EEENS1_30default_config_static_selectorELNS0_4arch9wavefront6targetE0EEEvSY_.numbered_sgpr, 0
	.set _ZN7rocprim17ROCPRIM_400000_NS6detail17trampoline_kernelINS0_14default_configENS1_27upper_bound_config_selectorIslEEZNS1_14transform_implILb0ES3_S5_N6thrust23THRUST_200600_302600_NS6detail15normal_iteratorINS8_7pointerIsNS8_11hip_rocprim5par_tENS8_11use_defaultESE_EEEENSA_INSB_IlSD_SE_SE_EEEEZNS1_13binary_searchIS3_S5_NSA_INS8_10device_ptrIsEEEESG_SI_NS1_21upper_bound_search_opENS9_16wrapped_functionINS8_6system6detail7generic6detail18binary_search_lessEbEEEE10hipError_tPvRmT1_T2_T3_mmT4_T5_P12ihipStream_tbEUlRKsE_EESV_SZ_S10_mS11_S14_bEUlT_E_NS1_11comp_targetILNS1_3genE0ELNS1_11target_archE4294967295ELNS1_3gpuE0ELNS1_3repE0EEENS1_30default_config_static_selectorELNS0_4arch9wavefront6targetE0EEEvSY_.num_named_barrier, 0
	.set _ZN7rocprim17ROCPRIM_400000_NS6detail17trampoline_kernelINS0_14default_configENS1_27upper_bound_config_selectorIslEEZNS1_14transform_implILb0ES3_S5_N6thrust23THRUST_200600_302600_NS6detail15normal_iteratorINS8_7pointerIsNS8_11hip_rocprim5par_tENS8_11use_defaultESE_EEEENSA_INSB_IlSD_SE_SE_EEEEZNS1_13binary_searchIS3_S5_NSA_INS8_10device_ptrIsEEEESG_SI_NS1_21upper_bound_search_opENS9_16wrapped_functionINS8_6system6detail7generic6detail18binary_search_lessEbEEEE10hipError_tPvRmT1_T2_T3_mmT4_T5_P12ihipStream_tbEUlRKsE_EESV_SZ_S10_mS11_S14_bEUlT_E_NS1_11comp_targetILNS1_3genE0ELNS1_11target_archE4294967295ELNS1_3gpuE0ELNS1_3repE0EEENS1_30default_config_static_selectorELNS0_4arch9wavefront6targetE0EEEvSY_.private_seg_size, 0
	.set _ZN7rocprim17ROCPRIM_400000_NS6detail17trampoline_kernelINS0_14default_configENS1_27upper_bound_config_selectorIslEEZNS1_14transform_implILb0ES3_S5_N6thrust23THRUST_200600_302600_NS6detail15normal_iteratorINS8_7pointerIsNS8_11hip_rocprim5par_tENS8_11use_defaultESE_EEEENSA_INSB_IlSD_SE_SE_EEEEZNS1_13binary_searchIS3_S5_NSA_INS8_10device_ptrIsEEEESG_SI_NS1_21upper_bound_search_opENS9_16wrapped_functionINS8_6system6detail7generic6detail18binary_search_lessEbEEEE10hipError_tPvRmT1_T2_T3_mmT4_T5_P12ihipStream_tbEUlRKsE_EESV_SZ_S10_mS11_S14_bEUlT_E_NS1_11comp_targetILNS1_3genE0ELNS1_11target_archE4294967295ELNS1_3gpuE0ELNS1_3repE0EEENS1_30default_config_static_selectorELNS0_4arch9wavefront6targetE0EEEvSY_.uses_vcc, 0
	.set _ZN7rocprim17ROCPRIM_400000_NS6detail17trampoline_kernelINS0_14default_configENS1_27upper_bound_config_selectorIslEEZNS1_14transform_implILb0ES3_S5_N6thrust23THRUST_200600_302600_NS6detail15normal_iteratorINS8_7pointerIsNS8_11hip_rocprim5par_tENS8_11use_defaultESE_EEEENSA_INSB_IlSD_SE_SE_EEEEZNS1_13binary_searchIS3_S5_NSA_INS8_10device_ptrIsEEEESG_SI_NS1_21upper_bound_search_opENS9_16wrapped_functionINS8_6system6detail7generic6detail18binary_search_lessEbEEEE10hipError_tPvRmT1_T2_T3_mmT4_T5_P12ihipStream_tbEUlRKsE_EESV_SZ_S10_mS11_S14_bEUlT_E_NS1_11comp_targetILNS1_3genE0ELNS1_11target_archE4294967295ELNS1_3gpuE0ELNS1_3repE0EEENS1_30default_config_static_selectorELNS0_4arch9wavefront6targetE0EEEvSY_.uses_flat_scratch, 0
	.set _ZN7rocprim17ROCPRIM_400000_NS6detail17trampoline_kernelINS0_14default_configENS1_27upper_bound_config_selectorIslEEZNS1_14transform_implILb0ES3_S5_N6thrust23THRUST_200600_302600_NS6detail15normal_iteratorINS8_7pointerIsNS8_11hip_rocprim5par_tENS8_11use_defaultESE_EEEENSA_INSB_IlSD_SE_SE_EEEEZNS1_13binary_searchIS3_S5_NSA_INS8_10device_ptrIsEEEESG_SI_NS1_21upper_bound_search_opENS9_16wrapped_functionINS8_6system6detail7generic6detail18binary_search_lessEbEEEE10hipError_tPvRmT1_T2_T3_mmT4_T5_P12ihipStream_tbEUlRKsE_EESV_SZ_S10_mS11_S14_bEUlT_E_NS1_11comp_targetILNS1_3genE0ELNS1_11target_archE4294967295ELNS1_3gpuE0ELNS1_3repE0EEENS1_30default_config_static_selectorELNS0_4arch9wavefront6targetE0EEEvSY_.has_dyn_sized_stack, 0
	.set _ZN7rocprim17ROCPRIM_400000_NS6detail17trampoline_kernelINS0_14default_configENS1_27upper_bound_config_selectorIslEEZNS1_14transform_implILb0ES3_S5_N6thrust23THRUST_200600_302600_NS6detail15normal_iteratorINS8_7pointerIsNS8_11hip_rocprim5par_tENS8_11use_defaultESE_EEEENSA_INSB_IlSD_SE_SE_EEEEZNS1_13binary_searchIS3_S5_NSA_INS8_10device_ptrIsEEEESG_SI_NS1_21upper_bound_search_opENS9_16wrapped_functionINS8_6system6detail7generic6detail18binary_search_lessEbEEEE10hipError_tPvRmT1_T2_T3_mmT4_T5_P12ihipStream_tbEUlRKsE_EESV_SZ_S10_mS11_S14_bEUlT_E_NS1_11comp_targetILNS1_3genE0ELNS1_11target_archE4294967295ELNS1_3gpuE0ELNS1_3repE0EEENS1_30default_config_static_selectorELNS0_4arch9wavefront6targetE0EEEvSY_.has_recursion, 0
	.set _ZN7rocprim17ROCPRIM_400000_NS6detail17trampoline_kernelINS0_14default_configENS1_27upper_bound_config_selectorIslEEZNS1_14transform_implILb0ES3_S5_N6thrust23THRUST_200600_302600_NS6detail15normal_iteratorINS8_7pointerIsNS8_11hip_rocprim5par_tENS8_11use_defaultESE_EEEENSA_INSB_IlSD_SE_SE_EEEEZNS1_13binary_searchIS3_S5_NSA_INS8_10device_ptrIsEEEESG_SI_NS1_21upper_bound_search_opENS9_16wrapped_functionINS8_6system6detail7generic6detail18binary_search_lessEbEEEE10hipError_tPvRmT1_T2_T3_mmT4_T5_P12ihipStream_tbEUlRKsE_EESV_SZ_S10_mS11_S14_bEUlT_E_NS1_11comp_targetILNS1_3genE0ELNS1_11target_archE4294967295ELNS1_3gpuE0ELNS1_3repE0EEENS1_30default_config_static_selectorELNS0_4arch9wavefront6targetE0EEEvSY_.has_indirect_call, 0
	.section	.AMDGPU.csdata,"",@progbits
; Kernel info:
; codeLenInByte = 0
; TotalNumSgprs: 0
; NumVgprs: 0
; ScratchSize: 0
; MemoryBound: 0
; FloatMode: 240
; IeeeMode: 1
; LDSByteSize: 0 bytes/workgroup (compile time only)
; SGPRBlocks: 0
; VGPRBlocks: 0
; NumSGPRsForWavesPerEU: 1
; NumVGPRsForWavesPerEU: 1
; Occupancy: 16
; WaveLimiterHint : 0
; COMPUTE_PGM_RSRC2:SCRATCH_EN: 0
; COMPUTE_PGM_RSRC2:USER_SGPR: 6
; COMPUTE_PGM_RSRC2:TRAP_HANDLER: 0
; COMPUTE_PGM_RSRC2:TGID_X_EN: 1
; COMPUTE_PGM_RSRC2:TGID_Y_EN: 0
; COMPUTE_PGM_RSRC2:TGID_Z_EN: 0
; COMPUTE_PGM_RSRC2:TIDIG_COMP_CNT: 0
	.section	.text._ZN7rocprim17ROCPRIM_400000_NS6detail17trampoline_kernelINS0_14default_configENS1_27upper_bound_config_selectorIslEEZNS1_14transform_implILb0ES3_S5_N6thrust23THRUST_200600_302600_NS6detail15normal_iteratorINS8_7pointerIsNS8_11hip_rocprim5par_tENS8_11use_defaultESE_EEEENSA_INSB_IlSD_SE_SE_EEEEZNS1_13binary_searchIS3_S5_NSA_INS8_10device_ptrIsEEEESG_SI_NS1_21upper_bound_search_opENS9_16wrapped_functionINS8_6system6detail7generic6detail18binary_search_lessEbEEEE10hipError_tPvRmT1_T2_T3_mmT4_T5_P12ihipStream_tbEUlRKsE_EESV_SZ_S10_mS11_S14_bEUlT_E_NS1_11comp_targetILNS1_3genE5ELNS1_11target_archE942ELNS1_3gpuE9ELNS1_3repE0EEENS1_30default_config_static_selectorELNS0_4arch9wavefront6targetE0EEEvSY_,"axG",@progbits,_ZN7rocprim17ROCPRIM_400000_NS6detail17trampoline_kernelINS0_14default_configENS1_27upper_bound_config_selectorIslEEZNS1_14transform_implILb0ES3_S5_N6thrust23THRUST_200600_302600_NS6detail15normal_iteratorINS8_7pointerIsNS8_11hip_rocprim5par_tENS8_11use_defaultESE_EEEENSA_INSB_IlSD_SE_SE_EEEEZNS1_13binary_searchIS3_S5_NSA_INS8_10device_ptrIsEEEESG_SI_NS1_21upper_bound_search_opENS9_16wrapped_functionINS8_6system6detail7generic6detail18binary_search_lessEbEEEE10hipError_tPvRmT1_T2_T3_mmT4_T5_P12ihipStream_tbEUlRKsE_EESV_SZ_S10_mS11_S14_bEUlT_E_NS1_11comp_targetILNS1_3genE5ELNS1_11target_archE942ELNS1_3gpuE9ELNS1_3repE0EEENS1_30default_config_static_selectorELNS0_4arch9wavefront6targetE0EEEvSY_,comdat
	.protected	_ZN7rocprim17ROCPRIM_400000_NS6detail17trampoline_kernelINS0_14default_configENS1_27upper_bound_config_selectorIslEEZNS1_14transform_implILb0ES3_S5_N6thrust23THRUST_200600_302600_NS6detail15normal_iteratorINS8_7pointerIsNS8_11hip_rocprim5par_tENS8_11use_defaultESE_EEEENSA_INSB_IlSD_SE_SE_EEEEZNS1_13binary_searchIS3_S5_NSA_INS8_10device_ptrIsEEEESG_SI_NS1_21upper_bound_search_opENS9_16wrapped_functionINS8_6system6detail7generic6detail18binary_search_lessEbEEEE10hipError_tPvRmT1_T2_T3_mmT4_T5_P12ihipStream_tbEUlRKsE_EESV_SZ_S10_mS11_S14_bEUlT_E_NS1_11comp_targetILNS1_3genE5ELNS1_11target_archE942ELNS1_3gpuE9ELNS1_3repE0EEENS1_30default_config_static_selectorELNS0_4arch9wavefront6targetE0EEEvSY_ ; -- Begin function _ZN7rocprim17ROCPRIM_400000_NS6detail17trampoline_kernelINS0_14default_configENS1_27upper_bound_config_selectorIslEEZNS1_14transform_implILb0ES3_S5_N6thrust23THRUST_200600_302600_NS6detail15normal_iteratorINS8_7pointerIsNS8_11hip_rocprim5par_tENS8_11use_defaultESE_EEEENSA_INSB_IlSD_SE_SE_EEEEZNS1_13binary_searchIS3_S5_NSA_INS8_10device_ptrIsEEEESG_SI_NS1_21upper_bound_search_opENS9_16wrapped_functionINS8_6system6detail7generic6detail18binary_search_lessEbEEEE10hipError_tPvRmT1_T2_T3_mmT4_T5_P12ihipStream_tbEUlRKsE_EESV_SZ_S10_mS11_S14_bEUlT_E_NS1_11comp_targetILNS1_3genE5ELNS1_11target_archE942ELNS1_3gpuE9ELNS1_3repE0EEENS1_30default_config_static_selectorELNS0_4arch9wavefront6targetE0EEEvSY_
	.globl	_ZN7rocprim17ROCPRIM_400000_NS6detail17trampoline_kernelINS0_14default_configENS1_27upper_bound_config_selectorIslEEZNS1_14transform_implILb0ES3_S5_N6thrust23THRUST_200600_302600_NS6detail15normal_iteratorINS8_7pointerIsNS8_11hip_rocprim5par_tENS8_11use_defaultESE_EEEENSA_INSB_IlSD_SE_SE_EEEEZNS1_13binary_searchIS3_S5_NSA_INS8_10device_ptrIsEEEESG_SI_NS1_21upper_bound_search_opENS9_16wrapped_functionINS8_6system6detail7generic6detail18binary_search_lessEbEEEE10hipError_tPvRmT1_T2_T3_mmT4_T5_P12ihipStream_tbEUlRKsE_EESV_SZ_S10_mS11_S14_bEUlT_E_NS1_11comp_targetILNS1_3genE5ELNS1_11target_archE942ELNS1_3gpuE9ELNS1_3repE0EEENS1_30default_config_static_selectorELNS0_4arch9wavefront6targetE0EEEvSY_
	.p2align	8
	.type	_ZN7rocprim17ROCPRIM_400000_NS6detail17trampoline_kernelINS0_14default_configENS1_27upper_bound_config_selectorIslEEZNS1_14transform_implILb0ES3_S5_N6thrust23THRUST_200600_302600_NS6detail15normal_iteratorINS8_7pointerIsNS8_11hip_rocprim5par_tENS8_11use_defaultESE_EEEENSA_INSB_IlSD_SE_SE_EEEEZNS1_13binary_searchIS3_S5_NSA_INS8_10device_ptrIsEEEESG_SI_NS1_21upper_bound_search_opENS9_16wrapped_functionINS8_6system6detail7generic6detail18binary_search_lessEbEEEE10hipError_tPvRmT1_T2_T3_mmT4_T5_P12ihipStream_tbEUlRKsE_EESV_SZ_S10_mS11_S14_bEUlT_E_NS1_11comp_targetILNS1_3genE5ELNS1_11target_archE942ELNS1_3gpuE9ELNS1_3repE0EEENS1_30default_config_static_selectorELNS0_4arch9wavefront6targetE0EEEvSY_,@function
_ZN7rocprim17ROCPRIM_400000_NS6detail17trampoline_kernelINS0_14default_configENS1_27upper_bound_config_selectorIslEEZNS1_14transform_implILb0ES3_S5_N6thrust23THRUST_200600_302600_NS6detail15normal_iteratorINS8_7pointerIsNS8_11hip_rocprim5par_tENS8_11use_defaultESE_EEEENSA_INSB_IlSD_SE_SE_EEEEZNS1_13binary_searchIS3_S5_NSA_INS8_10device_ptrIsEEEESG_SI_NS1_21upper_bound_search_opENS9_16wrapped_functionINS8_6system6detail7generic6detail18binary_search_lessEbEEEE10hipError_tPvRmT1_T2_T3_mmT4_T5_P12ihipStream_tbEUlRKsE_EESV_SZ_S10_mS11_S14_bEUlT_E_NS1_11comp_targetILNS1_3genE5ELNS1_11target_archE942ELNS1_3gpuE9ELNS1_3repE0EEENS1_30default_config_static_selectorELNS0_4arch9wavefront6targetE0EEEvSY_: ; @_ZN7rocprim17ROCPRIM_400000_NS6detail17trampoline_kernelINS0_14default_configENS1_27upper_bound_config_selectorIslEEZNS1_14transform_implILb0ES3_S5_N6thrust23THRUST_200600_302600_NS6detail15normal_iteratorINS8_7pointerIsNS8_11hip_rocprim5par_tENS8_11use_defaultESE_EEEENSA_INSB_IlSD_SE_SE_EEEEZNS1_13binary_searchIS3_S5_NSA_INS8_10device_ptrIsEEEESG_SI_NS1_21upper_bound_search_opENS9_16wrapped_functionINS8_6system6detail7generic6detail18binary_search_lessEbEEEE10hipError_tPvRmT1_T2_T3_mmT4_T5_P12ihipStream_tbEUlRKsE_EESV_SZ_S10_mS11_S14_bEUlT_E_NS1_11comp_targetILNS1_3genE5ELNS1_11target_archE942ELNS1_3gpuE9ELNS1_3repE0EEENS1_30default_config_static_selectorELNS0_4arch9wavefront6targetE0EEEvSY_
; %bb.0:
	.section	.rodata,"a",@progbits
	.p2align	6, 0x0
	.amdhsa_kernel _ZN7rocprim17ROCPRIM_400000_NS6detail17trampoline_kernelINS0_14default_configENS1_27upper_bound_config_selectorIslEEZNS1_14transform_implILb0ES3_S5_N6thrust23THRUST_200600_302600_NS6detail15normal_iteratorINS8_7pointerIsNS8_11hip_rocprim5par_tENS8_11use_defaultESE_EEEENSA_INSB_IlSD_SE_SE_EEEEZNS1_13binary_searchIS3_S5_NSA_INS8_10device_ptrIsEEEESG_SI_NS1_21upper_bound_search_opENS9_16wrapped_functionINS8_6system6detail7generic6detail18binary_search_lessEbEEEE10hipError_tPvRmT1_T2_T3_mmT4_T5_P12ihipStream_tbEUlRKsE_EESV_SZ_S10_mS11_S14_bEUlT_E_NS1_11comp_targetILNS1_3genE5ELNS1_11target_archE942ELNS1_3gpuE9ELNS1_3repE0EEENS1_30default_config_static_selectorELNS0_4arch9wavefront6targetE0EEEvSY_
		.amdhsa_group_segment_fixed_size 0
		.amdhsa_private_segment_fixed_size 0
		.amdhsa_kernarg_size 56
		.amdhsa_user_sgpr_count 6
		.amdhsa_user_sgpr_private_segment_buffer 1
		.amdhsa_user_sgpr_dispatch_ptr 0
		.amdhsa_user_sgpr_queue_ptr 0
		.amdhsa_user_sgpr_kernarg_segment_ptr 1
		.amdhsa_user_sgpr_dispatch_id 0
		.amdhsa_user_sgpr_flat_scratch_init 0
		.amdhsa_user_sgpr_private_segment_size 0
		.amdhsa_wavefront_size32 1
		.amdhsa_uses_dynamic_stack 0
		.amdhsa_system_sgpr_private_segment_wavefront_offset 0
		.amdhsa_system_sgpr_workgroup_id_x 1
		.amdhsa_system_sgpr_workgroup_id_y 0
		.amdhsa_system_sgpr_workgroup_id_z 0
		.amdhsa_system_sgpr_workgroup_info 0
		.amdhsa_system_vgpr_workitem_id 0
		.amdhsa_next_free_vgpr 1
		.amdhsa_next_free_sgpr 1
		.amdhsa_reserve_vcc 0
		.amdhsa_reserve_flat_scratch 0
		.amdhsa_float_round_mode_32 0
		.amdhsa_float_round_mode_16_64 0
		.amdhsa_float_denorm_mode_32 3
		.amdhsa_float_denorm_mode_16_64 3
		.amdhsa_dx10_clamp 1
		.amdhsa_ieee_mode 1
		.amdhsa_fp16_overflow 0
		.amdhsa_workgroup_processor_mode 1
		.amdhsa_memory_ordered 1
		.amdhsa_forward_progress 1
		.amdhsa_shared_vgpr_count 0
		.amdhsa_exception_fp_ieee_invalid_op 0
		.amdhsa_exception_fp_denorm_src 0
		.amdhsa_exception_fp_ieee_div_zero 0
		.amdhsa_exception_fp_ieee_overflow 0
		.amdhsa_exception_fp_ieee_underflow 0
		.amdhsa_exception_fp_ieee_inexact 0
		.amdhsa_exception_int_div_zero 0
	.end_amdhsa_kernel
	.section	.text._ZN7rocprim17ROCPRIM_400000_NS6detail17trampoline_kernelINS0_14default_configENS1_27upper_bound_config_selectorIslEEZNS1_14transform_implILb0ES3_S5_N6thrust23THRUST_200600_302600_NS6detail15normal_iteratorINS8_7pointerIsNS8_11hip_rocprim5par_tENS8_11use_defaultESE_EEEENSA_INSB_IlSD_SE_SE_EEEEZNS1_13binary_searchIS3_S5_NSA_INS8_10device_ptrIsEEEESG_SI_NS1_21upper_bound_search_opENS9_16wrapped_functionINS8_6system6detail7generic6detail18binary_search_lessEbEEEE10hipError_tPvRmT1_T2_T3_mmT4_T5_P12ihipStream_tbEUlRKsE_EESV_SZ_S10_mS11_S14_bEUlT_E_NS1_11comp_targetILNS1_3genE5ELNS1_11target_archE942ELNS1_3gpuE9ELNS1_3repE0EEENS1_30default_config_static_selectorELNS0_4arch9wavefront6targetE0EEEvSY_,"axG",@progbits,_ZN7rocprim17ROCPRIM_400000_NS6detail17trampoline_kernelINS0_14default_configENS1_27upper_bound_config_selectorIslEEZNS1_14transform_implILb0ES3_S5_N6thrust23THRUST_200600_302600_NS6detail15normal_iteratorINS8_7pointerIsNS8_11hip_rocprim5par_tENS8_11use_defaultESE_EEEENSA_INSB_IlSD_SE_SE_EEEEZNS1_13binary_searchIS3_S5_NSA_INS8_10device_ptrIsEEEESG_SI_NS1_21upper_bound_search_opENS9_16wrapped_functionINS8_6system6detail7generic6detail18binary_search_lessEbEEEE10hipError_tPvRmT1_T2_T3_mmT4_T5_P12ihipStream_tbEUlRKsE_EESV_SZ_S10_mS11_S14_bEUlT_E_NS1_11comp_targetILNS1_3genE5ELNS1_11target_archE942ELNS1_3gpuE9ELNS1_3repE0EEENS1_30default_config_static_selectorELNS0_4arch9wavefront6targetE0EEEvSY_,comdat
.Lfunc_end591:
	.size	_ZN7rocprim17ROCPRIM_400000_NS6detail17trampoline_kernelINS0_14default_configENS1_27upper_bound_config_selectorIslEEZNS1_14transform_implILb0ES3_S5_N6thrust23THRUST_200600_302600_NS6detail15normal_iteratorINS8_7pointerIsNS8_11hip_rocprim5par_tENS8_11use_defaultESE_EEEENSA_INSB_IlSD_SE_SE_EEEEZNS1_13binary_searchIS3_S5_NSA_INS8_10device_ptrIsEEEESG_SI_NS1_21upper_bound_search_opENS9_16wrapped_functionINS8_6system6detail7generic6detail18binary_search_lessEbEEEE10hipError_tPvRmT1_T2_T3_mmT4_T5_P12ihipStream_tbEUlRKsE_EESV_SZ_S10_mS11_S14_bEUlT_E_NS1_11comp_targetILNS1_3genE5ELNS1_11target_archE942ELNS1_3gpuE9ELNS1_3repE0EEENS1_30default_config_static_selectorELNS0_4arch9wavefront6targetE0EEEvSY_, .Lfunc_end591-_ZN7rocprim17ROCPRIM_400000_NS6detail17trampoline_kernelINS0_14default_configENS1_27upper_bound_config_selectorIslEEZNS1_14transform_implILb0ES3_S5_N6thrust23THRUST_200600_302600_NS6detail15normal_iteratorINS8_7pointerIsNS8_11hip_rocprim5par_tENS8_11use_defaultESE_EEEENSA_INSB_IlSD_SE_SE_EEEEZNS1_13binary_searchIS3_S5_NSA_INS8_10device_ptrIsEEEESG_SI_NS1_21upper_bound_search_opENS9_16wrapped_functionINS8_6system6detail7generic6detail18binary_search_lessEbEEEE10hipError_tPvRmT1_T2_T3_mmT4_T5_P12ihipStream_tbEUlRKsE_EESV_SZ_S10_mS11_S14_bEUlT_E_NS1_11comp_targetILNS1_3genE5ELNS1_11target_archE942ELNS1_3gpuE9ELNS1_3repE0EEENS1_30default_config_static_selectorELNS0_4arch9wavefront6targetE0EEEvSY_
                                        ; -- End function
	.set _ZN7rocprim17ROCPRIM_400000_NS6detail17trampoline_kernelINS0_14default_configENS1_27upper_bound_config_selectorIslEEZNS1_14transform_implILb0ES3_S5_N6thrust23THRUST_200600_302600_NS6detail15normal_iteratorINS8_7pointerIsNS8_11hip_rocprim5par_tENS8_11use_defaultESE_EEEENSA_INSB_IlSD_SE_SE_EEEEZNS1_13binary_searchIS3_S5_NSA_INS8_10device_ptrIsEEEESG_SI_NS1_21upper_bound_search_opENS9_16wrapped_functionINS8_6system6detail7generic6detail18binary_search_lessEbEEEE10hipError_tPvRmT1_T2_T3_mmT4_T5_P12ihipStream_tbEUlRKsE_EESV_SZ_S10_mS11_S14_bEUlT_E_NS1_11comp_targetILNS1_3genE5ELNS1_11target_archE942ELNS1_3gpuE9ELNS1_3repE0EEENS1_30default_config_static_selectorELNS0_4arch9wavefront6targetE0EEEvSY_.num_vgpr, 0
	.set _ZN7rocprim17ROCPRIM_400000_NS6detail17trampoline_kernelINS0_14default_configENS1_27upper_bound_config_selectorIslEEZNS1_14transform_implILb0ES3_S5_N6thrust23THRUST_200600_302600_NS6detail15normal_iteratorINS8_7pointerIsNS8_11hip_rocprim5par_tENS8_11use_defaultESE_EEEENSA_INSB_IlSD_SE_SE_EEEEZNS1_13binary_searchIS3_S5_NSA_INS8_10device_ptrIsEEEESG_SI_NS1_21upper_bound_search_opENS9_16wrapped_functionINS8_6system6detail7generic6detail18binary_search_lessEbEEEE10hipError_tPvRmT1_T2_T3_mmT4_T5_P12ihipStream_tbEUlRKsE_EESV_SZ_S10_mS11_S14_bEUlT_E_NS1_11comp_targetILNS1_3genE5ELNS1_11target_archE942ELNS1_3gpuE9ELNS1_3repE0EEENS1_30default_config_static_selectorELNS0_4arch9wavefront6targetE0EEEvSY_.num_agpr, 0
	.set _ZN7rocprim17ROCPRIM_400000_NS6detail17trampoline_kernelINS0_14default_configENS1_27upper_bound_config_selectorIslEEZNS1_14transform_implILb0ES3_S5_N6thrust23THRUST_200600_302600_NS6detail15normal_iteratorINS8_7pointerIsNS8_11hip_rocprim5par_tENS8_11use_defaultESE_EEEENSA_INSB_IlSD_SE_SE_EEEEZNS1_13binary_searchIS3_S5_NSA_INS8_10device_ptrIsEEEESG_SI_NS1_21upper_bound_search_opENS9_16wrapped_functionINS8_6system6detail7generic6detail18binary_search_lessEbEEEE10hipError_tPvRmT1_T2_T3_mmT4_T5_P12ihipStream_tbEUlRKsE_EESV_SZ_S10_mS11_S14_bEUlT_E_NS1_11comp_targetILNS1_3genE5ELNS1_11target_archE942ELNS1_3gpuE9ELNS1_3repE0EEENS1_30default_config_static_selectorELNS0_4arch9wavefront6targetE0EEEvSY_.numbered_sgpr, 0
	.set _ZN7rocprim17ROCPRIM_400000_NS6detail17trampoline_kernelINS0_14default_configENS1_27upper_bound_config_selectorIslEEZNS1_14transform_implILb0ES3_S5_N6thrust23THRUST_200600_302600_NS6detail15normal_iteratorINS8_7pointerIsNS8_11hip_rocprim5par_tENS8_11use_defaultESE_EEEENSA_INSB_IlSD_SE_SE_EEEEZNS1_13binary_searchIS3_S5_NSA_INS8_10device_ptrIsEEEESG_SI_NS1_21upper_bound_search_opENS9_16wrapped_functionINS8_6system6detail7generic6detail18binary_search_lessEbEEEE10hipError_tPvRmT1_T2_T3_mmT4_T5_P12ihipStream_tbEUlRKsE_EESV_SZ_S10_mS11_S14_bEUlT_E_NS1_11comp_targetILNS1_3genE5ELNS1_11target_archE942ELNS1_3gpuE9ELNS1_3repE0EEENS1_30default_config_static_selectorELNS0_4arch9wavefront6targetE0EEEvSY_.num_named_barrier, 0
	.set _ZN7rocprim17ROCPRIM_400000_NS6detail17trampoline_kernelINS0_14default_configENS1_27upper_bound_config_selectorIslEEZNS1_14transform_implILb0ES3_S5_N6thrust23THRUST_200600_302600_NS6detail15normal_iteratorINS8_7pointerIsNS8_11hip_rocprim5par_tENS8_11use_defaultESE_EEEENSA_INSB_IlSD_SE_SE_EEEEZNS1_13binary_searchIS3_S5_NSA_INS8_10device_ptrIsEEEESG_SI_NS1_21upper_bound_search_opENS9_16wrapped_functionINS8_6system6detail7generic6detail18binary_search_lessEbEEEE10hipError_tPvRmT1_T2_T3_mmT4_T5_P12ihipStream_tbEUlRKsE_EESV_SZ_S10_mS11_S14_bEUlT_E_NS1_11comp_targetILNS1_3genE5ELNS1_11target_archE942ELNS1_3gpuE9ELNS1_3repE0EEENS1_30default_config_static_selectorELNS0_4arch9wavefront6targetE0EEEvSY_.private_seg_size, 0
	.set _ZN7rocprim17ROCPRIM_400000_NS6detail17trampoline_kernelINS0_14default_configENS1_27upper_bound_config_selectorIslEEZNS1_14transform_implILb0ES3_S5_N6thrust23THRUST_200600_302600_NS6detail15normal_iteratorINS8_7pointerIsNS8_11hip_rocprim5par_tENS8_11use_defaultESE_EEEENSA_INSB_IlSD_SE_SE_EEEEZNS1_13binary_searchIS3_S5_NSA_INS8_10device_ptrIsEEEESG_SI_NS1_21upper_bound_search_opENS9_16wrapped_functionINS8_6system6detail7generic6detail18binary_search_lessEbEEEE10hipError_tPvRmT1_T2_T3_mmT4_T5_P12ihipStream_tbEUlRKsE_EESV_SZ_S10_mS11_S14_bEUlT_E_NS1_11comp_targetILNS1_3genE5ELNS1_11target_archE942ELNS1_3gpuE9ELNS1_3repE0EEENS1_30default_config_static_selectorELNS0_4arch9wavefront6targetE0EEEvSY_.uses_vcc, 0
	.set _ZN7rocprim17ROCPRIM_400000_NS6detail17trampoline_kernelINS0_14default_configENS1_27upper_bound_config_selectorIslEEZNS1_14transform_implILb0ES3_S5_N6thrust23THRUST_200600_302600_NS6detail15normal_iteratorINS8_7pointerIsNS8_11hip_rocprim5par_tENS8_11use_defaultESE_EEEENSA_INSB_IlSD_SE_SE_EEEEZNS1_13binary_searchIS3_S5_NSA_INS8_10device_ptrIsEEEESG_SI_NS1_21upper_bound_search_opENS9_16wrapped_functionINS8_6system6detail7generic6detail18binary_search_lessEbEEEE10hipError_tPvRmT1_T2_T3_mmT4_T5_P12ihipStream_tbEUlRKsE_EESV_SZ_S10_mS11_S14_bEUlT_E_NS1_11comp_targetILNS1_3genE5ELNS1_11target_archE942ELNS1_3gpuE9ELNS1_3repE0EEENS1_30default_config_static_selectorELNS0_4arch9wavefront6targetE0EEEvSY_.uses_flat_scratch, 0
	.set _ZN7rocprim17ROCPRIM_400000_NS6detail17trampoline_kernelINS0_14default_configENS1_27upper_bound_config_selectorIslEEZNS1_14transform_implILb0ES3_S5_N6thrust23THRUST_200600_302600_NS6detail15normal_iteratorINS8_7pointerIsNS8_11hip_rocprim5par_tENS8_11use_defaultESE_EEEENSA_INSB_IlSD_SE_SE_EEEEZNS1_13binary_searchIS3_S5_NSA_INS8_10device_ptrIsEEEESG_SI_NS1_21upper_bound_search_opENS9_16wrapped_functionINS8_6system6detail7generic6detail18binary_search_lessEbEEEE10hipError_tPvRmT1_T2_T3_mmT4_T5_P12ihipStream_tbEUlRKsE_EESV_SZ_S10_mS11_S14_bEUlT_E_NS1_11comp_targetILNS1_3genE5ELNS1_11target_archE942ELNS1_3gpuE9ELNS1_3repE0EEENS1_30default_config_static_selectorELNS0_4arch9wavefront6targetE0EEEvSY_.has_dyn_sized_stack, 0
	.set _ZN7rocprim17ROCPRIM_400000_NS6detail17trampoline_kernelINS0_14default_configENS1_27upper_bound_config_selectorIslEEZNS1_14transform_implILb0ES3_S5_N6thrust23THRUST_200600_302600_NS6detail15normal_iteratorINS8_7pointerIsNS8_11hip_rocprim5par_tENS8_11use_defaultESE_EEEENSA_INSB_IlSD_SE_SE_EEEEZNS1_13binary_searchIS3_S5_NSA_INS8_10device_ptrIsEEEESG_SI_NS1_21upper_bound_search_opENS9_16wrapped_functionINS8_6system6detail7generic6detail18binary_search_lessEbEEEE10hipError_tPvRmT1_T2_T3_mmT4_T5_P12ihipStream_tbEUlRKsE_EESV_SZ_S10_mS11_S14_bEUlT_E_NS1_11comp_targetILNS1_3genE5ELNS1_11target_archE942ELNS1_3gpuE9ELNS1_3repE0EEENS1_30default_config_static_selectorELNS0_4arch9wavefront6targetE0EEEvSY_.has_recursion, 0
	.set _ZN7rocprim17ROCPRIM_400000_NS6detail17trampoline_kernelINS0_14default_configENS1_27upper_bound_config_selectorIslEEZNS1_14transform_implILb0ES3_S5_N6thrust23THRUST_200600_302600_NS6detail15normal_iteratorINS8_7pointerIsNS8_11hip_rocprim5par_tENS8_11use_defaultESE_EEEENSA_INSB_IlSD_SE_SE_EEEEZNS1_13binary_searchIS3_S5_NSA_INS8_10device_ptrIsEEEESG_SI_NS1_21upper_bound_search_opENS9_16wrapped_functionINS8_6system6detail7generic6detail18binary_search_lessEbEEEE10hipError_tPvRmT1_T2_T3_mmT4_T5_P12ihipStream_tbEUlRKsE_EESV_SZ_S10_mS11_S14_bEUlT_E_NS1_11comp_targetILNS1_3genE5ELNS1_11target_archE942ELNS1_3gpuE9ELNS1_3repE0EEENS1_30default_config_static_selectorELNS0_4arch9wavefront6targetE0EEEvSY_.has_indirect_call, 0
	.section	.AMDGPU.csdata,"",@progbits
; Kernel info:
; codeLenInByte = 0
; TotalNumSgprs: 0
; NumVgprs: 0
; ScratchSize: 0
; MemoryBound: 0
; FloatMode: 240
; IeeeMode: 1
; LDSByteSize: 0 bytes/workgroup (compile time only)
; SGPRBlocks: 0
; VGPRBlocks: 0
; NumSGPRsForWavesPerEU: 1
; NumVGPRsForWavesPerEU: 1
; Occupancy: 16
; WaveLimiterHint : 0
; COMPUTE_PGM_RSRC2:SCRATCH_EN: 0
; COMPUTE_PGM_RSRC2:USER_SGPR: 6
; COMPUTE_PGM_RSRC2:TRAP_HANDLER: 0
; COMPUTE_PGM_RSRC2:TGID_X_EN: 1
; COMPUTE_PGM_RSRC2:TGID_Y_EN: 0
; COMPUTE_PGM_RSRC2:TGID_Z_EN: 0
; COMPUTE_PGM_RSRC2:TIDIG_COMP_CNT: 0
	.section	.text._ZN7rocprim17ROCPRIM_400000_NS6detail17trampoline_kernelINS0_14default_configENS1_27upper_bound_config_selectorIslEEZNS1_14transform_implILb0ES3_S5_N6thrust23THRUST_200600_302600_NS6detail15normal_iteratorINS8_7pointerIsNS8_11hip_rocprim5par_tENS8_11use_defaultESE_EEEENSA_INSB_IlSD_SE_SE_EEEEZNS1_13binary_searchIS3_S5_NSA_INS8_10device_ptrIsEEEESG_SI_NS1_21upper_bound_search_opENS9_16wrapped_functionINS8_6system6detail7generic6detail18binary_search_lessEbEEEE10hipError_tPvRmT1_T2_T3_mmT4_T5_P12ihipStream_tbEUlRKsE_EESV_SZ_S10_mS11_S14_bEUlT_E_NS1_11comp_targetILNS1_3genE4ELNS1_11target_archE910ELNS1_3gpuE8ELNS1_3repE0EEENS1_30default_config_static_selectorELNS0_4arch9wavefront6targetE0EEEvSY_,"axG",@progbits,_ZN7rocprim17ROCPRIM_400000_NS6detail17trampoline_kernelINS0_14default_configENS1_27upper_bound_config_selectorIslEEZNS1_14transform_implILb0ES3_S5_N6thrust23THRUST_200600_302600_NS6detail15normal_iteratorINS8_7pointerIsNS8_11hip_rocprim5par_tENS8_11use_defaultESE_EEEENSA_INSB_IlSD_SE_SE_EEEEZNS1_13binary_searchIS3_S5_NSA_INS8_10device_ptrIsEEEESG_SI_NS1_21upper_bound_search_opENS9_16wrapped_functionINS8_6system6detail7generic6detail18binary_search_lessEbEEEE10hipError_tPvRmT1_T2_T3_mmT4_T5_P12ihipStream_tbEUlRKsE_EESV_SZ_S10_mS11_S14_bEUlT_E_NS1_11comp_targetILNS1_3genE4ELNS1_11target_archE910ELNS1_3gpuE8ELNS1_3repE0EEENS1_30default_config_static_selectorELNS0_4arch9wavefront6targetE0EEEvSY_,comdat
	.protected	_ZN7rocprim17ROCPRIM_400000_NS6detail17trampoline_kernelINS0_14default_configENS1_27upper_bound_config_selectorIslEEZNS1_14transform_implILb0ES3_S5_N6thrust23THRUST_200600_302600_NS6detail15normal_iteratorINS8_7pointerIsNS8_11hip_rocprim5par_tENS8_11use_defaultESE_EEEENSA_INSB_IlSD_SE_SE_EEEEZNS1_13binary_searchIS3_S5_NSA_INS8_10device_ptrIsEEEESG_SI_NS1_21upper_bound_search_opENS9_16wrapped_functionINS8_6system6detail7generic6detail18binary_search_lessEbEEEE10hipError_tPvRmT1_T2_T3_mmT4_T5_P12ihipStream_tbEUlRKsE_EESV_SZ_S10_mS11_S14_bEUlT_E_NS1_11comp_targetILNS1_3genE4ELNS1_11target_archE910ELNS1_3gpuE8ELNS1_3repE0EEENS1_30default_config_static_selectorELNS0_4arch9wavefront6targetE0EEEvSY_ ; -- Begin function _ZN7rocprim17ROCPRIM_400000_NS6detail17trampoline_kernelINS0_14default_configENS1_27upper_bound_config_selectorIslEEZNS1_14transform_implILb0ES3_S5_N6thrust23THRUST_200600_302600_NS6detail15normal_iteratorINS8_7pointerIsNS8_11hip_rocprim5par_tENS8_11use_defaultESE_EEEENSA_INSB_IlSD_SE_SE_EEEEZNS1_13binary_searchIS3_S5_NSA_INS8_10device_ptrIsEEEESG_SI_NS1_21upper_bound_search_opENS9_16wrapped_functionINS8_6system6detail7generic6detail18binary_search_lessEbEEEE10hipError_tPvRmT1_T2_T3_mmT4_T5_P12ihipStream_tbEUlRKsE_EESV_SZ_S10_mS11_S14_bEUlT_E_NS1_11comp_targetILNS1_3genE4ELNS1_11target_archE910ELNS1_3gpuE8ELNS1_3repE0EEENS1_30default_config_static_selectorELNS0_4arch9wavefront6targetE0EEEvSY_
	.globl	_ZN7rocprim17ROCPRIM_400000_NS6detail17trampoline_kernelINS0_14default_configENS1_27upper_bound_config_selectorIslEEZNS1_14transform_implILb0ES3_S5_N6thrust23THRUST_200600_302600_NS6detail15normal_iteratorINS8_7pointerIsNS8_11hip_rocprim5par_tENS8_11use_defaultESE_EEEENSA_INSB_IlSD_SE_SE_EEEEZNS1_13binary_searchIS3_S5_NSA_INS8_10device_ptrIsEEEESG_SI_NS1_21upper_bound_search_opENS9_16wrapped_functionINS8_6system6detail7generic6detail18binary_search_lessEbEEEE10hipError_tPvRmT1_T2_T3_mmT4_T5_P12ihipStream_tbEUlRKsE_EESV_SZ_S10_mS11_S14_bEUlT_E_NS1_11comp_targetILNS1_3genE4ELNS1_11target_archE910ELNS1_3gpuE8ELNS1_3repE0EEENS1_30default_config_static_selectorELNS0_4arch9wavefront6targetE0EEEvSY_
	.p2align	8
	.type	_ZN7rocprim17ROCPRIM_400000_NS6detail17trampoline_kernelINS0_14default_configENS1_27upper_bound_config_selectorIslEEZNS1_14transform_implILb0ES3_S5_N6thrust23THRUST_200600_302600_NS6detail15normal_iteratorINS8_7pointerIsNS8_11hip_rocprim5par_tENS8_11use_defaultESE_EEEENSA_INSB_IlSD_SE_SE_EEEEZNS1_13binary_searchIS3_S5_NSA_INS8_10device_ptrIsEEEESG_SI_NS1_21upper_bound_search_opENS9_16wrapped_functionINS8_6system6detail7generic6detail18binary_search_lessEbEEEE10hipError_tPvRmT1_T2_T3_mmT4_T5_P12ihipStream_tbEUlRKsE_EESV_SZ_S10_mS11_S14_bEUlT_E_NS1_11comp_targetILNS1_3genE4ELNS1_11target_archE910ELNS1_3gpuE8ELNS1_3repE0EEENS1_30default_config_static_selectorELNS0_4arch9wavefront6targetE0EEEvSY_,@function
_ZN7rocprim17ROCPRIM_400000_NS6detail17trampoline_kernelINS0_14default_configENS1_27upper_bound_config_selectorIslEEZNS1_14transform_implILb0ES3_S5_N6thrust23THRUST_200600_302600_NS6detail15normal_iteratorINS8_7pointerIsNS8_11hip_rocprim5par_tENS8_11use_defaultESE_EEEENSA_INSB_IlSD_SE_SE_EEEEZNS1_13binary_searchIS3_S5_NSA_INS8_10device_ptrIsEEEESG_SI_NS1_21upper_bound_search_opENS9_16wrapped_functionINS8_6system6detail7generic6detail18binary_search_lessEbEEEE10hipError_tPvRmT1_T2_T3_mmT4_T5_P12ihipStream_tbEUlRKsE_EESV_SZ_S10_mS11_S14_bEUlT_E_NS1_11comp_targetILNS1_3genE4ELNS1_11target_archE910ELNS1_3gpuE8ELNS1_3repE0EEENS1_30default_config_static_selectorELNS0_4arch9wavefront6targetE0EEEvSY_: ; @_ZN7rocprim17ROCPRIM_400000_NS6detail17trampoline_kernelINS0_14default_configENS1_27upper_bound_config_selectorIslEEZNS1_14transform_implILb0ES3_S5_N6thrust23THRUST_200600_302600_NS6detail15normal_iteratorINS8_7pointerIsNS8_11hip_rocprim5par_tENS8_11use_defaultESE_EEEENSA_INSB_IlSD_SE_SE_EEEEZNS1_13binary_searchIS3_S5_NSA_INS8_10device_ptrIsEEEESG_SI_NS1_21upper_bound_search_opENS9_16wrapped_functionINS8_6system6detail7generic6detail18binary_search_lessEbEEEE10hipError_tPvRmT1_T2_T3_mmT4_T5_P12ihipStream_tbEUlRKsE_EESV_SZ_S10_mS11_S14_bEUlT_E_NS1_11comp_targetILNS1_3genE4ELNS1_11target_archE910ELNS1_3gpuE8ELNS1_3repE0EEENS1_30default_config_static_selectorELNS0_4arch9wavefront6targetE0EEEvSY_
; %bb.0:
	.section	.rodata,"a",@progbits
	.p2align	6, 0x0
	.amdhsa_kernel _ZN7rocprim17ROCPRIM_400000_NS6detail17trampoline_kernelINS0_14default_configENS1_27upper_bound_config_selectorIslEEZNS1_14transform_implILb0ES3_S5_N6thrust23THRUST_200600_302600_NS6detail15normal_iteratorINS8_7pointerIsNS8_11hip_rocprim5par_tENS8_11use_defaultESE_EEEENSA_INSB_IlSD_SE_SE_EEEEZNS1_13binary_searchIS3_S5_NSA_INS8_10device_ptrIsEEEESG_SI_NS1_21upper_bound_search_opENS9_16wrapped_functionINS8_6system6detail7generic6detail18binary_search_lessEbEEEE10hipError_tPvRmT1_T2_T3_mmT4_T5_P12ihipStream_tbEUlRKsE_EESV_SZ_S10_mS11_S14_bEUlT_E_NS1_11comp_targetILNS1_3genE4ELNS1_11target_archE910ELNS1_3gpuE8ELNS1_3repE0EEENS1_30default_config_static_selectorELNS0_4arch9wavefront6targetE0EEEvSY_
		.amdhsa_group_segment_fixed_size 0
		.amdhsa_private_segment_fixed_size 0
		.amdhsa_kernarg_size 56
		.amdhsa_user_sgpr_count 6
		.amdhsa_user_sgpr_private_segment_buffer 1
		.amdhsa_user_sgpr_dispatch_ptr 0
		.amdhsa_user_sgpr_queue_ptr 0
		.amdhsa_user_sgpr_kernarg_segment_ptr 1
		.amdhsa_user_sgpr_dispatch_id 0
		.amdhsa_user_sgpr_flat_scratch_init 0
		.amdhsa_user_sgpr_private_segment_size 0
		.amdhsa_wavefront_size32 1
		.amdhsa_uses_dynamic_stack 0
		.amdhsa_system_sgpr_private_segment_wavefront_offset 0
		.amdhsa_system_sgpr_workgroup_id_x 1
		.amdhsa_system_sgpr_workgroup_id_y 0
		.amdhsa_system_sgpr_workgroup_id_z 0
		.amdhsa_system_sgpr_workgroup_info 0
		.amdhsa_system_vgpr_workitem_id 0
		.amdhsa_next_free_vgpr 1
		.amdhsa_next_free_sgpr 1
		.amdhsa_reserve_vcc 0
		.amdhsa_reserve_flat_scratch 0
		.amdhsa_float_round_mode_32 0
		.amdhsa_float_round_mode_16_64 0
		.amdhsa_float_denorm_mode_32 3
		.amdhsa_float_denorm_mode_16_64 3
		.amdhsa_dx10_clamp 1
		.amdhsa_ieee_mode 1
		.amdhsa_fp16_overflow 0
		.amdhsa_workgroup_processor_mode 1
		.amdhsa_memory_ordered 1
		.amdhsa_forward_progress 1
		.amdhsa_shared_vgpr_count 0
		.amdhsa_exception_fp_ieee_invalid_op 0
		.amdhsa_exception_fp_denorm_src 0
		.amdhsa_exception_fp_ieee_div_zero 0
		.amdhsa_exception_fp_ieee_overflow 0
		.amdhsa_exception_fp_ieee_underflow 0
		.amdhsa_exception_fp_ieee_inexact 0
		.amdhsa_exception_int_div_zero 0
	.end_amdhsa_kernel
	.section	.text._ZN7rocprim17ROCPRIM_400000_NS6detail17trampoline_kernelINS0_14default_configENS1_27upper_bound_config_selectorIslEEZNS1_14transform_implILb0ES3_S5_N6thrust23THRUST_200600_302600_NS6detail15normal_iteratorINS8_7pointerIsNS8_11hip_rocprim5par_tENS8_11use_defaultESE_EEEENSA_INSB_IlSD_SE_SE_EEEEZNS1_13binary_searchIS3_S5_NSA_INS8_10device_ptrIsEEEESG_SI_NS1_21upper_bound_search_opENS9_16wrapped_functionINS8_6system6detail7generic6detail18binary_search_lessEbEEEE10hipError_tPvRmT1_T2_T3_mmT4_T5_P12ihipStream_tbEUlRKsE_EESV_SZ_S10_mS11_S14_bEUlT_E_NS1_11comp_targetILNS1_3genE4ELNS1_11target_archE910ELNS1_3gpuE8ELNS1_3repE0EEENS1_30default_config_static_selectorELNS0_4arch9wavefront6targetE0EEEvSY_,"axG",@progbits,_ZN7rocprim17ROCPRIM_400000_NS6detail17trampoline_kernelINS0_14default_configENS1_27upper_bound_config_selectorIslEEZNS1_14transform_implILb0ES3_S5_N6thrust23THRUST_200600_302600_NS6detail15normal_iteratorINS8_7pointerIsNS8_11hip_rocprim5par_tENS8_11use_defaultESE_EEEENSA_INSB_IlSD_SE_SE_EEEEZNS1_13binary_searchIS3_S5_NSA_INS8_10device_ptrIsEEEESG_SI_NS1_21upper_bound_search_opENS9_16wrapped_functionINS8_6system6detail7generic6detail18binary_search_lessEbEEEE10hipError_tPvRmT1_T2_T3_mmT4_T5_P12ihipStream_tbEUlRKsE_EESV_SZ_S10_mS11_S14_bEUlT_E_NS1_11comp_targetILNS1_3genE4ELNS1_11target_archE910ELNS1_3gpuE8ELNS1_3repE0EEENS1_30default_config_static_selectorELNS0_4arch9wavefront6targetE0EEEvSY_,comdat
.Lfunc_end592:
	.size	_ZN7rocprim17ROCPRIM_400000_NS6detail17trampoline_kernelINS0_14default_configENS1_27upper_bound_config_selectorIslEEZNS1_14transform_implILb0ES3_S5_N6thrust23THRUST_200600_302600_NS6detail15normal_iteratorINS8_7pointerIsNS8_11hip_rocprim5par_tENS8_11use_defaultESE_EEEENSA_INSB_IlSD_SE_SE_EEEEZNS1_13binary_searchIS3_S5_NSA_INS8_10device_ptrIsEEEESG_SI_NS1_21upper_bound_search_opENS9_16wrapped_functionINS8_6system6detail7generic6detail18binary_search_lessEbEEEE10hipError_tPvRmT1_T2_T3_mmT4_T5_P12ihipStream_tbEUlRKsE_EESV_SZ_S10_mS11_S14_bEUlT_E_NS1_11comp_targetILNS1_3genE4ELNS1_11target_archE910ELNS1_3gpuE8ELNS1_3repE0EEENS1_30default_config_static_selectorELNS0_4arch9wavefront6targetE0EEEvSY_, .Lfunc_end592-_ZN7rocprim17ROCPRIM_400000_NS6detail17trampoline_kernelINS0_14default_configENS1_27upper_bound_config_selectorIslEEZNS1_14transform_implILb0ES3_S5_N6thrust23THRUST_200600_302600_NS6detail15normal_iteratorINS8_7pointerIsNS8_11hip_rocprim5par_tENS8_11use_defaultESE_EEEENSA_INSB_IlSD_SE_SE_EEEEZNS1_13binary_searchIS3_S5_NSA_INS8_10device_ptrIsEEEESG_SI_NS1_21upper_bound_search_opENS9_16wrapped_functionINS8_6system6detail7generic6detail18binary_search_lessEbEEEE10hipError_tPvRmT1_T2_T3_mmT4_T5_P12ihipStream_tbEUlRKsE_EESV_SZ_S10_mS11_S14_bEUlT_E_NS1_11comp_targetILNS1_3genE4ELNS1_11target_archE910ELNS1_3gpuE8ELNS1_3repE0EEENS1_30default_config_static_selectorELNS0_4arch9wavefront6targetE0EEEvSY_
                                        ; -- End function
	.set _ZN7rocprim17ROCPRIM_400000_NS6detail17trampoline_kernelINS0_14default_configENS1_27upper_bound_config_selectorIslEEZNS1_14transform_implILb0ES3_S5_N6thrust23THRUST_200600_302600_NS6detail15normal_iteratorINS8_7pointerIsNS8_11hip_rocprim5par_tENS8_11use_defaultESE_EEEENSA_INSB_IlSD_SE_SE_EEEEZNS1_13binary_searchIS3_S5_NSA_INS8_10device_ptrIsEEEESG_SI_NS1_21upper_bound_search_opENS9_16wrapped_functionINS8_6system6detail7generic6detail18binary_search_lessEbEEEE10hipError_tPvRmT1_T2_T3_mmT4_T5_P12ihipStream_tbEUlRKsE_EESV_SZ_S10_mS11_S14_bEUlT_E_NS1_11comp_targetILNS1_3genE4ELNS1_11target_archE910ELNS1_3gpuE8ELNS1_3repE0EEENS1_30default_config_static_selectorELNS0_4arch9wavefront6targetE0EEEvSY_.num_vgpr, 0
	.set _ZN7rocprim17ROCPRIM_400000_NS6detail17trampoline_kernelINS0_14default_configENS1_27upper_bound_config_selectorIslEEZNS1_14transform_implILb0ES3_S5_N6thrust23THRUST_200600_302600_NS6detail15normal_iteratorINS8_7pointerIsNS8_11hip_rocprim5par_tENS8_11use_defaultESE_EEEENSA_INSB_IlSD_SE_SE_EEEEZNS1_13binary_searchIS3_S5_NSA_INS8_10device_ptrIsEEEESG_SI_NS1_21upper_bound_search_opENS9_16wrapped_functionINS8_6system6detail7generic6detail18binary_search_lessEbEEEE10hipError_tPvRmT1_T2_T3_mmT4_T5_P12ihipStream_tbEUlRKsE_EESV_SZ_S10_mS11_S14_bEUlT_E_NS1_11comp_targetILNS1_3genE4ELNS1_11target_archE910ELNS1_3gpuE8ELNS1_3repE0EEENS1_30default_config_static_selectorELNS0_4arch9wavefront6targetE0EEEvSY_.num_agpr, 0
	.set _ZN7rocprim17ROCPRIM_400000_NS6detail17trampoline_kernelINS0_14default_configENS1_27upper_bound_config_selectorIslEEZNS1_14transform_implILb0ES3_S5_N6thrust23THRUST_200600_302600_NS6detail15normal_iteratorINS8_7pointerIsNS8_11hip_rocprim5par_tENS8_11use_defaultESE_EEEENSA_INSB_IlSD_SE_SE_EEEEZNS1_13binary_searchIS3_S5_NSA_INS8_10device_ptrIsEEEESG_SI_NS1_21upper_bound_search_opENS9_16wrapped_functionINS8_6system6detail7generic6detail18binary_search_lessEbEEEE10hipError_tPvRmT1_T2_T3_mmT4_T5_P12ihipStream_tbEUlRKsE_EESV_SZ_S10_mS11_S14_bEUlT_E_NS1_11comp_targetILNS1_3genE4ELNS1_11target_archE910ELNS1_3gpuE8ELNS1_3repE0EEENS1_30default_config_static_selectorELNS0_4arch9wavefront6targetE0EEEvSY_.numbered_sgpr, 0
	.set _ZN7rocprim17ROCPRIM_400000_NS6detail17trampoline_kernelINS0_14default_configENS1_27upper_bound_config_selectorIslEEZNS1_14transform_implILb0ES3_S5_N6thrust23THRUST_200600_302600_NS6detail15normal_iteratorINS8_7pointerIsNS8_11hip_rocprim5par_tENS8_11use_defaultESE_EEEENSA_INSB_IlSD_SE_SE_EEEEZNS1_13binary_searchIS3_S5_NSA_INS8_10device_ptrIsEEEESG_SI_NS1_21upper_bound_search_opENS9_16wrapped_functionINS8_6system6detail7generic6detail18binary_search_lessEbEEEE10hipError_tPvRmT1_T2_T3_mmT4_T5_P12ihipStream_tbEUlRKsE_EESV_SZ_S10_mS11_S14_bEUlT_E_NS1_11comp_targetILNS1_3genE4ELNS1_11target_archE910ELNS1_3gpuE8ELNS1_3repE0EEENS1_30default_config_static_selectorELNS0_4arch9wavefront6targetE0EEEvSY_.num_named_barrier, 0
	.set _ZN7rocprim17ROCPRIM_400000_NS6detail17trampoline_kernelINS0_14default_configENS1_27upper_bound_config_selectorIslEEZNS1_14transform_implILb0ES3_S5_N6thrust23THRUST_200600_302600_NS6detail15normal_iteratorINS8_7pointerIsNS8_11hip_rocprim5par_tENS8_11use_defaultESE_EEEENSA_INSB_IlSD_SE_SE_EEEEZNS1_13binary_searchIS3_S5_NSA_INS8_10device_ptrIsEEEESG_SI_NS1_21upper_bound_search_opENS9_16wrapped_functionINS8_6system6detail7generic6detail18binary_search_lessEbEEEE10hipError_tPvRmT1_T2_T3_mmT4_T5_P12ihipStream_tbEUlRKsE_EESV_SZ_S10_mS11_S14_bEUlT_E_NS1_11comp_targetILNS1_3genE4ELNS1_11target_archE910ELNS1_3gpuE8ELNS1_3repE0EEENS1_30default_config_static_selectorELNS0_4arch9wavefront6targetE0EEEvSY_.private_seg_size, 0
	.set _ZN7rocprim17ROCPRIM_400000_NS6detail17trampoline_kernelINS0_14default_configENS1_27upper_bound_config_selectorIslEEZNS1_14transform_implILb0ES3_S5_N6thrust23THRUST_200600_302600_NS6detail15normal_iteratorINS8_7pointerIsNS8_11hip_rocprim5par_tENS8_11use_defaultESE_EEEENSA_INSB_IlSD_SE_SE_EEEEZNS1_13binary_searchIS3_S5_NSA_INS8_10device_ptrIsEEEESG_SI_NS1_21upper_bound_search_opENS9_16wrapped_functionINS8_6system6detail7generic6detail18binary_search_lessEbEEEE10hipError_tPvRmT1_T2_T3_mmT4_T5_P12ihipStream_tbEUlRKsE_EESV_SZ_S10_mS11_S14_bEUlT_E_NS1_11comp_targetILNS1_3genE4ELNS1_11target_archE910ELNS1_3gpuE8ELNS1_3repE0EEENS1_30default_config_static_selectorELNS0_4arch9wavefront6targetE0EEEvSY_.uses_vcc, 0
	.set _ZN7rocprim17ROCPRIM_400000_NS6detail17trampoline_kernelINS0_14default_configENS1_27upper_bound_config_selectorIslEEZNS1_14transform_implILb0ES3_S5_N6thrust23THRUST_200600_302600_NS6detail15normal_iteratorINS8_7pointerIsNS8_11hip_rocprim5par_tENS8_11use_defaultESE_EEEENSA_INSB_IlSD_SE_SE_EEEEZNS1_13binary_searchIS3_S5_NSA_INS8_10device_ptrIsEEEESG_SI_NS1_21upper_bound_search_opENS9_16wrapped_functionINS8_6system6detail7generic6detail18binary_search_lessEbEEEE10hipError_tPvRmT1_T2_T3_mmT4_T5_P12ihipStream_tbEUlRKsE_EESV_SZ_S10_mS11_S14_bEUlT_E_NS1_11comp_targetILNS1_3genE4ELNS1_11target_archE910ELNS1_3gpuE8ELNS1_3repE0EEENS1_30default_config_static_selectorELNS0_4arch9wavefront6targetE0EEEvSY_.uses_flat_scratch, 0
	.set _ZN7rocprim17ROCPRIM_400000_NS6detail17trampoline_kernelINS0_14default_configENS1_27upper_bound_config_selectorIslEEZNS1_14transform_implILb0ES3_S5_N6thrust23THRUST_200600_302600_NS6detail15normal_iteratorINS8_7pointerIsNS8_11hip_rocprim5par_tENS8_11use_defaultESE_EEEENSA_INSB_IlSD_SE_SE_EEEEZNS1_13binary_searchIS3_S5_NSA_INS8_10device_ptrIsEEEESG_SI_NS1_21upper_bound_search_opENS9_16wrapped_functionINS8_6system6detail7generic6detail18binary_search_lessEbEEEE10hipError_tPvRmT1_T2_T3_mmT4_T5_P12ihipStream_tbEUlRKsE_EESV_SZ_S10_mS11_S14_bEUlT_E_NS1_11comp_targetILNS1_3genE4ELNS1_11target_archE910ELNS1_3gpuE8ELNS1_3repE0EEENS1_30default_config_static_selectorELNS0_4arch9wavefront6targetE0EEEvSY_.has_dyn_sized_stack, 0
	.set _ZN7rocprim17ROCPRIM_400000_NS6detail17trampoline_kernelINS0_14default_configENS1_27upper_bound_config_selectorIslEEZNS1_14transform_implILb0ES3_S5_N6thrust23THRUST_200600_302600_NS6detail15normal_iteratorINS8_7pointerIsNS8_11hip_rocprim5par_tENS8_11use_defaultESE_EEEENSA_INSB_IlSD_SE_SE_EEEEZNS1_13binary_searchIS3_S5_NSA_INS8_10device_ptrIsEEEESG_SI_NS1_21upper_bound_search_opENS9_16wrapped_functionINS8_6system6detail7generic6detail18binary_search_lessEbEEEE10hipError_tPvRmT1_T2_T3_mmT4_T5_P12ihipStream_tbEUlRKsE_EESV_SZ_S10_mS11_S14_bEUlT_E_NS1_11comp_targetILNS1_3genE4ELNS1_11target_archE910ELNS1_3gpuE8ELNS1_3repE0EEENS1_30default_config_static_selectorELNS0_4arch9wavefront6targetE0EEEvSY_.has_recursion, 0
	.set _ZN7rocprim17ROCPRIM_400000_NS6detail17trampoline_kernelINS0_14default_configENS1_27upper_bound_config_selectorIslEEZNS1_14transform_implILb0ES3_S5_N6thrust23THRUST_200600_302600_NS6detail15normal_iteratorINS8_7pointerIsNS8_11hip_rocprim5par_tENS8_11use_defaultESE_EEEENSA_INSB_IlSD_SE_SE_EEEEZNS1_13binary_searchIS3_S5_NSA_INS8_10device_ptrIsEEEESG_SI_NS1_21upper_bound_search_opENS9_16wrapped_functionINS8_6system6detail7generic6detail18binary_search_lessEbEEEE10hipError_tPvRmT1_T2_T3_mmT4_T5_P12ihipStream_tbEUlRKsE_EESV_SZ_S10_mS11_S14_bEUlT_E_NS1_11comp_targetILNS1_3genE4ELNS1_11target_archE910ELNS1_3gpuE8ELNS1_3repE0EEENS1_30default_config_static_selectorELNS0_4arch9wavefront6targetE0EEEvSY_.has_indirect_call, 0
	.section	.AMDGPU.csdata,"",@progbits
; Kernel info:
; codeLenInByte = 0
; TotalNumSgprs: 0
; NumVgprs: 0
; ScratchSize: 0
; MemoryBound: 0
; FloatMode: 240
; IeeeMode: 1
; LDSByteSize: 0 bytes/workgroup (compile time only)
; SGPRBlocks: 0
; VGPRBlocks: 0
; NumSGPRsForWavesPerEU: 1
; NumVGPRsForWavesPerEU: 1
; Occupancy: 16
; WaveLimiterHint : 0
; COMPUTE_PGM_RSRC2:SCRATCH_EN: 0
; COMPUTE_PGM_RSRC2:USER_SGPR: 6
; COMPUTE_PGM_RSRC2:TRAP_HANDLER: 0
; COMPUTE_PGM_RSRC2:TGID_X_EN: 1
; COMPUTE_PGM_RSRC2:TGID_Y_EN: 0
; COMPUTE_PGM_RSRC2:TGID_Z_EN: 0
; COMPUTE_PGM_RSRC2:TIDIG_COMP_CNT: 0
	.section	.text._ZN7rocprim17ROCPRIM_400000_NS6detail17trampoline_kernelINS0_14default_configENS1_27upper_bound_config_selectorIslEEZNS1_14transform_implILb0ES3_S5_N6thrust23THRUST_200600_302600_NS6detail15normal_iteratorINS8_7pointerIsNS8_11hip_rocprim5par_tENS8_11use_defaultESE_EEEENSA_INSB_IlSD_SE_SE_EEEEZNS1_13binary_searchIS3_S5_NSA_INS8_10device_ptrIsEEEESG_SI_NS1_21upper_bound_search_opENS9_16wrapped_functionINS8_6system6detail7generic6detail18binary_search_lessEbEEEE10hipError_tPvRmT1_T2_T3_mmT4_T5_P12ihipStream_tbEUlRKsE_EESV_SZ_S10_mS11_S14_bEUlT_E_NS1_11comp_targetILNS1_3genE3ELNS1_11target_archE908ELNS1_3gpuE7ELNS1_3repE0EEENS1_30default_config_static_selectorELNS0_4arch9wavefront6targetE0EEEvSY_,"axG",@progbits,_ZN7rocprim17ROCPRIM_400000_NS6detail17trampoline_kernelINS0_14default_configENS1_27upper_bound_config_selectorIslEEZNS1_14transform_implILb0ES3_S5_N6thrust23THRUST_200600_302600_NS6detail15normal_iteratorINS8_7pointerIsNS8_11hip_rocprim5par_tENS8_11use_defaultESE_EEEENSA_INSB_IlSD_SE_SE_EEEEZNS1_13binary_searchIS3_S5_NSA_INS8_10device_ptrIsEEEESG_SI_NS1_21upper_bound_search_opENS9_16wrapped_functionINS8_6system6detail7generic6detail18binary_search_lessEbEEEE10hipError_tPvRmT1_T2_T3_mmT4_T5_P12ihipStream_tbEUlRKsE_EESV_SZ_S10_mS11_S14_bEUlT_E_NS1_11comp_targetILNS1_3genE3ELNS1_11target_archE908ELNS1_3gpuE7ELNS1_3repE0EEENS1_30default_config_static_selectorELNS0_4arch9wavefront6targetE0EEEvSY_,comdat
	.protected	_ZN7rocprim17ROCPRIM_400000_NS6detail17trampoline_kernelINS0_14default_configENS1_27upper_bound_config_selectorIslEEZNS1_14transform_implILb0ES3_S5_N6thrust23THRUST_200600_302600_NS6detail15normal_iteratorINS8_7pointerIsNS8_11hip_rocprim5par_tENS8_11use_defaultESE_EEEENSA_INSB_IlSD_SE_SE_EEEEZNS1_13binary_searchIS3_S5_NSA_INS8_10device_ptrIsEEEESG_SI_NS1_21upper_bound_search_opENS9_16wrapped_functionINS8_6system6detail7generic6detail18binary_search_lessEbEEEE10hipError_tPvRmT1_T2_T3_mmT4_T5_P12ihipStream_tbEUlRKsE_EESV_SZ_S10_mS11_S14_bEUlT_E_NS1_11comp_targetILNS1_3genE3ELNS1_11target_archE908ELNS1_3gpuE7ELNS1_3repE0EEENS1_30default_config_static_selectorELNS0_4arch9wavefront6targetE0EEEvSY_ ; -- Begin function _ZN7rocprim17ROCPRIM_400000_NS6detail17trampoline_kernelINS0_14default_configENS1_27upper_bound_config_selectorIslEEZNS1_14transform_implILb0ES3_S5_N6thrust23THRUST_200600_302600_NS6detail15normal_iteratorINS8_7pointerIsNS8_11hip_rocprim5par_tENS8_11use_defaultESE_EEEENSA_INSB_IlSD_SE_SE_EEEEZNS1_13binary_searchIS3_S5_NSA_INS8_10device_ptrIsEEEESG_SI_NS1_21upper_bound_search_opENS9_16wrapped_functionINS8_6system6detail7generic6detail18binary_search_lessEbEEEE10hipError_tPvRmT1_T2_T3_mmT4_T5_P12ihipStream_tbEUlRKsE_EESV_SZ_S10_mS11_S14_bEUlT_E_NS1_11comp_targetILNS1_3genE3ELNS1_11target_archE908ELNS1_3gpuE7ELNS1_3repE0EEENS1_30default_config_static_selectorELNS0_4arch9wavefront6targetE0EEEvSY_
	.globl	_ZN7rocprim17ROCPRIM_400000_NS6detail17trampoline_kernelINS0_14default_configENS1_27upper_bound_config_selectorIslEEZNS1_14transform_implILb0ES3_S5_N6thrust23THRUST_200600_302600_NS6detail15normal_iteratorINS8_7pointerIsNS8_11hip_rocprim5par_tENS8_11use_defaultESE_EEEENSA_INSB_IlSD_SE_SE_EEEEZNS1_13binary_searchIS3_S5_NSA_INS8_10device_ptrIsEEEESG_SI_NS1_21upper_bound_search_opENS9_16wrapped_functionINS8_6system6detail7generic6detail18binary_search_lessEbEEEE10hipError_tPvRmT1_T2_T3_mmT4_T5_P12ihipStream_tbEUlRKsE_EESV_SZ_S10_mS11_S14_bEUlT_E_NS1_11comp_targetILNS1_3genE3ELNS1_11target_archE908ELNS1_3gpuE7ELNS1_3repE0EEENS1_30default_config_static_selectorELNS0_4arch9wavefront6targetE0EEEvSY_
	.p2align	8
	.type	_ZN7rocprim17ROCPRIM_400000_NS6detail17trampoline_kernelINS0_14default_configENS1_27upper_bound_config_selectorIslEEZNS1_14transform_implILb0ES3_S5_N6thrust23THRUST_200600_302600_NS6detail15normal_iteratorINS8_7pointerIsNS8_11hip_rocprim5par_tENS8_11use_defaultESE_EEEENSA_INSB_IlSD_SE_SE_EEEEZNS1_13binary_searchIS3_S5_NSA_INS8_10device_ptrIsEEEESG_SI_NS1_21upper_bound_search_opENS9_16wrapped_functionINS8_6system6detail7generic6detail18binary_search_lessEbEEEE10hipError_tPvRmT1_T2_T3_mmT4_T5_P12ihipStream_tbEUlRKsE_EESV_SZ_S10_mS11_S14_bEUlT_E_NS1_11comp_targetILNS1_3genE3ELNS1_11target_archE908ELNS1_3gpuE7ELNS1_3repE0EEENS1_30default_config_static_selectorELNS0_4arch9wavefront6targetE0EEEvSY_,@function
_ZN7rocprim17ROCPRIM_400000_NS6detail17trampoline_kernelINS0_14default_configENS1_27upper_bound_config_selectorIslEEZNS1_14transform_implILb0ES3_S5_N6thrust23THRUST_200600_302600_NS6detail15normal_iteratorINS8_7pointerIsNS8_11hip_rocprim5par_tENS8_11use_defaultESE_EEEENSA_INSB_IlSD_SE_SE_EEEEZNS1_13binary_searchIS3_S5_NSA_INS8_10device_ptrIsEEEESG_SI_NS1_21upper_bound_search_opENS9_16wrapped_functionINS8_6system6detail7generic6detail18binary_search_lessEbEEEE10hipError_tPvRmT1_T2_T3_mmT4_T5_P12ihipStream_tbEUlRKsE_EESV_SZ_S10_mS11_S14_bEUlT_E_NS1_11comp_targetILNS1_3genE3ELNS1_11target_archE908ELNS1_3gpuE7ELNS1_3repE0EEENS1_30default_config_static_selectorELNS0_4arch9wavefront6targetE0EEEvSY_: ; @_ZN7rocprim17ROCPRIM_400000_NS6detail17trampoline_kernelINS0_14default_configENS1_27upper_bound_config_selectorIslEEZNS1_14transform_implILb0ES3_S5_N6thrust23THRUST_200600_302600_NS6detail15normal_iteratorINS8_7pointerIsNS8_11hip_rocprim5par_tENS8_11use_defaultESE_EEEENSA_INSB_IlSD_SE_SE_EEEEZNS1_13binary_searchIS3_S5_NSA_INS8_10device_ptrIsEEEESG_SI_NS1_21upper_bound_search_opENS9_16wrapped_functionINS8_6system6detail7generic6detail18binary_search_lessEbEEEE10hipError_tPvRmT1_T2_T3_mmT4_T5_P12ihipStream_tbEUlRKsE_EESV_SZ_S10_mS11_S14_bEUlT_E_NS1_11comp_targetILNS1_3genE3ELNS1_11target_archE908ELNS1_3gpuE7ELNS1_3repE0EEENS1_30default_config_static_selectorELNS0_4arch9wavefront6targetE0EEEvSY_
; %bb.0:
	.section	.rodata,"a",@progbits
	.p2align	6, 0x0
	.amdhsa_kernel _ZN7rocprim17ROCPRIM_400000_NS6detail17trampoline_kernelINS0_14default_configENS1_27upper_bound_config_selectorIslEEZNS1_14transform_implILb0ES3_S5_N6thrust23THRUST_200600_302600_NS6detail15normal_iteratorINS8_7pointerIsNS8_11hip_rocprim5par_tENS8_11use_defaultESE_EEEENSA_INSB_IlSD_SE_SE_EEEEZNS1_13binary_searchIS3_S5_NSA_INS8_10device_ptrIsEEEESG_SI_NS1_21upper_bound_search_opENS9_16wrapped_functionINS8_6system6detail7generic6detail18binary_search_lessEbEEEE10hipError_tPvRmT1_T2_T3_mmT4_T5_P12ihipStream_tbEUlRKsE_EESV_SZ_S10_mS11_S14_bEUlT_E_NS1_11comp_targetILNS1_3genE3ELNS1_11target_archE908ELNS1_3gpuE7ELNS1_3repE0EEENS1_30default_config_static_selectorELNS0_4arch9wavefront6targetE0EEEvSY_
		.amdhsa_group_segment_fixed_size 0
		.amdhsa_private_segment_fixed_size 0
		.amdhsa_kernarg_size 56
		.amdhsa_user_sgpr_count 6
		.amdhsa_user_sgpr_private_segment_buffer 1
		.amdhsa_user_sgpr_dispatch_ptr 0
		.amdhsa_user_sgpr_queue_ptr 0
		.amdhsa_user_sgpr_kernarg_segment_ptr 1
		.amdhsa_user_sgpr_dispatch_id 0
		.amdhsa_user_sgpr_flat_scratch_init 0
		.amdhsa_user_sgpr_private_segment_size 0
		.amdhsa_wavefront_size32 1
		.amdhsa_uses_dynamic_stack 0
		.amdhsa_system_sgpr_private_segment_wavefront_offset 0
		.amdhsa_system_sgpr_workgroup_id_x 1
		.amdhsa_system_sgpr_workgroup_id_y 0
		.amdhsa_system_sgpr_workgroup_id_z 0
		.amdhsa_system_sgpr_workgroup_info 0
		.amdhsa_system_vgpr_workitem_id 0
		.amdhsa_next_free_vgpr 1
		.amdhsa_next_free_sgpr 1
		.amdhsa_reserve_vcc 0
		.amdhsa_reserve_flat_scratch 0
		.amdhsa_float_round_mode_32 0
		.amdhsa_float_round_mode_16_64 0
		.amdhsa_float_denorm_mode_32 3
		.amdhsa_float_denorm_mode_16_64 3
		.amdhsa_dx10_clamp 1
		.amdhsa_ieee_mode 1
		.amdhsa_fp16_overflow 0
		.amdhsa_workgroup_processor_mode 1
		.amdhsa_memory_ordered 1
		.amdhsa_forward_progress 1
		.amdhsa_shared_vgpr_count 0
		.amdhsa_exception_fp_ieee_invalid_op 0
		.amdhsa_exception_fp_denorm_src 0
		.amdhsa_exception_fp_ieee_div_zero 0
		.amdhsa_exception_fp_ieee_overflow 0
		.amdhsa_exception_fp_ieee_underflow 0
		.amdhsa_exception_fp_ieee_inexact 0
		.amdhsa_exception_int_div_zero 0
	.end_amdhsa_kernel
	.section	.text._ZN7rocprim17ROCPRIM_400000_NS6detail17trampoline_kernelINS0_14default_configENS1_27upper_bound_config_selectorIslEEZNS1_14transform_implILb0ES3_S5_N6thrust23THRUST_200600_302600_NS6detail15normal_iteratorINS8_7pointerIsNS8_11hip_rocprim5par_tENS8_11use_defaultESE_EEEENSA_INSB_IlSD_SE_SE_EEEEZNS1_13binary_searchIS3_S5_NSA_INS8_10device_ptrIsEEEESG_SI_NS1_21upper_bound_search_opENS9_16wrapped_functionINS8_6system6detail7generic6detail18binary_search_lessEbEEEE10hipError_tPvRmT1_T2_T3_mmT4_T5_P12ihipStream_tbEUlRKsE_EESV_SZ_S10_mS11_S14_bEUlT_E_NS1_11comp_targetILNS1_3genE3ELNS1_11target_archE908ELNS1_3gpuE7ELNS1_3repE0EEENS1_30default_config_static_selectorELNS0_4arch9wavefront6targetE0EEEvSY_,"axG",@progbits,_ZN7rocprim17ROCPRIM_400000_NS6detail17trampoline_kernelINS0_14default_configENS1_27upper_bound_config_selectorIslEEZNS1_14transform_implILb0ES3_S5_N6thrust23THRUST_200600_302600_NS6detail15normal_iteratorINS8_7pointerIsNS8_11hip_rocprim5par_tENS8_11use_defaultESE_EEEENSA_INSB_IlSD_SE_SE_EEEEZNS1_13binary_searchIS3_S5_NSA_INS8_10device_ptrIsEEEESG_SI_NS1_21upper_bound_search_opENS9_16wrapped_functionINS8_6system6detail7generic6detail18binary_search_lessEbEEEE10hipError_tPvRmT1_T2_T3_mmT4_T5_P12ihipStream_tbEUlRKsE_EESV_SZ_S10_mS11_S14_bEUlT_E_NS1_11comp_targetILNS1_3genE3ELNS1_11target_archE908ELNS1_3gpuE7ELNS1_3repE0EEENS1_30default_config_static_selectorELNS0_4arch9wavefront6targetE0EEEvSY_,comdat
.Lfunc_end593:
	.size	_ZN7rocprim17ROCPRIM_400000_NS6detail17trampoline_kernelINS0_14default_configENS1_27upper_bound_config_selectorIslEEZNS1_14transform_implILb0ES3_S5_N6thrust23THRUST_200600_302600_NS6detail15normal_iteratorINS8_7pointerIsNS8_11hip_rocprim5par_tENS8_11use_defaultESE_EEEENSA_INSB_IlSD_SE_SE_EEEEZNS1_13binary_searchIS3_S5_NSA_INS8_10device_ptrIsEEEESG_SI_NS1_21upper_bound_search_opENS9_16wrapped_functionINS8_6system6detail7generic6detail18binary_search_lessEbEEEE10hipError_tPvRmT1_T2_T3_mmT4_T5_P12ihipStream_tbEUlRKsE_EESV_SZ_S10_mS11_S14_bEUlT_E_NS1_11comp_targetILNS1_3genE3ELNS1_11target_archE908ELNS1_3gpuE7ELNS1_3repE0EEENS1_30default_config_static_selectorELNS0_4arch9wavefront6targetE0EEEvSY_, .Lfunc_end593-_ZN7rocprim17ROCPRIM_400000_NS6detail17trampoline_kernelINS0_14default_configENS1_27upper_bound_config_selectorIslEEZNS1_14transform_implILb0ES3_S5_N6thrust23THRUST_200600_302600_NS6detail15normal_iteratorINS8_7pointerIsNS8_11hip_rocprim5par_tENS8_11use_defaultESE_EEEENSA_INSB_IlSD_SE_SE_EEEEZNS1_13binary_searchIS3_S5_NSA_INS8_10device_ptrIsEEEESG_SI_NS1_21upper_bound_search_opENS9_16wrapped_functionINS8_6system6detail7generic6detail18binary_search_lessEbEEEE10hipError_tPvRmT1_T2_T3_mmT4_T5_P12ihipStream_tbEUlRKsE_EESV_SZ_S10_mS11_S14_bEUlT_E_NS1_11comp_targetILNS1_3genE3ELNS1_11target_archE908ELNS1_3gpuE7ELNS1_3repE0EEENS1_30default_config_static_selectorELNS0_4arch9wavefront6targetE0EEEvSY_
                                        ; -- End function
	.set _ZN7rocprim17ROCPRIM_400000_NS6detail17trampoline_kernelINS0_14default_configENS1_27upper_bound_config_selectorIslEEZNS1_14transform_implILb0ES3_S5_N6thrust23THRUST_200600_302600_NS6detail15normal_iteratorINS8_7pointerIsNS8_11hip_rocprim5par_tENS8_11use_defaultESE_EEEENSA_INSB_IlSD_SE_SE_EEEEZNS1_13binary_searchIS3_S5_NSA_INS8_10device_ptrIsEEEESG_SI_NS1_21upper_bound_search_opENS9_16wrapped_functionINS8_6system6detail7generic6detail18binary_search_lessEbEEEE10hipError_tPvRmT1_T2_T3_mmT4_T5_P12ihipStream_tbEUlRKsE_EESV_SZ_S10_mS11_S14_bEUlT_E_NS1_11comp_targetILNS1_3genE3ELNS1_11target_archE908ELNS1_3gpuE7ELNS1_3repE0EEENS1_30default_config_static_selectorELNS0_4arch9wavefront6targetE0EEEvSY_.num_vgpr, 0
	.set _ZN7rocprim17ROCPRIM_400000_NS6detail17trampoline_kernelINS0_14default_configENS1_27upper_bound_config_selectorIslEEZNS1_14transform_implILb0ES3_S5_N6thrust23THRUST_200600_302600_NS6detail15normal_iteratorINS8_7pointerIsNS8_11hip_rocprim5par_tENS8_11use_defaultESE_EEEENSA_INSB_IlSD_SE_SE_EEEEZNS1_13binary_searchIS3_S5_NSA_INS8_10device_ptrIsEEEESG_SI_NS1_21upper_bound_search_opENS9_16wrapped_functionINS8_6system6detail7generic6detail18binary_search_lessEbEEEE10hipError_tPvRmT1_T2_T3_mmT4_T5_P12ihipStream_tbEUlRKsE_EESV_SZ_S10_mS11_S14_bEUlT_E_NS1_11comp_targetILNS1_3genE3ELNS1_11target_archE908ELNS1_3gpuE7ELNS1_3repE0EEENS1_30default_config_static_selectorELNS0_4arch9wavefront6targetE0EEEvSY_.num_agpr, 0
	.set _ZN7rocprim17ROCPRIM_400000_NS6detail17trampoline_kernelINS0_14default_configENS1_27upper_bound_config_selectorIslEEZNS1_14transform_implILb0ES3_S5_N6thrust23THRUST_200600_302600_NS6detail15normal_iteratorINS8_7pointerIsNS8_11hip_rocprim5par_tENS8_11use_defaultESE_EEEENSA_INSB_IlSD_SE_SE_EEEEZNS1_13binary_searchIS3_S5_NSA_INS8_10device_ptrIsEEEESG_SI_NS1_21upper_bound_search_opENS9_16wrapped_functionINS8_6system6detail7generic6detail18binary_search_lessEbEEEE10hipError_tPvRmT1_T2_T3_mmT4_T5_P12ihipStream_tbEUlRKsE_EESV_SZ_S10_mS11_S14_bEUlT_E_NS1_11comp_targetILNS1_3genE3ELNS1_11target_archE908ELNS1_3gpuE7ELNS1_3repE0EEENS1_30default_config_static_selectorELNS0_4arch9wavefront6targetE0EEEvSY_.numbered_sgpr, 0
	.set _ZN7rocprim17ROCPRIM_400000_NS6detail17trampoline_kernelINS0_14default_configENS1_27upper_bound_config_selectorIslEEZNS1_14transform_implILb0ES3_S5_N6thrust23THRUST_200600_302600_NS6detail15normal_iteratorINS8_7pointerIsNS8_11hip_rocprim5par_tENS8_11use_defaultESE_EEEENSA_INSB_IlSD_SE_SE_EEEEZNS1_13binary_searchIS3_S5_NSA_INS8_10device_ptrIsEEEESG_SI_NS1_21upper_bound_search_opENS9_16wrapped_functionINS8_6system6detail7generic6detail18binary_search_lessEbEEEE10hipError_tPvRmT1_T2_T3_mmT4_T5_P12ihipStream_tbEUlRKsE_EESV_SZ_S10_mS11_S14_bEUlT_E_NS1_11comp_targetILNS1_3genE3ELNS1_11target_archE908ELNS1_3gpuE7ELNS1_3repE0EEENS1_30default_config_static_selectorELNS0_4arch9wavefront6targetE0EEEvSY_.num_named_barrier, 0
	.set _ZN7rocprim17ROCPRIM_400000_NS6detail17trampoline_kernelINS0_14default_configENS1_27upper_bound_config_selectorIslEEZNS1_14transform_implILb0ES3_S5_N6thrust23THRUST_200600_302600_NS6detail15normal_iteratorINS8_7pointerIsNS8_11hip_rocprim5par_tENS8_11use_defaultESE_EEEENSA_INSB_IlSD_SE_SE_EEEEZNS1_13binary_searchIS3_S5_NSA_INS8_10device_ptrIsEEEESG_SI_NS1_21upper_bound_search_opENS9_16wrapped_functionINS8_6system6detail7generic6detail18binary_search_lessEbEEEE10hipError_tPvRmT1_T2_T3_mmT4_T5_P12ihipStream_tbEUlRKsE_EESV_SZ_S10_mS11_S14_bEUlT_E_NS1_11comp_targetILNS1_3genE3ELNS1_11target_archE908ELNS1_3gpuE7ELNS1_3repE0EEENS1_30default_config_static_selectorELNS0_4arch9wavefront6targetE0EEEvSY_.private_seg_size, 0
	.set _ZN7rocprim17ROCPRIM_400000_NS6detail17trampoline_kernelINS0_14default_configENS1_27upper_bound_config_selectorIslEEZNS1_14transform_implILb0ES3_S5_N6thrust23THRUST_200600_302600_NS6detail15normal_iteratorINS8_7pointerIsNS8_11hip_rocprim5par_tENS8_11use_defaultESE_EEEENSA_INSB_IlSD_SE_SE_EEEEZNS1_13binary_searchIS3_S5_NSA_INS8_10device_ptrIsEEEESG_SI_NS1_21upper_bound_search_opENS9_16wrapped_functionINS8_6system6detail7generic6detail18binary_search_lessEbEEEE10hipError_tPvRmT1_T2_T3_mmT4_T5_P12ihipStream_tbEUlRKsE_EESV_SZ_S10_mS11_S14_bEUlT_E_NS1_11comp_targetILNS1_3genE3ELNS1_11target_archE908ELNS1_3gpuE7ELNS1_3repE0EEENS1_30default_config_static_selectorELNS0_4arch9wavefront6targetE0EEEvSY_.uses_vcc, 0
	.set _ZN7rocprim17ROCPRIM_400000_NS6detail17trampoline_kernelINS0_14default_configENS1_27upper_bound_config_selectorIslEEZNS1_14transform_implILb0ES3_S5_N6thrust23THRUST_200600_302600_NS6detail15normal_iteratorINS8_7pointerIsNS8_11hip_rocprim5par_tENS8_11use_defaultESE_EEEENSA_INSB_IlSD_SE_SE_EEEEZNS1_13binary_searchIS3_S5_NSA_INS8_10device_ptrIsEEEESG_SI_NS1_21upper_bound_search_opENS9_16wrapped_functionINS8_6system6detail7generic6detail18binary_search_lessEbEEEE10hipError_tPvRmT1_T2_T3_mmT4_T5_P12ihipStream_tbEUlRKsE_EESV_SZ_S10_mS11_S14_bEUlT_E_NS1_11comp_targetILNS1_3genE3ELNS1_11target_archE908ELNS1_3gpuE7ELNS1_3repE0EEENS1_30default_config_static_selectorELNS0_4arch9wavefront6targetE0EEEvSY_.uses_flat_scratch, 0
	.set _ZN7rocprim17ROCPRIM_400000_NS6detail17trampoline_kernelINS0_14default_configENS1_27upper_bound_config_selectorIslEEZNS1_14transform_implILb0ES3_S5_N6thrust23THRUST_200600_302600_NS6detail15normal_iteratorINS8_7pointerIsNS8_11hip_rocprim5par_tENS8_11use_defaultESE_EEEENSA_INSB_IlSD_SE_SE_EEEEZNS1_13binary_searchIS3_S5_NSA_INS8_10device_ptrIsEEEESG_SI_NS1_21upper_bound_search_opENS9_16wrapped_functionINS8_6system6detail7generic6detail18binary_search_lessEbEEEE10hipError_tPvRmT1_T2_T3_mmT4_T5_P12ihipStream_tbEUlRKsE_EESV_SZ_S10_mS11_S14_bEUlT_E_NS1_11comp_targetILNS1_3genE3ELNS1_11target_archE908ELNS1_3gpuE7ELNS1_3repE0EEENS1_30default_config_static_selectorELNS0_4arch9wavefront6targetE0EEEvSY_.has_dyn_sized_stack, 0
	.set _ZN7rocprim17ROCPRIM_400000_NS6detail17trampoline_kernelINS0_14default_configENS1_27upper_bound_config_selectorIslEEZNS1_14transform_implILb0ES3_S5_N6thrust23THRUST_200600_302600_NS6detail15normal_iteratorINS8_7pointerIsNS8_11hip_rocprim5par_tENS8_11use_defaultESE_EEEENSA_INSB_IlSD_SE_SE_EEEEZNS1_13binary_searchIS3_S5_NSA_INS8_10device_ptrIsEEEESG_SI_NS1_21upper_bound_search_opENS9_16wrapped_functionINS8_6system6detail7generic6detail18binary_search_lessEbEEEE10hipError_tPvRmT1_T2_T3_mmT4_T5_P12ihipStream_tbEUlRKsE_EESV_SZ_S10_mS11_S14_bEUlT_E_NS1_11comp_targetILNS1_3genE3ELNS1_11target_archE908ELNS1_3gpuE7ELNS1_3repE0EEENS1_30default_config_static_selectorELNS0_4arch9wavefront6targetE0EEEvSY_.has_recursion, 0
	.set _ZN7rocprim17ROCPRIM_400000_NS6detail17trampoline_kernelINS0_14default_configENS1_27upper_bound_config_selectorIslEEZNS1_14transform_implILb0ES3_S5_N6thrust23THRUST_200600_302600_NS6detail15normal_iteratorINS8_7pointerIsNS8_11hip_rocprim5par_tENS8_11use_defaultESE_EEEENSA_INSB_IlSD_SE_SE_EEEEZNS1_13binary_searchIS3_S5_NSA_INS8_10device_ptrIsEEEESG_SI_NS1_21upper_bound_search_opENS9_16wrapped_functionINS8_6system6detail7generic6detail18binary_search_lessEbEEEE10hipError_tPvRmT1_T2_T3_mmT4_T5_P12ihipStream_tbEUlRKsE_EESV_SZ_S10_mS11_S14_bEUlT_E_NS1_11comp_targetILNS1_3genE3ELNS1_11target_archE908ELNS1_3gpuE7ELNS1_3repE0EEENS1_30default_config_static_selectorELNS0_4arch9wavefront6targetE0EEEvSY_.has_indirect_call, 0
	.section	.AMDGPU.csdata,"",@progbits
; Kernel info:
; codeLenInByte = 0
; TotalNumSgprs: 0
; NumVgprs: 0
; ScratchSize: 0
; MemoryBound: 0
; FloatMode: 240
; IeeeMode: 1
; LDSByteSize: 0 bytes/workgroup (compile time only)
; SGPRBlocks: 0
; VGPRBlocks: 0
; NumSGPRsForWavesPerEU: 1
; NumVGPRsForWavesPerEU: 1
; Occupancy: 16
; WaveLimiterHint : 0
; COMPUTE_PGM_RSRC2:SCRATCH_EN: 0
; COMPUTE_PGM_RSRC2:USER_SGPR: 6
; COMPUTE_PGM_RSRC2:TRAP_HANDLER: 0
; COMPUTE_PGM_RSRC2:TGID_X_EN: 1
; COMPUTE_PGM_RSRC2:TGID_Y_EN: 0
; COMPUTE_PGM_RSRC2:TGID_Z_EN: 0
; COMPUTE_PGM_RSRC2:TIDIG_COMP_CNT: 0
	.section	.text._ZN7rocprim17ROCPRIM_400000_NS6detail17trampoline_kernelINS0_14default_configENS1_27upper_bound_config_selectorIslEEZNS1_14transform_implILb0ES3_S5_N6thrust23THRUST_200600_302600_NS6detail15normal_iteratorINS8_7pointerIsNS8_11hip_rocprim5par_tENS8_11use_defaultESE_EEEENSA_INSB_IlSD_SE_SE_EEEEZNS1_13binary_searchIS3_S5_NSA_INS8_10device_ptrIsEEEESG_SI_NS1_21upper_bound_search_opENS9_16wrapped_functionINS8_6system6detail7generic6detail18binary_search_lessEbEEEE10hipError_tPvRmT1_T2_T3_mmT4_T5_P12ihipStream_tbEUlRKsE_EESV_SZ_S10_mS11_S14_bEUlT_E_NS1_11comp_targetILNS1_3genE2ELNS1_11target_archE906ELNS1_3gpuE6ELNS1_3repE0EEENS1_30default_config_static_selectorELNS0_4arch9wavefront6targetE0EEEvSY_,"axG",@progbits,_ZN7rocprim17ROCPRIM_400000_NS6detail17trampoline_kernelINS0_14default_configENS1_27upper_bound_config_selectorIslEEZNS1_14transform_implILb0ES3_S5_N6thrust23THRUST_200600_302600_NS6detail15normal_iteratorINS8_7pointerIsNS8_11hip_rocprim5par_tENS8_11use_defaultESE_EEEENSA_INSB_IlSD_SE_SE_EEEEZNS1_13binary_searchIS3_S5_NSA_INS8_10device_ptrIsEEEESG_SI_NS1_21upper_bound_search_opENS9_16wrapped_functionINS8_6system6detail7generic6detail18binary_search_lessEbEEEE10hipError_tPvRmT1_T2_T3_mmT4_T5_P12ihipStream_tbEUlRKsE_EESV_SZ_S10_mS11_S14_bEUlT_E_NS1_11comp_targetILNS1_3genE2ELNS1_11target_archE906ELNS1_3gpuE6ELNS1_3repE0EEENS1_30default_config_static_selectorELNS0_4arch9wavefront6targetE0EEEvSY_,comdat
	.protected	_ZN7rocprim17ROCPRIM_400000_NS6detail17trampoline_kernelINS0_14default_configENS1_27upper_bound_config_selectorIslEEZNS1_14transform_implILb0ES3_S5_N6thrust23THRUST_200600_302600_NS6detail15normal_iteratorINS8_7pointerIsNS8_11hip_rocprim5par_tENS8_11use_defaultESE_EEEENSA_INSB_IlSD_SE_SE_EEEEZNS1_13binary_searchIS3_S5_NSA_INS8_10device_ptrIsEEEESG_SI_NS1_21upper_bound_search_opENS9_16wrapped_functionINS8_6system6detail7generic6detail18binary_search_lessEbEEEE10hipError_tPvRmT1_T2_T3_mmT4_T5_P12ihipStream_tbEUlRKsE_EESV_SZ_S10_mS11_S14_bEUlT_E_NS1_11comp_targetILNS1_3genE2ELNS1_11target_archE906ELNS1_3gpuE6ELNS1_3repE0EEENS1_30default_config_static_selectorELNS0_4arch9wavefront6targetE0EEEvSY_ ; -- Begin function _ZN7rocprim17ROCPRIM_400000_NS6detail17trampoline_kernelINS0_14default_configENS1_27upper_bound_config_selectorIslEEZNS1_14transform_implILb0ES3_S5_N6thrust23THRUST_200600_302600_NS6detail15normal_iteratorINS8_7pointerIsNS8_11hip_rocprim5par_tENS8_11use_defaultESE_EEEENSA_INSB_IlSD_SE_SE_EEEEZNS1_13binary_searchIS3_S5_NSA_INS8_10device_ptrIsEEEESG_SI_NS1_21upper_bound_search_opENS9_16wrapped_functionINS8_6system6detail7generic6detail18binary_search_lessEbEEEE10hipError_tPvRmT1_T2_T3_mmT4_T5_P12ihipStream_tbEUlRKsE_EESV_SZ_S10_mS11_S14_bEUlT_E_NS1_11comp_targetILNS1_3genE2ELNS1_11target_archE906ELNS1_3gpuE6ELNS1_3repE0EEENS1_30default_config_static_selectorELNS0_4arch9wavefront6targetE0EEEvSY_
	.globl	_ZN7rocprim17ROCPRIM_400000_NS6detail17trampoline_kernelINS0_14default_configENS1_27upper_bound_config_selectorIslEEZNS1_14transform_implILb0ES3_S5_N6thrust23THRUST_200600_302600_NS6detail15normal_iteratorINS8_7pointerIsNS8_11hip_rocprim5par_tENS8_11use_defaultESE_EEEENSA_INSB_IlSD_SE_SE_EEEEZNS1_13binary_searchIS3_S5_NSA_INS8_10device_ptrIsEEEESG_SI_NS1_21upper_bound_search_opENS9_16wrapped_functionINS8_6system6detail7generic6detail18binary_search_lessEbEEEE10hipError_tPvRmT1_T2_T3_mmT4_T5_P12ihipStream_tbEUlRKsE_EESV_SZ_S10_mS11_S14_bEUlT_E_NS1_11comp_targetILNS1_3genE2ELNS1_11target_archE906ELNS1_3gpuE6ELNS1_3repE0EEENS1_30default_config_static_selectorELNS0_4arch9wavefront6targetE0EEEvSY_
	.p2align	8
	.type	_ZN7rocprim17ROCPRIM_400000_NS6detail17trampoline_kernelINS0_14default_configENS1_27upper_bound_config_selectorIslEEZNS1_14transform_implILb0ES3_S5_N6thrust23THRUST_200600_302600_NS6detail15normal_iteratorINS8_7pointerIsNS8_11hip_rocprim5par_tENS8_11use_defaultESE_EEEENSA_INSB_IlSD_SE_SE_EEEEZNS1_13binary_searchIS3_S5_NSA_INS8_10device_ptrIsEEEESG_SI_NS1_21upper_bound_search_opENS9_16wrapped_functionINS8_6system6detail7generic6detail18binary_search_lessEbEEEE10hipError_tPvRmT1_T2_T3_mmT4_T5_P12ihipStream_tbEUlRKsE_EESV_SZ_S10_mS11_S14_bEUlT_E_NS1_11comp_targetILNS1_3genE2ELNS1_11target_archE906ELNS1_3gpuE6ELNS1_3repE0EEENS1_30default_config_static_selectorELNS0_4arch9wavefront6targetE0EEEvSY_,@function
_ZN7rocprim17ROCPRIM_400000_NS6detail17trampoline_kernelINS0_14default_configENS1_27upper_bound_config_selectorIslEEZNS1_14transform_implILb0ES3_S5_N6thrust23THRUST_200600_302600_NS6detail15normal_iteratorINS8_7pointerIsNS8_11hip_rocprim5par_tENS8_11use_defaultESE_EEEENSA_INSB_IlSD_SE_SE_EEEEZNS1_13binary_searchIS3_S5_NSA_INS8_10device_ptrIsEEEESG_SI_NS1_21upper_bound_search_opENS9_16wrapped_functionINS8_6system6detail7generic6detail18binary_search_lessEbEEEE10hipError_tPvRmT1_T2_T3_mmT4_T5_P12ihipStream_tbEUlRKsE_EESV_SZ_S10_mS11_S14_bEUlT_E_NS1_11comp_targetILNS1_3genE2ELNS1_11target_archE906ELNS1_3gpuE6ELNS1_3repE0EEENS1_30default_config_static_selectorELNS0_4arch9wavefront6targetE0EEEvSY_: ; @_ZN7rocprim17ROCPRIM_400000_NS6detail17trampoline_kernelINS0_14default_configENS1_27upper_bound_config_selectorIslEEZNS1_14transform_implILb0ES3_S5_N6thrust23THRUST_200600_302600_NS6detail15normal_iteratorINS8_7pointerIsNS8_11hip_rocprim5par_tENS8_11use_defaultESE_EEEENSA_INSB_IlSD_SE_SE_EEEEZNS1_13binary_searchIS3_S5_NSA_INS8_10device_ptrIsEEEESG_SI_NS1_21upper_bound_search_opENS9_16wrapped_functionINS8_6system6detail7generic6detail18binary_search_lessEbEEEE10hipError_tPvRmT1_T2_T3_mmT4_T5_P12ihipStream_tbEUlRKsE_EESV_SZ_S10_mS11_S14_bEUlT_E_NS1_11comp_targetILNS1_3genE2ELNS1_11target_archE906ELNS1_3gpuE6ELNS1_3repE0EEENS1_30default_config_static_selectorELNS0_4arch9wavefront6targetE0EEEvSY_
; %bb.0:
	.section	.rodata,"a",@progbits
	.p2align	6, 0x0
	.amdhsa_kernel _ZN7rocprim17ROCPRIM_400000_NS6detail17trampoline_kernelINS0_14default_configENS1_27upper_bound_config_selectorIslEEZNS1_14transform_implILb0ES3_S5_N6thrust23THRUST_200600_302600_NS6detail15normal_iteratorINS8_7pointerIsNS8_11hip_rocprim5par_tENS8_11use_defaultESE_EEEENSA_INSB_IlSD_SE_SE_EEEEZNS1_13binary_searchIS3_S5_NSA_INS8_10device_ptrIsEEEESG_SI_NS1_21upper_bound_search_opENS9_16wrapped_functionINS8_6system6detail7generic6detail18binary_search_lessEbEEEE10hipError_tPvRmT1_T2_T3_mmT4_T5_P12ihipStream_tbEUlRKsE_EESV_SZ_S10_mS11_S14_bEUlT_E_NS1_11comp_targetILNS1_3genE2ELNS1_11target_archE906ELNS1_3gpuE6ELNS1_3repE0EEENS1_30default_config_static_selectorELNS0_4arch9wavefront6targetE0EEEvSY_
		.amdhsa_group_segment_fixed_size 0
		.amdhsa_private_segment_fixed_size 0
		.amdhsa_kernarg_size 56
		.amdhsa_user_sgpr_count 6
		.amdhsa_user_sgpr_private_segment_buffer 1
		.amdhsa_user_sgpr_dispatch_ptr 0
		.amdhsa_user_sgpr_queue_ptr 0
		.amdhsa_user_sgpr_kernarg_segment_ptr 1
		.amdhsa_user_sgpr_dispatch_id 0
		.amdhsa_user_sgpr_flat_scratch_init 0
		.amdhsa_user_sgpr_private_segment_size 0
		.amdhsa_wavefront_size32 1
		.amdhsa_uses_dynamic_stack 0
		.amdhsa_system_sgpr_private_segment_wavefront_offset 0
		.amdhsa_system_sgpr_workgroup_id_x 1
		.amdhsa_system_sgpr_workgroup_id_y 0
		.amdhsa_system_sgpr_workgroup_id_z 0
		.amdhsa_system_sgpr_workgroup_info 0
		.amdhsa_system_vgpr_workitem_id 0
		.amdhsa_next_free_vgpr 1
		.amdhsa_next_free_sgpr 1
		.amdhsa_reserve_vcc 0
		.amdhsa_reserve_flat_scratch 0
		.amdhsa_float_round_mode_32 0
		.amdhsa_float_round_mode_16_64 0
		.amdhsa_float_denorm_mode_32 3
		.amdhsa_float_denorm_mode_16_64 3
		.amdhsa_dx10_clamp 1
		.amdhsa_ieee_mode 1
		.amdhsa_fp16_overflow 0
		.amdhsa_workgroup_processor_mode 1
		.amdhsa_memory_ordered 1
		.amdhsa_forward_progress 1
		.amdhsa_shared_vgpr_count 0
		.amdhsa_exception_fp_ieee_invalid_op 0
		.amdhsa_exception_fp_denorm_src 0
		.amdhsa_exception_fp_ieee_div_zero 0
		.amdhsa_exception_fp_ieee_overflow 0
		.amdhsa_exception_fp_ieee_underflow 0
		.amdhsa_exception_fp_ieee_inexact 0
		.amdhsa_exception_int_div_zero 0
	.end_amdhsa_kernel
	.section	.text._ZN7rocprim17ROCPRIM_400000_NS6detail17trampoline_kernelINS0_14default_configENS1_27upper_bound_config_selectorIslEEZNS1_14transform_implILb0ES3_S5_N6thrust23THRUST_200600_302600_NS6detail15normal_iteratorINS8_7pointerIsNS8_11hip_rocprim5par_tENS8_11use_defaultESE_EEEENSA_INSB_IlSD_SE_SE_EEEEZNS1_13binary_searchIS3_S5_NSA_INS8_10device_ptrIsEEEESG_SI_NS1_21upper_bound_search_opENS9_16wrapped_functionINS8_6system6detail7generic6detail18binary_search_lessEbEEEE10hipError_tPvRmT1_T2_T3_mmT4_T5_P12ihipStream_tbEUlRKsE_EESV_SZ_S10_mS11_S14_bEUlT_E_NS1_11comp_targetILNS1_3genE2ELNS1_11target_archE906ELNS1_3gpuE6ELNS1_3repE0EEENS1_30default_config_static_selectorELNS0_4arch9wavefront6targetE0EEEvSY_,"axG",@progbits,_ZN7rocprim17ROCPRIM_400000_NS6detail17trampoline_kernelINS0_14default_configENS1_27upper_bound_config_selectorIslEEZNS1_14transform_implILb0ES3_S5_N6thrust23THRUST_200600_302600_NS6detail15normal_iteratorINS8_7pointerIsNS8_11hip_rocprim5par_tENS8_11use_defaultESE_EEEENSA_INSB_IlSD_SE_SE_EEEEZNS1_13binary_searchIS3_S5_NSA_INS8_10device_ptrIsEEEESG_SI_NS1_21upper_bound_search_opENS9_16wrapped_functionINS8_6system6detail7generic6detail18binary_search_lessEbEEEE10hipError_tPvRmT1_T2_T3_mmT4_T5_P12ihipStream_tbEUlRKsE_EESV_SZ_S10_mS11_S14_bEUlT_E_NS1_11comp_targetILNS1_3genE2ELNS1_11target_archE906ELNS1_3gpuE6ELNS1_3repE0EEENS1_30default_config_static_selectorELNS0_4arch9wavefront6targetE0EEEvSY_,comdat
.Lfunc_end594:
	.size	_ZN7rocprim17ROCPRIM_400000_NS6detail17trampoline_kernelINS0_14default_configENS1_27upper_bound_config_selectorIslEEZNS1_14transform_implILb0ES3_S5_N6thrust23THRUST_200600_302600_NS6detail15normal_iteratorINS8_7pointerIsNS8_11hip_rocprim5par_tENS8_11use_defaultESE_EEEENSA_INSB_IlSD_SE_SE_EEEEZNS1_13binary_searchIS3_S5_NSA_INS8_10device_ptrIsEEEESG_SI_NS1_21upper_bound_search_opENS9_16wrapped_functionINS8_6system6detail7generic6detail18binary_search_lessEbEEEE10hipError_tPvRmT1_T2_T3_mmT4_T5_P12ihipStream_tbEUlRKsE_EESV_SZ_S10_mS11_S14_bEUlT_E_NS1_11comp_targetILNS1_3genE2ELNS1_11target_archE906ELNS1_3gpuE6ELNS1_3repE0EEENS1_30default_config_static_selectorELNS0_4arch9wavefront6targetE0EEEvSY_, .Lfunc_end594-_ZN7rocprim17ROCPRIM_400000_NS6detail17trampoline_kernelINS0_14default_configENS1_27upper_bound_config_selectorIslEEZNS1_14transform_implILb0ES3_S5_N6thrust23THRUST_200600_302600_NS6detail15normal_iteratorINS8_7pointerIsNS8_11hip_rocprim5par_tENS8_11use_defaultESE_EEEENSA_INSB_IlSD_SE_SE_EEEEZNS1_13binary_searchIS3_S5_NSA_INS8_10device_ptrIsEEEESG_SI_NS1_21upper_bound_search_opENS9_16wrapped_functionINS8_6system6detail7generic6detail18binary_search_lessEbEEEE10hipError_tPvRmT1_T2_T3_mmT4_T5_P12ihipStream_tbEUlRKsE_EESV_SZ_S10_mS11_S14_bEUlT_E_NS1_11comp_targetILNS1_3genE2ELNS1_11target_archE906ELNS1_3gpuE6ELNS1_3repE0EEENS1_30default_config_static_selectorELNS0_4arch9wavefront6targetE0EEEvSY_
                                        ; -- End function
	.set _ZN7rocprim17ROCPRIM_400000_NS6detail17trampoline_kernelINS0_14default_configENS1_27upper_bound_config_selectorIslEEZNS1_14transform_implILb0ES3_S5_N6thrust23THRUST_200600_302600_NS6detail15normal_iteratorINS8_7pointerIsNS8_11hip_rocprim5par_tENS8_11use_defaultESE_EEEENSA_INSB_IlSD_SE_SE_EEEEZNS1_13binary_searchIS3_S5_NSA_INS8_10device_ptrIsEEEESG_SI_NS1_21upper_bound_search_opENS9_16wrapped_functionINS8_6system6detail7generic6detail18binary_search_lessEbEEEE10hipError_tPvRmT1_T2_T3_mmT4_T5_P12ihipStream_tbEUlRKsE_EESV_SZ_S10_mS11_S14_bEUlT_E_NS1_11comp_targetILNS1_3genE2ELNS1_11target_archE906ELNS1_3gpuE6ELNS1_3repE0EEENS1_30default_config_static_selectorELNS0_4arch9wavefront6targetE0EEEvSY_.num_vgpr, 0
	.set _ZN7rocprim17ROCPRIM_400000_NS6detail17trampoline_kernelINS0_14default_configENS1_27upper_bound_config_selectorIslEEZNS1_14transform_implILb0ES3_S5_N6thrust23THRUST_200600_302600_NS6detail15normal_iteratorINS8_7pointerIsNS8_11hip_rocprim5par_tENS8_11use_defaultESE_EEEENSA_INSB_IlSD_SE_SE_EEEEZNS1_13binary_searchIS3_S5_NSA_INS8_10device_ptrIsEEEESG_SI_NS1_21upper_bound_search_opENS9_16wrapped_functionINS8_6system6detail7generic6detail18binary_search_lessEbEEEE10hipError_tPvRmT1_T2_T3_mmT4_T5_P12ihipStream_tbEUlRKsE_EESV_SZ_S10_mS11_S14_bEUlT_E_NS1_11comp_targetILNS1_3genE2ELNS1_11target_archE906ELNS1_3gpuE6ELNS1_3repE0EEENS1_30default_config_static_selectorELNS0_4arch9wavefront6targetE0EEEvSY_.num_agpr, 0
	.set _ZN7rocprim17ROCPRIM_400000_NS6detail17trampoline_kernelINS0_14default_configENS1_27upper_bound_config_selectorIslEEZNS1_14transform_implILb0ES3_S5_N6thrust23THRUST_200600_302600_NS6detail15normal_iteratorINS8_7pointerIsNS8_11hip_rocprim5par_tENS8_11use_defaultESE_EEEENSA_INSB_IlSD_SE_SE_EEEEZNS1_13binary_searchIS3_S5_NSA_INS8_10device_ptrIsEEEESG_SI_NS1_21upper_bound_search_opENS9_16wrapped_functionINS8_6system6detail7generic6detail18binary_search_lessEbEEEE10hipError_tPvRmT1_T2_T3_mmT4_T5_P12ihipStream_tbEUlRKsE_EESV_SZ_S10_mS11_S14_bEUlT_E_NS1_11comp_targetILNS1_3genE2ELNS1_11target_archE906ELNS1_3gpuE6ELNS1_3repE0EEENS1_30default_config_static_selectorELNS0_4arch9wavefront6targetE0EEEvSY_.numbered_sgpr, 0
	.set _ZN7rocprim17ROCPRIM_400000_NS6detail17trampoline_kernelINS0_14default_configENS1_27upper_bound_config_selectorIslEEZNS1_14transform_implILb0ES3_S5_N6thrust23THRUST_200600_302600_NS6detail15normal_iteratorINS8_7pointerIsNS8_11hip_rocprim5par_tENS8_11use_defaultESE_EEEENSA_INSB_IlSD_SE_SE_EEEEZNS1_13binary_searchIS3_S5_NSA_INS8_10device_ptrIsEEEESG_SI_NS1_21upper_bound_search_opENS9_16wrapped_functionINS8_6system6detail7generic6detail18binary_search_lessEbEEEE10hipError_tPvRmT1_T2_T3_mmT4_T5_P12ihipStream_tbEUlRKsE_EESV_SZ_S10_mS11_S14_bEUlT_E_NS1_11comp_targetILNS1_3genE2ELNS1_11target_archE906ELNS1_3gpuE6ELNS1_3repE0EEENS1_30default_config_static_selectorELNS0_4arch9wavefront6targetE0EEEvSY_.num_named_barrier, 0
	.set _ZN7rocprim17ROCPRIM_400000_NS6detail17trampoline_kernelINS0_14default_configENS1_27upper_bound_config_selectorIslEEZNS1_14transform_implILb0ES3_S5_N6thrust23THRUST_200600_302600_NS6detail15normal_iteratorINS8_7pointerIsNS8_11hip_rocprim5par_tENS8_11use_defaultESE_EEEENSA_INSB_IlSD_SE_SE_EEEEZNS1_13binary_searchIS3_S5_NSA_INS8_10device_ptrIsEEEESG_SI_NS1_21upper_bound_search_opENS9_16wrapped_functionINS8_6system6detail7generic6detail18binary_search_lessEbEEEE10hipError_tPvRmT1_T2_T3_mmT4_T5_P12ihipStream_tbEUlRKsE_EESV_SZ_S10_mS11_S14_bEUlT_E_NS1_11comp_targetILNS1_3genE2ELNS1_11target_archE906ELNS1_3gpuE6ELNS1_3repE0EEENS1_30default_config_static_selectorELNS0_4arch9wavefront6targetE0EEEvSY_.private_seg_size, 0
	.set _ZN7rocprim17ROCPRIM_400000_NS6detail17trampoline_kernelINS0_14default_configENS1_27upper_bound_config_selectorIslEEZNS1_14transform_implILb0ES3_S5_N6thrust23THRUST_200600_302600_NS6detail15normal_iteratorINS8_7pointerIsNS8_11hip_rocprim5par_tENS8_11use_defaultESE_EEEENSA_INSB_IlSD_SE_SE_EEEEZNS1_13binary_searchIS3_S5_NSA_INS8_10device_ptrIsEEEESG_SI_NS1_21upper_bound_search_opENS9_16wrapped_functionINS8_6system6detail7generic6detail18binary_search_lessEbEEEE10hipError_tPvRmT1_T2_T3_mmT4_T5_P12ihipStream_tbEUlRKsE_EESV_SZ_S10_mS11_S14_bEUlT_E_NS1_11comp_targetILNS1_3genE2ELNS1_11target_archE906ELNS1_3gpuE6ELNS1_3repE0EEENS1_30default_config_static_selectorELNS0_4arch9wavefront6targetE0EEEvSY_.uses_vcc, 0
	.set _ZN7rocprim17ROCPRIM_400000_NS6detail17trampoline_kernelINS0_14default_configENS1_27upper_bound_config_selectorIslEEZNS1_14transform_implILb0ES3_S5_N6thrust23THRUST_200600_302600_NS6detail15normal_iteratorINS8_7pointerIsNS8_11hip_rocprim5par_tENS8_11use_defaultESE_EEEENSA_INSB_IlSD_SE_SE_EEEEZNS1_13binary_searchIS3_S5_NSA_INS8_10device_ptrIsEEEESG_SI_NS1_21upper_bound_search_opENS9_16wrapped_functionINS8_6system6detail7generic6detail18binary_search_lessEbEEEE10hipError_tPvRmT1_T2_T3_mmT4_T5_P12ihipStream_tbEUlRKsE_EESV_SZ_S10_mS11_S14_bEUlT_E_NS1_11comp_targetILNS1_3genE2ELNS1_11target_archE906ELNS1_3gpuE6ELNS1_3repE0EEENS1_30default_config_static_selectorELNS0_4arch9wavefront6targetE0EEEvSY_.uses_flat_scratch, 0
	.set _ZN7rocprim17ROCPRIM_400000_NS6detail17trampoline_kernelINS0_14default_configENS1_27upper_bound_config_selectorIslEEZNS1_14transform_implILb0ES3_S5_N6thrust23THRUST_200600_302600_NS6detail15normal_iteratorINS8_7pointerIsNS8_11hip_rocprim5par_tENS8_11use_defaultESE_EEEENSA_INSB_IlSD_SE_SE_EEEEZNS1_13binary_searchIS3_S5_NSA_INS8_10device_ptrIsEEEESG_SI_NS1_21upper_bound_search_opENS9_16wrapped_functionINS8_6system6detail7generic6detail18binary_search_lessEbEEEE10hipError_tPvRmT1_T2_T3_mmT4_T5_P12ihipStream_tbEUlRKsE_EESV_SZ_S10_mS11_S14_bEUlT_E_NS1_11comp_targetILNS1_3genE2ELNS1_11target_archE906ELNS1_3gpuE6ELNS1_3repE0EEENS1_30default_config_static_selectorELNS0_4arch9wavefront6targetE0EEEvSY_.has_dyn_sized_stack, 0
	.set _ZN7rocprim17ROCPRIM_400000_NS6detail17trampoline_kernelINS0_14default_configENS1_27upper_bound_config_selectorIslEEZNS1_14transform_implILb0ES3_S5_N6thrust23THRUST_200600_302600_NS6detail15normal_iteratorINS8_7pointerIsNS8_11hip_rocprim5par_tENS8_11use_defaultESE_EEEENSA_INSB_IlSD_SE_SE_EEEEZNS1_13binary_searchIS3_S5_NSA_INS8_10device_ptrIsEEEESG_SI_NS1_21upper_bound_search_opENS9_16wrapped_functionINS8_6system6detail7generic6detail18binary_search_lessEbEEEE10hipError_tPvRmT1_T2_T3_mmT4_T5_P12ihipStream_tbEUlRKsE_EESV_SZ_S10_mS11_S14_bEUlT_E_NS1_11comp_targetILNS1_3genE2ELNS1_11target_archE906ELNS1_3gpuE6ELNS1_3repE0EEENS1_30default_config_static_selectorELNS0_4arch9wavefront6targetE0EEEvSY_.has_recursion, 0
	.set _ZN7rocprim17ROCPRIM_400000_NS6detail17trampoline_kernelINS0_14default_configENS1_27upper_bound_config_selectorIslEEZNS1_14transform_implILb0ES3_S5_N6thrust23THRUST_200600_302600_NS6detail15normal_iteratorINS8_7pointerIsNS8_11hip_rocprim5par_tENS8_11use_defaultESE_EEEENSA_INSB_IlSD_SE_SE_EEEEZNS1_13binary_searchIS3_S5_NSA_INS8_10device_ptrIsEEEESG_SI_NS1_21upper_bound_search_opENS9_16wrapped_functionINS8_6system6detail7generic6detail18binary_search_lessEbEEEE10hipError_tPvRmT1_T2_T3_mmT4_T5_P12ihipStream_tbEUlRKsE_EESV_SZ_S10_mS11_S14_bEUlT_E_NS1_11comp_targetILNS1_3genE2ELNS1_11target_archE906ELNS1_3gpuE6ELNS1_3repE0EEENS1_30default_config_static_selectorELNS0_4arch9wavefront6targetE0EEEvSY_.has_indirect_call, 0
	.section	.AMDGPU.csdata,"",@progbits
; Kernel info:
; codeLenInByte = 0
; TotalNumSgprs: 0
; NumVgprs: 0
; ScratchSize: 0
; MemoryBound: 0
; FloatMode: 240
; IeeeMode: 1
; LDSByteSize: 0 bytes/workgroup (compile time only)
; SGPRBlocks: 0
; VGPRBlocks: 0
; NumSGPRsForWavesPerEU: 1
; NumVGPRsForWavesPerEU: 1
; Occupancy: 16
; WaveLimiterHint : 0
; COMPUTE_PGM_RSRC2:SCRATCH_EN: 0
; COMPUTE_PGM_RSRC2:USER_SGPR: 6
; COMPUTE_PGM_RSRC2:TRAP_HANDLER: 0
; COMPUTE_PGM_RSRC2:TGID_X_EN: 1
; COMPUTE_PGM_RSRC2:TGID_Y_EN: 0
; COMPUTE_PGM_RSRC2:TGID_Z_EN: 0
; COMPUTE_PGM_RSRC2:TIDIG_COMP_CNT: 0
	.section	.text._ZN7rocprim17ROCPRIM_400000_NS6detail17trampoline_kernelINS0_14default_configENS1_27upper_bound_config_selectorIslEEZNS1_14transform_implILb0ES3_S5_N6thrust23THRUST_200600_302600_NS6detail15normal_iteratorINS8_7pointerIsNS8_11hip_rocprim5par_tENS8_11use_defaultESE_EEEENSA_INSB_IlSD_SE_SE_EEEEZNS1_13binary_searchIS3_S5_NSA_INS8_10device_ptrIsEEEESG_SI_NS1_21upper_bound_search_opENS9_16wrapped_functionINS8_6system6detail7generic6detail18binary_search_lessEbEEEE10hipError_tPvRmT1_T2_T3_mmT4_T5_P12ihipStream_tbEUlRKsE_EESV_SZ_S10_mS11_S14_bEUlT_E_NS1_11comp_targetILNS1_3genE10ELNS1_11target_archE1201ELNS1_3gpuE5ELNS1_3repE0EEENS1_30default_config_static_selectorELNS0_4arch9wavefront6targetE0EEEvSY_,"axG",@progbits,_ZN7rocprim17ROCPRIM_400000_NS6detail17trampoline_kernelINS0_14default_configENS1_27upper_bound_config_selectorIslEEZNS1_14transform_implILb0ES3_S5_N6thrust23THRUST_200600_302600_NS6detail15normal_iteratorINS8_7pointerIsNS8_11hip_rocprim5par_tENS8_11use_defaultESE_EEEENSA_INSB_IlSD_SE_SE_EEEEZNS1_13binary_searchIS3_S5_NSA_INS8_10device_ptrIsEEEESG_SI_NS1_21upper_bound_search_opENS9_16wrapped_functionINS8_6system6detail7generic6detail18binary_search_lessEbEEEE10hipError_tPvRmT1_T2_T3_mmT4_T5_P12ihipStream_tbEUlRKsE_EESV_SZ_S10_mS11_S14_bEUlT_E_NS1_11comp_targetILNS1_3genE10ELNS1_11target_archE1201ELNS1_3gpuE5ELNS1_3repE0EEENS1_30default_config_static_selectorELNS0_4arch9wavefront6targetE0EEEvSY_,comdat
	.protected	_ZN7rocprim17ROCPRIM_400000_NS6detail17trampoline_kernelINS0_14default_configENS1_27upper_bound_config_selectorIslEEZNS1_14transform_implILb0ES3_S5_N6thrust23THRUST_200600_302600_NS6detail15normal_iteratorINS8_7pointerIsNS8_11hip_rocprim5par_tENS8_11use_defaultESE_EEEENSA_INSB_IlSD_SE_SE_EEEEZNS1_13binary_searchIS3_S5_NSA_INS8_10device_ptrIsEEEESG_SI_NS1_21upper_bound_search_opENS9_16wrapped_functionINS8_6system6detail7generic6detail18binary_search_lessEbEEEE10hipError_tPvRmT1_T2_T3_mmT4_T5_P12ihipStream_tbEUlRKsE_EESV_SZ_S10_mS11_S14_bEUlT_E_NS1_11comp_targetILNS1_3genE10ELNS1_11target_archE1201ELNS1_3gpuE5ELNS1_3repE0EEENS1_30default_config_static_selectorELNS0_4arch9wavefront6targetE0EEEvSY_ ; -- Begin function _ZN7rocprim17ROCPRIM_400000_NS6detail17trampoline_kernelINS0_14default_configENS1_27upper_bound_config_selectorIslEEZNS1_14transform_implILb0ES3_S5_N6thrust23THRUST_200600_302600_NS6detail15normal_iteratorINS8_7pointerIsNS8_11hip_rocprim5par_tENS8_11use_defaultESE_EEEENSA_INSB_IlSD_SE_SE_EEEEZNS1_13binary_searchIS3_S5_NSA_INS8_10device_ptrIsEEEESG_SI_NS1_21upper_bound_search_opENS9_16wrapped_functionINS8_6system6detail7generic6detail18binary_search_lessEbEEEE10hipError_tPvRmT1_T2_T3_mmT4_T5_P12ihipStream_tbEUlRKsE_EESV_SZ_S10_mS11_S14_bEUlT_E_NS1_11comp_targetILNS1_3genE10ELNS1_11target_archE1201ELNS1_3gpuE5ELNS1_3repE0EEENS1_30default_config_static_selectorELNS0_4arch9wavefront6targetE0EEEvSY_
	.globl	_ZN7rocprim17ROCPRIM_400000_NS6detail17trampoline_kernelINS0_14default_configENS1_27upper_bound_config_selectorIslEEZNS1_14transform_implILb0ES3_S5_N6thrust23THRUST_200600_302600_NS6detail15normal_iteratorINS8_7pointerIsNS8_11hip_rocprim5par_tENS8_11use_defaultESE_EEEENSA_INSB_IlSD_SE_SE_EEEEZNS1_13binary_searchIS3_S5_NSA_INS8_10device_ptrIsEEEESG_SI_NS1_21upper_bound_search_opENS9_16wrapped_functionINS8_6system6detail7generic6detail18binary_search_lessEbEEEE10hipError_tPvRmT1_T2_T3_mmT4_T5_P12ihipStream_tbEUlRKsE_EESV_SZ_S10_mS11_S14_bEUlT_E_NS1_11comp_targetILNS1_3genE10ELNS1_11target_archE1201ELNS1_3gpuE5ELNS1_3repE0EEENS1_30default_config_static_selectorELNS0_4arch9wavefront6targetE0EEEvSY_
	.p2align	8
	.type	_ZN7rocprim17ROCPRIM_400000_NS6detail17trampoline_kernelINS0_14default_configENS1_27upper_bound_config_selectorIslEEZNS1_14transform_implILb0ES3_S5_N6thrust23THRUST_200600_302600_NS6detail15normal_iteratorINS8_7pointerIsNS8_11hip_rocprim5par_tENS8_11use_defaultESE_EEEENSA_INSB_IlSD_SE_SE_EEEEZNS1_13binary_searchIS3_S5_NSA_INS8_10device_ptrIsEEEESG_SI_NS1_21upper_bound_search_opENS9_16wrapped_functionINS8_6system6detail7generic6detail18binary_search_lessEbEEEE10hipError_tPvRmT1_T2_T3_mmT4_T5_P12ihipStream_tbEUlRKsE_EESV_SZ_S10_mS11_S14_bEUlT_E_NS1_11comp_targetILNS1_3genE10ELNS1_11target_archE1201ELNS1_3gpuE5ELNS1_3repE0EEENS1_30default_config_static_selectorELNS0_4arch9wavefront6targetE0EEEvSY_,@function
_ZN7rocprim17ROCPRIM_400000_NS6detail17trampoline_kernelINS0_14default_configENS1_27upper_bound_config_selectorIslEEZNS1_14transform_implILb0ES3_S5_N6thrust23THRUST_200600_302600_NS6detail15normal_iteratorINS8_7pointerIsNS8_11hip_rocprim5par_tENS8_11use_defaultESE_EEEENSA_INSB_IlSD_SE_SE_EEEEZNS1_13binary_searchIS3_S5_NSA_INS8_10device_ptrIsEEEESG_SI_NS1_21upper_bound_search_opENS9_16wrapped_functionINS8_6system6detail7generic6detail18binary_search_lessEbEEEE10hipError_tPvRmT1_T2_T3_mmT4_T5_P12ihipStream_tbEUlRKsE_EESV_SZ_S10_mS11_S14_bEUlT_E_NS1_11comp_targetILNS1_3genE10ELNS1_11target_archE1201ELNS1_3gpuE5ELNS1_3repE0EEENS1_30default_config_static_selectorELNS0_4arch9wavefront6targetE0EEEvSY_: ; @_ZN7rocprim17ROCPRIM_400000_NS6detail17trampoline_kernelINS0_14default_configENS1_27upper_bound_config_selectorIslEEZNS1_14transform_implILb0ES3_S5_N6thrust23THRUST_200600_302600_NS6detail15normal_iteratorINS8_7pointerIsNS8_11hip_rocprim5par_tENS8_11use_defaultESE_EEEENSA_INSB_IlSD_SE_SE_EEEEZNS1_13binary_searchIS3_S5_NSA_INS8_10device_ptrIsEEEESG_SI_NS1_21upper_bound_search_opENS9_16wrapped_functionINS8_6system6detail7generic6detail18binary_search_lessEbEEEE10hipError_tPvRmT1_T2_T3_mmT4_T5_P12ihipStream_tbEUlRKsE_EESV_SZ_S10_mS11_S14_bEUlT_E_NS1_11comp_targetILNS1_3genE10ELNS1_11target_archE1201ELNS1_3gpuE5ELNS1_3repE0EEENS1_30default_config_static_selectorELNS0_4arch9wavefront6targetE0EEEvSY_
; %bb.0:
	.section	.rodata,"a",@progbits
	.p2align	6, 0x0
	.amdhsa_kernel _ZN7rocprim17ROCPRIM_400000_NS6detail17trampoline_kernelINS0_14default_configENS1_27upper_bound_config_selectorIslEEZNS1_14transform_implILb0ES3_S5_N6thrust23THRUST_200600_302600_NS6detail15normal_iteratorINS8_7pointerIsNS8_11hip_rocprim5par_tENS8_11use_defaultESE_EEEENSA_INSB_IlSD_SE_SE_EEEEZNS1_13binary_searchIS3_S5_NSA_INS8_10device_ptrIsEEEESG_SI_NS1_21upper_bound_search_opENS9_16wrapped_functionINS8_6system6detail7generic6detail18binary_search_lessEbEEEE10hipError_tPvRmT1_T2_T3_mmT4_T5_P12ihipStream_tbEUlRKsE_EESV_SZ_S10_mS11_S14_bEUlT_E_NS1_11comp_targetILNS1_3genE10ELNS1_11target_archE1201ELNS1_3gpuE5ELNS1_3repE0EEENS1_30default_config_static_selectorELNS0_4arch9wavefront6targetE0EEEvSY_
		.amdhsa_group_segment_fixed_size 0
		.amdhsa_private_segment_fixed_size 0
		.amdhsa_kernarg_size 56
		.amdhsa_user_sgpr_count 6
		.amdhsa_user_sgpr_private_segment_buffer 1
		.amdhsa_user_sgpr_dispatch_ptr 0
		.amdhsa_user_sgpr_queue_ptr 0
		.amdhsa_user_sgpr_kernarg_segment_ptr 1
		.amdhsa_user_sgpr_dispatch_id 0
		.amdhsa_user_sgpr_flat_scratch_init 0
		.amdhsa_user_sgpr_private_segment_size 0
		.amdhsa_wavefront_size32 1
		.amdhsa_uses_dynamic_stack 0
		.amdhsa_system_sgpr_private_segment_wavefront_offset 0
		.amdhsa_system_sgpr_workgroup_id_x 1
		.amdhsa_system_sgpr_workgroup_id_y 0
		.amdhsa_system_sgpr_workgroup_id_z 0
		.amdhsa_system_sgpr_workgroup_info 0
		.amdhsa_system_vgpr_workitem_id 0
		.amdhsa_next_free_vgpr 1
		.amdhsa_next_free_sgpr 1
		.amdhsa_reserve_vcc 0
		.amdhsa_reserve_flat_scratch 0
		.amdhsa_float_round_mode_32 0
		.amdhsa_float_round_mode_16_64 0
		.amdhsa_float_denorm_mode_32 3
		.amdhsa_float_denorm_mode_16_64 3
		.amdhsa_dx10_clamp 1
		.amdhsa_ieee_mode 1
		.amdhsa_fp16_overflow 0
		.amdhsa_workgroup_processor_mode 1
		.amdhsa_memory_ordered 1
		.amdhsa_forward_progress 1
		.amdhsa_shared_vgpr_count 0
		.amdhsa_exception_fp_ieee_invalid_op 0
		.amdhsa_exception_fp_denorm_src 0
		.amdhsa_exception_fp_ieee_div_zero 0
		.amdhsa_exception_fp_ieee_overflow 0
		.amdhsa_exception_fp_ieee_underflow 0
		.amdhsa_exception_fp_ieee_inexact 0
		.amdhsa_exception_int_div_zero 0
	.end_amdhsa_kernel
	.section	.text._ZN7rocprim17ROCPRIM_400000_NS6detail17trampoline_kernelINS0_14default_configENS1_27upper_bound_config_selectorIslEEZNS1_14transform_implILb0ES3_S5_N6thrust23THRUST_200600_302600_NS6detail15normal_iteratorINS8_7pointerIsNS8_11hip_rocprim5par_tENS8_11use_defaultESE_EEEENSA_INSB_IlSD_SE_SE_EEEEZNS1_13binary_searchIS3_S5_NSA_INS8_10device_ptrIsEEEESG_SI_NS1_21upper_bound_search_opENS9_16wrapped_functionINS8_6system6detail7generic6detail18binary_search_lessEbEEEE10hipError_tPvRmT1_T2_T3_mmT4_T5_P12ihipStream_tbEUlRKsE_EESV_SZ_S10_mS11_S14_bEUlT_E_NS1_11comp_targetILNS1_3genE10ELNS1_11target_archE1201ELNS1_3gpuE5ELNS1_3repE0EEENS1_30default_config_static_selectorELNS0_4arch9wavefront6targetE0EEEvSY_,"axG",@progbits,_ZN7rocprim17ROCPRIM_400000_NS6detail17trampoline_kernelINS0_14default_configENS1_27upper_bound_config_selectorIslEEZNS1_14transform_implILb0ES3_S5_N6thrust23THRUST_200600_302600_NS6detail15normal_iteratorINS8_7pointerIsNS8_11hip_rocprim5par_tENS8_11use_defaultESE_EEEENSA_INSB_IlSD_SE_SE_EEEEZNS1_13binary_searchIS3_S5_NSA_INS8_10device_ptrIsEEEESG_SI_NS1_21upper_bound_search_opENS9_16wrapped_functionINS8_6system6detail7generic6detail18binary_search_lessEbEEEE10hipError_tPvRmT1_T2_T3_mmT4_T5_P12ihipStream_tbEUlRKsE_EESV_SZ_S10_mS11_S14_bEUlT_E_NS1_11comp_targetILNS1_3genE10ELNS1_11target_archE1201ELNS1_3gpuE5ELNS1_3repE0EEENS1_30default_config_static_selectorELNS0_4arch9wavefront6targetE0EEEvSY_,comdat
.Lfunc_end595:
	.size	_ZN7rocprim17ROCPRIM_400000_NS6detail17trampoline_kernelINS0_14default_configENS1_27upper_bound_config_selectorIslEEZNS1_14transform_implILb0ES3_S5_N6thrust23THRUST_200600_302600_NS6detail15normal_iteratorINS8_7pointerIsNS8_11hip_rocprim5par_tENS8_11use_defaultESE_EEEENSA_INSB_IlSD_SE_SE_EEEEZNS1_13binary_searchIS3_S5_NSA_INS8_10device_ptrIsEEEESG_SI_NS1_21upper_bound_search_opENS9_16wrapped_functionINS8_6system6detail7generic6detail18binary_search_lessEbEEEE10hipError_tPvRmT1_T2_T3_mmT4_T5_P12ihipStream_tbEUlRKsE_EESV_SZ_S10_mS11_S14_bEUlT_E_NS1_11comp_targetILNS1_3genE10ELNS1_11target_archE1201ELNS1_3gpuE5ELNS1_3repE0EEENS1_30default_config_static_selectorELNS0_4arch9wavefront6targetE0EEEvSY_, .Lfunc_end595-_ZN7rocprim17ROCPRIM_400000_NS6detail17trampoline_kernelINS0_14default_configENS1_27upper_bound_config_selectorIslEEZNS1_14transform_implILb0ES3_S5_N6thrust23THRUST_200600_302600_NS6detail15normal_iteratorINS8_7pointerIsNS8_11hip_rocprim5par_tENS8_11use_defaultESE_EEEENSA_INSB_IlSD_SE_SE_EEEEZNS1_13binary_searchIS3_S5_NSA_INS8_10device_ptrIsEEEESG_SI_NS1_21upper_bound_search_opENS9_16wrapped_functionINS8_6system6detail7generic6detail18binary_search_lessEbEEEE10hipError_tPvRmT1_T2_T3_mmT4_T5_P12ihipStream_tbEUlRKsE_EESV_SZ_S10_mS11_S14_bEUlT_E_NS1_11comp_targetILNS1_3genE10ELNS1_11target_archE1201ELNS1_3gpuE5ELNS1_3repE0EEENS1_30default_config_static_selectorELNS0_4arch9wavefront6targetE0EEEvSY_
                                        ; -- End function
	.set _ZN7rocprim17ROCPRIM_400000_NS6detail17trampoline_kernelINS0_14default_configENS1_27upper_bound_config_selectorIslEEZNS1_14transform_implILb0ES3_S5_N6thrust23THRUST_200600_302600_NS6detail15normal_iteratorINS8_7pointerIsNS8_11hip_rocprim5par_tENS8_11use_defaultESE_EEEENSA_INSB_IlSD_SE_SE_EEEEZNS1_13binary_searchIS3_S5_NSA_INS8_10device_ptrIsEEEESG_SI_NS1_21upper_bound_search_opENS9_16wrapped_functionINS8_6system6detail7generic6detail18binary_search_lessEbEEEE10hipError_tPvRmT1_T2_T3_mmT4_T5_P12ihipStream_tbEUlRKsE_EESV_SZ_S10_mS11_S14_bEUlT_E_NS1_11comp_targetILNS1_3genE10ELNS1_11target_archE1201ELNS1_3gpuE5ELNS1_3repE0EEENS1_30default_config_static_selectorELNS0_4arch9wavefront6targetE0EEEvSY_.num_vgpr, 0
	.set _ZN7rocprim17ROCPRIM_400000_NS6detail17trampoline_kernelINS0_14default_configENS1_27upper_bound_config_selectorIslEEZNS1_14transform_implILb0ES3_S5_N6thrust23THRUST_200600_302600_NS6detail15normal_iteratorINS8_7pointerIsNS8_11hip_rocprim5par_tENS8_11use_defaultESE_EEEENSA_INSB_IlSD_SE_SE_EEEEZNS1_13binary_searchIS3_S5_NSA_INS8_10device_ptrIsEEEESG_SI_NS1_21upper_bound_search_opENS9_16wrapped_functionINS8_6system6detail7generic6detail18binary_search_lessEbEEEE10hipError_tPvRmT1_T2_T3_mmT4_T5_P12ihipStream_tbEUlRKsE_EESV_SZ_S10_mS11_S14_bEUlT_E_NS1_11comp_targetILNS1_3genE10ELNS1_11target_archE1201ELNS1_3gpuE5ELNS1_3repE0EEENS1_30default_config_static_selectorELNS0_4arch9wavefront6targetE0EEEvSY_.num_agpr, 0
	.set _ZN7rocprim17ROCPRIM_400000_NS6detail17trampoline_kernelINS0_14default_configENS1_27upper_bound_config_selectorIslEEZNS1_14transform_implILb0ES3_S5_N6thrust23THRUST_200600_302600_NS6detail15normal_iteratorINS8_7pointerIsNS8_11hip_rocprim5par_tENS8_11use_defaultESE_EEEENSA_INSB_IlSD_SE_SE_EEEEZNS1_13binary_searchIS3_S5_NSA_INS8_10device_ptrIsEEEESG_SI_NS1_21upper_bound_search_opENS9_16wrapped_functionINS8_6system6detail7generic6detail18binary_search_lessEbEEEE10hipError_tPvRmT1_T2_T3_mmT4_T5_P12ihipStream_tbEUlRKsE_EESV_SZ_S10_mS11_S14_bEUlT_E_NS1_11comp_targetILNS1_3genE10ELNS1_11target_archE1201ELNS1_3gpuE5ELNS1_3repE0EEENS1_30default_config_static_selectorELNS0_4arch9wavefront6targetE0EEEvSY_.numbered_sgpr, 0
	.set _ZN7rocprim17ROCPRIM_400000_NS6detail17trampoline_kernelINS0_14default_configENS1_27upper_bound_config_selectorIslEEZNS1_14transform_implILb0ES3_S5_N6thrust23THRUST_200600_302600_NS6detail15normal_iteratorINS8_7pointerIsNS8_11hip_rocprim5par_tENS8_11use_defaultESE_EEEENSA_INSB_IlSD_SE_SE_EEEEZNS1_13binary_searchIS3_S5_NSA_INS8_10device_ptrIsEEEESG_SI_NS1_21upper_bound_search_opENS9_16wrapped_functionINS8_6system6detail7generic6detail18binary_search_lessEbEEEE10hipError_tPvRmT1_T2_T3_mmT4_T5_P12ihipStream_tbEUlRKsE_EESV_SZ_S10_mS11_S14_bEUlT_E_NS1_11comp_targetILNS1_3genE10ELNS1_11target_archE1201ELNS1_3gpuE5ELNS1_3repE0EEENS1_30default_config_static_selectorELNS0_4arch9wavefront6targetE0EEEvSY_.num_named_barrier, 0
	.set _ZN7rocprim17ROCPRIM_400000_NS6detail17trampoline_kernelINS0_14default_configENS1_27upper_bound_config_selectorIslEEZNS1_14transform_implILb0ES3_S5_N6thrust23THRUST_200600_302600_NS6detail15normal_iteratorINS8_7pointerIsNS8_11hip_rocprim5par_tENS8_11use_defaultESE_EEEENSA_INSB_IlSD_SE_SE_EEEEZNS1_13binary_searchIS3_S5_NSA_INS8_10device_ptrIsEEEESG_SI_NS1_21upper_bound_search_opENS9_16wrapped_functionINS8_6system6detail7generic6detail18binary_search_lessEbEEEE10hipError_tPvRmT1_T2_T3_mmT4_T5_P12ihipStream_tbEUlRKsE_EESV_SZ_S10_mS11_S14_bEUlT_E_NS1_11comp_targetILNS1_3genE10ELNS1_11target_archE1201ELNS1_3gpuE5ELNS1_3repE0EEENS1_30default_config_static_selectorELNS0_4arch9wavefront6targetE0EEEvSY_.private_seg_size, 0
	.set _ZN7rocprim17ROCPRIM_400000_NS6detail17trampoline_kernelINS0_14default_configENS1_27upper_bound_config_selectorIslEEZNS1_14transform_implILb0ES3_S5_N6thrust23THRUST_200600_302600_NS6detail15normal_iteratorINS8_7pointerIsNS8_11hip_rocprim5par_tENS8_11use_defaultESE_EEEENSA_INSB_IlSD_SE_SE_EEEEZNS1_13binary_searchIS3_S5_NSA_INS8_10device_ptrIsEEEESG_SI_NS1_21upper_bound_search_opENS9_16wrapped_functionINS8_6system6detail7generic6detail18binary_search_lessEbEEEE10hipError_tPvRmT1_T2_T3_mmT4_T5_P12ihipStream_tbEUlRKsE_EESV_SZ_S10_mS11_S14_bEUlT_E_NS1_11comp_targetILNS1_3genE10ELNS1_11target_archE1201ELNS1_3gpuE5ELNS1_3repE0EEENS1_30default_config_static_selectorELNS0_4arch9wavefront6targetE0EEEvSY_.uses_vcc, 0
	.set _ZN7rocprim17ROCPRIM_400000_NS6detail17trampoline_kernelINS0_14default_configENS1_27upper_bound_config_selectorIslEEZNS1_14transform_implILb0ES3_S5_N6thrust23THRUST_200600_302600_NS6detail15normal_iteratorINS8_7pointerIsNS8_11hip_rocprim5par_tENS8_11use_defaultESE_EEEENSA_INSB_IlSD_SE_SE_EEEEZNS1_13binary_searchIS3_S5_NSA_INS8_10device_ptrIsEEEESG_SI_NS1_21upper_bound_search_opENS9_16wrapped_functionINS8_6system6detail7generic6detail18binary_search_lessEbEEEE10hipError_tPvRmT1_T2_T3_mmT4_T5_P12ihipStream_tbEUlRKsE_EESV_SZ_S10_mS11_S14_bEUlT_E_NS1_11comp_targetILNS1_3genE10ELNS1_11target_archE1201ELNS1_3gpuE5ELNS1_3repE0EEENS1_30default_config_static_selectorELNS0_4arch9wavefront6targetE0EEEvSY_.uses_flat_scratch, 0
	.set _ZN7rocprim17ROCPRIM_400000_NS6detail17trampoline_kernelINS0_14default_configENS1_27upper_bound_config_selectorIslEEZNS1_14transform_implILb0ES3_S5_N6thrust23THRUST_200600_302600_NS6detail15normal_iteratorINS8_7pointerIsNS8_11hip_rocprim5par_tENS8_11use_defaultESE_EEEENSA_INSB_IlSD_SE_SE_EEEEZNS1_13binary_searchIS3_S5_NSA_INS8_10device_ptrIsEEEESG_SI_NS1_21upper_bound_search_opENS9_16wrapped_functionINS8_6system6detail7generic6detail18binary_search_lessEbEEEE10hipError_tPvRmT1_T2_T3_mmT4_T5_P12ihipStream_tbEUlRKsE_EESV_SZ_S10_mS11_S14_bEUlT_E_NS1_11comp_targetILNS1_3genE10ELNS1_11target_archE1201ELNS1_3gpuE5ELNS1_3repE0EEENS1_30default_config_static_selectorELNS0_4arch9wavefront6targetE0EEEvSY_.has_dyn_sized_stack, 0
	.set _ZN7rocprim17ROCPRIM_400000_NS6detail17trampoline_kernelINS0_14default_configENS1_27upper_bound_config_selectorIslEEZNS1_14transform_implILb0ES3_S5_N6thrust23THRUST_200600_302600_NS6detail15normal_iteratorINS8_7pointerIsNS8_11hip_rocprim5par_tENS8_11use_defaultESE_EEEENSA_INSB_IlSD_SE_SE_EEEEZNS1_13binary_searchIS3_S5_NSA_INS8_10device_ptrIsEEEESG_SI_NS1_21upper_bound_search_opENS9_16wrapped_functionINS8_6system6detail7generic6detail18binary_search_lessEbEEEE10hipError_tPvRmT1_T2_T3_mmT4_T5_P12ihipStream_tbEUlRKsE_EESV_SZ_S10_mS11_S14_bEUlT_E_NS1_11comp_targetILNS1_3genE10ELNS1_11target_archE1201ELNS1_3gpuE5ELNS1_3repE0EEENS1_30default_config_static_selectorELNS0_4arch9wavefront6targetE0EEEvSY_.has_recursion, 0
	.set _ZN7rocprim17ROCPRIM_400000_NS6detail17trampoline_kernelINS0_14default_configENS1_27upper_bound_config_selectorIslEEZNS1_14transform_implILb0ES3_S5_N6thrust23THRUST_200600_302600_NS6detail15normal_iteratorINS8_7pointerIsNS8_11hip_rocprim5par_tENS8_11use_defaultESE_EEEENSA_INSB_IlSD_SE_SE_EEEEZNS1_13binary_searchIS3_S5_NSA_INS8_10device_ptrIsEEEESG_SI_NS1_21upper_bound_search_opENS9_16wrapped_functionINS8_6system6detail7generic6detail18binary_search_lessEbEEEE10hipError_tPvRmT1_T2_T3_mmT4_T5_P12ihipStream_tbEUlRKsE_EESV_SZ_S10_mS11_S14_bEUlT_E_NS1_11comp_targetILNS1_3genE10ELNS1_11target_archE1201ELNS1_3gpuE5ELNS1_3repE0EEENS1_30default_config_static_selectorELNS0_4arch9wavefront6targetE0EEEvSY_.has_indirect_call, 0
	.section	.AMDGPU.csdata,"",@progbits
; Kernel info:
; codeLenInByte = 0
; TotalNumSgprs: 0
; NumVgprs: 0
; ScratchSize: 0
; MemoryBound: 0
; FloatMode: 240
; IeeeMode: 1
; LDSByteSize: 0 bytes/workgroup (compile time only)
; SGPRBlocks: 0
; VGPRBlocks: 0
; NumSGPRsForWavesPerEU: 1
; NumVGPRsForWavesPerEU: 1
; Occupancy: 16
; WaveLimiterHint : 0
; COMPUTE_PGM_RSRC2:SCRATCH_EN: 0
; COMPUTE_PGM_RSRC2:USER_SGPR: 6
; COMPUTE_PGM_RSRC2:TRAP_HANDLER: 0
; COMPUTE_PGM_RSRC2:TGID_X_EN: 1
; COMPUTE_PGM_RSRC2:TGID_Y_EN: 0
; COMPUTE_PGM_RSRC2:TGID_Z_EN: 0
; COMPUTE_PGM_RSRC2:TIDIG_COMP_CNT: 0
	.section	.text._ZN7rocprim17ROCPRIM_400000_NS6detail17trampoline_kernelINS0_14default_configENS1_27upper_bound_config_selectorIslEEZNS1_14transform_implILb0ES3_S5_N6thrust23THRUST_200600_302600_NS6detail15normal_iteratorINS8_7pointerIsNS8_11hip_rocprim5par_tENS8_11use_defaultESE_EEEENSA_INSB_IlSD_SE_SE_EEEEZNS1_13binary_searchIS3_S5_NSA_INS8_10device_ptrIsEEEESG_SI_NS1_21upper_bound_search_opENS9_16wrapped_functionINS8_6system6detail7generic6detail18binary_search_lessEbEEEE10hipError_tPvRmT1_T2_T3_mmT4_T5_P12ihipStream_tbEUlRKsE_EESV_SZ_S10_mS11_S14_bEUlT_E_NS1_11comp_targetILNS1_3genE10ELNS1_11target_archE1200ELNS1_3gpuE4ELNS1_3repE0EEENS1_30default_config_static_selectorELNS0_4arch9wavefront6targetE0EEEvSY_,"axG",@progbits,_ZN7rocprim17ROCPRIM_400000_NS6detail17trampoline_kernelINS0_14default_configENS1_27upper_bound_config_selectorIslEEZNS1_14transform_implILb0ES3_S5_N6thrust23THRUST_200600_302600_NS6detail15normal_iteratorINS8_7pointerIsNS8_11hip_rocprim5par_tENS8_11use_defaultESE_EEEENSA_INSB_IlSD_SE_SE_EEEEZNS1_13binary_searchIS3_S5_NSA_INS8_10device_ptrIsEEEESG_SI_NS1_21upper_bound_search_opENS9_16wrapped_functionINS8_6system6detail7generic6detail18binary_search_lessEbEEEE10hipError_tPvRmT1_T2_T3_mmT4_T5_P12ihipStream_tbEUlRKsE_EESV_SZ_S10_mS11_S14_bEUlT_E_NS1_11comp_targetILNS1_3genE10ELNS1_11target_archE1200ELNS1_3gpuE4ELNS1_3repE0EEENS1_30default_config_static_selectorELNS0_4arch9wavefront6targetE0EEEvSY_,comdat
	.protected	_ZN7rocprim17ROCPRIM_400000_NS6detail17trampoline_kernelINS0_14default_configENS1_27upper_bound_config_selectorIslEEZNS1_14transform_implILb0ES3_S5_N6thrust23THRUST_200600_302600_NS6detail15normal_iteratorINS8_7pointerIsNS8_11hip_rocprim5par_tENS8_11use_defaultESE_EEEENSA_INSB_IlSD_SE_SE_EEEEZNS1_13binary_searchIS3_S5_NSA_INS8_10device_ptrIsEEEESG_SI_NS1_21upper_bound_search_opENS9_16wrapped_functionINS8_6system6detail7generic6detail18binary_search_lessEbEEEE10hipError_tPvRmT1_T2_T3_mmT4_T5_P12ihipStream_tbEUlRKsE_EESV_SZ_S10_mS11_S14_bEUlT_E_NS1_11comp_targetILNS1_3genE10ELNS1_11target_archE1200ELNS1_3gpuE4ELNS1_3repE0EEENS1_30default_config_static_selectorELNS0_4arch9wavefront6targetE0EEEvSY_ ; -- Begin function _ZN7rocprim17ROCPRIM_400000_NS6detail17trampoline_kernelINS0_14default_configENS1_27upper_bound_config_selectorIslEEZNS1_14transform_implILb0ES3_S5_N6thrust23THRUST_200600_302600_NS6detail15normal_iteratorINS8_7pointerIsNS8_11hip_rocprim5par_tENS8_11use_defaultESE_EEEENSA_INSB_IlSD_SE_SE_EEEEZNS1_13binary_searchIS3_S5_NSA_INS8_10device_ptrIsEEEESG_SI_NS1_21upper_bound_search_opENS9_16wrapped_functionINS8_6system6detail7generic6detail18binary_search_lessEbEEEE10hipError_tPvRmT1_T2_T3_mmT4_T5_P12ihipStream_tbEUlRKsE_EESV_SZ_S10_mS11_S14_bEUlT_E_NS1_11comp_targetILNS1_3genE10ELNS1_11target_archE1200ELNS1_3gpuE4ELNS1_3repE0EEENS1_30default_config_static_selectorELNS0_4arch9wavefront6targetE0EEEvSY_
	.globl	_ZN7rocprim17ROCPRIM_400000_NS6detail17trampoline_kernelINS0_14default_configENS1_27upper_bound_config_selectorIslEEZNS1_14transform_implILb0ES3_S5_N6thrust23THRUST_200600_302600_NS6detail15normal_iteratorINS8_7pointerIsNS8_11hip_rocprim5par_tENS8_11use_defaultESE_EEEENSA_INSB_IlSD_SE_SE_EEEEZNS1_13binary_searchIS3_S5_NSA_INS8_10device_ptrIsEEEESG_SI_NS1_21upper_bound_search_opENS9_16wrapped_functionINS8_6system6detail7generic6detail18binary_search_lessEbEEEE10hipError_tPvRmT1_T2_T3_mmT4_T5_P12ihipStream_tbEUlRKsE_EESV_SZ_S10_mS11_S14_bEUlT_E_NS1_11comp_targetILNS1_3genE10ELNS1_11target_archE1200ELNS1_3gpuE4ELNS1_3repE0EEENS1_30default_config_static_selectorELNS0_4arch9wavefront6targetE0EEEvSY_
	.p2align	8
	.type	_ZN7rocprim17ROCPRIM_400000_NS6detail17trampoline_kernelINS0_14default_configENS1_27upper_bound_config_selectorIslEEZNS1_14transform_implILb0ES3_S5_N6thrust23THRUST_200600_302600_NS6detail15normal_iteratorINS8_7pointerIsNS8_11hip_rocprim5par_tENS8_11use_defaultESE_EEEENSA_INSB_IlSD_SE_SE_EEEEZNS1_13binary_searchIS3_S5_NSA_INS8_10device_ptrIsEEEESG_SI_NS1_21upper_bound_search_opENS9_16wrapped_functionINS8_6system6detail7generic6detail18binary_search_lessEbEEEE10hipError_tPvRmT1_T2_T3_mmT4_T5_P12ihipStream_tbEUlRKsE_EESV_SZ_S10_mS11_S14_bEUlT_E_NS1_11comp_targetILNS1_3genE10ELNS1_11target_archE1200ELNS1_3gpuE4ELNS1_3repE0EEENS1_30default_config_static_selectorELNS0_4arch9wavefront6targetE0EEEvSY_,@function
_ZN7rocprim17ROCPRIM_400000_NS6detail17trampoline_kernelINS0_14default_configENS1_27upper_bound_config_selectorIslEEZNS1_14transform_implILb0ES3_S5_N6thrust23THRUST_200600_302600_NS6detail15normal_iteratorINS8_7pointerIsNS8_11hip_rocprim5par_tENS8_11use_defaultESE_EEEENSA_INSB_IlSD_SE_SE_EEEEZNS1_13binary_searchIS3_S5_NSA_INS8_10device_ptrIsEEEESG_SI_NS1_21upper_bound_search_opENS9_16wrapped_functionINS8_6system6detail7generic6detail18binary_search_lessEbEEEE10hipError_tPvRmT1_T2_T3_mmT4_T5_P12ihipStream_tbEUlRKsE_EESV_SZ_S10_mS11_S14_bEUlT_E_NS1_11comp_targetILNS1_3genE10ELNS1_11target_archE1200ELNS1_3gpuE4ELNS1_3repE0EEENS1_30default_config_static_selectorELNS0_4arch9wavefront6targetE0EEEvSY_: ; @_ZN7rocprim17ROCPRIM_400000_NS6detail17trampoline_kernelINS0_14default_configENS1_27upper_bound_config_selectorIslEEZNS1_14transform_implILb0ES3_S5_N6thrust23THRUST_200600_302600_NS6detail15normal_iteratorINS8_7pointerIsNS8_11hip_rocprim5par_tENS8_11use_defaultESE_EEEENSA_INSB_IlSD_SE_SE_EEEEZNS1_13binary_searchIS3_S5_NSA_INS8_10device_ptrIsEEEESG_SI_NS1_21upper_bound_search_opENS9_16wrapped_functionINS8_6system6detail7generic6detail18binary_search_lessEbEEEE10hipError_tPvRmT1_T2_T3_mmT4_T5_P12ihipStream_tbEUlRKsE_EESV_SZ_S10_mS11_S14_bEUlT_E_NS1_11comp_targetILNS1_3genE10ELNS1_11target_archE1200ELNS1_3gpuE4ELNS1_3repE0EEENS1_30default_config_static_selectorELNS0_4arch9wavefront6targetE0EEEvSY_
; %bb.0:
	.section	.rodata,"a",@progbits
	.p2align	6, 0x0
	.amdhsa_kernel _ZN7rocprim17ROCPRIM_400000_NS6detail17trampoline_kernelINS0_14default_configENS1_27upper_bound_config_selectorIslEEZNS1_14transform_implILb0ES3_S5_N6thrust23THRUST_200600_302600_NS6detail15normal_iteratorINS8_7pointerIsNS8_11hip_rocprim5par_tENS8_11use_defaultESE_EEEENSA_INSB_IlSD_SE_SE_EEEEZNS1_13binary_searchIS3_S5_NSA_INS8_10device_ptrIsEEEESG_SI_NS1_21upper_bound_search_opENS9_16wrapped_functionINS8_6system6detail7generic6detail18binary_search_lessEbEEEE10hipError_tPvRmT1_T2_T3_mmT4_T5_P12ihipStream_tbEUlRKsE_EESV_SZ_S10_mS11_S14_bEUlT_E_NS1_11comp_targetILNS1_3genE10ELNS1_11target_archE1200ELNS1_3gpuE4ELNS1_3repE0EEENS1_30default_config_static_selectorELNS0_4arch9wavefront6targetE0EEEvSY_
		.amdhsa_group_segment_fixed_size 0
		.amdhsa_private_segment_fixed_size 0
		.amdhsa_kernarg_size 56
		.amdhsa_user_sgpr_count 6
		.amdhsa_user_sgpr_private_segment_buffer 1
		.amdhsa_user_sgpr_dispatch_ptr 0
		.amdhsa_user_sgpr_queue_ptr 0
		.amdhsa_user_sgpr_kernarg_segment_ptr 1
		.amdhsa_user_sgpr_dispatch_id 0
		.amdhsa_user_sgpr_flat_scratch_init 0
		.amdhsa_user_sgpr_private_segment_size 0
		.amdhsa_wavefront_size32 1
		.amdhsa_uses_dynamic_stack 0
		.amdhsa_system_sgpr_private_segment_wavefront_offset 0
		.amdhsa_system_sgpr_workgroup_id_x 1
		.amdhsa_system_sgpr_workgroup_id_y 0
		.amdhsa_system_sgpr_workgroup_id_z 0
		.amdhsa_system_sgpr_workgroup_info 0
		.amdhsa_system_vgpr_workitem_id 0
		.amdhsa_next_free_vgpr 1
		.amdhsa_next_free_sgpr 1
		.amdhsa_reserve_vcc 0
		.amdhsa_reserve_flat_scratch 0
		.amdhsa_float_round_mode_32 0
		.amdhsa_float_round_mode_16_64 0
		.amdhsa_float_denorm_mode_32 3
		.amdhsa_float_denorm_mode_16_64 3
		.amdhsa_dx10_clamp 1
		.amdhsa_ieee_mode 1
		.amdhsa_fp16_overflow 0
		.amdhsa_workgroup_processor_mode 1
		.amdhsa_memory_ordered 1
		.amdhsa_forward_progress 1
		.amdhsa_shared_vgpr_count 0
		.amdhsa_exception_fp_ieee_invalid_op 0
		.amdhsa_exception_fp_denorm_src 0
		.amdhsa_exception_fp_ieee_div_zero 0
		.amdhsa_exception_fp_ieee_overflow 0
		.amdhsa_exception_fp_ieee_underflow 0
		.amdhsa_exception_fp_ieee_inexact 0
		.amdhsa_exception_int_div_zero 0
	.end_amdhsa_kernel
	.section	.text._ZN7rocprim17ROCPRIM_400000_NS6detail17trampoline_kernelINS0_14default_configENS1_27upper_bound_config_selectorIslEEZNS1_14transform_implILb0ES3_S5_N6thrust23THRUST_200600_302600_NS6detail15normal_iteratorINS8_7pointerIsNS8_11hip_rocprim5par_tENS8_11use_defaultESE_EEEENSA_INSB_IlSD_SE_SE_EEEEZNS1_13binary_searchIS3_S5_NSA_INS8_10device_ptrIsEEEESG_SI_NS1_21upper_bound_search_opENS9_16wrapped_functionINS8_6system6detail7generic6detail18binary_search_lessEbEEEE10hipError_tPvRmT1_T2_T3_mmT4_T5_P12ihipStream_tbEUlRKsE_EESV_SZ_S10_mS11_S14_bEUlT_E_NS1_11comp_targetILNS1_3genE10ELNS1_11target_archE1200ELNS1_3gpuE4ELNS1_3repE0EEENS1_30default_config_static_selectorELNS0_4arch9wavefront6targetE0EEEvSY_,"axG",@progbits,_ZN7rocprim17ROCPRIM_400000_NS6detail17trampoline_kernelINS0_14default_configENS1_27upper_bound_config_selectorIslEEZNS1_14transform_implILb0ES3_S5_N6thrust23THRUST_200600_302600_NS6detail15normal_iteratorINS8_7pointerIsNS8_11hip_rocprim5par_tENS8_11use_defaultESE_EEEENSA_INSB_IlSD_SE_SE_EEEEZNS1_13binary_searchIS3_S5_NSA_INS8_10device_ptrIsEEEESG_SI_NS1_21upper_bound_search_opENS9_16wrapped_functionINS8_6system6detail7generic6detail18binary_search_lessEbEEEE10hipError_tPvRmT1_T2_T3_mmT4_T5_P12ihipStream_tbEUlRKsE_EESV_SZ_S10_mS11_S14_bEUlT_E_NS1_11comp_targetILNS1_3genE10ELNS1_11target_archE1200ELNS1_3gpuE4ELNS1_3repE0EEENS1_30default_config_static_selectorELNS0_4arch9wavefront6targetE0EEEvSY_,comdat
.Lfunc_end596:
	.size	_ZN7rocprim17ROCPRIM_400000_NS6detail17trampoline_kernelINS0_14default_configENS1_27upper_bound_config_selectorIslEEZNS1_14transform_implILb0ES3_S5_N6thrust23THRUST_200600_302600_NS6detail15normal_iteratorINS8_7pointerIsNS8_11hip_rocprim5par_tENS8_11use_defaultESE_EEEENSA_INSB_IlSD_SE_SE_EEEEZNS1_13binary_searchIS3_S5_NSA_INS8_10device_ptrIsEEEESG_SI_NS1_21upper_bound_search_opENS9_16wrapped_functionINS8_6system6detail7generic6detail18binary_search_lessEbEEEE10hipError_tPvRmT1_T2_T3_mmT4_T5_P12ihipStream_tbEUlRKsE_EESV_SZ_S10_mS11_S14_bEUlT_E_NS1_11comp_targetILNS1_3genE10ELNS1_11target_archE1200ELNS1_3gpuE4ELNS1_3repE0EEENS1_30default_config_static_selectorELNS0_4arch9wavefront6targetE0EEEvSY_, .Lfunc_end596-_ZN7rocprim17ROCPRIM_400000_NS6detail17trampoline_kernelINS0_14default_configENS1_27upper_bound_config_selectorIslEEZNS1_14transform_implILb0ES3_S5_N6thrust23THRUST_200600_302600_NS6detail15normal_iteratorINS8_7pointerIsNS8_11hip_rocprim5par_tENS8_11use_defaultESE_EEEENSA_INSB_IlSD_SE_SE_EEEEZNS1_13binary_searchIS3_S5_NSA_INS8_10device_ptrIsEEEESG_SI_NS1_21upper_bound_search_opENS9_16wrapped_functionINS8_6system6detail7generic6detail18binary_search_lessEbEEEE10hipError_tPvRmT1_T2_T3_mmT4_T5_P12ihipStream_tbEUlRKsE_EESV_SZ_S10_mS11_S14_bEUlT_E_NS1_11comp_targetILNS1_3genE10ELNS1_11target_archE1200ELNS1_3gpuE4ELNS1_3repE0EEENS1_30default_config_static_selectorELNS0_4arch9wavefront6targetE0EEEvSY_
                                        ; -- End function
	.set _ZN7rocprim17ROCPRIM_400000_NS6detail17trampoline_kernelINS0_14default_configENS1_27upper_bound_config_selectorIslEEZNS1_14transform_implILb0ES3_S5_N6thrust23THRUST_200600_302600_NS6detail15normal_iteratorINS8_7pointerIsNS8_11hip_rocprim5par_tENS8_11use_defaultESE_EEEENSA_INSB_IlSD_SE_SE_EEEEZNS1_13binary_searchIS3_S5_NSA_INS8_10device_ptrIsEEEESG_SI_NS1_21upper_bound_search_opENS9_16wrapped_functionINS8_6system6detail7generic6detail18binary_search_lessEbEEEE10hipError_tPvRmT1_T2_T3_mmT4_T5_P12ihipStream_tbEUlRKsE_EESV_SZ_S10_mS11_S14_bEUlT_E_NS1_11comp_targetILNS1_3genE10ELNS1_11target_archE1200ELNS1_3gpuE4ELNS1_3repE0EEENS1_30default_config_static_selectorELNS0_4arch9wavefront6targetE0EEEvSY_.num_vgpr, 0
	.set _ZN7rocprim17ROCPRIM_400000_NS6detail17trampoline_kernelINS0_14default_configENS1_27upper_bound_config_selectorIslEEZNS1_14transform_implILb0ES3_S5_N6thrust23THRUST_200600_302600_NS6detail15normal_iteratorINS8_7pointerIsNS8_11hip_rocprim5par_tENS8_11use_defaultESE_EEEENSA_INSB_IlSD_SE_SE_EEEEZNS1_13binary_searchIS3_S5_NSA_INS8_10device_ptrIsEEEESG_SI_NS1_21upper_bound_search_opENS9_16wrapped_functionINS8_6system6detail7generic6detail18binary_search_lessEbEEEE10hipError_tPvRmT1_T2_T3_mmT4_T5_P12ihipStream_tbEUlRKsE_EESV_SZ_S10_mS11_S14_bEUlT_E_NS1_11comp_targetILNS1_3genE10ELNS1_11target_archE1200ELNS1_3gpuE4ELNS1_3repE0EEENS1_30default_config_static_selectorELNS0_4arch9wavefront6targetE0EEEvSY_.num_agpr, 0
	.set _ZN7rocprim17ROCPRIM_400000_NS6detail17trampoline_kernelINS0_14default_configENS1_27upper_bound_config_selectorIslEEZNS1_14transform_implILb0ES3_S5_N6thrust23THRUST_200600_302600_NS6detail15normal_iteratorINS8_7pointerIsNS8_11hip_rocprim5par_tENS8_11use_defaultESE_EEEENSA_INSB_IlSD_SE_SE_EEEEZNS1_13binary_searchIS3_S5_NSA_INS8_10device_ptrIsEEEESG_SI_NS1_21upper_bound_search_opENS9_16wrapped_functionINS8_6system6detail7generic6detail18binary_search_lessEbEEEE10hipError_tPvRmT1_T2_T3_mmT4_T5_P12ihipStream_tbEUlRKsE_EESV_SZ_S10_mS11_S14_bEUlT_E_NS1_11comp_targetILNS1_3genE10ELNS1_11target_archE1200ELNS1_3gpuE4ELNS1_3repE0EEENS1_30default_config_static_selectorELNS0_4arch9wavefront6targetE0EEEvSY_.numbered_sgpr, 0
	.set _ZN7rocprim17ROCPRIM_400000_NS6detail17trampoline_kernelINS0_14default_configENS1_27upper_bound_config_selectorIslEEZNS1_14transform_implILb0ES3_S5_N6thrust23THRUST_200600_302600_NS6detail15normal_iteratorINS8_7pointerIsNS8_11hip_rocprim5par_tENS8_11use_defaultESE_EEEENSA_INSB_IlSD_SE_SE_EEEEZNS1_13binary_searchIS3_S5_NSA_INS8_10device_ptrIsEEEESG_SI_NS1_21upper_bound_search_opENS9_16wrapped_functionINS8_6system6detail7generic6detail18binary_search_lessEbEEEE10hipError_tPvRmT1_T2_T3_mmT4_T5_P12ihipStream_tbEUlRKsE_EESV_SZ_S10_mS11_S14_bEUlT_E_NS1_11comp_targetILNS1_3genE10ELNS1_11target_archE1200ELNS1_3gpuE4ELNS1_3repE0EEENS1_30default_config_static_selectorELNS0_4arch9wavefront6targetE0EEEvSY_.num_named_barrier, 0
	.set _ZN7rocprim17ROCPRIM_400000_NS6detail17trampoline_kernelINS0_14default_configENS1_27upper_bound_config_selectorIslEEZNS1_14transform_implILb0ES3_S5_N6thrust23THRUST_200600_302600_NS6detail15normal_iteratorINS8_7pointerIsNS8_11hip_rocprim5par_tENS8_11use_defaultESE_EEEENSA_INSB_IlSD_SE_SE_EEEEZNS1_13binary_searchIS3_S5_NSA_INS8_10device_ptrIsEEEESG_SI_NS1_21upper_bound_search_opENS9_16wrapped_functionINS8_6system6detail7generic6detail18binary_search_lessEbEEEE10hipError_tPvRmT1_T2_T3_mmT4_T5_P12ihipStream_tbEUlRKsE_EESV_SZ_S10_mS11_S14_bEUlT_E_NS1_11comp_targetILNS1_3genE10ELNS1_11target_archE1200ELNS1_3gpuE4ELNS1_3repE0EEENS1_30default_config_static_selectorELNS0_4arch9wavefront6targetE0EEEvSY_.private_seg_size, 0
	.set _ZN7rocprim17ROCPRIM_400000_NS6detail17trampoline_kernelINS0_14default_configENS1_27upper_bound_config_selectorIslEEZNS1_14transform_implILb0ES3_S5_N6thrust23THRUST_200600_302600_NS6detail15normal_iteratorINS8_7pointerIsNS8_11hip_rocprim5par_tENS8_11use_defaultESE_EEEENSA_INSB_IlSD_SE_SE_EEEEZNS1_13binary_searchIS3_S5_NSA_INS8_10device_ptrIsEEEESG_SI_NS1_21upper_bound_search_opENS9_16wrapped_functionINS8_6system6detail7generic6detail18binary_search_lessEbEEEE10hipError_tPvRmT1_T2_T3_mmT4_T5_P12ihipStream_tbEUlRKsE_EESV_SZ_S10_mS11_S14_bEUlT_E_NS1_11comp_targetILNS1_3genE10ELNS1_11target_archE1200ELNS1_3gpuE4ELNS1_3repE0EEENS1_30default_config_static_selectorELNS0_4arch9wavefront6targetE0EEEvSY_.uses_vcc, 0
	.set _ZN7rocprim17ROCPRIM_400000_NS6detail17trampoline_kernelINS0_14default_configENS1_27upper_bound_config_selectorIslEEZNS1_14transform_implILb0ES3_S5_N6thrust23THRUST_200600_302600_NS6detail15normal_iteratorINS8_7pointerIsNS8_11hip_rocprim5par_tENS8_11use_defaultESE_EEEENSA_INSB_IlSD_SE_SE_EEEEZNS1_13binary_searchIS3_S5_NSA_INS8_10device_ptrIsEEEESG_SI_NS1_21upper_bound_search_opENS9_16wrapped_functionINS8_6system6detail7generic6detail18binary_search_lessEbEEEE10hipError_tPvRmT1_T2_T3_mmT4_T5_P12ihipStream_tbEUlRKsE_EESV_SZ_S10_mS11_S14_bEUlT_E_NS1_11comp_targetILNS1_3genE10ELNS1_11target_archE1200ELNS1_3gpuE4ELNS1_3repE0EEENS1_30default_config_static_selectorELNS0_4arch9wavefront6targetE0EEEvSY_.uses_flat_scratch, 0
	.set _ZN7rocprim17ROCPRIM_400000_NS6detail17trampoline_kernelINS0_14default_configENS1_27upper_bound_config_selectorIslEEZNS1_14transform_implILb0ES3_S5_N6thrust23THRUST_200600_302600_NS6detail15normal_iteratorINS8_7pointerIsNS8_11hip_rocprim5par_tENS8_11use_defaultESE_EEEENSA_INSB_IlSD_SE_SE_EEEEZNS1_13binary_searchIS3_S5_NSA_INS8_10device_ptrIsEEEESG_SI_NS1_21upper_bound_search_opENS9_16wrapped_functionINS8_6system6detail7generic6detail18binary_search_lessEbEEEE10hipError_tPvRmT1_T2_T3_mmT4_T5_P12ihipStream_tbEUlRKsE_EESV_SZ_S10_mS11_S14_bEUlT_E_NS1_11comp_targetILNS1_3genE10ELNS1_11target_archE1200ELNS1_3gpuE4ELNS1_3repE0EEENS1_30default_config_static_selectorELNS0_4arch9wavefront6targetE0EEEvSY_.has_dyn_sized_stack, 0
	.set _ZN7rocprim17ROCPRIM_400000_NS6detail17trampoline_kernelINS0_14default_configENS1_27upper_bound_config_selectorIslEEZNS1_14transform_implILb0ES3_S5_N6thrust23THRUST_200600_302600_NS6detail15normal_iteratorINS8_7pointerIsNS8_11hip_rocprim5par_tENS8_11use_defaultESE_EEEENSA_INSB_IlSD_SE_SE_EEEEZNS1_13binary_searchIS3_S5_NSA_INS8_10device_ptrIsEEEESG_SI_NS1_21upper_bound_search_opENS9_16wrapped_functionINS8_6system6detail7generic6detail18binary_search_lessEbEEEE10hipError_tPvRmT1_T2_T3_mmT4_T5_P12ihipStream_tbEUlRKsE_EESV_SZ_S10_mS11_S14_bEUlT_E_NS1_11comp_targetILNS1_3genE10ELNS1_11target_archE1200ELNS1_3gpuE4ELNS1_3repE0EEENS1_30default_config_static_selectorELNS0_4arch9wavefront6targetE0EEEvSY_.has_recursion, 0
	.set _ZN7rocprim17ROCPRIM_400000_NS6detail17trampoline_kernelINS0_14default_configENS1_27upper_bound_config_selectorIslEEZNS1_14transform_implILb0ES3_S5_N6thrust23THRUST_200600_302600_NS6detail15normal_iteratorINS8_7pointerIsNS8_11hip_rocprim5par_tENS8_11use_defaultESE_EEEENSA_INSB_IlSD_SE_SE_EEEEZNS1_13binary_searchIS3_S5_NSA_INS8_10device_ptrIsEEEESG_SI_NS1_21upper_bound_search_opENS9_16wrapped_functionINS8_6system6detail7generic6detail18binary_search_lessEbEEEE10hipError_tPvRmT1_T2_T3_mmT4_T5_P12ihipStream_tbEUlRKsE_EESV_SZ_S10_mS11_S14_bEUlT_E_NS1_11comp_targetILNS1_3genE10ELNS1_11target_archE1200ELNS1_3gpuE4ELNS1_3repE0EEENS1_30default_config_static_selectorELNS0_4arch9wavefront6targetE0EEEvSY_.has_indirect_call, 0
	.section	.AMDGPU.csdata,"",@progbits
; Kernel info:
; codeLenInByte = 0
; TotalNumSgprs: 0
; NumVgprs: 0
; ScratchSize: 0
; MemoryBound: 0
; FloatMode: 240
; IeeeMode: 1
; LDSByteSize: 0 bytes/workgroup (compile time only)
; SGPRBlocks: 0
; VGPRBlocks: 0
; NumSGPRsForWavesPerEU: 1
; NumVGPRsForWavesPerEU: 1
; Occupancy: 16
; WaveLimiterHint : 0
; COMPUTE_PGM_RSRC2:SCRATCH_EN: 0
; COMPUTE_PGM_RSRC2:USER_SGPR: 6
; COMPUTE_PGM_RSRC2:TRAP_HANDLER: 0
; COMPUTE_PGM_RSRC2:TGID_X_EN: 1
; COMPUTE_PGM_RSRC2:TGID_Y_EN: 0
; COMPUTE_PGM_RSRC2:TGID_Z_EN: 0
; COMPUTE_PGM_RSRC2:TIDIG_COMP_CNT: 0
	.section	.text._ZN7rocprim17ROCPRIM_400000_NS6detail17trampoline_kernelINS0_14default_configENS1_27upper_bound_config_selectorIslEEZNS1_14transform_implILb0ES3_S5_N6thrust23THRUST_200600_302600_NS6detail15normal_iteratorINS8_7pointerIsNS8_11hip_rocprim5par_tENS8_11use_defaultESE_EEEENSA_INSB_IlSD_SE_SE_EEEEZNS1_13binary_searchIS3_S5_NSA_INS8_10device_ptrIsEEEESG_SI_NS1_21upper_bound_search_opENS9_16wrapped_functionINS8_6system6detail7generic6detail18binary_search_lessEbEEEE10hipError_tPvRmT1_T2_T3_mmT4_T5_P12ihipStream_tbEUlRKsE_EESV_SZ_S10_mS11_S14_bEUlT_E_NS1_11comp_targetILNS1_3genE9ELNS1_11target_archE1100ELNS1_3gpuE3ELNS1_3repE0EEENS1_30default_config_static_selectorELNS0_4arch9wavefront6targetE0EEEvSY_,"axG",@progbits,_ZN7rocprim17ROCPRIM_400000_NS6detail17trampoline_kernelINS0_14default_configENS1_27upper_bound_config_selectorIslEEZNS1_14transform_implILb0ES3_S5_N6thrust23THRUST_200600_302600_NS6detail15normal_iteratorINS8_7pointerIsNS8_11hip_rocprim5par_tENS8_11use_defaultESE_EEEENSA_INSB_IlSD_SE_SE_EEEEZNS1_13binary_searchIS3_S5_NSA_INS8_10device_ptrIsEEEESG_SI_NS1_21upper_bound_search_opENS9_16wrapped_functionINS8_6system6detail7generic6detail18binary_search_lessEbEEEE10hipError_tPvRmT1_T2_T3_mmT4_T5_P12ihipStream_tbEUlRKsE_EESV_SZ_S10_mS11_S14_bEUlT_E_NS1_11comp_targetILNS1_3genE9ELNS1_11target_archE1100ELNS1_3gpuE3ELNS1_3repE0EEENS1_30default_config_static_selectorELNS0_4arch9wavefront6targetE0EEEvSY_,comdat
	.protected	_ZN7rocprim17ROCPRIM_400000_NS6detail17trampoline_kernelINS0_14default_configENS1_27upper_bound_config_selectorIslEEZNS1_14transform_implILb0ES3_S5_N6thrust23THRUST_200600_302600_NS6detail15normal_iteratorINS8_7pointerIsNS8_11hip_rocprim5par_tENS8_11use_defaultESE_EEEENSA_INSB_IlSD_SE_SE_EEEEZNS1_13binary_searchIS3_S5_NSA_INS8_10device_ptrIsEEEESG_SI_NS1_21upper_bound_search_opENS9_16wrapped_functionINS8_6system6detail7generic6detail18binary_search_lessEbEEEE10hipError_tPvRmT1_T2_T3_mmT4_T5_P12ihipStream_tbEUlRKsE_EESV_SZ_S10_mS11_S14_bEUlT_E_NS1_11comp_targetILNS1_3genE9ELNS1_11target_archE1100ELNS1_3gpuE3ELNS1_3repE0EEENS1_30default_config_static_selectorELNS0_4arch9wavefront6targetE0EEEvSY_ ; -- Begin function _ZN7rocprim17ROCPRIM_400000_NS6detail17trampoline_kernelINS0_14default_configENS1_27upper_bound_config_selectorIslEEZNS1_14transform_implILb0ES3_S5_N6thrust23THRUST_200600_302600_NS6detail15normal_iteratorINS8_7pointerIsNS8_11hip_rocprim5par_tENS8_11use_defaultESE_EEEENSA_INSB_IlSD_SE_SE_EEEEZNS1_13binary_searchIS3_S5_NSA_INS8_10device_ptrIsEEEESG_SI_NS1_21upper_bound_search_opENS9_16wrapped_functionINS8_6system6detail7generic6detail18binary_search_lessEbEEEE10hipError_tPvRmT1_T2_T3_mmT4_T5_P12ihipStream_tbEUlRKsE_EESV_SZ_S10_mS11_S14_bEUlT_E_NS1_11comp_targetILNS1_3genE9ELNS1_11target_archE1100ELNS1_3gpuE3ELNS1_3repE0EEENS1_30default_config_static_selectorELNS0_4arch9wavefront6targetE0EEEvSY_
	.globl	_ZN7rocprim17ROCPRIM_400000_NS6detail17trampoline_kernelINS0_14default_configENS1_27upper_bound_config_selectorIslEEZNS1_14transform_implILb0ES3_S5_N6thrust23THRUST_200600_302600_NS6detail15normal_iteratorINS8_7pointerIsNS8_11hip_rocprim5par_tENS8_11use_defaultESE_EEEENSA_INSB_IlSD_SE_SE_EEEEZNS1_13binary_searchIS3_S5_NSA_INS8_10device_ptrIsEEEESG_SI_NS1_21upper_bound_search_opENS9_16wrapped_functionINS8_6system6detail7generic6detail18binary_search_lessEbEEEE10hipError_tPvRmT1_T2_T3_mmT4_T5_P12ihipStream_tbEUlRKsE_EESV_SZ_S10_mS11_S14_bEUlT_E_NS1_11comp_targetILNS1_3genE9ELNS1_11target_archE1100ELNS1_3gpuE3ELNS1_3repE0EEENS1_30default_config_static_selectorELNS0_4arch9wavefront6targetE0EEEvSY_
	.p2align	8
	.type	_ZN7rocprim17ROCPRIM_400000_NS6detail17trampoline_kernelINS0_14default_configENS1_27upper_bound_config_selectorIslEEZNS1_14transform_implILb0ES3_S5_N6thrust23THRUST_200600_302600_NS6detail15normal_iteratorINS8_7pointerIsNS8_11hip_rocprim5par_tENS8_11use_defaultESE_EEEENSA_INSB_IlSD_SE_SE_EEEEZNS1_13binary_searchIS3_S5_NSA_INS8_10device_ptrIsEEEESG_SI_NS1_21upper_bound_search_opENS9_16wrapped_functionINS8_6system6detail7generic6detail18binary_search_lessEbEEEE10hipError_tPvRmT1_T2_T3_mmT4_T5_P12ihipStream_tbEUlRKsE_EESV_SZ_S10_mS11_S14_bEUlT_E_NS1_11comp_targetILNS1_3genE9ELNS1_11target_archE1100ELNS1_3gpuE3ELNS1_3repE0EEENS1_30default_config_static_selectorELNS0_4arch9wavefront6targetE0EEEvSY_,@function
_ZN7rocprim17ROCPRIM_400000_NS6detail17trampoline_kernelINS0_14default_configENS1_27upper_bound_config_selectorIslEEZNS1_14transform_implILb0ES3_S5_N6thrust23THRUST_200600_302600_NS6detail15normal_iteratorINS8_7pointerIsNS8_11hip_rocprim5par_tENS8_11use_defaultESE_EEEENSA_INSB_IlSD_SE_SE_EEEEZNS1_13binary_searchIS3_S5_NSA_INS8_10device_ptrIsEEEESG_SI_NS1_21upper_bound_search_opENS9_16wrapped_functionINS8_6system6detail7generic6detail18binary_search_lessEbEEEE10hipError_tPvRmT1_T2_T3_mmT4_T5_P12ihipStream_tbEUlRKsE_EESV_SZ_S10_mS11_S14_bEUlT_E_NS1_11comp_targetILNS1_3genE9ELNS1_11target_archE1100ELNS1_3gpuE3ELNS1_3repE0EEENS1_30default_config_static_selectorELNS0_4arch9wavefront6targetE0EEEvSY_: ; @_ZN7rocprim17ROCPRIM_400000_NS6detail17trampoline_kernelINS0_14default_configENS1_27upper_bound_config_selectorIslEEZNS1_14transform_implILb0ES3_S5_N6thrust23THRUST_200600_302600_NS6detail15normal_iteratorINS8_7pointerIsNS8_11hip_rocprim5par_tENS8_11use_defaultESE_EEEENSA_INSB_IlSD_SE_SE_EEEEZNS1_13binary_searchIS3_S5_NSA_INS8_10device_ptrIsEEEESG_SI_NS1_21upper_bound_search_opENS9_16wrapped_functionINS8_6system6detail7generic6detail18binary_search_lessEbEEEE10hipError_tPvRmT1_T2_T3_mmT4_T5_P12ihipStream_tbEUlRKsE_EESV_SZ_S10_mS11_S14_bEUlT_E_NS1_11comp_targetILNS1_3genE9ELNS1_11target_archE1100ELNS1_3gpuE3ELNS1_3repE0EEENS1_30default_config_static_selectorELNS0_4arch9wavefront6targetE0EEEvSY_
; %bb.0:
	.section	.rodata,"a",@progbits
	.p2align	6, 0x0
	.amdhsa_kernel _ZN7rocprim17ROCPRIM_400000_NS6detail17trampoline_kernelINS0_14default_configENS1_27upper_bound_config_selectorIslEEZNS1_14transform_implILb0ES3_S5_N6thrust23THRUST_200600_302600_NS6detail15normal_iteratorINS8_7pointerIsNS8_11hip_rocprim5par_tENS8_11use_defaultESE_EEEENSA_INSB_IlSD_SE_SE_EEEEZNS1_13binary_searchIS3_S5_NSA_INS8_10device_ptrIsEEEESG_SI_NS1_21upper_bound_search_opENS9_16wrapped_functionINS8_6system6detail7generic6detail18binary_search_lessEbEEEE10hipError_tPvRmT1_T2_T3_mmT4_T5_P12ihipStream_tbEUlRKsE_EESV_SZ_S10_mS11_S14_bEUlT_E_NS1_11comp_targetILNS1_3genE9ELNS1_11target_archE1100ELNS1_3gpuE3ELNS1_3repE0EEENS1_30default_config_static_selectorELNS0_4arch9wavefront6targetE0EEEvSY_
		.amdhsa_group_segment_fixed_size 0
		.amdhsa_private_segment_fixed_size 0
		.amdhsa_kernarg_size 56
		.amdhsa_user_sgpr_count 6
		.amdhsa_user_sgpr_private_segment_buffer 1
		.amdhsa_user_sgpr_dispatch_ptr 0
		.amdhsa_user_sgpr_queue_ptr 0
		.amdhsa_user_sgpr_kernarg_segment_ptr 1
		.amdhsa_user_sgpr_dispatch_id 0
		.amdhsa_user_sgpr_flat_scratch_init 0
		.amdhsa_user_sgpr_private_segment_size 0
		.amdhsa_wavefront_size32 1
		.amdhsa_uses_dynamic_stack 0
		.amdhsa_system_sgpr_private_segment_wavefront_offset 0
		.amdhsa_system_sgpr_workgroup_id_x 1
		.amdhsa_system_sgpr_workgroup_id_y 0
		.amdhsa_system_sgpr_workgroup_id_z 0
		.amdhsa_system_sgpr_workgroup_info 0
		.amdhsa_system_vgpr_workitem_id 0
		.amdhsa_next_free_vgpr 1
		.amdhsa_next_free_sgpr 1
		.amdhsa_reserve_vcc 0
		.amdhsa_reserve_flat_scratch 0
		.amdhsa_float_round_mode_32 0
		.amdhsa_float_round_mode_16_64 0
		.amdhsa_float_denorm_mode_32 3
		.amdhsa_float_denorm_mode_16_64 3
		.amdhsa_dx10_clamp 1
		.amdhsa_ieee_mode 1
		.amdhsa_fp16_overflow 0
		.amdhsa_workgroup_processor_mode 1
		.amdhsa_memory_ordered 1
		.amdhsa_forward_progress 1
		.amdhsa_shared_vgpr_count 0
		.amdhsa_exception_fp_ieee_invalid_op 0
		.amdhsa_exception_fp_denorm_src 0
		.amdhsa_exception_fp_ieee_div_zero 0
		.amdhsa_exception_fp_ieee_overflow 0
		.amdhsa_exception_fp_ieee_underflow 0
		.amdhsa_exception_fp_ieee_inexact 0
		.amdhsa_exception_int_div_zero 0
	.end_amdhsa_kernel
	.section	.text._ZN7rocprim17ROCPRIM_400000_NS6detail17trampoline_kernelINS0_14default_configENS1_27upper_bound_config_selectorIslEEZNS1_14transform_implILb0ES3_S5_N6thrust23THRUST_200600_302600_NS6detail15normal_iteratorINS8_7pointerIsNS8_11hip_rocprim5par_tENS8_11use_defaultESE_EEEENSA_INSB_IlSD_SE_SE_EEEEZNS1_13binary_searchIS3_S5_NSA_INS8_10device_ptrIsEEEESG_SI_NS1_21upper_bound_search_opENS9_16wrapped_functionINS8_6system6detail7generic6detail18binary_search_lessEbEEEE10hipError_tPvRmT1_T2_T3_mmT4_T5_P12ihipStream_tbEUlRKsE_EESV_SZ_S10_mS11_S14_bEUlT_E_NS1_11comp_targetILNS1_3genE9ELNS1_11target_archE1100ELNS1_3gpuE3ELNS1_3repE0EEENS1_30default_config_static_selectorELNS0_4arch9wavefront6targetE0EEEvSY_,"axG",@progbits,_ZN7rocprim17ROCPRIM_400000_NS6detail17trampoline_kernelINS0_14default_configENS1_27upper_bound_config_selectorIslEEZNS1_14transform_implILb0ES3_S5_N6thrust23THRUST_200600_302600_NS6detail15normal_iteratorINS8_7pointerIsNS8_11hip_rocprim5par_tENS8_11use_defaultESE_EEEENSA_INSB_IlSD_SE_SE_EEEEZNS1_13binary_searchIS3_S5_NSA_INS8_10device_ptrIsEEEESG_SI_NS1_21upper_bound_search_opENS9_16wrapped_functionINS8_6system6detail7generic6detail18binary_search_lessEbEEEE10hipError_tPvRmT1_T2_T3_mmT4_T5_P12ihipStream_tbEUlRKsE_EESV_SZ_S10_mS11_S14_bEUlT_E_NS1_11comp_targetILNS1_3genE9ELNS1_11target_archE1100ELNS1_3gpuE3ELNS1_3repE0EEENS1_30default_config_static_selectorELNS0_4arch9wavefront6targetE0EEEvSY_,comdat
.Lfunc_end597:
	.size	_ZN7rocprim17ROCPRIM_400000_NS6detail17trampoline_kernelINS0_14default_configENS1_27upper_bound_config_selectorIslEEZNS1_14transform_implILb0ES3_S5_N6thrust23THRUST_200600_302600_NS6detail15normal_iteratorINS8_7pointerIsNS8_11hip_rocprim5par_tENS8_11use_defaultESE_EEEENSA_INSB_IlSD_SE_SE_EEEEZNS1_13binary_searchIS3_S5_NSA_INS8_10device_ptrIsEEEESG_SI_NS1_21upper_bound_search_opENS9_16wrapped_functionINS8_6system6detail7generic6detail18binary_search_lessEbEEEE10hipError_tPvRmT1_T2_T3_mmT4_T5_P12ihipStream_tbEUlRKsE_EESV_SZ_S10_mS11_S14_bEUlT_E_NS1_11comp_targetILNS1_3genE9ELNS1_11target_archE1100ELNS1_3gpuE3ELNS1_3repE0EEENS1_30default_config_static_selectorELNS0_4arch9wavefront6targetE0EEEvSY_, .Lfunc_end597-_ZN7rocprim17ROCPRIM_400000_NS6detail17trampoline_kernelINS0_14default_configENS1_27upper_bound_config_selectorIslEEZNS1_14transform_implILb0ES3_S5_N6thrust23THRUST_200600_302600_NS6detail15normal_iteratorINS8_7pointerIsNS8_11hip_rocprim5par_tENS8_11use_defaultESE_EEEENSA_INSB_IlSD_SE_SE_EEEEZNS1_13binary_searchIS3_S5_NSA_INS8_10device_ptrIsEEEESG_SI_NS1_21upper_bound_search_opENS9_16wrapped_functionINS8_6system6detail7generic6detail18binary_search_lessEbEEEE10hipError_tPvRmT1_T2_T3_mmT4_T5_P12ihipStream_tbEUlRKsE_EESV_SZ_S10_mS11_S14_bEUlT_E_NS1_11comp_targetILNS1_3genE9ELNS1_11target_archE1100ELNS1_3gpuE3ELNS1_3repE0EEENS1_30default_config_static_selectorELNS0_4arch9wavefront6targetE0EEEvSY_
                                        ; -- End function
	.set _ZN7rocprim17ROCPRIM_400000_NS6detail17trampoline_kernelINS0_14default_configENS1_27upper_bound_config_selectorIslEEZNS1_14transform_implILb0ES3_S5_N6thrust23THRUST_200600_302600_NS6detail15normal_iteratorINS8_7pointerIsNS8_11hip_rocprim5par_tENS8_11use_defaultESE_EEEENSA_INSB_IlSD_SE_SE_EEEEZNS1_13binary_searchIS3_S5_NSA_INS8_10device_ptrIsEEEESG_SI_NS1_21upper_bound_search_opENS9_16wrapped_functionINS8_6system6detail7generic6detail18binary_search_lessEbEEEE10hipError_tPvRmT1_T2_T3_mmT4_T5_P12ihipStream_tbEUlRKsE_EESV_SZ_S10_mS11_S14_bEUlT_E_NS1_11comp_targetILNS1_3genE9ELNS1_11target_archE1100ELNS1_3gpuE3ELNS1_3repE0EEENS1_30default_config_static_selectorELNS0_4arch9wavefront6targetE0EEEvSY_.num_vgpr, 0
	.set _ZN7rocprim17ROCPRIM_400000_NS6detail17trampoline_kernelINS0_14default_configENS1_27upper_bound_config_selectorIslEEZNS1_14transform_implILb0ES3_S5_N6thrust23THRUST_200600_302600_NS6detail15normal_iteratorINS8_7pointerIsNS8_11hip_rocprim5par_tENS8_11use_defaultESE_EEEENSA_INSB_IlSD_SE_SE_EEEEZNS1_13binary_searchIS3_S5_NSA_INS8_10device_ptrIsEEEESG_SI_NS1_21upper_bound_search_opENS9_16wrapped_functionINS8_6system6detail7generic6detail18binary_search_lessEbEEEE10hipError_tPvRmT1_T2_T3_mmT4_T5_P12ihipStream_tbEUlRKsE_EESV_SZ_S10_mS11_S14_bEUlT_E_NS1_11comp_targetILNS1_3genE9ELNS1_11target_archE1100ELNS1_3gpuE3ELNS1_3repE0EEENS1_30default_config_static_selectorELNS0_4arch9wavefront6targetE0EEEvSY_.num_agpr, 0
	.set _ZN7rocprim17ROCPRIM_400000_NS6detail17trampoline_kernelINS0_14default_configENS1_27upper_bound_config_selectorIslEEZNS1_14transform_implILb0ES3_S5_N6thrust23THRUST_200600_302600_NS6detail15normal_iteratorINS8_7pointerIsNS8_11hip_rocprim5par_tENS8_11use_defaultESE_EEEENSA_INSB_IlSD_SE_SE_EEEEZNS1_13binary_searchIS3_S5_NSA_INS8_10device_ptrIsEEEESG_SI_NS1_21upper_bound_search_opENS9_16wrapped_functionINS8_6system6detail7generic6detail18binary_search_lessEbEEEE10hipError_tPvRmT1_T2_T3_mmT4_T5_P12ihipStream_tbEUlRKsE_EESV_SZ_S10_mS11_S14_bEUlT_E_NS1_11comp_targetILNS1_3genE9ELNS1_11target_archE1100ELNS1_3gpuE3ELNS1_3repE0EEENS1_30default_config_static_selectorELNS0_4arch9wavefront6targetE0EEEvSY_.numbered_sgpr, 0
	.set _ZN7rocprim17ROCPRIM_400000_NS6detail17trampoline_kernelINS0_14default_configENS1_27upper_bound_config_selectorIslEEZNS1_14transform_implILb0ES3_S5_N6thrust23THRUST_200600_302600_NS6detail15normal_iteratorINS8_7pointerIsNS8_11hip_rocprim5par_tENS8_11use_defaultESE_EEEENSA_INSB_IlSD_SE_SE_EEEEZNS1_13binary_searchIS3_S5_NSA_INS8_10device_ptrIsEEEESG_SI_NS1_21upper_bound_search_opENS9_16wrapped_functionINS8_6system6detail7generic6detail18binary_search_lessEbEEEE10hipError_tPvRmT1_T2_T3_mmT4_T5_P12ihipStream_tbEUlRKsE_EESV_SZ_S10_mS11_S14_bEUlT_E_NS1_11comp_targetILNS1_3genE9ELNS1_11target_archE1100ELNS1_3gpuE3ELNS1_3repE0EEENS1_30default_config_static_selectorELNS0_4arch9wavefront6targetE0EEEvSY_.num_named_barrier, 0
	.set _ZN7rocprim17ROCPRIM_400000_NS6detail17trampoline_kernelINS0_14default_configENS1_27upper_bound_config_selectorIslEEZNS1_14transform_implILb0ES3_S5_N6thrust23THRUST_200600_302600_NS6detail15normal_iteratorINS8_7pointerIsNS8_11hip_rocprim5par_tENS8_11use_defaultESE_EEEENSA_INSB_IlSD_SE_SE_EEEEZNS1_13binary_searchIS3_S5_NSA_INS8_10device_ptrIsEEEESG_SI_NS1_21upper_bound_search_opENS9_16wrapped_functionINS8_6system6detail7generic6detail18binary_search_lessEbEEEE10hipError_tPvRmT1_T2_T3_mmT4_T5_P12ihipStream_tbEUlRKsE_EESV_SZ_S10_mS11_S14_bEUlT_E_NS1_11comp_targetILNS1_3genE9ELNS1_11target_archE1100ELNS1_3gpuE3ELNS1_3repE0EEENS1_30default_config_static_selectorELNS0_4arch9wavefront6targetE0EEEvSY_.private_seg_size, 0
	.set _ZN7rocprim17ROCPRIM_400000_NS6detail17trampoline_kernelINS0_14default_configENS1_27upper_bound_config_selectorIslEEZNS1_14transform_implILb0ES3_S5_N6thrust23THRUST_200600_302600_NS6detail15normal_iteratorINS8_7pointerIsNS8_11hip_rocprim5par_tENS8_11use_defaultESE_EEEENSA_INSB_IlSD_SE_SE_EEEEZNS1_13binary_searchIS3_S5_NSA_INS8_10device_ptrIsEEEESG_SI_NS1_21upper_bound_search_opENS9_16wrapped_functionINS8_6system6detail7generic6detail18binary_search_lessEbEEEE10hipError_tPvRmT1_T2_T3_mmT4_T5_P12ihipStream_tbEUlRKsE_EESV_SZ_S10_mS11_S14_bEUlT_E_NS1_11comp_targetILNS1_3genE9ELNS1_11target_archE1100ELNS1_3gpuE3ELNS1_3repE0EEENS1_30default_config_static_selectorELNS0_4arch9wavefront6targetE0EEEvSY_.uses_vcc, 0
	.set _ZN7rocprim17ROCPRIM_400000_NS6detail17trampoline_kernelINS0_14default_configENS1_27upper_bound_config_selectorIslEEZNS1_14transform_implILb0ES3_S5_N6thrust23THRUST_200600_302600_NS6detail15normal_iteratorINS8_7pointerIsNS8_11hip_rocprim5par_tENS8_11use_defaultESE_EEEENSA_INSB_IlSD_SE_SE_EEEEZNS1_13binary_searchIS3_S5_NSA_INS8_10device_ptrIsEEEESG_SI_NS1_21upper_bound_search_opENS9_16wrapped_functionINS8_6system6detail7generic6detail18binary_search_lessEbEEEE10hipError_tPvRmT1_T2_T3_mmT4_T5_P12ihipStream_tbEUlRKsE_EESV_SZ_S10_mS11_S14_bEUlT_E_NS1_11comp_targetILNS1_3genE9ELNS1_11target_archE1100ELNS1_3gpuE3ELNS1_3repE0EEENS1_30default_config_static_selectorELNS0_4arch9wavefront6targetE0EEEvSY_.uses_flat_scratch, 0
	.set _ZN7rocprim17ROCPRIM_400000_NS6detail17trampoline_kernelINS0_14default_configENS1_27upper_bound_config_selectorIslEEZNS1_14transform_implILb0ES3_S5_N6thrust23THRUST_200600_302600_NS6detail15normal_iteratorINS8_7pointerIsNS8_11hip_rocprim5par_tENS8_11use_defaultESE_EEEENSA_INSB_IlSD_SE_SE_EEEEZNS1_13binary_searchIS3_S5_NSA_INS8_10device_ptrIsEEEESG_SI_NS1_21upper_bound_search_opENS9_16wrapped_functionINS8_6system6detail7generic6detail18binary_search_lessEbEEEE10hipError_tPvRmT1_T2_T3_mmT4_T5_P12ihipStream_tbEUlRKsE_EESV_SZ_S10_mS11_S14_bEUlT_E_NS1_11comp_targetILNS1_3genE9ELNS1_11target_archE1100ELNS1_3gpuE3ELNS1_3repE0EEENS1_30default_config_static_selectorELNS0_4arch9wavefront6targetE0EEEvSY_.has_dyn_sized_stack, 0
	.set _ZN7rocprim17ROCPRIM_400000_NS6detail17trampoline_kernelINS0_14default_configENS1_27upper_bound_config_selectorIslEEZNS1_14transform_implILb0ES3_S5_N6thrust23THRUST_200600_302600_NS6detail15normal_iteratorINS8_7pointerIsNS8_11hip_rocprim5par_tENS8_11use_defaultESE_EEEENSA_INSB_IlSD_SE_SE_EEEEZNS1_13binary_searchIS3_S5_NSA_INS8_10device_ptrIsEEEESG_SI_NS1_21upper_bound_search_opENS9_16wrapped_functionINS8_6system6detail7generic6detail18binary_search_lessEbEEEE10hipError_tPvRmT1_T2_T3_mmT4_T5_P12ihipStream_tbEUlRKsE_EESV_SZ_S10_mS11_S14_bEUlT_E_NS1_11comp_targetILNS1_3genE9ELNS1_11target_archE1100ELNS1_3gpuE3ELNS1_3repE0EEENS1_30default_config_static_selectorELNS0_4arch9wavefront6targetE0EEEvSY_.has_recursion, 0
	.set _ZN7rocprim17ROCPRIM_400000_NS6detail17trampoline_kernelINS0_14default_configENS1_27upper_bound_config_selectorIslEEZNS1_14transform_implILb0ES3_S5_N6thrust23THRUST_200600_302600_NS6detail15normal_iteratorINS8_7pointerIsNS8_11hip_rocprim5par_tENS8_11use_defaultESE_EEEENSA_INSB_IlSD_SE_SE_EEEEZNS1_13binary_searchIS3_S5_NSA_INS8_10device_ptrIsEEEESG_SI_NS1_21upper_bound_search_opENS9_16wrapped_functionINS8_6system6detail7generic6detail18binary_search_lessEbEEEE10hipError_tPvRmT1_T2_T3_mmT4_T5_P12ihipStream_tbEUlRKsE_EESV_SZ_S10_mS11_S14_bEUlT_E_NS1_11comp_targetILNS1_3genE9ELNS1_11target_archE1100ELNS1_3gpuE3ELNS1_3repE0EEENS1_30default_config_static_selectorELNS0_4arch9wavefront6targetE0EEEvSY_.has_indirect_call, 0
	.section	.AMDGPU.csdata,"",@progbits
; Kernel info:
; codeLenInByte = 0
; TotalNumSgprs: 0
; NumVgprs: 0
; ScratchSize: 0
; MemoryBound: 0
; FloatMode: 240
; IeeeMode: 1
; LDSByteSize: 0 bytes/workgroup (compile time only)
; SGPRBlocks: 0
; VGPRBlocks: 0
; NumSGPRsForWavesPerEU: 1
; NumVGPRsForWavesPerEU: 1
; Occupancy: 16
; WaveLimiterHint : 0
; COMPUTE_PGM_RSRC2:SCRATCH_EN: 0
; COMPUTE_PGM_RSRC2:USER_SGPR: 6
; COMPUTE_PGM_RSRC2:TRAP_HANDLER: 0
; COMPUTE_PGM_RSRC2:TGID_X_EN: 1
; COMPUTE_PGM_RSRC2:TGID_Y_EN: 0
; COMPUTE_PGM_RSRC2:TGID_Z_EN: 0
; COMPUTE_PGM_RSRC2:TIDIG_COMP_CNT: 0
	.section	.text._ZN7rocprim17ROCPRIM_400000_NS6detail17trampoline_kernelINS0_14default_configENS1_27upper_bound_config_selectorIslEEZNS1_14transform_implILb0ES3_S5_N6thrust23THRUST_200600_302600_NS6detail15normal_iteratorINS8_7pointerIsNS8_11hip_rocprim5par_tENS8_11use_defaultESE_EEEENSA_INSB_IlSD_SE_SE_EEEEZNS1_13binary_searchIS3_S5_NSA_INS8_10device_ptrIsEEEESG_SI_NS1_21upper_bound_search_opENS9_16wrapped_functionINS8_6system6detail7generic6detail18binary_search_lessEbEEEE10hipError_tPvRmT1_T2_T3_mmT4_T5_P12ihipStream_tbEUlRKsE_EESV_SZ_S10_mS11_S14_bEUlT_E_NS1_11comp_targetILNS1_3genE8ELNS1_11target_archE1030ELNS1_3gpuE2ELNS1_3repE0EEENS1_30default_config_static_selectorELNS0_4arch9wavefront6targetE0EEEvSY_,"axG",@progbits,_ZN7rocprim17ROCPRIM_400000_NS6detail17trampoline_kernelINS0_14default_configENS1_27upper_bound_config_selectorIslEEZNS1_14transform_implILb0ES3_S5_N6thrust23THRUST_200600_302600_NS6detail15normal_iteratorINS8_7pointerIsNS8_11hip_rocprim5par_tENS8_11use_defaultESE_EEEENSA_INSB_IlSD_SE_SE_EEEEZNS1_13binary_searchIS3_S5_NSA_INS8_10device_ptrIsEEEESG_SI_NS1_21upper_bound_search_opENS9_16wrapped_functionINS8_6system6detail7generic6detail18binary_search_lessEbEEEE10hipError_tPvRmT1_T2_T3_mmT4_T5_P12ihipStream_tbEUlRKsE_EESV_SZ_S10_mS11_S14_bEUlT_E_NS1_11comp_targetILNS1_3genE8ELNS1_11target_archE1030ELNS1_3gpuE2ELNS1_3repE0EEENS1_30default_config_static_selectorELNS0_4arch9wavefront6targetE0EEEvSY_,comdat
	.protected	_ZN7rocprim17ROCPRIM_400000_NS6detail17trampoline_kernelINS0_14default_configENS1_27upper_bound_config_selectorIslEEZNS1_14transform_implILb0ES3_S5_N6thrust23THRUST_200600_302600_NS6detail15normal_iteratorINS8_7pointerIsNS8_11hip_rocprim5par_tENS8_11use_defaultESE_EEEENSA_INSB_IlSD_SE_SE_EEEEZNS1_13binary_searchIS3_S5_NSA_INS8_10device_ptrIsEEEESG_SI_NS1_21upper_bound_search_opENS9_16wrapped_functionINS8_6system6detail7generic6detail18binary_search_lessEbEEEE10hipError_tPvRmT1_T2_T3_mmT4_T5_P12ihipStream_tbEUlRKsE_EESV_SZ_S10_mS11_S14_bEUlT_E_NS1_11comp_targetILNS1_3genE8ELNS1_11target_archE1030ELNS1_3gpuE2ELNS1_3repE0EEENS1_30default_config_static_selectorELNS0_4arch9wavefront6targetE0EEEvSY_ ; -- Begin function _ZN7rocprim17ROCPRIM_400000_NS6detail17trampoline_kernelINS0_14default_configENS1_27upper_bound_config_selectorIslEEZNS1_14transform_implILb0ES3_S5_N6thrust23THRUST_200600_302600_NS6detail15normal_iteratorINS8_7pointerIsNS8_11hip_rocprim5par_tENS8_11use_defaultESE_EEEENSA_INSB_IlSD_SE_SE_EEEEZNS1_13binary_searchIS3_S5_NSA_INS8_10device_ptrIsEEEESG_SI_NS1_21upper_bound_search_opENS9_16wrapped_functionINS8_6system6detail7generic6detail18binary_search_lessEbEEEE10hipError_tPvRmT1_T2_T3_mmT4_T5_P12ihipStream_tbEUlRKsE_EESV_SZ_S10_mS11_S14_bEUlT_E_NS1_11comp_targetILNS1_3genE8ELNS1_11target_archE1030ELNS1_3gpuE2ELNS1_3repE0EEENS1_30default_config_static_selectorELNS0_4arch9wavefront6targetE0EEEvSY_
	.globl	_ZN7rocprim17ROCPRIM_400000_NS6detail17trampoline_kernelINS0_14default_configENS1_27upper_bound_config_selectorIslEEZNS1_14transform_implILb0ES3_S5_N6thrust23THRUST_200600_302600_NS6detail15normal_iteratorINS8_7pointerIsNS8_11hip_rocprim5par_tENS8_11use_defaultESE_EEEENSA_INSB_IlSD_SE_SE_EEEEZNS1_13binary_searchIS3_S5_NSA_INS8_10device_ptrIsEEEESG_SI_NS1_21upper_bound_search_opENS9_16wrapped_functionINS8_6system6detail7generic6detail18binary_search_lessEbEEEE10hipError_tPvRmT1_T2_T3_mmT4_T5_P12ihipStream_tbEUlRKsE_EESV_SZ_S10_mS11_S14_bEUlT_E_NS1_11comp_targetILNS1_3genE8ELNS1_11target_archE1030ELNS1_3gpuE2ELNS1_3repE0EEENS1_30default_config_static_selectorELNS0_4arch9wavefront6targetE0EEEvSY_
	.p2align	8
	.type	_ZN7rocprim17ROCPRIM_400000_NS6detail17trampoline_kernelINS0_14default_configENS1_27upper_bound_config_selectorIslEEZNS1_14transform_implILb0ES3_S5_N6thrust23THRUST_200600_302600_NS6detail15normal_iteratorINS8_7pointerIsNS8_11hip_rocprim5par_tENS8_11use_defaultESE_EEEENSA_INSB_IlSD_SE_SE_EEEEZNS1_13binary_searchIS3_S5_NSA_INS8_10device_ptrIsEEEESG_SI_NS1_21upper_bound_search_opENS9_16wrapped_functionINS8_6system6detail7generic6detail18binary_search_lessEbEEEE10hipError_tPvRmT1_T2_T3_mmT4_T5_P12ihipStream_tbEUlRKsE_EESV_SZ_S10_mS11_S14_bEUlT_E_NS1_11comp_targetILNS1_3genE8ELNS1_11target_archE1030ELNS1_3gpuE2ELNS1_3repE0EEENS1_30default_config_static_selectorELNS0_4arch9wavefront6targetE0EEEvSY_,@function
_ZN7rocprim17ROCPRIM_400000_NS6detail17trampoline_kernelINS0_14default_configENS1_27upper_bound_config_selectorIslEEZNS1_14transform_implILb0ES3_S5_N6thrust23THRUST_200600_302600_NS6detail15normal_iteratorINS8_7pointerIsNS8_11hip_rocprim5par_tENS8_11use_defaultESE_EEEENSA_INSB_IlSD_SE_SE_EEEEZNS1_13binary_searchIS3_S5_NSA_INS8_10device_ptrIsEEEESG_SI_NS1_21upper_bound_search_opENS9_16wrapped_functionINS8_6system6detail7generic6detail18binary_search_lessEbEEEE10hipError_tPvRmT1_T2_T3_mmT4_T5_P12ihipStream_tbEUlRKsE_EESV_SZ_S10_mS11_S14_bEUlT_E_NS1_11comp_targetILNS1_3genE8ELNS1_11target_archE1030ELNS1_3gpuE2ELNS1_3repE0EEENS1_30default_config_static_selectorELNS0_4arch9wavefront6targetE0EEEvSY_: ; @_ZN7rocprim17ROCPRIM_400000_NS6detail17trampoline_kernelINS0_14default_configENS1_27upper_bound_config_selectorIslEEZNS1_14transform_implILb0ES3_S5_N6thrust23THRUST_200600_302600_NS6detail15normal_iteratorINS8_7pointerIsNS8_11hip_rocprim5par_tENS8_11use_defaultESE_EEEENSA_INSB_IlSD_SE_SE_EEEEZNS1_13binary_searchIS3_S5_NSA_INS8_10device_ptrIsEEEESG_SI_NS1_21upper_bound_search_opENS9_16wrapped_functionINS8_6system6detail7generic6detail18binary_search_lessEbEEEE10hipError_tPvRmT1_T2_T3_mmT4_T5_P12ihipStream_tbEUlRKsE_EESV_SZ_S10_mS11_S14_bEUlT_E_NS1_11comp_targetILNS1_3genE8ELNS1_11target_archE1030ELNS1_3gpuE2ELNS1_3repE0EEENS1_30default_config_static_selectorELNS0_4arch9wavefront6targetE0EEEvSY_
; %bb.0:
	s_clause 0x2
	s_load_dwordx8 s[8:15], s[4:5], 0x0
	s_load_dword s2, s[4:5], 0x38
	s_load_dwordx4 s[16:19], s[4:5], 0x20
	s_mov_b32 s5, 0
	s_waitcnt lgkmcnt(0)
	s_lshl_b64 s[0:1], s[10:11], 1
	s_add_u32 s8, s8, s0
	s_addc_u32 s9, s9, s1
	s_lshl_b64 s[0:1], s[10:11], 3
	s_add_u32 s3, s14, s0
	s_addc_u32 s7, s15, s1
	s_lshl_b32 s4, s6, 9
	s_add_i32 s2, s2, -1
	s_lshl_b64 s[0:1], s[4:5], 1
	s_add_u32 s8, s8, s0
	s_addc_u32 s9, s9, s1
	s_cmp_lg_u32 s6, s2
	s_mov_b32 s0, -1
	s_cbranch_scc0 .LBB598_5
; %bb.1:
	v_lshlrev_b32_e32 v1, 1, v0
	s_cmp_lg_u64 s[18:19], 0
	v_add_co_u32 v1, s0, s8, v1
	v_add_co_ci_u32_e64 v2, null, s9, 0, s0
	s_cselect_b32 s0, -1, 0
	s_cmp_eq_u64 s[18:19], 0
	s_clause 0x2
	flat_load_ushort v7, v[1:2] offset:256
	flat_load_ushort v9, v[1:2] offset:512
	;; [unrolled: 1-line block ×3, first 2 shown]
	s_cbranch_scc1 .LBB598_6
; %bb.2:
	flat_load_ushort v5, v[1:2]
	v_mov_b32_e32 v1, 0
	v_mov_b32_e32 v3, s18
	;; [unrolled: 1-line block ×4, first 2 shown]
	s_mov_b32 s1, 0
	s_inst_prefetch 0x1
	.p2align	6
.LBB598_3:                              ; =>This Inner Loop Header: Depth=1
	v_sub_co_u32 v12, vcc_lo, v3, v1
	v_sub_co_ci_u32_e64 v13, null, v4, v2, vcc_lo
	v_lshrrev_b64 v[14:15], 1, v[12:13]
	v_lshrrev_b64 v[12:13], 6, v[12:13]
	v_add_co_u32 v6, vcc_lo, v14, v1
	v_add_co_ci_u32_e64 v8, null, v15, v2, vcc_lo
	v_add_co_u32 v12, vcc_lo, v6, v12
	v_add_co_ci_u32_e64 v13, null, v8, v13, vcc_lo
	v_lshlrev_b64 v[14:15], 1, v[12:13]
	v_add_co_u32 v14, vcc_lo, s16, v14
	v_add_co_ci_u32_e64 v15, null, s17, v15, vcc_lo
	v_add_co_u32 v8, vcc_lo, v12, 1
	v_add_co_ci_u32_e64 v10, null, 0, v13, vcc_lo
	global_load_ushort v6, v[14:15], off
	s_waitcnt vmcnt(0) lgkmcnt(0)
	v_cmp_lt_i16_e32 vcc_lo, v5, v6
	v_cndmask_b32_e32 v4, v4, v13, vcc_lo
	v_cndmask_b32_e32 v3, v3, v12, vcc_lo
	;; [unrolled: 1-line block ×4, first 2 shown]
	v_cmp_ge_u64_e32 vcc_lo, v[1:2], v[3:4]
	s_or_b32 s1, vcc_lo, s1
	s_andn2_b32 exec_lo, exec_lo, s1
	s_cbranch_execnz .LBB598_3
; %bb.4:
	s_inst_prefetch 0x2
	s_or_b32 exec_lo, exec_lo, s1
	s_branch .LBB598_7
.LBB598_5:
	s_mov_b32 s6, s5
                                        ; implicit-def: $vgpr7_vgpr8
                                        ; implicit-def: $vgpr11_vgpr12
	s_and_b32 vcc_lo, exec_lo, s0
	s_cbranch_vccnz .LBB598_20
	s_branch .LBB598_53
.LBB598_6:
	v_mov_b32_e32 v1, 0
	v_mov_b32_e32 v2, 0
.LBB598_7:
	v_mov_b32_e32 v3, 0
	v_cndmask_b32_e64 v10, 0, 1, s0
	v_mov_b32_e32 v4, 0
	s_andn2_b32 vcc_lo, exec_lo, s0
	s_cbranch_vccnz .LBB598_11
; %bb.8:
	v_mov_b32_e32 v5, s18
	v_mov_b32_e32 v6, s19
	s_mov_b32 s0, 0
	s_inst_prefetch 0x1
	.p2align	6
.LBB598_9:                              ; =>This Inner Loop Header: Depth=1
	v_sub_co_u32 v12, vcc_lo, v5, v3
	v_sub_co_ci_u32_e64 v13, null, v6, v4, vcc_lo
	v_lshrrev_b64 v[14:15], 1, v[12:13]
	v_lshrrev_b64 v[12:13], 6, v[12:13]
	v_add_co_u32 v8, vcc_lo, v14, v3
	v_add_co_ci_u32_e64 v14, null, v15, v4, vcc_lo
	v_add_co_u32 v12, vcc_lo, v8, v12
	v_add_co_ci_u32_e64 v13, null, v14, v13, vcc_lo
	v_lshlrev_b64 v[14:15], 1, v[12:13]
	v_add_co_u32 v14, vcc_lo, s16, v14
	v_add_co_ci_u32_e64 v15, null, s17, v15, vcc_lo
	global_load_ushort v8, v[14:15], off
	v_add_co_u32 v14, vcc_lo, v12, 1
	v_add_co_ci_u32_e64 v15, null, 0, v13, vcc_lo
	s_waitcnt vmcnt(0) lgkmcnt(2)
	v_cmp_lt_i16_e32 vcc_lo, v7, v8
	v_cndmask_b32_e32 v6, v6, v13, vcc_lo
	v_cndmask_b32_e32 v5, v5, v12, vcc_lo
	;; [unrolled: 1-line block ×4, first 2 shown]
	v_cmp_ge_u64_e32 vcc_lo, v[3:4], v[5:6]
	s_or_b32 s0, vcc_lo, s0
	s_andn2_b32 exec_lo, exec_lo, s0
	s_cbranch_execnz .LBB598_9
; %bb.10:
	s_inst_prefetch 0x2
	s_or_b32 exec_lo, exec_lo, s0
.LBB598_11:
	v_cmp_ne_u32_e32 vcc_lo, 1, v10
	v_mov_b32_e32 v5, 0
	v_mov_b32_e32 v6, 0
	s_cbranch_vccnz .LBB598_15
; %bb.12:
	s_waitcnt vmcnt(2) lgkmcnt(2)
	v_mov_b32_e32 v7, s18
	v_mov_b32_e32 v8, s19
	s_mov_b32 s0, 0
	s_inst_prefetch 0x1
	.p2align	6
.LBB598_13:                             ; =>This Inner Loop Header: Depth=1
	v_sub_co_u32 v12, vcc_lo, v7, v5
	v_sub_co_ci_u32_e64 v13, null, v8, v6, vcc_lo
	v_lshrrev_b64 v[14:15], 1, v[12:13]
	v_lshrrev_b64 v[12:13], 6, v[12:13]
	v_add_co_u32 v14, vcc_lo, v14, v5
	v_add_co_ci_u32_e64 v15, null, v15, v6, vcc_lo
	v_add_co_u32 v12, vcc_lo, v14, v12
	v_add_co_ci_u32_e64 v13, null, v15, v13, vcc_lo
	v_lshlrev_b64 v[14:15], 1, v[12:13]
	v_add_co_u32 v14, vcc_lo, s16, v14
	v_add_co_ci_u32_e64 v15, null, s17, v15, vcc_lo
	global_load_ushort v14, v[14:15], off
	v_add_co_u32 v15, vcc_lo, v12, 1
	v_add_co_ci_u32_e64 v16, null, 0, v13, vcc_lo
	s_waitcnt vmcnt(0) lgkmcnt(1)
	v_cmp_lt_i16_e32 vcc_lo, v9, v14
	v_cndmask_b32_e32 v8, v8, v13, vcc_lo
	v_cndmask_b32_e32 v7, v7, v12, vcc_lo
	;; [unrolled: 1-line block ×4, first 2 shown]
	v_cmp_ge_u64_e32 vcc_lo, v[5:6], v[7:8]
	s_or_b32 s0, vcc_lo, s0
	s_andn2_b32 exec_lo, exec_lo, s0
	s_cbranch_execnz .LBB598_13
; %bb.14:
	s_inst_prefetch 0x2
	s_or_b32 exec_lo, exec_lo, s0
.LBB598_15:
	v_cmp_ne_u32_e32 vcc_lo, 1, v10
	s_waitcnt vmcnt(2) lgkmcnt(2)
	v_mov_b32_e32 v7, 0
	v_mov_b32_e32 v8, 0
	s_cbranch_vccnz .LBB598_19
; %bb.16:
	s_waitcnt vmcnt(1) lgkmcnt(1)
	v_mov_b32_e32 v9, s18
	v_mov_b32_e32 v10, s19
	s_mov_b32 s0, 0
	s_inst_prefetch 0x1
	.p2align	6
.LBB598_17:                             ; =>This Inner Loop Header: Depth=1
	v_sub_co_u32 v12, vcc_lo, v9, v7
	v_sub_co_ci_u32_e64 v13, null, v10, v8, vcc_lo
	v_lshrrev_b64 v[14:15], 1, v[12:13]
	v_lshrrev_b64 v[12:13], 6, v[12:13]
	v_add_co_u32 v14, vcc_lo, v14, v7
	v_add_co_ci_u32_e64 v15, null, v15, v8, vcc_lo
	v_add_co_u32 v12, vcc_lo, v14, v12
	v_add_co_ci_u32_e64 v13, null, v15, v13, vcc_lo
	v_lshlrev_b64 v[14:15], 1, v[12:13]
	v_add_co_u32 v14, vcc_lo, s16, v14
	v_add_co_ci_u32_e64 v15, null, s17, v15, vcc_lo
	global_load_ushort v14, v[14:15], off
	v_add_co_u32 v15, vcc_lo, v12, 1
	v_add_co_ci_u32_e64 v16, null, 0, v13, vcc_lo
	s_waitcnt vmcnt(0) lgkmcnt(0)
	v_cmp_lt_i16_e32 vcc_lo, v11, v14
	v_cndmask_b32_e32 v10, v10, v13, vcc_lo
	v_cndmask_b32_e32 v9, v9, v12, vcc_lo
	;; [unrolled: 1-line block ×4, first 2 shown]
	v_cmp_ge_u64_e32 vcc_lo, v[7:8], v[9:10]
	s_or_b32 s0, vcc_lo, s0
	s_andn2_b32 exec_lo, exec_lo, s0
	s_cbranch_execnz .LBB598_17
; %bb.18:
	s_inst_prefetch 0x2
	s_or_b32 exec_lo, exec_lo, s0
.LBB598_19:
	s_waitcnt vmcnt(1) lgkmcnt(1)
	v_lshlrev_b32_e32 v9, 3, v0
	s_lshl_b64 s[0:1], s[4:5], 3
	s_mov_b32 s6, -1
	s_add_u32 s0, s3, s0
	s_addc_u32 s1, s7, s1
	s_waitcnt vmcnt(0) lgkmcnt(0)
	v_add_co_u32 v11, s0, s0, v9
	v_add_co_ci_u32_e64 v12, null, s1, 0, s0
	v_add_co_u32 v9, vcc_lo, 0x800, v11
	v_add_co_ci_u32_e64 v10, null, 0, v12, vcc_lo
	flat_store_dwordx2 v[11:12], v[1:2]
	flat_store_dwordx2 v[11:12], v[3:4] offset:1024
	flat_store_dwordx2 v[9:10], v[5:6]
	s_branch .LBB598_53
.LBB598_20:
	v_mov_b32_e32 v1, 0
	s_sub_i32 s6, s12, s4
	v_cmp_gt_u32_e64 s0, s6, v0
	v_mov_b32_e32 v2, v1
	s_and_saveexec_b32 s1, s0
	s_cbranch_execz .LBB598_22
; %bb.21:
	v_lshlrev_b32_e32 v2, 1, v0
	v_mov_b32_e32 v4, v1
	v_mov_b32_e32 v5, v1
	v_add_co_u32 v2, s2, s8, v2
	v_add_co_ci_u32_e64 v3, null, s9, 0, s2
	flat_load_short_d16 v4, v[2:3]
	s_waitcnt vmcnt(0) lgkmcnt(0)
	v_mov_b32_e32 v1, v4
	v_mov_b32_e32 v2, v5
.LBB598_22:
	s_or_b32 exec_lo, exec_lo, s1
	v_or_b32_e32 v3, 0x80, v0
	v_cmp_gt_u32_e64 s1, s6, v3
	s_and_saveexec_b32 s2, s1
	s_cbranch_execz .LBB598_24
; %bb.23:
	v_lshlrev_b32_e32 v3, 1, v0
	v_add_co_u32 v3, s10, s8, v3
	v_add_co_ci_u32_e64 v4, null, s9, 0, s10
	flat_load_short_d16_hi v1, v[3:4] offset:256
.LBB598_24:
	s_or_b32 exec_lo, exec_lo, s2
	v_or_b32_e32 v3, 0x100, v0
	v_cmp_gt_u32_e64 s2, s6, v3
	s_and_saveexec_b32 s10, s2
	s_cbranch_execz .LBB598_26
; %bb.25:
	v_lshlrev_b32_e32 v3, 1, v0
	v_add_co_u32 v3, s11, s8, v3
	v_add_co_ci_u32_e64 v4, null, s9, 0, s11
	flat_load_short_d16 v2, v[3:4] offset:512
.LBB598_26:
	s_or_b32 exec_lo, exec_lo, s10
	v_or_b32_e32 v3, 0x180, v0
	v_cmp_gt_u32_e64 s6, s6, v3
	s_and_saveexec_b32 s10, s6
	s_cbranch_execz .LBB598_28
; %bb.27:
	v_lshlrev_b32_e32 v3, 1, v0
	v_add_co_u32 v3, s8, s8, v3
	v_add_co_ci_u32_e64 v4, null, s9, 0, s8
	s_waitcnt vmcnt(0) lgkmcnt(0)
	flat_load_short_d16_hi v2, v[3:4] offset:768
.LBB598_28:
	s_or_b32 exec_lo, exec_lo, s10
	s_cmp_lg_u64 s[18:19], 0
                                        ; implicit-def: $vgpr3_vgpr4
	s_cselect_b32 s8, -1, 0
	s_and_saveexec_b32 s9, s0
	s_cbranch_execz .LBB598_33
; %bb.29:
	v_mov_b32_e32 v3, 0
	v_mov_b32_e32 v4, 0
	s_andn2_b32 vcc_lo, exec_lo, s8
	s_cbranch_vccnz .LBB598_33
; %bb.30:
	v_mov_b32_e32 v5, s18
	v_mov_b32_e32 v6, s19
	s_mov_b32 s10, 0
	s_inst_prefetch 0x1
	.p2align	6
.LBB598_31:                             ; =>This Inner Loop Header: Depth=1
	v_sub_co_u32 v7, vcc_lo, v5, v3
	v_sub_co_ci_u32_e64 v8, null, v6, v4, vcc_lo
	v_lshrrev_b64 v[9:10], 1, v[7:8]
	v_lshrrev_b64 v[7:8], 6, v[7:8]
	v_add_co_u32 v9, vcc_lo, v9, v3
	v_add_co_ci_u32_e64 v10, null, v10, v4, vcc_lo
	v_add_co_u32 v7, vcc_lo, v9, v7
	v_add_co_ci_u32_e64 v8, null, v10, v8, vcc_lo
	v_lshlrev_b64 v[9:10], 1, v[7:8]
	v_add_co_u32 v9, vcc_lo, s16, v9
	v_add_co_ci_u32_e64 v10, null, s17, v10, vcc_lo
	global_load_ushort v9, v[9:10], off
	v_add_co_u32 v10, vcc_lo, v7, 1
	v_add_co_ci_u32_e64 v11, null, 0, v8, vcc_lo
	s_waitcnt vmcnt(0) lgkmcnt(0)
	v_cmp_lt_i16_e32 vcc_lo, v1, v9
	v_cndmask_b32_e32 v6, v6, v8, vcc_lo
	v_cndmask_b32_e32 v5, v5, v7, vcc_lo
	;; [unrolled: 1-line block ×4, first 2 shown]
	v_cmp_ge_u64_e32 vcc_lo, v[3:4], v[5:6]
	s_or_b32 s10, vcc_lo, s10
	s_andn2_b32 exec_lo, exec_lo, s10
	s_cbranch_execnz .LBB598_31
; %bb.32:
	s_inst_prefetch 0x2
	s_or_b32 exec_lo, exec_lo, s10
.LBB598_33:
	s_or_b32 exec_lo, exec_lo, s9
                                        ; implicit-def: $vgpr5_vgpr6
	s_and_saveexec_b32 s9, s1
	s_cbranch_execz .LBB598_38
; %bb.34:
	v_mov_b32_e32 v5, 0
	v_mov_b32_e32 v6, 0
	s_andn2_b32 vcc_lo, exec_lo, s8
	s_cbranch_vccnz .LBB598_38
; %bb.35:
	v_mov_b32_e32 v7, s18
	v_mov_b32_e32 v8, s19
	s_mov_b32 s10, 0
	s_inst_prefetch 0x1
	.p2align	6
.LBB598_36:                             ; =>This Inner Loop Header: Depth=1
	v_sub_co_u32 v9, vcc_lo, v7, v5
	v_sub_co_ci_u32_e64 v10, null, v8, v6, vcc_lo
	v_lshrrev_b64 v[11:12], 1, v[9:10]
	v_lshrrev_b64 v[9:10], 6, v[9:10]
	v_add_co_u32 v11, vcc_lo, v11, v5
	v_add_co_ci_u32_e64 v12, null, v12, v6, vcc_lo
	v_add_co_u32 v9, vcc_lo, v11, v9
	v_add_co_ci_u32_e64 v10, null, v12, v10, vcc_lo
	v_lshlrev_b64 v[11:12], 1, v[9:10]
	v_add_co_u32 v11, vcc_lo, s16, v11
	v_add_co_ci_u32_e64 v12, null, s17, v12, vcc_lo
	global_load_ushort v11, v[11:12], off
	v_add_co_u32 v12, vcc_lo, v9, 1
	v_add_co_ci_u32_e64 v13, null, 0, v10, vcc_lo
	s_waitcnt vmcnt(0) lgkmcnt(0)
	v_cmp_lt_i16_sdwa vcc_lo, v1, v11 src0_sel:WORD_1 src1_sel:DWORD
	v_cndmask_b32_e32 v8, v8, v10, vcc_lo
	v_cndmask_b32_e32 v7, v7, v9, vcc_lo
	;; [unrolled: 1-line block ×4, first 2 shown]
	v_cmp_ge_u64_e32 vcc_lo, v[5:6], v[7:8]
	s_or_b32 s10, vcc_lo, s10
	s_andn2_b32 exec_lo, exec_lo, s10
	s_cbranch_execnz .LBB598_36
; %bb.37:
	s_inst_prefetch 0x2
	s_or_b32 exec_lo, exec_lo, s10
.LBB598_38:
	s_or_b32 exec_lo, exec_lo, s9
                                        ; implicit-def: $vgpr9_vgpr10
	s_and_saveexec_b32 s9, s2
	s_cbranch_execz .LBB598_43
; %bb.39:
	v_mov_b32_e32 v9, 0
	v_mov_b32_e32 v10, 0
	s_andn2_b32 vcc_lo, exec_lo, s8
	s_cbranch_vccnz .LBB598_43
; %bb.40:
	v_mov_b32_e32 v7, s18
	v_mov_b32_e32 v8, s19
	s_mov_b32 s10, 0
	s_inst_prefetch 0x1
	.p2align	6
.LBB598_41:                             ; =>This Inner Loop Header: Depth=1
	v_sub_co_u32 v11, vcc_lo, v7, v9
	v_sub_co_ci_u32_e64 v12, null, v8, v10, vcc_lo
	v_lshrrev_b64 v[13:14], 1, v[11:12]
	v_lshrrev_b64 v[11:12], 6, v[11:12]
	s_waitcnt vmcnt(0) lgkmcnt(0)
	v_add_co_u32 v1, vcc_lo, v13, v9
	v_add_co_ci_u32_e64 v13, null, v14, v10, vcc_lo
	v_add_co_u32 v11, vcc_lo, v1, v11
	v_add_co_ci_u32_e64 v12, null, v13, v12, vcc_lo
	v_lshlrev_b64 v[13:14], 1, v[11:12]
	v_add_co_u32 v13, vcc_lo, s16, v13
	v_add_co_ci_u32_e64 v14, null, s17, v14, vcc_lo
	global_load_ushort v1, v[13:14], off
	v_add_co_u32 v13, vcc_lo, v11, 1
	v_add_co_ci_u32_e64 v14, null, 0, v12, vcc_lo
	s_waitcnt vmcnt(0)
	v_cmp_lt_i16_e32 vcc_lo, v2, v1
	v_cndmask_b32_e32 v8, v8, v12, vcc_lo
	v_cndmask_b32_e32 v7, v7, v11, vcc_lo
	;; [unrolled: 1-line block ×4, first 2 shown]
	v_cmp_ge_u64_e32 vcc_lo, v[9:10], v[7:8]
	s_or_b32 s10, vcc_lo, s10
	s_andn2_b32 exec_lo, exec_lo, s10
	s_cbranch_execnz .LBB598_41
; %bb.42:
	s_inst_prefetch 0x2
	s_or_b32 exec_lo, exec_lo, s10
.LBB598_43:
	s_or_b32 exec_lo, exec_lo, s9
                                        ; implicit-def: $vgpr7_vgpr8
	s_and_saveexec_b32 s9, s6
	s_cbranch_execz .LBB598_48
; %bb.44:
	v_mov_b32_e32 v7, 0
	v_mov_b32_e32 v8, 0
	s_andn2_b32 vcc_lo, exec_lo, s8
	s_cbranch_vccnz .LBB598_48
; %bb.45:
	v_mov_b32_e32 v11, s18
	v_mov_b32_e32 v12, s19
	s_mov_b32 s8, 0
	s_inst_prefetch 0x1
	.p2align	6
.LBB598_46:                             ; =>This Inner Loop Header: Depth=1
	v_sub_co_u32 v13, vcc_lo, v11, v7
	v_sub_co_ci_u32_e64 v14, null, v12, v8, vcc_lo
	v_lshrrev_b64 v[15:16], 1, v[13:14]
	v_lshrrev_b64 v[13:14], 6, v[13:14]
	s_waitcnt vmcnt(0) lgkmcnt(0)
	v_add_co_u32 v1, vcc_lo, v15, v7
	v_add_co_ci_u32_e64 v15, null, v16, v8, vcc_lo
	v_add_co_u32 v13, vcc_lo, v1, v13
	v_add_co_ci_u32_e64 v14, null, v15, v14, vcc_lo
	v_lshlrev_b64 v[15:16], 1, v[13:14]
	v_add_co_u32 v15, vcc_lo, s16, v15
	v_add_co_ci_u32_e64 v16, null, s17, v16, vcc_lo
	global_load_ushort v1, v[15:16], off
	v_add_co_u32 v15, vcc_lo, v13, 1
	v_add_co_ci_u32_e64 v16, null, 0, v14, vcc_lo
	s_waitcnt vmcnt(0)
	v_cmp_lt_i16_sdwa vcc_lo, v2, v1 src0_sel:WORD_1 src1_sel:DWORD
	v_cndmask_b32_e32 v12, v12, v14, vcc_lo
	v_cndmask_b32_e32 v11, v11, v13, vcc_lo
	;; [unrolled: 1-line block ×4, first 2 shown]
	v_cmp_ge_u64_e32 vcc_lo, v[7:8], v[11:12]
	s_or_b32 s8, vcc_lo, s8
	s_andn2_b32 exec_lo, exec_lo, s8
	s_cbranch_execnz .LBB598_46
; %bb.47:
	s_inst_prefetch 0x2
	s_or_b32 exec_lo, exec_lo, s8
.LBB598_48:
	s_or_b32 exec_lo, exec_lo, s9
	v_lshlrev_b32_e32 v0, 3, v0
	s_lshl_b64 s[4:5], s[4:5], 3
	s_add_u32 s3, s3, s4
	s_addc_u32 s4, s7, s5
	v_add_co_u32 v11, s3, s3, v0
	v_add_co_ci_u32_e64 v12, null, s4, 0, s3
	s_and_saveexec_b32 s3, s0
	s_xor_b32 s0, exec_lo, s3
	s_cbranch_execnz .LBB598_56
; %bb.49:
	s_or_b32 exec_lo, exec_lo, s0
	s_and_saveexec_b32 s0, s1
	s_cbranch_execnz .LBB598_57
.LBB598_50:
	s_or_b32 exec_lo, exec_lo, s0
	s_and_saveexec_b32 s0, s2
	s_cbranch_execz .LBB598_52
.LBB598_51:
	v_add_co_u32 v0, vcc_lo, 0x800, v11
	s_waitcnt vmcnt(0) lgkmcnt(0)
	v_add_co_ci_u32_e64 v1, null, 0, v12, vcc_lo
	flat_store_dwordx2 v[0:1], v[9:10]
.LBB598_52:
	s_or_b32 exec_lo, exec_lo, s0
.LBB598_53:
	s_and_saveexec_b32 s0, s6
	s_cbranch_execnz .LBB598_55
; %bb.54:
	s_endpgm
.LBB598_55:
	v_add_co_u32 v0, vcc_lo, 0x800, v11
	s_waitcnt vmcnt(0) lgkmcnt(0)
	v_add_co_ci_u32_e64 v1, null, 0, v12, vcc_lo
	flat_store_dwordx2 v[0:1], v[7:8] offset:1024
	s_endpgm
.LBB598_56:
	flat_store_dwordx2 v[11:12], v[3:4]
	s_or_b32 exec_lo, exec_lo, s0
	s_and_saveexec_b32 s0, s1
	s_cbranch_execz .LBB598_50
.LBB598_57:
	flat_store_dwordx2 v[11:12], v[5:6] offset:1024
	s_or_b32 exec_lo, exec_lo, s0
	s_and_saveexec_b32 s0, s2
	s_cbranch_execnz .LBB598_51
	s_branch .LBB598_52
	.section	.rodata,"a",@progbits
	.p2align	6, 0x0
	.amdhsa_kernel _ZN7rocprim17ROCPRIM_400000_NS6detail17trampoline_kernelINS0_14default_configENS1_27upper_bound_config_selectorIslEEZNS1_14transform_implILb0ES3_S5_N6thrust23THRUST_200600_302600_NS6detail15normal_iteratorINS8_7pointerIsNS8_11hip_rocprim5par_tENS8_11use_defaultESE_EEEENSA_INSB_IlSD_SE_SE_EEEEZNS1_13binary_searchIS3_S5_NSA_INS8_10device_ptrIsEEEESG_SI_NS1_21upper_bound_search_opENS9_16wrapped_functionINS8_6system6detail7generic6detail18binary_search_lessEbEEEE10hipError_tPvRmT1_T2_T3_mmT4_T5_P12ihipStream_tbEUlRKsE_EESV_SZ_S10_mS11_S14_bEUlT_E_NS1_11comp_targetILNS1_3genE8ELNS1_11target_archE1030ELNS1_3gpuE2ELNS1_3repE0EEENS1_30default_config_static_selectorELNS0_4arch9wavefront6targetE0EEEvSY_
		.amdhsa_group_segment_fixed_size 0
		.amdhsa_private_segment_fixed_size 0
		.amdhsa_kernarg_size 312
		.amdhsa_user_sgpr_count 6
		.amdhsa_user_sgpr_private_segment_buffer 1
		.amdhsa_user_sgpr_dispatch_ptr 0
		.amdhsa_user_sgpr_queue_ptr 0
		.amdhsa_user_sgpr_kernarg_segment_ptr 1
		.amdhsa_user_sgpr_dispatch_id 0
		.amdhsa_user_sgpr_flat_scratch_init 0
		.amdhsa_user_sgpr_private_segment_size 0
		.amdhsa_wavefront_size32 1
		.amdhsa_uses_dynamic_stack 0
		.amdhsa_system_sgpr_private_segment_wavefront_offset 0
		.amdhsa_system_sgpr_workgroup_id_x 1
		.amdhsa_system_sgpr_workgroup_id_y 0
		.amdhsa_system_sgpr_workgroup_id_z 0
		.amdhsa_system_sgpr_workgroup_info 0
		.amdhsa_system_vgpr_workitem_id 0
		.amdhsa_next_free_vgpr 17
		.amdhsa_next_free_sgpr 20
		.amdhsa_reserve_vcc 1
		.amdhsa_reserve_flat_scratch 1
		.amdhsa_float_round_mode_32 0
		.amdhsa_float_round_mode_16_64 0
		.amdhsa_float_denorm_mode_32 3
		.amdhsa_float_denorm_mode_16_64 3
		.amdhsa_dx10_clamp 1
		.amdhsa_ieee_mode 1
		.amdhsa_fp16_overflow 0
		.amdhsa_workgroup_processor_mode 1
		.amdhsa_memory_ordered 1
		.amdhsa_forward_progress 1
		.amdhsa_shared_vgpr_count 0
		.amdhsa_exception_fp_ieee_invalid_op 0
		.amdhsa_exception_fp_denorm_src 0
		.amdhsa_exception_fp_ieee_div_zero 0
		.amdhsa_exception_fp_ieee_overflow 0
		.amdhsa_exception_fp_ieee_underflow 0
		.amdhsa_exception_fp_ieee_inexact 0
		.amdhsa_exception_int_div_zero 0
	.end_amdhsa_kernel
	.section	.text._ZN7rocprim17ROCPRIM_400000_NS6detail17trampoline_kernelINS0_14default_configENS1_27upper_bound_config_selectorIslEEZNS1_14transform_implILb0ES3_S5_N6thrust23THRUST_200600_302600_NS6detail15normal_iteratorINS8_7pointerIsNS8_11hip_rocprim5par_tENS8_11use_defaultESE_EEEENSA_INSB_IlSD_SE_SE_EEEEZNS1_13binary_searchIS3_S5_NSA_INS8_10device_ptrIsEEEESG_SI_NS1_21upper_bound_search_opENS9_16wrapped_functionINS8_6system6detail7generic6detail18binary_search_lessEbEEEE10hipError_tPvRmT1_T2_T3_mmT4_T5_P12ihipStream_tbEUlRKsE_EESV_SZ_S10_mS11_S14_bEUlT_E_NS1_11comp_targetILNS1_3genE8ELNS1_11target_archE1030ELNS1_3gpuE2ELNS1_3repE0EEENS1_30default_config_static_selectorELNS0_4arch9wavefront6targetE0EEEvSY_,"axG",@progbits,_ZN7rocprim17ROCPRIM_400000_NS6detail17trampoline_kernelINS0_14default_configENS1_27upper_bound_config_selectorIslEEZNS1_14transform_implILb0ES3_S5_N6thrust23THRUST_200600_302600_NS6detail15normal_iteratorINS8_7pointerIsNS8_11hip_rocprim5par_tENS8_11use_defaultESE_EEEENSA_INSB_IlSD_SE_SE_EEEEZNS1_13binary_searchIS3_S5_NSA_INS8_10device_ptrIsEEEESG_SI_NS1_21upper_bound_search_opENS9_16wrapped_functionINS8_6system6detail7generic6detail18binary_search_lessEbEEEE10hipError_tPvRmT1_T2_T3_mmT4_T5_P12ihipStream_tbEUlRKsE_EESV_SZ_S10_mS11_S14_bEUlT_E_NS1_11comp_targetILNS1_3genE8ELNS1_11target_archE1030ELNS1_3gpuE2ELNS1_3repE0EEENS1_30default_config_static_selectorELNS0_4arch9wavefront6targetE0EEEvSY_,comdat
.Lfunc_end598:
	.size	_ZN7rocprim17ROCPRIM_400000_NS6detail17trampoline_kernelINS0_14default_configENS1_27upper_bound_config_selectorIslEEZNS1_14transform_implILb0ES3_S5_N6thrust23THRUST_200600_302600_NS6detail15normal_iteratorINS8_7pointerIsNS8_11hip_rocprim5par_tENS8_11use_defaultESE_EEEENSA_INSB_IlSD_SE_SE_EEEEZNS1_13binary_searchIS3_S5_NSA_INS8_10device_ptrIsEEEESG_SI_NS1_21upper_bound_search_opENS9_16wrapped_functionINS8_6system6detail7generic6detail18binary_search_lessEbEEEE10hipError_tPvRmT1_T2_T3_mmT4_T5_P12ihipStream_tbEUlRKsE_EESV_SZ_S10_mS11_S14_bEUlT_E_NS1_11comp_targetILNS1_3genE8ELNS1_11target_archE1030ELNS1_3gpuE2ELNS1_3repE0EEENS1_30default_config_static_selectorELNS0_4arch9wavefront6targetE0EEEvSY_, .Lfunc_end598-_ZN7rocprim17ROCPRIM_400000_NS6detail17trampoline_kernelINS0_14default_configENS1_27upper_bound_config_selectorIslEEZNS1_14transform_implILb0ES3_S5_N6thrust23THRUST_200600_302600_NS6detail15normal_iteratorINS8_7pointerIsNS8_11hip_rocprim5par_tENS8_11use_defaultESE_EEEENSA_INSB_IlSD_SE_SE_EEEEZNS1_13binary_searchIS3_S5_NSA_INS8_10device_ptrIsEEEESG_SI_NS1_21upper_bound_search_opENS9_16wrapped_functionINS8_6system6detail7generic6detail18binary_search_lessEbEEEE10hipError_tPvRmT1_T2_T3_mmT4_T5_P12ihipStream_tbEUlRKsE_EESV_SZ_S10_mS11_S14_bEUlT_E_NS1_11comp_targetILNS1_3genE8ELNS1_11target_archE1030ELNS1_3gpuE2ELNS1_3repE0EEENS1_30default_config_static_selectorELNS0_4arch9wavefront6targetE0EEEvSY_
                                        ; -- End function
	.set _ZN7rocprim17ROCPRIM_400000_NS6detail17trampoline_kernelINS0_14default_configENS1_27upper_bound_config_selectorIslEEZNS1_14transform_implILb0ES3_S5_N6thrust23THRUST_200600_302600_NS6detail15normal_iteratorINS8_7pointerIsNS8_11hip_rocprim5par_tENS8_11use_defaultESE_EEEENSA_INSB_IlSD_SE_SE_EEEEZNS1_13binary_searchIS3_S5_NSA_INS8_10device_ptrIsEEEESG_SI_NS1_21upper_bound_search_opENS9_16wrapped_functionINS8_6system6detail7generic6detail18binary_search_lessEbEEEE10hipError_tPvRmT1_T2_T3_mmT4_T5_P12ihipStream_tbEUlRKsE_EESV_SZ_S10_mS11_S14_bEUlT_E_NS1_11comp_targetILNS1_3genE8ELNS1_11target_archE1030ELNS1_3gpuE2ELNS1_3repE0EEENS1_30default_config_static_selectorELNS0_4arch9wavefront6targetE0EEEvSY_.num_vgpr, 17
	.set _ZN7rocprim17ROCPRIM_400000_NS6detail17trampoline_kernelINS0_14default_configENS1_27upper_bound_config_selectorIslEEZNS1_14transform_implILb0ES3_S5_N6thrust23THRUST_200600_302600_NS6detail15normal_iteratorINS8_7pointerIsNS8_11hip_rocprim5par_tENS8_11use_defaultESE_EEEENSA_INSB_IlSD_SE_SE_EEEEZNS1_13binary_searchIS3_S5_NSA_INS8_10device_ptrIsEEEESG_SI_NS1_21upper_bound_search_opENS9_16wrapped_functionINS8_6system6detail7generic6detail18binary_search_lessEbEEEE10hipError_tPvRmT1_T2_T3_mmT4_T5_P12ihipStream_tbEUlRKsE_EESV_SZ_S10_mS11_S14_bEUlT_E_NS1_11comp_targetILNS1_3genE8ELNS1_11target_archE1030ELNS1_3gpuE2ELNS1_3repE0EEENS1_30default_config_static_selectorELNS0_4arch9wavefront6targetE0EEEvSY_.num_agpr, 0
	.set _ZN7rocprim17ROCPRIM_400000_NS6detail17trampoline_kernelINS0_14default_configENS1_27upper_bound_config_selectorIslEEZNS1_14transform_implILb0ES3_S5_N6thrust23THRUST_200600_302600_NS6detail15normal_iteratorINS8_7pointerIsNS8_11hip_rocprim5par_tENS8_11use_defaultESE_EEEENSA_INSB_IlSD_SE_SE_EEEEZNS1_13binary_searchIS3_S5_NSA_INS8_10device_ptrIsEEEESG_SI_NS1_21upper_bound_search_opENS9_16wrapped_functionINS8_6system6detail7generic6detail18binary_search_lessEbEEEE10hipError_tPvRmT1_T2_T3_mmT4_T5_P12ihipStream_tbEUlRKsE_EESV_SZ_S10_mS11_S14_bEUlT_E_NS1_11comp_targetILNS1_3genE8ELNS1_11target_archE1030ELNS1_3gpuE2ELNS1_3repE0EEENS1_30default_config_static_selectorELNS0_4arch9wavefront6targetE0EEEvSY_.numbered_sgpr, 20
	.set _ZN7rocprim17ROCPRIM_400000_NS6detail17trampoline_kernelINS0_14default_configENS1_27upper_bound_config_selectorIslEEZNS1_14transform_implILb0ES3_S5_N6thrust23THRUST_200600_302600_NS6detail15normal_iteratorINS8_7pointerIsNS8_11hip_rocprim5par_tENS8_11use_defaultESE_EEEENSA_INSB_IlSD_SE_SE_EEEEZNS1_13binary_searchIS3_S5_NSA_INS8_10device_ptrIsEEEESG_SI_NS1_21upper_bound_search_opENS9_16wrapped_functionINS8_6system6detail7generic6detail18binary_search_lessEbEEEE10hipError_tPvRmT1_T2_T3_mmT4_T5_P12ihipStream_tbEUlRKsE_EESV_SZ_S10_mS11_S14_bEUlT_E_NS1_11comp_targetILNS1_3genE8ELNS1_11target_archE1030ELNS1_3gpuE2ELNS1_3repE0EEENS1_30default_config_static_selectorELNS0_4arch9wavefront6targetE0EEEvSY_.num_named_barrier, 0
	.set _ZN7rocprim17ROCPRIM_400000_NS6detail17trampoline_kernelINS0_14default_configENS1_27upper_bound_config_selectorIslEEZNS1_14transform_implILb0ES3_S5_N6thrust23THRUST_200600_302600_NS6detail15normal_iteratorINS8_7pointerIsNS8_11hip_rocprim5par_tENS8_11use_defaultESE_EEEENSA_INSB_IlSD_SE_SE_EEEEZNS1_13binary_searchIS3_S5_NSA_INS8_10device_ptrIsEEEESG_SI_NS1_21upper_bound_search_opENS9_16wrapped_functionINS8_6system6detail7generic6detail18binary_search_lessEbEEEE10hipError_tPvRmT1_T2_T3_mmT4_T5_P12ihipStream_tbEUlRKsE_EESV_SZ_S10_mS11_S14_bEUlT_E_NS1_11comp_targetILNS1_3genE8ELNS1_11target_archE1030ELNS1_3gpuE2ELNS1_3repE0EEENS1_30default_config_static_selectorELNS0_4arch9wavefront6targetE0EEEvSY_.private_seg_size, 0
	.set _ZN7rocprim17ROCPRIM_400000_NS6detail17trampoline_kernelINS0_14default_configENS1_27upper_bound_config_selectorIslEEZNS1_14transform_implILb0ES3_S5_N6thrust23THRUST_200600_302600_NS6detail15normal_iteratorINS8_7pointerIsNS8_11hip_rocprim5par_tENS8_11use_defaultESE_EEEENSA_INSB_IlSD_SE_SE_EEEEZNS1_13binary_searchIS3_S5_NSA_INS8_10device_ptrIsEEEESG_SI_NS1_21upper_bound_search_opENS9_16wrapped_functionINS8_6system6detail7generic6detail18binary_search_lessEbEEEE10hipError_tPvRmT1_T2_T3_mmT4_T5_P12ihipStream_tbEUlRKsE_EESV_SZ_S10_mS11_S14_bEUlT_E_NS1_11comp_targetILNS1_3genE8ELNS1_11target_archE1030ELNS1_3gpuE2ELNS1_3repE0EEENS1_30default_config_static_selectorELNS0_4arch9wavefront6targetE0EEEvSY_.uses_vcc, 1
	.set _ZN7rocprim17ROCPRIM_400000_NS6detail17trampoline_kernelINS0_14default_configENS1_27upper_bound_config_selectorIslEEZNS1_14transform_implILb0ES3_S5_N6thrust23THRUST_200600_302600_NS6detail15normal_iteratorINS8_7pointerIsNS8_11hip_rocprim5par_tENS8_11use_defaultESE_EEEENSA_INSB_IlSD_SE_SE_EEEEZNS1_13binary_searchIS3_S5_NSA_INS8_10device_ptrIsEEEESG_SI_NS1_21upper_bound_search_opENS9_16wrapped_functionINS8_6system6detail7generic6detail18binary_search_lessEbEEEE10hipError_tPvRmT1_T2_T3_mmT4_T5_P12ihipStream_tbEUlRKsE_EESV_SZ_S10_mS11_S14_bEUlT_E_NS1_11comp_targetILNS1_3genE8ELNS1_11target_archE1030ELNS1_3gpuE2ELNS1_3repE0EEENS1_30default_config_static_selectorELNS0_4arch9wavefront6targetE0EEEvSY_.uses_flat_scratch, 1
	.set _ZN7rocprim17ROCPRIM_400000_NS6detail17trampoline_kernelINS0_14default_configENS1_27upper_bound_config_selectorIslEEZNS1_14transform_implILb0ES3_S5_N6thrust23THRUST_200600_302600_NS6detail15normal_iteratorINS8_7pointerIsNS8_11hip_rocprim5par_tENS8_11use_defaultESE_EEEENSA_INSB_IlSD_SE_SE_EEEEZNS1_13binary_searchIS3_S5_NSA_INS8_10device_ptrIsEEEESG_SI_NS1_21upper_bound_search_opENS9_16wrapped_functionINS8_6system6detail7generic6detail18binary_search_lessEbEEEE10hipError_tPvRmT1_T2_T3_mmT4_T5_P12ihipStream_tbEUlRKsE_EESV_SZ_S10_mS11_S14_bEUlT_E_NS1_11comp_targetILNS1_3genE8ELNS1_11target_archE1030ELNS1_3gpuE2ELNS1_3repE0EEENS1_30default_config_static_selectorELNS0_4arch9wavefront6targetE0EEEvSY_.has_dyn_sized_stack, 0
	.set _ZN7rocprim17ROCPRIM_400000_NS6detail17trampoline_kernelINS0_14default_configENS1_27upper_bound_config_selectorIslEEZNS1_14transform_implILb0ES3_S5_N6thrust23THRUST_200600_302600_NS6detail15normal_iteratorINS8_7pointerIsNS8_11hip_rocprim5par_tENS8_11use_defaultESE_EEEENSA_INSB_IlSD_SE_SE_EEEEZNS1_13binary_searchIS3_S5_NSA_INS8_10device_ptrIsEEEESG_SI_NS1_21upper_bound_search_opENS9_16wrapped_functionINS8_6system6detail7generic6detail18binary_search_lessEbEEEE10hipError_tPvRmT1_T2_T3_mmT4_T5_P12ihipStream_tbEUlRKsE_EESV_SZ_S10_mS11_S14_bEUlT_E_NS1_11comp_targetILNS1_3genE8ELNS1_11target_archE1030ELNS1_3gpuE2ELNS1_3repE0EEENS1_30default_config_static_selectorELNS0_4arch9wavefront6targetE0EEEvSY_.has_recursion, 0
	.set _ZN7rocprim17ROCPRIM_400000_NS6detail17trampoline_kernelINS0_14default_configENS1_27upper_bound_config_selectorIslEEZNS1_14transform_implILb0ES3_S5_N6thrust23THRUST_200600_302600_NS6detail15normal_iteratorINS8_7pointerIsNS8_11hip_rocprim5par_tENS8_11use_defaultESE_EEEENSA_INSB_IlSD_SE_SE_EEEEZNS1_13binary_searchIS3_S5_NSA_INS8_10device_ptrIsEEEESG_SI_NS1_21upper_bound_search_opENS9_16wrapped_functionINS8_6system6detail7generic6detail18binary_search_lessEbEEEE10hipError_tPvRmT1_T2_T3_mmT4_T5_P12ihipStream_tbEUlRKsE_EESV_SZ_S10_mS11_S14_bEUlT_E_NS1_11comp_targetILNS1_3genE8ELNS1_11target_archE1030ELNS1_3gpuE2ELNS1_3repE0EEENS1_30default_config_static_selectorELNS0_4arch9wavefront6targetE0EEEvSY_.has_indirect_call, 0
	.section	.AMDGPU.csdata,"",@progbits
; Kernel info:
; codeLenInByte = 2672
; TotalNumSgprs: 22
; NumVgprs: 17
; ScratchSize: 0
; MemoryBound: 0
; FloatMode: 240
; IeeeMode: 1
; LDSByteSize: 0 bytes/workgroup (compile time only)
; SGPRBlocks: 0
; VGPRBlocks: 2
; NumSGPRsForWavesPerEU: 22
; NumVGPRsForWavesPerEU: 17
; Occupancy: 16
; WaveLimiterHint : 1
; COMPUTE_PGM_RSRC2:SCRATCH_EN: 0
; COMPUTE_PGM_RSRC2:USER_SGPR: 6
; COMPUTE_PGM_RSRC2:TRAP_HANDLER: 0
; COMPUTE_PGM_RSRC2:TGID_X_EN: 1
; COMPUTE_PGM_RSRC2:TGID_Y_EN: 0
; COMPUTE_PGM_RSRC2:TGID_Z_EN: 0
; COMPUTE_PGM_RSRC2:TIDIG_COMP_CNT: 0
	.section	.text._ZN7rocprim17ROCPRIM_400000_NS6detail17trampoline_kernelINS0_14default_configENS1_27upper_bound_config_selectorIN6thrust23THRUST_200600_302600_NS5tupleIiiNS6_9null_typeES8_S8_S8_S8_S8_S8_S8_EElEEZNS1_14transform_implILb0ES3_SA_NS6_6detail15normal_iteratorINS6_7pointerIS9_NS6_11hip_rocprim5par_tENS6_11use_defaultESH_EEEENSD_INSE_IlSG_SH_SH_EEEEZNS1_13binary_searchIS3_SA_NSD_INS6_10device_ptrIS9_EEEESJ_SL_NS1_21upper_bound_search_opENSC_16wrapped_functionINS6_6system6detail7generic6detail18binary_search_lessEbEEEE10hipError_tPvRmT1_T2_T3_mmT4_T5_P12ihipStream_tbEUlRKS9_E_EESY_S12_S13_mS14_S17_bEUlT_E_NS1_11comp_targetILNS1_3genE0ELNS1_11target_archE4294967295ELNS1_3gpuE0ELNS1_3repE0EEENS1_30default_config_static_selectorELNS0_4arch9wavefront6targetE0EEEvS11_,"axG",@progbits,_ZN7rocprim17ROCPRIM_400000_NS6detail17trampoline_kernelINS0_14default_configENS1_27upper_bound_config_selectorIN6thrust23THRUST_200600_302600_NS5tupleIiiNS6_9null_typeES8_S8_S8_S8_S8_S8_S8_EElEEZNS1_14transform_implILb0ES3_SA_NS6_6detail15normal_iteratorINS6_7pointerIS9_NS6_11hip_rocprim5par_tENS6_11use_defaultESH_EEEENSD_INSE_IlSG_SH_SH_EEEEZNS1_13binary_searchIS3_SA_NSD_INS6_10device_ptrIS9_EEEESJ_SL_NS1_21upper_bound_search_opENSC_16wrapped_functionINS6_6system6detail7generic6detail18binary_search_lessEbEEEE10hipError_tPvRmT1_T2_T3_mmT4_T5_P12ihipStream_tbEUlRKS9_E_EESY_S12_S13_mS14_S17_bEUlT_E_NS1_11comp_targetILNS1_3genE0ELNS1_11target_archE4294967295ELNS1_3gpuE0ELNS1_3repE0EEENS1_30default_config_static_selectorELNS0_4arch9wavefront6targetE0EEEvS11_,comdat
	.protected	_ZN7rocprim17ROCPRIM_400000_NS6detail17trampoline_kernelINS0_14default_configENS1_27upper_bound_config_selectorIN6thrust23THRUST_200600_302600_NS5tupleIiiNS6_9null_typeES8_S8_S8_S8_S8_S8_S8_EElEEZNS1_14transform_implILb0ES3_SA_NS6_6detail15normal_iteratorINS6_7pointerIS9_NS6_11hip_rocprim5par_tENS6_11use_defaultESH_EEEENSD_INSE_IlSG_SH_SH_EEEEZNS1_13binary_searchIS3_SA_NSD_INS6_10device_ptrIS9_EEEESJ_SL_NS1_21upper_bound_search_opENSC_16wrapped_functionINS6_6system6detail7generic6detail18binary_search_lessEbEEEE10hipError_tPvRmT1_T2_T3_mmT4_T5_P12ihipStream_tbEUlRKS9_E_EESY_S12_S13_mS14_S17_bEUlT_E_NS1_11comp_targetILNS1_3genE0ELNS1_11target_archE4294967295ELNS1_3gpuE0ELNS1_3repE0EEENS1_30default_config_static_selectorELNS0_4arch9wavefront6targetE0EEEvS11_ ; -- Begin function _ZN7rocprim17ROCPRIM_400000_NS6detail17trampoline_kernelINS0_14default_configENS1_27upper_bound_config_selectorIN6thrust23THRUST_200600_302600_NS5tupleIiiNS6_9null_typeES8_S8_S8_S8_S8_S8_S8_EElEEZNS1_14transform_implILb0ES3_SA_NS6_6detail15normal_iteratorINS6_7pointerIS9_NS6_11hip_rocprim5par_tENS6_11use_defaultESH_EEEENSD_INSE_IlSG_SH_SH_EEEEZNS1_13binary_searchIS3_SA_NSD_INS6_10device_ptrIS9_EEEESJ_SL_NS1_21upper_bound_search_opENSC_16wrapped_functionINS6_6system6detail7generic6detail18binary_search_lessEbEEEE10hipError_tPvRmT1_T2_T3_mmT4_T5_P12ihipStream_tbEUlRKS9_E_EESY_S12_S13_mS14_S17_bEUlT_E_NS1_11comp_targetILNS1_3genE0ELNS1_11target_archE4294967295ELNS1_3gpuE0ELNS1_3repE0EEENS1_30default_config_static_selectorELNS0_4arch9wavefront6targetE0EEEvS11_
	.globl	_ZN7rocprim17ROCPRIM_400000_NS6detail17trampoline_kernelINS0_14default_configENS1_27upper_bound_config_selectorIN6thrust23THRUST_200600_302600_NS5tupleIiiNS6_9null_typeES8_S8_S8_S8_S8_S8_S8_EElEEZNS1_14transform_implILb0ES3_SA_NS6_6detail15normal_iteratorINS6_7pointerIS9_NS6_11hip_rocprim5par_tENS6_11use_defaultESH_EEEENSD_INSE_IlSG_SH_SH_EEEEZNS1_13binary_searchIS3_SA_NSD_INS6_10device_ptrIS9_EEEESJ_SL_NS1_21upper_bound_search_opENSC_16wrapped_functionINS6_6system6detail7generic6detail18binary_search_lessEbEEEE10hipError_tPvRmT1_T2_T3_mmT4_T5_P12ihipStream_tbEUlRKS9_E_EESY_S12_S13_mS14_S17_bEUlT_E_NS1_11comp_targetILNS1_3genE0ELNS1_11target_archE4294967295ELNS1_3gpuE0ELNS1_3repE0EEENS1_30default_config_static_selectorELNS0_4arch9wavefront6targetE0EEEvS11_
	.p2align	8
	.type	_ZN7rocprim17ROCPRIM_400000_NS6detail17trampoline_kernelINS0_14default_configENS1_27upper_bound_config_selectorIN6thrust23THRUST_200600_302600_NS5tupleIiiNS6_9null_typeES8_S8_S8_S8_S8_S8_S8_EElEEZNS1_14transform_implILb0ES3_SA_NS6_6detail15normal_iteratorINS6_7pointerIS9_NS6_11hip_rocprim5par_tENS6_11use_defaultESH_EEEENSD_INSE_IlSG_SH_SH_EEEEZNS1_13binary_searchIS3_SA_NSD_INS6_10device_ptrIS9_EEEESJ_SL_NS1_21upper_bound_search_opENSC_16wrapped_functionINS6_6system6detail7generic6detail18binary_search_lessEbEEEE10hipError_tPvRmT1_T2_T3_mmT4_T5_P12ihipStream_tbEUlRKS9_E_EESY_S12_S13_mS14_S17_bEUlT_E_NS1_11comp_targetILNS1_3genE0ELNS1_11target_archE4294967295ELNS1_3gpuE0ELNS1_3repE0EEENS1_30default_config_static_selectorELNS0_4arch9wavefront6targetE0EEEvS11_,@function
_ZN7rocprim17ROCPRIM_400000_NS6detail17trampoline_kernelINS0_14default_configENS1_27upper_bound_config_selectorIN6thrust23THRUST_200600_302600_NS5tupleIiiNS6_9null_typeES8_S8_S8_S8_S8_S8_S8_EElEEZNS1_14transform_implILb0ES3_SA_NS6_6detail15normal_iteratorINS6_7pointerIS9_NS6_11hip_rocprim5par_tENS6_11use_defaultESH_EEEENSD_INSE_IlSG_SH_SH_EEEEZNS1_13binary_searchIS3_SA_NSD_INS6_10device_ptrIS9_EEEESJ_SL_NS1_21upper_bound_search_opENSC_16wrapped_functionINS6_6system6detail7generic6detail18binary_search_lessEbEEEE10hipError_tPvRmT1_T2_T3_mmT4_T5_P12ihipStream_tbEUlRKS9_E_EESY_S12_S13_mS14_S17_bEUlT_E_NS1_11comp_targetILNS1_3genE0ELNS1_11target_archE4294967295ELNS1_3gpuE0ELNS1_3repE0EEENS1_30default_config_static_selectorELNS0_4arch9wavefront6targetE0EEEvS11_: ; @_ZN7rocprim17ROCPRIM_400000_NS6detail17trampoline_kernelINS0_14default_configENS1_27upper_bound_config_selectorIN6thrust23THRUST_200600_302600_NS5tupleIiiNS6_9null_typeES8_S8_S8_S8_S8_S8_S8_EElEEZNS1_14transform_implILb0ES3_SA_NS6_6detail15normal_iteratorINS6_7pointerIS9_NS6_11hip_rocprim5par_tENS6_11use_defaultESH_EEEENSD_INSE_IlSG_SH_SH_EEEEZNS1_13binary_searchIS3_SA_NSD_INS6_10device_ptrIS9_EEEESJ_SL_NS1_21upper_bound_search_opENSC_16wrapped_functionINS6_6system6detail7generic6detail18binary_search_lessEbEEEE10hipError_tPvRmT1_T2_T3_mmT4_T5_P12ihipStream_tbEUlRKS9_E_EESY_S12_S13_mS14_S17_bEUlT_E_NS1_11comp_targetILNS1_3genE0ELNS1_11target_archE4294967295ELNS1_3gpuE0ELNS1_3repE0EEENS1_30default_config_static_selectorELNS0_4arch9wavefront6targetE0EEEvS11_
; %bb.0:
	.section	.rodata,"a",@progbits
	.p2align	6, 0x0
	.amdhsa_kernel _ZN7rocprim17ROCPRIM_400000_NS6detail17trampoline_kernelINS0_14default_configENS1_27upper_bound_config_selectorIN6thrust23THRUST_200600_302600_NS5tupleIiiNS6_9null_typeES8_S8_S8_S8_S8_S8_S8_EElEEZNS1_14transform_implILb0ES3_SA_NS6_6detail15normal_iteratorINS6_7pointerIS9_NS6_11hip_rocprim5par_tENS6_11use_defaultESH_EEEENSD_INSE_IlSG_SH_SH_EEEEZNS1_13binary_searchIS3_SA_NSD_INS6_10device_ptrIS9_EEEESJ_SL_NS1_21upper_bound_search_opENSC_16wrapped_functionINS6_6system6detail7generic6detail18binary_search_lessEbEEEE10hipError_tPvRmT1_T2_T3_mmT4_T5_P12ihipStream_tbEUlRKS9_E_EESY_S12_S13_mS14_S17_bEUlT_E_NS1_11comp_targetILNS1_3genE0ELNS1_11target_archE4294967295ELNS1_3gpuE0ELNS1_3repE0EEENS1_30default_config_static_selectorELNS0_4arch9wavefront6targetE0EEEvS11_
		.amdhsa_group_segment_fixed_size 0
		.amdhsa_private_segment_fixed_size 0
		.amdhsa_kernarg_size 56
		.amdhsa_user_sgpr_count 6
		.amdhsa_user_sgpr_private_segment_buffer 1
		.amdhsa_user_sgpr_dispatch_ptr 0
		.amdhsa_user_sgpr_queue_ptr 0
		.amdhsa_user_sgpr_kernarg_segment_ptr 1
		.amdhsa_user_sgpr_dispatch_id 0
		.amdhsa_user_sgpr_flat_scratch_init 0
		.amdhsa_user_sgpr_private_segment_size 0
		.amdhsa_wavefront_size32 1
		.amdhsa_uses_dynamic_stack 0
		.amdhsa_system_sgpr_private_segment_wavefront_offset 0
		.amdhsa_system_sgpr_workgroup_id_x 1
		.amdhsa_system_sgpr_workgroup_id_y 0
		.amdhsa_system_sgpr_workgroup_id_z 0
		.amdhsa_system_sgpr_workgroup_info 0
		.amdhsa_system_vgpr_workitem_id 0
		.amdhsa_next_free_vgpr 1
		.amdhsa_next_free_sgpr 1
		.amdhsa_reserve_vcc 0
		.amdhsa_reserve_flat_scratch 0
		.amdhsa_float_round_mode_32 0
		.amdhsa_float_round_mode_16_64 0
		.amdhsa_float_denorm_mode_32 3
		.amdhsa_float_denorm_mode_16_64 3
		.amdhsa_dx10_clamp 1
		.amdhsa_ieee_mode 1
		.amdhsa_fp16_overflow 0
		.amdhsa_workgroup_processor_mode 1
		.amdhsa_memory_ordered 1
		.amdhsa_forward_progress 1
		.amdhsa_shared_vgpr_count 0
		.amdhsa_exception_fp_ieee_invalid_op 0
		.amdhsa_exception_fp_denorm_src 0
		.amdhsa_exception_fp_ieee_div_zero 0
		.amdhsa_exception_fp_ieee_overflow 0
		.amdhsa_exception_fp_ieee_underflow 0
		.amdhsa_exception_fp_ieee_inexact 0
		.amdhsa_exception_int_div_zero 0
	.end_amdhsa_kernel
	.section	.text._ZN7rocprim17ROCPRIM_400000_NS6detail17trampoline_kernelINS0_14default_configENS1_27upper_bound_config_selectorIN6thrust23THRUST_200600_302600_NS5tupleIiiNS6_9null_typeES8_S8_S8_S8_S8_S8_S8_EElEEZNS1_14transform_implILb0ES3_SA_NS6_6detail15normal_iteratorINS6_7pointerIS9_NS6_11hip_rocprim5par_tENS6_11use_defaultESH_EEEENSD_INSE_IlSG_SH_SH_EEEEZNS1_13binary_searchIS3_SA_NSD_INS6_10device_ptrIS9_EEEESJ_SL_NS1_21upper_bound_search_opENSC_16wrapped_functionINS6_6system6detail7generic6detail18binary_search_lessEbEEEE10hipError_tPvRmT1_T2_T3_mmT4_T5_P12ihipStream_tbEUlRKS9_E_EESY_S12_S13_mS14_S17_bEUlT_E_NS1_11comp_targetILNS1_3genE0ELNS1_11target_archE4294967295ELNS1_3gpuE0ELNS1_3repE0EEENS1_30default_config_static_selectorELNS0_4arch9wavefront6targetE0EEEvS11_,"axG",@progbits,_ZN7rocprim17ROCPRIM_400000_NS6detail17trampoline_kernelINS0_14default_configENS1_27upper_bound_config_selectorIN6thrust23THRUST_200600_302600_NS5tupleIiiNS6_9null_typeES8_S8_S8_S8_S8_S8_S8_EElEEZNS1_14transform_implILb0ES3_SA_NS6_6detail15normal_iteratorINS6_7pointerIS9_NS6_11hip_rocprim5par_tENS6_11use_defaultESH_EEEENSD_INSE_IlSG_SH_SH_EEEEZNS1_13binary_searchIS3_SA_NSD_INS6_10device_ptrIS9_EEEESJ_SL_NS1_21upper_bound_search_opENSC_16wrapped_functionINS6_6system6detail7generic6detail18binary_search_lessEbEEEE10hipError_tPvRmT1_T2_T3_mmT4_T5_P12ihipStream_tbEUlRKS9_E_EESY_S12_S13_mS14_S17_bEUlT_E_NS1_11comp_targetILNS1_3genE0ELNS1_11target_archE4294967295ELNS1_3gpuE0ELNS1_3repE0EEENS1_30default_config_static_selectorELNS0_4arch9wavefront6targetE0EEEvS11_,comdat
.Lfunc_end599:
	.size	_ZN7rocprim17ROCPRIM_400000_NS6detail17trampoline_kernelINS0_14default_configENS1_27upper_bound_config_selectorIN6thrust23THRUST_200600_302600_NS5tupleIiiNS6_9null_typeES8_S8_S8_S8_S8_S8_S8_EElEEZNS1_14transform_implILb0ES3_SA_NS6_6detail15normal_iteratorINS6_7pointerIS9_NS6_11hip_rocprim5par_tENS6_11use_defaultESH_EEEENSD_INSE_IlSG_SH_SH_EEEEZNS1_13binary_searchIS3_SA_NSD_INS6_10device_ptrIS9_EEEESJ_SL_NS1_21upper_bound_search_opENSC_16wrapped_functionINS6_6system6detail7generic6detail18binary_search_lessEbEEEE10hipError_tPvRmT1_T2_T3_mmT4_T5_P12ihipStream_tbEUlRKS9_E_EESY_S12_S13_mS14_S17_bEUlT_E_NS1_11comp_targetILNS1_3genE0ELNS1_11target_archE4294967295ELNS1_3gpuE0ELNS1_3repE0EEENS1_30default_config_static_selectorELNS0_4arch9wavefront6targetE0EEEvS11_, .Lfunc_end599-_ZN7rocprim17ROCPRIM_400000_NS6detail17trampoline_kernelINS0_14default_configENS1_27upper_bound_config_selectorIN6thrust23THRUST_200600_302600_NS5tupleIiiNS6_9null_typeES8_S8_S8_S8_S8_S8_S8_EElEEZNS1_14transform_implILb0ES3_SA_NS6_6detail15normal_iteratorINS6_7pointerIS9_NS6_11hip_rocprim5par_tENS6_11use_defaultESH_EEEENSD_INSE_IlSG_SH_SH_EEEEZNS1_13binary_searchIS3_SA_NSD_INS6_10device_ptrIS9_EEEESJ_SL_NS1_21upper_bound_search_opENSC_16wrapped_functionINS6_6system6detail7generic6detail18binary_search_lessEbEEEE10hipError_tPvRmT1_T2_T3_mmT4_T5_P12ihipStream_tbEUlRKS9_E_EESY_S12_S13_mS14_S17_bEUlT_E_NS1_11comp_targetILNS1_3genE0ELNS1_11target_archE4294967295ELNS1_3gpuE0ELNS1_3repE0EEENS1_30default_config_static_selectorELNS0_4arch9wavefront6targetE0EEEvS11_
                                        ; -- End function
	.set _ZN7rocprim17ROCPRIM_400000_NS6detail17trampoline_kernelINS0_14default_configENS1_27upper_bound_config_selectorIN6thrust23THRUST_200600_302600_NS5tupleIiiNS6_9null_typeES8_S8_S8_S8_S8_S8_S8_EElEEZNS1_14transform_implILb0ES3_SA_NS6_6detail15normal_iteratorINS6_7pointerIS9_NS6_11hip_rocprim5par_tENS6_11use_defaultESH_EEEENSD_INSE_IlSG_SH_SH_EEEEZNS1_13binary_searchIS3_SA_NSD_INS6_10device_ptrIS9_EEEESJ_SL_NS1_21upper_bound_search_opENSC_16wrapped_functionINS6_6system6detail7generic6detail18binary_search_lessEbEEEE10hipError_tPvRmT1_T2_T3_mmT4_T5_P12ihipStream_tbEUlRKS9_E_EESY_S12_S13_mS14_S17_bEUlT_E_NS1_11comp_targetILNS1_3genE0ELNS1_11target_archE4294967295ELNS1_3gpuE0ELNS1_3repE0EEENS1_30default_config_static_selectorELNS0_4arch9wavefront6targetE0EEEvS11_.num_vgpr, 0
	.set _ZN7rocprim17ROCPRIM_400000_NS6detail17trampoline_kernelINS0_14default_configENS1_27upper_bound_config_selectorIN6thrust23THRUST_200600_302600_NS5tupleIiiNS6_9null_typeES8_S8_S8_S8_S8_S8_S8_EElEEZNS1_14transform_implILb0ES3_SA_NS6_6detail15normal_iteratorINS6_7pointerIS9_NS6_11hip_rocprim5par_tENS6_11use_defaultESH_EEEENSD_INSE_IlSG_SH_SH_EEEEZNS1_13binary_searchIS3_SA_NSD_INS6_10device_ptrIS9_EEEESJ_SL_NS1_21upper_bound_search_opENSC_16wrapped_functionINS6_6system6detail7generic6detail18binary_search_lessEbEEEE10hipError_tPvRmT1_T2_T3_mmT4_T5_P12ihipStream_tbEUlRKS9_E_EESY_S12_S13_mS14_S17_bEUlT_E_NS1_11comp_targetILNS1_3genE0ELNS1_11target_archE4294967295ELNS1_3gpuE0ELNS1_3repE0EEENS1_30default_config_static_selectorELNS0_4arch9wavefront6targetE0EEEvS11_.num_agpr, 0
	.set _ZN7rocprim17ROCPRIM_400000_NS6detail17trampoline_kernelINS0_14default_configENS1_27upper_bound_config_selectorIN6thrust23THRUST_200600_302600_NS5tupleIiiNS6_9null_typeES8_S8_S8_S8_S8_S8_S8_EElEEZNS1_14transform_implILb0ES3_SA_NS6_6detail15normal_iteratorINS6_7pointerIS9_NS6_11hip_rocprim5par_tENS6_11use_defaultESH_EEEENSD_INSE_IlSG_SH_SH_EEEEZNS1_13binary_searchIS3_SA_NSD_INS6_10device_ptrIS9_EEEESJ_SL_NS1_21upper_bound_search_opENSC_16wrapped_functionINS6_6system6detail7generic6detail18binary_search_lessEbEEEE10hipError_tPvRmT1_T2_T3_mmT4_T5_P12ihipStream_tbEUlRKS9_E_EESY_S12_S13_mS14_S17_bEUlT_E_NS1_11comp_targetILNS1_3genE0ELNS1_11target_archE4294967295ELNS1_3gpuE0ELNS1_3repE0EEENS1_30default_config_static_selectorELNS0_4arch9wavefront6targetE0EEEvS11_.numbered_sgpr, 0
	.set _ZN7rocprim17ROCPRIM_400000_NS6detail17trampoline_kernelINS0_14default_configENS1_27upper_bound_config_selectorIN6thrust23THRUST_200600_302600_NS5tupleIiiNS6_9null_typeES8_S8_S8_S8_S8_S8_S8_EElEEZNS1_14transform_implILb0ES3_SA_NS6_6detail15normal_iteratorINS6_7pointerIS9_NS6_11hip_rocprim5par_tENS6_11use_defaultESH_EEEENSD_INSE_IlSG_SH_SH_EEEEZNS1_13binary_searchIS3_SA_NSD_INS6_10device_ptrIS9_EEEESJ_SL_NS1_21upper_bound_search_opENSC_16wrapped_functionINS6_6system6detail7generic6detail18binary_search_lessEbEEEE10hipError_tPvRmT1_T2_T3_mmT4_T5_P12ihipStream_tbEUlRKS9_E_EESY_S12_S13_mS14_S17_bEUlT_E_NS1_11comp_targetILNS1_3genE0ELNS1_11target_archE4294967295ELNS1_3gpuE0ELNS1_3repE0EEENS1_30default_config_static_selectorELNS0_4arch9wavefront6targetE0EEEvS11_.num_named_barrier, 0
	.set _ZN7rocprim17ROCPRIM_400000_NS6detail17trampoline_kernelINS0_14default_configENS1_27upper_bound_config_selectorIN6thrust23THRUST_200600_302600_NS5tupleIiiNS6_9null_typeES8_S8_S8_S8_S8_S8_S8_EElEEZNS1_14transform_implILb0ES3_SA_NS6_6detail15normal_iteratorINS6_7pointerIS9_NS6_11hip_rocprim5par_tENS6_11use_defaultESH_EEEENSD_INSE_IlSG_SH_SH_EEEEZNS1_13binary_searchIS3_SA_NSD_INS6_10device_ptrIS9_EEEESJ_SL_NS1_21upper_bound_search_opENSC_16wrapped_functionINS6_6system6detail7generic6detail18binary_search_lessEbEEEE10hipError_tPvRmT1_T2_T3_mmT4_T5_P12ihipStream_tbEUlRKS9_E_EESY_S12_S13_mS14_S17_bEUlT_E_NS1_11comp_targetILNS1_3genE0ELNS1_11target_archE4294967295ELNS1_3gpuE0ELNS1_3repE0EEENS1_30default_config_static_selectorELNS0_4arch9wavefront6targetE0EEEvS11_.private_seg_size, 0
	.set _ZN7rocprim17ROCPRIM_400000_NS6detail17trampoline_kernelINS0_14default_configENS1_27upper_bound_config_selectorIN6thrust23THRUST_200600_302600_NS5tupleIiiNS6_9null_typeES8_S8_S8_S8_S8_S8_S8_EElEEZNS1_14transform_implILb0ES3_SA_NS6_6detail15normal_iteratorINS6_7pointerIS9_NS6_11hip_rocprim5par_tENS6_11use_defaultESH_EEEENSD_INSE_IlSG_SH_SH_EEEEZNS1_13binary_searchIS3_SA_NSD_INS6_10device_ptrIS9_EEEESJ_SL_NS1_21upper_bound_search_opENSC_16wrapped_functionINS6_6system6detail7generic6detail18binary_search_lessEbEEEE10hipError_tPvRmT1_T2_T3_mmT4_T5_P12ihipStream_tbEUlRKS9_E_EESY_S12_S13_mS14_S17_bEUlT_E_NS1_11comp_targetILNS1_3genE0ELNS1_11target_archE4294967295ELNS1_3gpuE0ELNS1_3repE0EEENS1_30default_config_static_selectorELNS0_4arch9wavefront6targetE0EEEvS11_.uses_vcc, 0
	.set _ZN7rocprim17ROCPRIM_400000_NS6detail17trampoline_kernelINS0_14default_configENS1_27upper_bound_config_selectorIN6thrust23THRUST_200600_302600_NS5tupleIiiNS6_9null_typeES8_S8_S8_S8_S8_S8_S8_EElEEZNS1_14transform_implILb0ES3_SA_NS6_6detail15normal_iteratorINS6_7pointerIS9_NS6_11hip_rocprim5par_tENS6_11use_defaultESH_EEEENSD_INSE_IlSG_SH_SH_EEEEZNS1_13binary_searchIS3_SA_NSD_INS6_10device_ptrIS9_EEEESJ_SL_NS1_21upper_bound_search_opENSC_16wrapped_functionINS6_6system6detail7generic6detail18binary_search_lessEbEEEE10hipError_tPvRmT1_T2_T3_mmT4_T5_P12ihipStream_tbEUlRKS9_E_EESY_S12_S13_mS14_S17_bEUlT_E_NS1_11comp_targetILNS1_3genE0ELNS1_11target_archE4294967295ELNS1_3gpuE0ELNS1_3repE0EEENS1_30default_config_static_selectorELNS0_4arch9wavefront6targetE0EEEvS11_.uses_flat_scratch, 0
	.set _ZN7rocprim17ROCPRIM_400000_NS6detail17trampoline_kernelINS0_14default_configENS1_27upper_bound_config_selectorIN6thrust23THRUST_200600_302600_NS5tupleIiiNS6_9null_typeES8_S8_S8_S8_S8_S8_S8_EElEEZNS1_14transform_implILb0ES3_SA_NS6_6detail15normal_iteratorINS6_7pointerIS9_NS6_11hip_rocprim5par_tENS6_11use_defaultESH_EEEENSD_INSE_IlSG_SH_SH_EEEEZNS1_13binary_searchIS3_SA_NSD_INS6_10device_ptrIS9_EEEESJ_SL_NS1_21upper_bound_search_opENSC_16wrapped_functionINS6_6system6detail7generic6detail18binary_search_lessEbEEEE10hipError_tPvRmT1_T2_T3_mmT4_T5_P12ihipStream_tbEUlRKS9_E_EESY_S12_S13_mS14_S17_bEUlT_E_NS1_11comp_targetILNS1_3genE0ELNS1_11target_archE4294967295ELNS1_3gpuE0ELNS1_3repE0EEENS1_30default_config_static_selectorELNS0_4arch9wavefront6targetE0EEEvS11_.has_dyn_sized_stack, 0
	.set _ZN7rocprim17ROCPRIM_400000_NS6detail17trampoline_kernelINS0_14default_configENS1_27upper_bound_config_selectorIN6thrust23THRUST_200600_302600_NS5tupleIiiNS6_9null_typeES8_S8_S8_S8_S8_S8_S8_EElEEZNS1_14transform_implILb0ES3_SA_NS6_6detail15normal_iteratorINS6_7pointerIS9_NS6_11hip_rocprim5par_tENS6_11use_defaultESH_EEEENSD_INSE_IlSG_SH_SH_EEEEZNS1_13binary_searchIS3_SA_NSD_INS6_10device_ptrIS9_EEEESJ_SL_NS1_21upper_bound_search_opENSC_16wrapped_functionINS6_6system6detail7generic6detail18binary_search_lessEbEEEE10hipError_tPvRmT1_T2_T3_mmT4_T5_P12ihipStream_tbEUlRKS9_E_EESY_S12_S13_mS14_S17_bEUlT_E_NS1_11comp_targetILNS1_3genE0ELNS1_11target_archE4294967295ELNS1_3gpuE0ELNS1_3repE0EEENS1_30default_config_static_selectorELNS0_4arch9wavefront6targetE0EEEvS11_.has_recursion, 0
	.set _ZN7rocprim17ROCPRIM_400000_NS6detail17trampoline_kernelINS0_14default_configENS1_27upper_bound_config_selectorIN6thrust23THRUST_200600_302600_NS5tupleIiiNS6_9null_typeES8_S8_S8_S8_S8_S8_S8_EElEEZNS1_14transform_implILb0ES3_SA_NS6_6detail15normal_iteratorINS6_7pointerIS9_NS6_11hip_rocprim5par_tENS6_11use_defaultESH_EEEENSD_INSE_IlSG_SH_SH_EEEEZNS1_13binary_searchIS3_SA_NSD_INS6_10device_ptrIS9_EEEESJ_SL_NS1_21upper_bound_search_opENSC_16wrapped_functionINS6_6system6detail7generic6detail18binary_search_lessEbEEEE10hipError_tPvRmT1_T2_T3_mmT4_T5_P12ihipStream_tbEUlRKS9_E_EESY_S12_S13_mS14_S17_bEUlT_E_NS1_11comp_targetILNS1_3genE0ELNS1_11target_archE4294967295ELNS1_3gpuE0ELNS1_3repE0EEENS1_30default_config_static_selectorELNS0_4arch9wavefront6targetE0EEEvS11_.has_indirect_call, 0
	.section	.AMDGPU.csdata,"",@progbits
; Kernel info:
; codeLenInByte = 0
; TotalNumSgprs: 0
; NumVgprs: 0
; ScratchSize: 0
; MemoryBound: 0
; FloatMode: 240
; IeeeMode: 1
; LDSByteSize: 0 bytes/workgroup (compile time only)
; SGPRBlocks: 0
; VGPRBlocks: 0
; NumSGPRsForWavesPerEU: 1
; NumVGPRsForWavesPerEU: 1
; Occupancy: 16
; WaveLimiterHint : 0
; COMPUTE_PGM_RSRC2:SCRATCH_EN: 0
; COMPUTE_PGM_RSRC2:USER_SGPR: 6
; COMPUTE_PGM_RSRC2:TRAP_HANDLER: 0
; COMPUTE_PGM_RSRC2:TGID_X_EN: 1
; COMPUTE_PGM_RSRC2:TGID_Y_EN: 0
; COMPUTE_PGM_RSRC2:TGID_Z_EN: 0
; COMPUTE_PGM_RSRC2:TIDIG_COMP_CNT: 0
	.section	.text._ZN7rocprim17ROCPRIM_400000_NS6detail17trampoline_kernelINS0_14default_configENS1_27upper_bound_config_selectorIN6thrust23THRUST_200600_302600_NS5tupleIiiNS6_9null_typeES8_S8_S8_S8_S8_S8_S8_EElEEZNS1_14transform_implILb0ES3_SA_NS6_6detail15normal_iteratorINS6_7pointerIS9_NS6_11hip_rocprim5par_tENS6_11use_defaultESH_EEEENSD_INSE_IlSG_SH_SH_EEEEZNS1_13binary_searchIS3_SA_NSD_INS6_10device_ptrIS9_EEEESJ_SL_NS1_21upper_bound_search_opENSC_16wrapped_functionINS6_6system6detail7generic6detail18binary_search_lessEbEEEE10hipError_tPvRmT1_T2_T3_mmT4_T5_P12ihipStream_tbEUlRKS9_E_EESY_S12_S13_mS14_S17_bEUlT_E_NS1_11comp_targetILNS1_3genE5ELNS1_11target_archE942ELNS1_3gpuE9ELNS1_3repE0EEENS1_30default_config_static_selectorELNS0_4arch9wavefront6targetE0EEEvS11_,"axG",@progbits,_ZN7rocprim17ROCPRIM_400000_NS6detail17trampoline_kernelINS0_14default_configENS1_27upper_bound_config_selectorIN6thrust23THRUST_200600_302600_NS5tupleIiiNS6_9null_typeES8_S8_S8_S8_S8_S8_S8_EElEEZNS1_14transform_implILb0ES3_SA_NS6_6detail15normal_iteratorINS6_7pointerIS9_NS6_11hip_rocprim5par_tENS6_11use_defaultESH_EEEENSD_INSE_IlSG_SH_SH_EEEEZNS1_13binary_searchIS3_SA_NSD_INS6_10device_ptrIS9_EEEESJ_SL_NS1_21upper_bound_search_opENSC_16wrapped_functionINS6_6system6detail7generic6detail18binary_search_lessEbEEEE10hipError_tPvRmT1_T2_T3_mmT4_T5_P12ihipStream_tbEUlRKS9_E_EESY_S12_S13_mS14_S17_bEUlT_E_NS1_11comp_targetILNS1_3genE5ELNS1_11target_archE942ELNS1_3gpuE9ELNS1_3repE0EEENS1_30default_config_static_selectorELNS0_4arch9wavefront6targetE0EEEvS11_,comdat
	.protected	_ZN7rocprim17ROCPRIM_400000_NS6detail17trampoline_kernelINS0_14default_configENS1_27upper_bound_config_selectorIN6thrust23THRUST_200600_302600_NS5tupleIiiNS6_9null_typeES8_S8_S8_S8_S8_S8_S8_EElEEZNS1_14transform_implILb0ES3_SA_NS6_6detail15normal_iteratorINS6_7pointerIS9_NS6_11hip_rocprim5par_tENS6_11use_defaultESH_EEEENSD_INSE_IlSG_SH_SH_EEEEZNS1_13binary_searchIS3_SA_NSD_INS6_10device_ptrIS9_EEEESJ_SL_NS1_21upper_bound_search_opENSC_16wrapped_functionINS6_6system6detail7generic6detail18binary_search_lessEbEEEE10hipError_tPvRmT1_T2_T3_mmT4_T5_P12ihipStream_tbEUlRKS9_E_EESY_S12_S13_mS14_S17_bEUlT_E_NS1_11comp_targetILNS1_3genE5ELNS1_11target_archE942ELNS1_3gpuE9ELNS1_3repE0EEENS1_30default_config_static_selectorELNS0_4arch9wavefront6targetE0EEEvS11_ ; -- Begin function _ZN7rocprim17ROCPRIM_400000_NS6detail17trampoline_kernelINS0_14default_configENS1_27upper_bound_config_selectorIN6thrust23THRUST_200600_302600_NS5tupleIiiNS6_9null_typeES8_S8_S8_S8_S8_S8_S8_EElEEZNS1_14transform_implILb0ES3_SA_NS6_6detail15normal_iteratorINS6_7pointerIS9_NS6_11hip_rocprim5par_tENS6_11use_defaultESH_EEEENSD_INSE_IlSG_SH_SH_EEEEZNS1_13binary_searchIS3_SA_NSD_INS6_10device_ptrIS9_EEEESJ_SL_NS1_21upper_bound_search_opENSC_16wrapped_functionINS6_6system6detail7generic6detail18binary_search_lessEbEEEE10hipError_tPvRmT1_T2_T3_mmT4_T5_P12ihipStream_tbEUlRKS9_E_EESY_S12_S13_mS14_S17_bEUlT_E_NS1_11comp_targetILNS1_3genE5ELNS1_11target_archE942ELNS1_3gpuE9ELNS1_3repE0EEENS1_30default_config_static_selectorELNS0_4arch9wavefront6targetE0EEEvS11_
	.globl	_ZN7rocprim17ROCPRIM_400000_NS6detail17trampoline_kernelINS0_14default_configENS1_27upper_bound_config_selectorIN6thrust23THRUST_200600_302600_NS5tupleIiiNS6_9null_typeES8_S8_S8_S8_S8_S8_S8_EElEEZNS1_14transform_implILb0ES3_SA_NS6_6detail15normal_iteratorINS6_7pointerIS9_NS6_11hip_rocprim5par_tENS6_11use_defaultESH_EEEENSD_INSE_IlSG_SH_SH_EEEEZNS1_13binary_searchIS3_SA_NSD_INS6_10device_ptrIS9_EEEESJ_SL_NS1_21upper_bound_search_opENSC_16wrapped_functionINS6_6system6detail7generic6detail18binary_search_lessEbEEEE10hipError_tPvRmT1_T2_T3_mmT4_T5_P12ihipStream_tbEUlRKS9_E_EESY_S12_S13_mS14_S17_bEUlT_E_NS1_11comp_targetILNS1_3genE5ELNS1_11target_archE942ELNS1_3gpuE9ELNS1_3repE0EEENS1_30default_config_static_selectorELNS0_4arch9wavefront6targetE0EEEvS11_
	.p2align	8
	.type	_ZN7rocprim17ROCPRIM_400000_NS6detail17trampoline_kernelINS0_14default_configENS1_27upper_bound_config_selectorIN6thrust23THRUST_200600_302600_NS5tupleIiiNS6_9null_typeES8_S8_S8_S8_S8_S8_S8_EElEEZNS1_14transform_implILb0ES3_SA_NS6_6detail15normal_iteratorINS6_7pointerIS9_NS6_11hip_rocprim5par_tENS6_11use_defaultESH_EEEENSD_INSE_IlSG_SH_SH_EEEEZNS1_13binary_searchIS3_SA_NSD_INS6_10device_ptrIS9_EEEESJ_SL_NS1_21upper_bound_search_opENSC_16wrapped_functionINS6_6system6detail7generic6detail18binary_search_lessEbEEEE10hipError_tPvRmT1_T2_T3_mmT4_T5_P12ihipStream_tbEUlRKS9_E_EESY_S12_S13_mS14_S17_bEUlT_E_NS1_11comp_targetILNS1_3genE5ELNS1_11target_archE942ELNS1_3gpuE9ELNS1_3repE0EEENS1_30default_config_static_selectorELNS0_4arch9wavefront6targetE0EEEvS11_,@function
_ZN7rocprim17ROCPRIM_400000_NS6detail17trampoline_kernelINS0_14default_configENS1_27upper_bound_config_selectorIN6thrust23THRUST_200600_302600_NS5tupleIiiNS6_9null_typeES8_S8_S8_S8_S8_S8_S8_EElEEZNS1_14transform_implILb0ES3_SA_NS6_6detail15normal_iteratorINS6_7pointerIS9_NS6_11hip_rocprim5par_tENS6_11use_defaultESH_EEEENSD_INSE_IlSG_SH_SH_EEEEZNS1_13binary_searchIS3_SA_NSD_INS6_10device_ptrIS9_EEEESJ_SL_NS1_21upper_bound_search_opENSC_16wrapped_functionINS6_6system6detail7generic6detail18binary_search_lessEbEEEE10hipError_tPvRmT1_T2_T3_mmT4_T5_P12ihipStream_tbEUlRKS9_E_EESY_S12_S13_mS14_S17_bEUlT_E_NS1_11comp_targetILNS1_3genE5ELNS1_11target_archE942ELNS1_3gpuE9ELNS1_3repE0EEENS1_30default_config_static_selectorELNS0_4arch9wavefront6targetE0EEEvS11_: ; @_ZN7rocprim17ROCPRIM_400000_NS6detail17trampoline_kernelINS0_14default_configENS1_27upper_bound_config_selectorIN6thrust23THRUST_200600_302600_NS5tupleIiiNS6_9null_typeES8_S8_S8_S8_S8_S8_S8_EElEEZNS1_14transform_implILb0ES3_SA_NS6_6detail15normal_iteratorINS6_7pointerIS9_NS6_11hip_rocprim5par_tENS6_11use_defaultESH_EEEENSD_INSE_IlSG_SH_SH_EEEEZNS1_13binary_searchIS3_SA_NSD_INS6_10device_ptrIS9_EEEESJ_SL_NS1_21upper_bound_search_opENSC_16wrapped_functionINS6_6system6detail7generic6detail18binary_search_lessEbEEEE10hipError_tPvRmT1_T2_T3_mmT4_T5_P12ihipStream_tbEUlRKS9_E_EESY_S12_S13_mS14_S17_bEUlT_E_NS1_11comp_targetILNS1_3genE5ELNS1_11target_archE942ELNS1_3gpuE9ELNS1_3repE0EEENS1_30default_config_static_selectorELNS0_4arch9wavefront6targetE0EEEvS11_
; %bb.0:
	.section	.rodata,"a",@progbits
	.p2align	6, 0x0
	.amdhsa_kernel _ZN7rocprim17ROCPRIM_400000_NS6detail17trampoline_kernelINS0_14default_configENS1_27upper_bound_config_selectorIN6thrust23THRUST_200600_302600_NS5tupleIiiNS6_9null_typeES8_S8_S8_S8_S8_S8_S8_EElEEZNS1_14transform_implILb0ES3_SA_NS6_6detail15normal_iteratorINS6_7pointerIS9_NS6_11hip_rocprim5par_tENS6_11use_defaultESH_EEEENSD_INSE_IlSG_SH_SH_EEEEZNS1_13binary_searchIS3_SA_NSD_INS6_10device_ptrIS9_EEEESJ_SL_NS1_21upper_bound_search_opENSC_16wrapped_functionINS6_6system6detail7generic6detail18binary_search_lessEbEEEE10hipError_tPvRmT1_T2_T3_mmT4_T5_P12ihipStream_tbEUlRKS9_E_EESY_S12_S13_mS14_S17_bEUlT_E_NS1_11comp_targetILNS1_3genE5ELNS1_11target_archE942ELNS1_3gpuE9ELNS1_3repE0EEENS1_30default_config_static_selectorELNS0_4arch9wavefront6targetE0EEEvS11_
		.amdhsa_group_segment_fixed_size 0
		.amdhsa_private_segment_fixed_size 0
		.amdhsa_kernarg_size 56
		.amdhsa_user_sgpr_count 6
		.amdhsa_user_sgpr_private_segment_buffer 1
		.amdhsa_user_sgpr_dispatch_ptr 0
		.amdhsa_user_sgpr_queue_ptr 0
		.amdhsa_user_sgpr_kernarg_segment_ptr 1
		.amdhsa_user_sgpr_dispatch_id 0
		.amdhsa_user_sgpr_flat_scratch_init 0
		.amdhsa_user_sgpr_private_segment_size 0
		.amdhsa_wavefront_size32 1
		.amdhsa_uses_dynamic_stack 0
		.amdhsa_system_sgpr_private_segment_wavefront_offset 0
		.amdhsa_system_sgpr_workgroup_id_x 1
		.amdhsa_system_sgpr_workgroup_id_y 0
		.amdhsa_system_sgpr_workgroup_id_z 0
		.amdhsa_system_sgpr_workgroup_info 0
		.amdhsa_system_vgpr_workitem_id 0
		.amdhsa_next_free_vgpr 1
		.amdhsa_next_free_sgpr 1
		.amdhsa_reserve_vcc 0
		.amdhsa_reserve_flat_scratch 0
		.amdhsa_float_round_mode_32 0
		.amdhsa_float_round_mode_16_64 0
		.amdhsa_float_denorm_mode_32 3
		.amdhsa_float_denorm_mode_16_64 3
		.amdhsa_dx10_clamp 1
		.amdhsa_ieee_mode 1
		.amdhsa_fp16_overflow 0
		.amdhsa_workgroup_processor_mode 1
		.amdhsa_memory_ordered 1
		.amdhsa_forward_progress 1
		.amdhsa_shared_vgpr_count 0
		.amdhsa_exception_fp_ieee_invalid_op 0
		.amdhsa_exception_fp_denorm_src 0
		.amdhsa_exception_fp_ieee_div_zero 0
		.amdhsa_exception_fp_ieee_overflow 0
		.amdhsa_exception_fp_ieee_underflow 0
		.amdhsa_exception_fp_ieee_inexact 0
		.amdhsa_exception_int_div_zero 0
	.end_amdhsa_kernel
	.section	.text._ZN7rocprim17ROCPRIM_400000_NS6detail17trampoline_kernelINS0_14default_configENS1_27upper_bound_config_selectorIN6thrust23THRUST_200600_302600_NS5tupleIiiNS6_9null_typeES8_S8_S8_S8_S8_S8_S8_EElEEZNS1_14transform_implILb0ES3_SA_NS6_6detail15normal_iteratorINS6_7pointerIS9_NS6_11hip_rocprim5par_tENS6_11use_defaultESH_EEEENSD_INSE_IlSG_SH_SH_EEEEZNS1_13binary_searchIS3_SA_NSD_INS6_10device_ptrIS9_EEEESJ_SL_NS1_21upper_bound_search_opENSC_16wrapped_functionINS6_6system6detail7generic6detail18binary_search_lessEbEEEE10hipError_tPvRmT1_T2_T3_mmT4_T5_P12ihipStream_tbEUlRKS9_E_EESY_S12_S13_mS14_S17_bEUlT_E_NS1_11comp_targetILNS1_3genE5ELNS1_11target_archE942ELNS1_3gpuE9ELNS1_3repE0EEENS1_30default_config_static_selectorELNS0_4arch9wavefront6targetE0EEEvS11_,"axG",@progbits,_ZN7rocprim17ROCPRIM_400000_NS6detail17trampoline_kernelINS0_14default_configENS1_27upper_bound_config_selectorIN6thrust23THRUST_200600_302600_NS5tupleIiiNS6_9null_typeES8_S8_S8_S8_S8_S8_S8_EElEEZNS1_14transform_implILb0ES3_SA_NS6_6detail15normal_iteratorINS6_7pointerIS9_NS6_11hip_rocprim5par_tENS6_11use_defaultESH_EEEENSD_INSE_IlSG_SH_SH_EEEEZNS1_13binary_searchIS3_SA_NSD_INS6_10device_ptrIS9_EEEESJ_SL_NS1_21upper_bound_search_opENSC_16wrapped_functionINS6_6system6detail7generic6detail18binary_search_lessEbEEEE10hipError_tPvRmT1_T2_T3_mmT4_T5_P12ihipStream_tbEUlRKS9_E_EESY_S12_S13_mS14_S17_bEUlT_E_NS1_11comp_targetILNS1_3genE5ELNS1_11target_archE942ELNS1_3gpuE9ELNS1_3repE0EEENS1_30default_config_static_selectorELNS0_4arch9wavefront6targetE0EEEvS11_,comdat
.Lfunc_end600:
	.size	_ZN7rocprim17ROCPRIM_400000_NS6detail17trampoline_kernelINS0_14default_configENS1_27upper_bound_config_selectorIN6thrust23THRUST_200600_302600_NS5tupleIiiNS6_9null_typeES8_S8_S8_S8_S8_S8_S8_EElEEZNS1_14transform_implILb0ES3_SA_NS6_6detail15normal_iteratorINS6_7pointerIS9_NS6_11hip_rocprim5par_tENS6_11use_defaultESH_EEEENSD_INSE_IlSG_SH_SH_EEEEZNS1_13binary_searchIS3_SA_NSD_INS6_10device_ptrIS9_EEEESJ_SL_NS1_21upper_bound_search_opENSC_16wrapped_functionINS6_6system6detail7generic6detail18binary_search_lessEbEEEE10hipError_tPvRmT1_T2_T3_mmT4_T5_P12ihipStream_tbEUlRKS9_E_EESY_S12_S13_mS14_S17_bEUlT_E_NS1_11comp_targetILNS1_3genE5ELNS1_11target_archE942ELNS1_3gpuE9ELNS1_3repE0EEENS1_30default_config_static_selectorELNS0_4arch9wavefront6targetE0EEEvS11_, .Lfunc_end600-_ZN7rocprim17ROCPRIM_400000_NS6detail17trampoline_kernelINS0_14default_configENS1_27upper_bound_config_selectorIN6thrust23THRUST_200600_302600_NS5tupleIiiNS6_9null_typeES8_S8_S8_S8_S8_S8_S8_EElEEZNS1_14transform_implILb0ES3_SA_NS6_6detail15normal_iteratorINS6_7pointerIS9_NS6_11hip_rocprim5par_tENS6_11use_defaultESH_EEEENSD_INSE_IlSG_SH_SH_EEEEZNS1_13binary_searchIS3_SA_NSD_INS6_10device_ptrIS9_EEEESJ_SL_NS1_21upper_bound_search_opENSC_16wrapped_functionINS6_6system6detail7generic6detail18binary_search_lessEbEEEE10hipError_tPvRmT1_T2_T3_mmT4_T5_P12ihipStream_tbEUlRKS9_E_EESY_S12_S13_mS14_S17_bEUlT_E_NS1_11comp_targetILNS1_3genE5ELNS1_11target_archE942ELNS1_3gpuE9ELNS1_3repE0EEENS1_30default_config_static_selectorELNS0_4arch9wavefront6targetE0EEEvS11_
                                        ; -- End function
	.set _ZN7rocprim17ROCPRIM_400000_NS6detail17trampoline_kernelINS0_14default_configENS1_27upper_bound_config_selectorIN6thrust23THRUST_200600_302600_NS5tupleIiiNS6_9null_typeES8_S8_S8_S8_S8_S8_S8_EElEEZNS1_14transform_implILb0ES3_SA_NS6_6detail15normal_iteratorINS6_7pointerIS9_NS6_11hip_rocprim5par_tENS6_11use_defaultESH_EEEENSD_INSE_IlSG_SH_SH_EEEEZNS1_13binary_searchIS3_SA_NSD_INS6_10device_ptrIS9_EEEESJ_SL_NS1_21upper_bound_search_opENSC_16wrapped_functionINS6_6system6detail7generic6detail18binary_search_lessEbEEEE10hipError_tPvRmT1_T2_T3_mmT4_T5_P12ihipStream_tbEUlRKS9_E_EESY_S12_S13_mS14_S17_bEUlT_E_NS1_11comp_targetILNS1_3genE5ELNS1_11target_archE942ELNS1_3gpuE9ELNS1_3repE0EEENS1_30default_config_static_selectorELNS0_4arch9wavefront6targetE0EEEvS11_.num_vgpr, 0
	.set _ZN7rocprim17ROCPRIM_400000_NS6detail17trampoline_kernelINS0_14default_configENS1_27upper_bound_config_selectorIN6thrust23THRUST_200600_302600_NS5tupleIiiNS6_9null_typeES8_S8_S8_S8_S8_S8_S8_EElEEZNS1_14transform_implILb0ES3_SA_NS6_6detail15normal_iteratorINS6_7pointerIS9_NS6_11hip_rocprim5par_tENS6_11use_defaultESH_EEEENSD_INSE_IlSG_SH_SH_EEEEZNS1_13binary_searchIS3_SA_NSD_INS6_10device_ptrIS9_EEEESJ_SL_NS1_21upper_bound_search_opENSC_16wrapped_functionINS6_6system6detail7generic6detail18binary_search_lessEbEEEE10hipError_tPvRmT1_T2_T3_mmT4_T5_P12ihipStream_tbEUlRKS9_E_EESY_S12_S13_mS14_S17_bEUlT_E_NS1_11comp_targetILNS1_3genE5ELNS1_11target_archE942ELNS1_3gpuE9ELNS1_3repE0EEENS1_30default_config_static_selectorELNS0_4arch9wavefront6targetE0EEEvS11_.num_agpr, 0
	.set _ZN7rocprim17ROCPRIM_400000_NS6detail17trampoline_kernelINS0_14default_configENS1_27upper_bound_config_selectorIN6thrust23THRUST_200600_302600_NS5tupleIiiNS6_9null_typeES8_S8_S8_S8_S8_S8_S8_EElEEZNS1_14transform_implILb0ES3_SA_NS6_6detail15normal_iteratorINS6_7pointerIS9_NS6_11hip_rocprim5par_tENS6_11use_defaultESH_EEEENSD_INSE_IlSG_SH_SH_EEEEZNS1_13binary_searchIS3_SA_NSD_INS6_10device_ptrIS9_EEEESJ_SL_NS1_21upper_bound_search_opENSC_16wrapped_functionINS6_6system6detail7generic6detail18binary_search_lessEbEEEE10hipError_tPvRmT1_T2_T3_mmT4_T5_P12ihipStream_tbEUlRKS9_E_EESY_S12_S13_mS14_S17_bEUlT_E_NS1_11comp_targetILNS1_3genE5ELNS1_11target_archE942ELNS1_3gpuE9ELNS1_3repE0EEENS1_30default_config_static_selectorELNS0_4arch9wavefront6targetE0EEEvS11_.numbered_sgpr, 0
	.set _ZN7rocprim17ROCPRIM_400000_NS6detail17trampoline_kernelINS0_14default_configENS1_27upper_bound_config_selectorIN6thrust23THRUST_200600_302600_NS5tupleIiiNS6_9null_typeES8_S8_S8_S8_S8_S8_S8_EElEEZNS1_14transform_implILb0ES3_SA_NS6_6detail15normal_iteratorINS6_7pointerIS9_NS6_11hip_rocprim5par_tENS6_11use_defaultESH_EEEENSD_INSE_IlSG_SH_SH_EEEEZNS1_13binary_searchIS3_SA_NSD_INS6_10device_ptrIS9_EEEESJ_SL_NS1_21upper_bound_search_opENSC_16wrapped_functionINS6_6system6detail7generic6detail18binary_search_lessEbEEEE10hipError_tPvRmT1_T2_T3_mmT4_T5_P12ihipStream_tbEUlRKS9_E_EESY_S12_S13_mS14_S17_bEUlT_E_NS1_11comp_targetILNS1_3genE5ELNS1_11target_archE942ELNS1_3gpuE9ELNS1_3repE0EEENS1_30default_config_static_selectorELNS0_4arch9wavefront6targetE0EEEvS11_.num_named_barrier, 0
	.set _ZN7rocprim17ROCPRIM_400000_NS6detail17trampoline_kernelINS0_14default_configENS1_27upper_bound_config_selectorIN6thrust23THRUST_200600_302600_NS5tupleIiiNS6_9null_typeES8_S8_S8_S8_S8_S8_S8_EElEEZNS1_14transform_implILb0ES3_SA_NS6_6detail15normal_iteratorINS6_7pointerIS9_NS6_11hip_rocprim5par_tENS6_11use_defaultESH_EEEENSD_INSE_IlSG_SH_SH_EEEEZNS1_13binary_searchIS3_SA_NSD_INS6_10device_ptrIS9_EEEESJ_SL_NS1_21upper_bound_search_opENSC_16wrapped_functionINS6_6system6detail7generic6detail18binary_search_lessEbEEEE10hipError_tPvRmT1_T2_T3_mmT4_T5_P12ihipStream_tbEUlRKS9_E_EESY_S12_S13_mS14_S17_bEUlT_E_NS1_11comp_targetILNS1_3genE5ELNS1_11target_archE942ELNS1_3gpuE9ELNS1_3repE0EEENS1_30default_config_static_selectorELNS0_4arch9wavefront6targetE0EEEvS11_.private_seg_size, 0
	.set _ZN7rocprim17ROCPRIM_400000_NS6detail17trampoline_kernelINS0_14default_configENS1_27upper_bound_config_selectorIN6thrust23THRUST_200600_302600_NS5tupleIiiNS6_9null_typeES8_S8_S8_S8_S8_S8_S8_EElEEZNS1_14transform_implILb0ES3_SA_NS6_6detail15normal_iteratorINS6_7pointerIS9_NS6_11hip_rocprim5par_tENS6_11use_defaultESH_EEEENSD_INSE_IlSG_SH_SH_EEEEZNS1_13binary_searchIS3_SA_NSD_INS6_10device_ptrIS9_EEEESJ_SL_NS1_21upper_bound_search_opENSC_16wrapped_functionINS6_6system6detail7generic6detail18binary_search_lessEbEEEE10hipError_tPvRmT1_T2_T3_mmT4_T5_P12ihipStream_tbEUlRKS9_E_EESY_S12_S13_mS14_S17_bEUlT_E_NS1_11comp_targetILNS1_3genE5ELNS1_11target_archE942ELNS1_3gpuE9ELNS1_3repE0EEENS1_30default_config_static_selectorELNS0_4arch9wavefront6targetE0EEEvS11_.uses_vcc, 0
	.set _ZN7rocprim17ROCPRIM_400000_NS6detail17trampoline_kernelINS0_14default_configENS1_27upper_bound_config_selectorIN6thrust23THRUST_200600_302600_NS5tupleIiiNS6_9null_typeES8_S8_S8_S8_S8_S8_S8_EElEEZNS1_14transform_implILb0ES3_SA_NS6_6detail15normal_iteratorINS6_7pointerIS9_NS6_11hip_rocprim5par_tENS6_11use_defaultESH_EEEENSD_INSE_IlSG_SH_SH_EEEEZNS1_13binary_searchIS3_SA_NSD_INS6_10device_ptrIS9_EEEESJ_SL_NS1_21upper_bound_search_opENSC_16wrapped_functionINS6_6system6detail7generic6detail18binary_search_lessEbEEEE10hipError_tPvRmT1_T2_T3_mmT4_T5_P12ihipStream_tbEUlRKS9_E_EESY_S12_S13_mS14_S17_bEUlT_E_NS1_11comp_targetILNS1_3genE5ELNS1_11target_archE942ELNS1_3gpuE9ELNS1_3repE0EEENS1_30default_config_static_selectorELNS0_4arch9wavefront6targetE0EEEvS11_.uses_flat_scratch, 0
	.set _ZN7rocprim17ROCPRIM_400000_NS6detail17trampoline_kernelINS0_14default_configENS1_27upper_bound_config_selectorIN6thrust23THRUST_200600_302600_NS5tupleIiiNS6_9null_typeES8_S8_S8_S8_S8_S8_S8_EElEEZNS1_14transform_implILb0ES3_SA_NS6_6detail15normal_iteratorINS6_7pointerIS9_NS6_11hip_rocprim5par_tENS6_11use_defaultESH_EEEENSD_INSE_IlSG_SH_SH_EEEEZNS1_13binary_searchIS3_SA_NSD_INS6_10device_ptrIS9_EEEESJ_SL_NS1_21upper_bound_search_opENSC_16wrapped_functionINS6_6system6detail7generic6detail18binary_search_lessEbEEEE10hipError_tPvRmT1_T2_T3_mmT4_T5_P12ihipStream_tbEUlRKS9_E_EESY_S12_S13_mS14_S17_bEUlT_E_NS1_11comp_targetILNS1_3genE5ELNS1_11target_archE942ELNS1_3gpuE9ELNS1_3repE0EEENS1_30default_config_static_selectorELNS0_4arch9wavefront6targetE0EEEvS11_.has_dyn_sized_stack, 0
	.set _ZN7rocprim17ROCPRIM_400000_NS6detail17trampoline_kernelINS0_14default_configENS1_27upper_bound_config_selectorIN6thrust23THRUST_200600_302600_NS5tupleIiiNS6_9null_typeES8_S8_S8_S8_S8_S8_S8_EElEEZNS1_14transform_implILb0ES3_SA_NS6_6detail15normal_iteratorINS6_7pointerIS9_NS6_11hip_rocprim5par_tENS6_11use_defaultESH_EEEENSD_INSE_IlSG_SH_SH_EEEEZNS1_13binary_searchIS3_SA_NSD_INS6_10device_ptrIS9_EEEESJ_SL_NS1_21upper_bound_search_opENSC_16wrapped_functionINS6_6system6detail7generic6detail18binary_search_lessEbEEEE10hipError_tPvRmT1_T2_T3_mmT4_T5_P12ihipStream_tbEUlRKS9_E_EESY_S12_S13_mS14_S17_bEUlT_E_NS1_11comp_targetILNS1_3genE5ELNS1_11target_archE942ELNS1_3gpuE9ELNS1_3repE0EEENS1_30default_config_static_selectorELNS0_4arch9wavefront6targetE0EEEvS11_.has_recursion, 0
	.set _ZN7rocprim17ROCPRIM_400000_NS6detail17trampoline_kernelINS0_14default_configENS1_27upper_bound_config_selectorIN6thrust23THRUST_200600_302600_NS5tupleIiiNS6_9null_typeES8_S8_S8_S8_S8_S8_S8_EElEEZNS1_14transform_implILb0ES3_SA_NS6_6detail15normal_iteratorINS6_7pointerIS9_NS6_11hip_rocprim5par_tENS6_11use_defaultESH_EEEENSD_INSE_IlSG_SH_SH_EEEEZNS1_13binary_searchIS3_SA_NSD_INS6_10device_ptrIS9_EEEESJ_SL_NS1_21upper_bound_search_opENSC_16wrapped_functionINS6_6system6detail7generic6detail18binary_search_lessEbEEEE10hipError_tPvRmT1_T2_T3_mmT4_T5_P12ihipStream_tbEUlRKS9_E_EESY_S12_S13_mS14_S17_bEUlT_E_NS1_11comp_targetILNS1_3genE5ELNS1_11target_archE942ELNS1_3gpuE9ELNS1_3repE0EEENS1_30default_config_static_selectorELNS0_4arch9wavefront6targetE0EEEvS11_.has_indirect_call, 0
	.section	.AMDGPU.csdata,"",@progbits
; Kernel info:
; codeLenInByte = 0
; TotalNumSgprs: 0
; NumVgprs: 0
; ScratchSize: 0
; MemoryBound: 0
; FloatMode: 240
; IeeeMode: 1
; LDSByteSize: 0 bytes/workgroup (compile time only)
; SGPRBlocks: 0
; VGPRBlocks: 0
; NumSGPRsForWavesPerEU: 1
; NumVGPRsForWavesPerEU: 1
; Occupancy: 16
; WaveLimiterHint : 0
; COMPUTE_PGM_RSRC2:SCRATCH_EN: 0
; COMPUTE_PGM_RSRC2:USER_SGPR: 6
; COMPUTE_PGM_RSRC2:TRAP_HANDLER: 0
; COMPUTE_PGM_RSRC2:TGID_X_EN: 1
; COMPUTE_PGM_RSRC2:TGID_Y_EN: 0
; COMPUTE_PGM_RSRC2:TGID_Z_EN: 0
; COMPUTE_PGM_RSRC2:TIDIG_COMP_CNT: 0
	.section	.text._ZN7rocprim17ROCPRIM_400000_NS6detail17trampoline_kernelINS0_14default_configENS1_27upper_bound_config_selectorIN6thrust23THRUST_200600_302600_NS5tupleIiiNS6_9null_typeES8_S8_S8_S8_S8_S8_S8_EElEEZNS1_14transform_implILb0ES3_SA_NS6_6detail15normal_iteratorINS6_7pointerIS9_NS6_11hip_rocprim5par_tENS6_11use_defaultESH_EEEENSD_INSE_IlSG_SH_SH_EEEEZNS1_13binary_searchIS3_SA_NSD_INS6_10device_ptrIS9_EEEESJ_SL_NS1_21upper_bound_search_opENSC_16wrapped_functionINS6_6system6detail7generic6detail18binary_search_lessEbEEEE10hipError_tPvRmT1_T2_T3_mmT4_T5_P12ihipStream_tbEUlRKS9_E_EESY_S12_S13_mS14_S17_bEUlT_E_NS1_11comp_targetILNS1_3genE4ELNS1_11target_archE910ELNS1_3gpuE8ELNS1_3repE0EEENS1_30default_config_static_selectorELNS0_4arch9wavefront6targetE0EEEvS11_,"axG",@progbits,_ZN7rocprim17ROCPRIM_400000_NS6detail17trampoline_kernelINS0_14default_configENS1_27upper_bound_config_selectorIN6thrust23THRUST_200600_302600_NS5tupleIiiNS6_9null_typeES8_S8_S8_S8_S8_S8_S8_EElEEZNS1_14transform_implILb0ES3_SA_NS6_6detail15normal_iteratorINS6_7pointerIS9_NS6_11hip_rocprim5par_tENS6_11use_defaultESH_EEEENSD_INSE_IlSG_SH_SH_EEEEZNS1_13binary_searchIS3_SA_NSD_INS6_10device_ptrIS9_EEEESJ_SL_NS1_21upper_bound_search_opENSC_16wrapped_functionINS6_6system6detail7generic6detail18binary_search_lessEbEEEE10hipError_tPvRmT1_T2_T3_mmT4_T5_P12ihipStream_tbEUlRKS9_E_EESY_S12_S13_mS14_S17_bEUlT_E_NS1_11comp_targetILNS1_3genE4ELNS1_11target_archE910ELNS1_3gpuE8ELNS1_3repE0EEENS1_30default_config_static_selectorELNS0_4arch9wavefront6targetE0EEEvS11_,comdat
	.protected	_ZN7rocprim17ROCPRIM_400000_NS6detail17trampoline_kernelINS0_14default_configENS1_27upper_bound_config_selectorIN6thrust23THRUST_200600_302600_NS5tupleIiiNS6_9null_typeES8_S8_S8_S8_S8_S8_S8_EElEEZNS1_14transform_implILb0ES3_SA_NS6_6detail15normal_iteratorINS6_7pointerIS9_NS6_11hip_rocprim5par_tENS6_11use_defaultESH_EEEENSD_INSE_IlSG_SH_SH_EEEEZNS1_13binary_searchIS3_SA_NSD_INS6_10device_ptrIS9_EEEESJ_SL_NS1_21upper_bound_search_opENSC_16wrapped_functionINS6_6system6detail7generic6detail18binary_search_lessEbEEEE10hipError_tPvRmT1_T2_T3_mmT4_T5_P12ihipStream_tbEUlRKS9_E_EESY_S12_S13_mS14_S17_bEUlT_E_NS1_11comp_targetILNS1_3genE4ELNS1_11target_archE910ELNS1_3gpuE8ELNS1_3repE0EEENS1_30default_config_static_selectorELNS0_4arch9wavefront6targetE0EEEvS11_ ; -- Begin function _ZN7rocprim17ROCPRIM_400000_NS6detail17trampoline_kernelINS0_14default_configENS1_27upper_bound_config_selectorIN6thrust23THRUST_200600_302600_NS5tupleIiiNS6_9null_typeES8_S8_S8_S8_S8_S8_S8_EElEEZNS1_14transform_implILb0ES3_SA_NS6_6detail15normal_iteratorINS6_7pointerIS9_NS6_11hip_rocprim5par_tENS6_11use_defaultESH_EEEENSD_INSE_IlSG_SH_SH_EEEEZNS1_13binary_searchIS3_SA_NSD_INS6_10device_ptrIS9_EEEESJ_SL_NS1_21upper_bound_search_opENSC_16wrapped_functionINS6_6system6detail7generic6detail18binary_search_lessEbEEEE10hipError_tPvRmT1_T2_T3_mmT4_T5_P12ihipStream_tbEUlRKS9_E_EESY_S12_S13_mS14_S17_bEUlT_E_NS1_11comp_targetILNS1_3genE4ELNS1_11target_archE910ELNS1_3gpuE8ELNS1_3repE0EEENS1_30default_config_static_selectorELNS0_4arch9wavefront6targetE0EEEvS11_
	.globl	_ZN7rocprim17ROCPRIM_400000_NS6detail17trampoline_kernelINS0_14default_configENS1_27upper_bound_config_selectorIN6thrust23THRUST_200600_302600_NS5tupleIiiNS6_9null_typeES8_S8_S8_S8_S8_S8_S8_EElEEZNS1_14transform_implILb0ES3_SA_NS6_6detail15normal_iteratorINS6_7pointerIS9_NS6_11hip_rocprim5par_tENS6_11use_defaultESH_EEEENSD_INSE_IlSG_SH_SH_EEEEZNS1_13binary_searchIS3_SA_NSD_INS6_10device_ptrIS9_EEEESJ_SL_NS1_21upper_bound_search_opENSC_16wrapped_functionINS6_6system6detail7generic6detail18binary_search_lessEbEEEE10hipError_tPvRmT1_T2_T3_mmT4_T5_P12ihipStream_tbEUlRKS9_E_EESY_S12_S13_mS14_S17_bEUlT_E_NS1_11comp_targetILNS1_3genE4ELNS1_11target_archE910ELNS1_3gpuE8ELNS1_3repE0EEENS1_30default_config_static_selectorELNS0_4arch9wavefront6targetE0EEEvS11_
	.p2align	8
	.type	_ZN7rocprim17ROCPRIM_400000_NS6detail17trampoline_kernelINS0_14default_configENS1_27upper_bound_config_selectorIN6thrust23THRUST_200600_302600_NS5tupleIiiNS6_9null_typeES8_S8_S8_S8_S8_S8_S8_EElEEZNS1_14transform_implILb0ES3_SA_NS6_6detail15normal_iteratorINS6_7pointerIS9_NS6_11hip_rocprim5par_tENS6_11use_defaultESH_EEEENSD_INSE_IlSG_SH_SH_EEEEZNS1_13binary_searchIS3_SA_NSD_INS6_10device_ptrIS9_EEEESJ_SL_NS1_21upper_bound_search_opENSC_16wrapped_functionINS6_6system6detail7generic6detail18binary_search_lessEbEEEE10hipError_tPvRmT1_T2_T3_mmT4_T5_P12ihipStream_tbEUlRKS9_E_EESY_S12_S13_mS14_S17_bEUlT_E_NS1_11comp_targetILNS1_3genE4ELNS1_11target_archE910ELNS1_3gpuE8ELNS1_3repE0EEENS1_30default_config_static_selectorELNS0_4arch9wavefront6targetE0EEEvS11_,@function
_ZN7rocprim17ROCPRIM_400000_NS6detail17trampoline_kernelINS0_14default_configENS1_27upper_bound_config_selectorIN6thrust23THRUST_200600_302600_NS5tupleIiiNS6_9null_typeES8_S8_S8_S8_S8_S8_S8_EElEEZNS1_14transform_implILb0ES3_SA_NS6_6detail15normal_iteratorINS6_7pointerIS9_NS6_11hip_rocprim5par_tENS6_11use_defaultESH_EEEENSD_INSE_IlSG_SH_SH_EEEEZNS1_13binary_searchIS3_SA_NSD_INS6_10device_ptrIS9_EEEESJ_SL_NS1_21upper_bound_search_opENSC_16wrapped_functionINS6_6system6detail7generic6detail18binary_search_lessEbEEEE10hipError_tPvRmT1_T2_T3_mmT4_T5_P12ihipStream_tbEUlRKS9_E_EESY_S12_S13_mS14_S17_bEUlT_E_NS1_11comp_targetILNS1_3genE4ELNS1_11target_archE910ELNS1_3gpuE8ELNS1_3repE0EEENS1_30default_config_static_selectorELNS0_4arch9wavefront6targetE0EEEvS11_: ; @_ZN7rocprim17ROCPRIM_400000_NS6detail17trampoline_kernelINS0_14default_configENS1_27upper_bound_config_selectorIN6thrust23THRUST_200600_302600_NS5tupleIiiNS6_9null_typeES8_S8_S8_S8_S8_S8_S8_EElEEZNS1_14transform_implILb0ES3_SA_NS6_6detail15normal_iteratorINS6_7pointerIS9_NS6_11hip_rocprim5par_tENS6_11use_defaultESH_EEEENSD_INSE_IlSG_SH_SH_EEEEZNS1_13binary_searchIS3_SA_NSD_INS6_10device_ptrIS9_EEEESJ_SL_NS1_21upper_bound_search_opENSC_16wrapped_functionINS6_6system6detail7generic6detail18binary_search_lessEbEEEE10hipError_tPvRmT1_T2_T3_mmT4_T5_P12ihipStream_tbEUlRKS9_E_EESY_S12_S13_mS14_S17_bEUlT_E_NS1_11comp_targetILNS1_3genE4ELNS1_11target_archE910ELNS1_3gpuE8ELNS1_3repE0EEENS1_30default_config_static_selectorELNS0_4arch9wavefront6targetE0EEEvS11_
; %bb.0:
	.section	.rodata,"a",@progbits
	.p2align	6, 0x0
	.amdhsa_kernel _ZN7rocprim17ROCPRIM_400000_NS6detail17trampoline_kernelINS0_14default_configENS1_27upper_bound_config_selectorIN6thrust23THRUST_200600_302600_NS5tupleIiiNS6_9null_typeES8_S8_S8_S8_S8_S8_S8_EElEEZNS1_14transform_implILb0ES3_SA_NS6_6detail15normal_iteratorINS6_7pointerIS9_NS6_11hip_rocprim5par_tENS6_11use_defaultESH_EEEENSD_INSE_IlSG_SH_SH_EEEEZNS1_13binary_searchIS3_SA_NSD_INS6_10device_ptrIS9_EEEESJ_SL_NS1_21upper_bound_search_opENSC_16wrapped_functionINS6_6system6detail7generic6detail18binary_search_lessEbEEEE10hipError_tPvRmT1_T2_T3_mmT4_T5_P12ihipStream_tbEUlRKS9_E_EESY_S12_S13_mS14_S17_bEUlT_E_NS1_11comp_targetILNS1_3genE4ELNS1_11target_archE910ELNS1_3gpuE8ELNS1_3repE0EEENS1_30default_config_static_selectorELNS0_4arch9wavefront6targetE0EEEvS11_
		.amdhsa_group_segment_fixed_size 0
		.amdhsa_private_segment_fixed_size 0
		.amdhsa_kernarg_size 56
		.amdhsa_user_sgpr_count 6
		.amdhsa_user_sgpr_private_segment_buffer 1
		.amdhsa_user_sgpr_dispatch_ptr 0
		.amdhsa_user_sgpr_queue_ptr 0
		.amdhsa_user_sgpr_kernarg_segment_ptr 1
		.amdhsa_user_sgpr_dispatch_id 0
		.amdhsa_user_sgpr_flat_scratch_init 0
		.amdhsa_user_sgpr_private_segment_size 0
		.amdhsa_wavefront_size32 1
		.amdhsa_uses_dynamic_stack 0
		.amdhsa_system_sgpr_private_segment_wavefront_offset 0
		.amdhsa_system_sgpr_workgroup_id_x 1
		.amdhsa_system_sgpr_workgroup_id_y 0
		.amdhsa_system_sgpr_workgroup_id_z 0
		.amdhsa_system_sgpr_workgroup_info 0
		.amdhsa_system_vgpr_workitem_id 0
		.amdhsa_next_free_vgpr 1
		.amdhsa_next_free_sgpr 1
		.amdhsa_reserve_vcc 0
		.amdhsa_reserve_flat_scratch 0
		.amdhsa_float_round_mode_32 0
		.amdhsa_float_round_mode_16_64 0
		.amdhsa_float_denorm_mode_32 3
		.amdhsa_float_denorm_mode_16_64 3
		.amdhsa_dx10_clamp 1
		.amdhsa_ieee_mode 1
		.amdhsa_fp16_overflow 0
		.amdhsa_workgroup_processor_mode 1
		.amdhsa_memory_ordered 1
		.amdhsa_forward_progress 1
		.amdhsa_shared_vgpr_count 0
		.amdhsa_exception_fp_ieee_invalid_op 0
		.amdhsa_exception_fp_denorm_src 0
		.amdhsa_exception_fp_ieee_div_zero 0
		.amdhsa_exception_fp_ieee_overflow 0
		.amdhsa_exception_fp_ieee_underflow 0
		.amdhsa_exception_fp_ieee_inexact 0
		.amdhsa_exception_int_div_zero 0
	.end_amdhsa_kernel
	.section	.text._ZN7rocprim17ROCPRIM_400000_NS6detail17trampoline_kernelINS0_14default_configENS1_27upper_bound_config_selectorIN6thrust23THRUST_200600_302600_NS5tupleIiiNS6_9null_typeES8_S8_S8_S8_S8_S8_S8_EElEEZNS1_14transform_implILb0ES3_SA_NS6_6detail15normal_iteratorINS6_7pointerIS9_NS6_11hip_rocprim5par_tENS6_11use_defaultESH_EEEENSD_INSE_IlSG_SH_SH_EEEEZNS1_13binary_searchIS3_SA_NSD_INS6_10device_ptrIS9_EEEESJ_SL_NS1_21upper_bound_search_opENSC_16wrapped_functionINS6_6system6detail7generic6detail18binary_search_lessEbEEEE10hipError_tPvRmT1_T2_T3_mmT4_T5_P12ihipStream_tbEUlRKS9_E_EESY_S12_S13_mS14_S17_bEUlT_E_NS1_11comp_targetILNS1_3genE4ELNS1_11target_archE910ELNS1_3gpuE8ELNS1_3repE0EEENS1_30default_config_static_selectorELNS0_4arch9wavefront6targetE0EEEvS11_,"axG",@progbits,_ZN7rocprim17ROCPRIM_400000_NS6detail17trampoline_kernelINS0_14default_configENS1_27upper_bound_config_selectorIN6thrust23THRUST_200600_302600_NS5tupleIiiNS6_9null_typeES8_S8_S8_S8_S8_S8_S8_EElEEZNS1_14transform_implILb0ES3_SA_NS6_6detail15normal_iteratorINS6_7pointerIS9_NS6_11hip_rocprim5par_tENS6_11use_defaultESH_EEEENSD_INSE_IlSG_SH_SH_EEEEZNS1_13binary_searchIS3_SA_NSD_INS6_10device_ptrIS9_EEEESJ_SL_NS1_21upper_bound_search_opENSC_16wrapped_functionINS6_6system6detail7generic6detail18binary_search_lessEbEEEE10hipError_tPvRmT1_T2_T3_mmT4_T5_P12ihipStream_tbEUlRKS9_E_EESY_S12_S13_mS14_S17_bEUlT_E_NS1_11comp_targetILNS1_3genE4ELNS1_11target_archE910ELNS1_3gpuE8ELNS1_3repE0EEENS1_30default_config_static_selectorELNS0_4arch9wavefront6targetE0EEEvS11_,comdat
.Lfunc_end601:
	.size	_ZN7rocprim17ROCPRIM_400000_NS6detail17trampoline_kernelINS0_14default_configENS1_27upper_bound_config_selectorIN6thrust23THRUST_200600_302600_NS5tupleIiiNS6_9null_typeES8_S8_S8_S8_S8_S8_S8_EElEEZNS1_14transform_implILb0ES3_SA_NS6_6detail15normal_iteratorINS6_7pointerIS9_NS6_11hip_rocprim5par_tENS6_11use_defaultESH_EEEENSD_INSE_IlSG_SH_SH_EEEEZNS1_13binary_searchIS3_SA_NSD_INS6_10device_ptrIS9_EEEESJ_SL_NS1_21upper_bound_search_opENSC_16wrapped_functionINS6_6system6detail7generic6detail18binary_search_lessEbEEEE10hipError_tPvRmT1_T2_T3_mmT4_T5_P12ihipStream_tbEUlRKS9_E_EESY_S12_S13_mS14_S17_bEUlT_E_NS1_11comp_targetILNS1_3genE4ELNS1_11target_archE910ELNS1_3gpuE8ELNS1_3repE0EEENS1_30default_config_static_selectorELNS0_4arch9wavefront6targetE0EEEvS11_, .Lfunc_end601-_ZN7rocprim17ROCPRIM_400000_NS6detail17trampoline_kernelINS0_14default_configENS1_27upper_bound_config_selectorIN6thrust23THRUST_200600_302600_NS5tupleIiiNS6_9null_typeES8_S8_S8_S8_S8_S8_S8_EElEEZNS1_14transform_implILb0ES3_SA_NS6_6detail15normal_iteratorINS6_7pointerIS9_NS6_11hip_rocprim5par_tENS6_11use_defaultESH_EEEENSD_INSE_IlSG_SH_SH_EEEEZNS1_13binary_searchIS3_SA_NSD_INS6_10device_ptrIS9_EEEESJ_SL_NS1_21upper_bound_search_opENSC_16wrapped_functionINS6_6system6detail7generic6detail18binary_search_lessEbEEEE10hipError_tPvRmT1_T2_T3_mmT4_T5_P12ihipStream_tbEUlRKS9_E_EESY_S12_S13_mS14_S17_bEUlT_E_NS1_11comp_targetILNS1_3genE4ELNS1_11target_archE910ELNS1_3gpuE8ELNS1_3repE0EEENS1_30default_config_static_selectorELNS0_4arch9wavefront6targetE0EEEvS11_
                                        ; -- End function
	.set _ZN7rocprim17ROCPRIM_400000_NS6detail17trampoline_kernelINS0_14default_configENS1_27upper_bound_config_selectorIN6thrust23THRUST_200600_302600_NS5tupleIiiNS6_9null_typeES8_S8_S8_S8_S8_S8_S8_EElEEZNS1_14transform_implILb0ES3_SA_NS6_6detail15normal_iteratorINS6_7pointerIS9_NS6_11hip_rocprim5par_tENS6_11use_defaultESH_EEEENSD_INSE_IlSG_SH_SH_EEEEZNS1_13binary_searchIS3_SA_NSD_INS6_10device_ptrIS9_EEEESJ_SL_NS1_21upper_bound_search_opENSC_16wrapped_functionINS6_6system6detail7generic6detail18binary_search_lessEbEEEE10hipError_tPvRmT1_T2_T3_mmT4_T5_P12ihipStream_tbEUlRKS9_E_EESY_S12_S13_mS14_S17_bEUlT_E_NS1_11comp_targetILNS1_3genE4ELNS1_11target_archE910ELNS1_3gpuE8ELNS1_3repE0EEENS1_30default_config_static_selectorELNS0_4arch9wavefront6targetE0EEEvS11_.num_vgpr, 0
	.set _ZN7rocprim17ROCPRIM_400000_NS6detail17trampoline_kernelINS0_14default_configENS1_27upper_bound_config_selectorIN6thrust23THRUST_200600_302600_NS5tupleIiiNS6_9null_typeES8_S8_S8_S8_S8_S8_S8_EElEEZNS1_14transform_implILb0ES3_SA_NS6_6detail15normal_iteratorINS6_7pointerIS9_NS6_11hip_rocprim5par_tENS6_11use_defaultESH_EEEENSD_INSE_IlSG_SH_SH_EEEEZNS1_13binary_searchIS3_SA_NSD_INS6_10device_ptrIS9_EEEESJ_SL_NS1_21upper_bound_search_opENSC_16wrapped_functionINS6_6system6detail7generic6detail18binary_search_lessEbEEEE10hipError_tPvRmT1_T2_T3_mmT4_T5_P12ihipStream_tbEUlRKS9_E_EESY_S12_S13_mS14_S17_bEUlT_E_NS1_11comp_targetILNS1_3genE4ELNS1_11target_archE910ELNS1_3gpuE8ELNS1_3repE0EEENS1_30default_config_static_selectorELNS0_4arch9wavefront6targetE0EEEvS11_.num_agpr, 0
	.set _ZN7rocprim17ROCPRIM_400000_NS6detail17trampoline_kernelINS0_14default_configENS1_27upper_bound_config_selectorIN6thrust23THRUST_200600_302600_NS5tupleIiiNS6_9null_typeES8_S8_S8_S8_S8_S8_S8_EElEEZNS1_14transform_implILb0ES3_SA_NS6_6detail15normal_iteratorINS6_7pointerIS9_NS6_11hip_rocprim5par_tENS6_11use_defaultESH_EEEENSD_INSE_IlSG_SH_SH_EEEEZNS1_13binary_searchIS3_SA_NSD_INS6_10device_ptrIS9_EEEESJ_SL_NS1_21upper_bound_search_opENSC_16wrapped_functionINS6_6system6detail7generic6detail18binary_search_lessEbEEEE10hipError_tPvRmT1_T2_T3_mmT4_T5_P12ihipStream_tbEUlRKS9_E_EESY_S12_S13_mS14_S17_bEUlT_E_NS1_11comp_targetILNS1_3genE4ELNS1_11target_archE910ELNS1_3gpuE8ELNS1_3repE0EEENS1_30default_config_static_selectorELNS0_4arch9wavefront6targetE0EEEvS11_.numbered_sgpr, 0
	.set _ZN7rocprim17ROCPRIM_400000_NS6detail17trampoline_kernelINS0_14default_configENS1_27upper_bound_config_selectorIN6thrust23THRUST_200600_302600_NS5tupleIiiNS6_9null_typeES8_S8_S8_S8_S8_S8_S8_EElEEZNS1_14transform_implILb0ES3_SA_NS6_6detail15normal_iteratorINS6_7pointerIS9_NS6_11hip_rocprim5par_tENS6_11use_defaultESH_EEEENSD_INSE_IlSG_SH_SH_EEEEZNS1_13binary_searchIS3_SA_NSD_INS6_10device_ptrIS9_EEEESJ_SL_NS1_21upper_bound_search_opENSC_16wrapped_functionINS6_6system6detail7generic6detail18binary_search_lessEbEEEE10hipError_tPvRmT1_T2_T3_mmT4_T5_P12ihipStream_tbEUlRKS9_E_EESY_S12_S13_mS14_S17_bEUlT_E_NS1_11comp_targetILNS1_3genE4ELNS1_11target_archE910ELNS1_3gpuE8ELNS1_3repE0EEENS1_30default_config_static_selectorELNS0_4arch9wavefront6targetE0EEEvS11_.num_named_barrier, 0
	.set _ZN7rocprim17ROCPRIM_400000_NS6detail17trampoline_kernelINS0_14default_configENS1_27upper_bound_config_selectorIN6thrust23THRUST_200600_302600_NS5tupleIiiNS6_9null_typeES8_S8_S8_S8_S8_S8_S8_EElEEZNS1_14transform_implILb0ES3_SA_NS6_6detail15normal_iteratorINS6_7pointerIS9_NS6_11hip_rocprim5par_tENS6_11use_defaultESH_EEEENSD_INSE_IlSG_SH_SH_EEEEZNS1_13binary_searchIS3_SA_NSD_INS6_10device_ptrIS9_EEEESJ_SL_NS1_21upper_bound_search_opENSC_16wrapped_functionINS6_6system6detail7generic6detail18binary_search_lessEbEEEE10hipError_tPvRmT1_T2_T3_mmT4_T5_P12ihipStream_tbEUlRKS9_E_EESY_S12_S13_mS14_S17_bEUlT_E_NS1_11comp_targetILNS1_3genE4ELNS1_11target_archE910ELNS1_3gpuE8ELNS1_3repE0EEENS1_30default_config_static_selectorELNS0_4arch9wavefront6targetE0EEEvS11_.private_seg_size, 0
	.set _ZN7rocprim17ROCPRIM_400000_NS6detail17trampoline_kernelINS0_14default_configENS1_27upper_bound_config_selectorIN6thrust23THRUST_200600_302600_NS5tupleIiiNS6_9null_typeES8_S8_S8_S8_S8_S8_S8_EElEEZNS1_14transform_implILb0ES3_SA_NS6_6detail15normal_iteratorINS6_7pointerIS9_NS6_11hip_rocprim5par_tENS6_11use_defaultESH_EEEENSD_INSE_IlSG_SH_SH_EEEEZNS1_13binary_searchIS3_SA_NSD_INS6_10device_ptrIS9_EEEESJ_SL_NS1_21upper_bound_search_opENSC_16wrapped_functionINS6_6system6detail7generic6detail18binary_search_lessEbEEEE10hipError_tPvRmT1_T2_T3_mmT4_T5_P12ihipStream_tbEUlRKS9_E_EESY_S12_S13_mS14_S17_bEUlT_E_NS1_11comp_targetILNS1_3genE4ELNS1_11target_archE910ELNS1_3gpuE8ELNS1_3repE0EEENS1_30default_config_static_selectorELNS0_4arch9wavefront6targetE0EEEvS11_.uses_vcc, 0
	.set _ZN7rocprim17ROCPRIM_400000_NS6detail17trampoline_kernelINS0_14default_configENS1_27upper_bound_config_selectorIN6thrust23THRUST_200600_302600_NS5tupleIiiNS6_9null_typeES8_S8_S8_S8_S8_S8_S8_EElEEZNS1_14transform_implILb0ES3_SA_NS6_6detail15normal_iteratorINS6_7pointerIS9_NS6_11hip_rocprim5par_tENS6_11use_defaultESH_EEEENSD_INSE_IlSG_SH_SH_EEEEZNS1_13binary_searchIS3_SA_NSD_INS6_10device_ptrIS9_EEEESJ_SL_NS1_21upper_bound_search_opENSC_16wrapped_functionINS6_6system6detail7generic6detail18binary_search_lessEbEEEE10hipError_tPvRmT1_T2_T3_mmT4_T5_P12ihipStream_tbEUlRKS9_E_EESY_S12_S13_mS14_S17_bEUlT_E_NS1_11comp_targetILNS1_3genE4ELNS1_11target_archE910ELNS1_3gpuE8ELNS1_3repE0EEENS1_30default_config_static_selectorELNS0_4arch9wavefront6targetE0EEEvS11_.uses_flat_scratch, 0
	.set _ZN7rocprim17ROCPRIM_400000_NS6detail17trampoline_kernelINS0_14default_configENS1_27upper_bound_config_selectorIN6thrust23THRUST_200600_302600_NS5tupleIiiNS6_9null_typeES8_S8_S8_S8_S8_S8_S8_EElEEZNS1_14transform_implILb0ES3_SA_NS6_6detail15normal_iteratorINS6_7pointerIS9_NS6_11hip_rocprim5par_tENS6_11use_defaultESH_EEEENSD_INSE_IlSG_SH_SH_EEEEZNS1_13binary_searchIS3_SA_NSD_INS6_10device_ptrIS9_EEEESJ_SL_NS1_21upper_bound_search_opENSC_16wrapped_functionINS6_6system6detail7generic6detail18binary_search_lessEbEEEE10hipError_tPvRmT1_T2_T3_mmT4_T5_P12ihipStream_tbEUlRKS9_E_EESY_S12_S13_mS14_S17_bEUlT_E_NS1_11comp_targetILNS1_3genE4ELNS1_11target_archE910ELNS1_3gpuE8ELNS1_3repE0EEENS1_30default_config_static_selectorELNS0_4arch9wavefront6targetE0EEEvS11_.has_dyn_sized_stack, 0
	.set _ZN7rocprim17ROCPRIM_400000_NS6detail17trampoline_kernelINS0_14default_configENS1_27upper_bound_config_selectorIN6thrust23THRUST_200600_302600_NS5tupleIiiNS6_9null_typeES8_S8_S8_S8_S8_S8_S8_EElEEZNS1_14transform_implILb0ES3_SA_NS6_6detail15normal_iteratorINS6_7pointerIS9_NS6_11hip_rocprim5par_tENS6_11use_defaultESH_EEEENSD_INSE_IlSG_SH_SH_EEEEZNS1_13binary_searchIS3_SA_NSD_INS6_10device_ptrIS9_EEEESJ_SL_NS1_21upper_bound_search_opENSC_16wrapped_functionINS6_6system6detail7generic6detail18binary_search_lessEbEEEE10hipError_tPvRmT1_T2_T3_mmT4_T5_P12ihipStream_tbEUlRKS9_E_EESY_S12_S13_mS14_S17_bEUlT_E_NS1_11comp_targetILNS1_3genE4ELNS1_11target_archE910ELNS1_3gpuE8ELNS1_3repE0EEENS1_30default_config_static_selectorELNS0_4arch9wavefront6targetE0EEEvS11_.has_recursion, 0
	.set _ZN7rocprim17ROCPRIM_400000_NS6detail17trampoline_kernelINS0_14default_configENS1_27upper_bound_config_selectorIN6thrust23THRUST_200600_302600_NS5tupleIiiNS6_9null_typeES8_S8_S8_S8_S8_S8_S8_EElEEZNS1_14transform_implILb0ES3_SA_NS6_6detail15normal_iteratorINS6_7pointerIS9_NS6_11hip_rocprim5par_tENS6_11use_defaultESH_EEEENSD_INSE_IlSG_SH_SH_EEEEZNS1_13binary_searchIS3_SA_NSD_INS6_10device_ptrIS9_EEEESJ_SL_NS1_21upper_bound_search_opENSC_16wrapped_functionINS6_6system6detail7generic6detail18binary_search_lessEbEEEE10hipError_tPvRmT1_T2_T3_mmT4_T5_P12ihipStream_tbEUlRKS9_E_EESY_S12_S13_mS14_S17_bEUlT_E_NS1_11comp_targetILNS1_3genE4ELNS1_11target_archE910ELNS1_3gpuE8ELNS1_3repE0EEENS1_30default_config_static_selectorELNS0_4arch9wavefront6targetE0EEEvS11_.has_indirect_call, 0
	.section	.AMDGPU.csdata,"",@progbits
; Kernel info:
; codeLenInByte = 0
; TotalNumSgprs: 0
; NumVgprs: 0
; ScratchSize: 0
; MemoryBound: 0
; FloatMode: 240
; IeeeMode: 1
; LDSByteSize: 0 bytes/workgroup (compile time only)
; SGPRBlocks: 0
; VGPRBlocks: 0
; NumSGPRsForWavesPerEU: 1
; NumVGPRsForWavesPerEU: 1
; Occupancy: 16
; WaveLimiterHint : 0
; COMPUTE_PGM_RSRC2:SCRATCH_EN: 0
; COMPUTE_PGM_RSRC2:USER_SGPR: 6
; COMPUTE_PGM_RSRC2:TRAP_HANDLER: 0
; COMPUTE_PGM_RSRC2:TGID_X_EN: 1
; COMPUTE_PGM_RSRC2:TGID_Y_EN: 0
; COMPUTE_PGM_RSRC2:TGID_Z_EN: 0
; COMPUTE_PGM_RSRC2:TIDIG_COMP_CNT: 0
	.section	.text._ZN7rocprim17ROCPRIM_400000_NS6detail17trampoline_kernelINS0_14default_configENS1_27upper_bound_config_selectorIN6thrust23THRUST_200600_302600_NS5tupleIiiNS6_9null_typeES8_S8_S8_S8_S8_S8_S8_EElEEZNS1_14transform_implILb0ES3_SA_NS6_6detail15normal_iteratorINS6_7pointerIS9_NS6_11hip_rocprim5par_tENS6_11use_defaultESH_EEEENSD_INSE_IlSG_SH_SH_EEEEZNS1_13binary_searchIS3_SA_NSD_INS6_10device_ptrIS9_EEEESJ_SL_NS1_21upper_bound_search_opENSC_16wrapped_functionINS6_6system6detail7generic6detail18binary_search_lessEbEEEE10hipError_tPvRmT1_T2_T3_mmT4_T5_P12ihipStream_tbEUlRKS9_E_EESY_S12_S13_mS14_S17_bEUlT_E_NS1_11comp_targetILNS1_3genE3ELNS1_11target_archE908ELNS1_3gpuE7ELNS1_3repE0EEENS1_30default_config_static_selectorELNS0_4arch9wavefront6targetE0EEEvS11_,"axG",@progbits,_ZN7rocprim17ROCPRIM_400000_NS6detail17trampoline_kernelINS0_14default_configENS1_27upper_bound_config_selectorIN6thrust23THRUST_200600_302600_NS5tupleIiiNS6_9null_typeES8_S8_S8_S8_S8_S8_S8_EElEEZNS1_14transform_implILb0ES3_SA_NS6_6detail15normal_iteratorINS6_7pointerIS9_NS6_11hip_rocprim5par_tENS6_11use_defaultESH_EEEENSD_INSE_IlSG_SH_SH_EEEEZNS1_13binary_searchIS3_SA_NSD_INS6_10device_ptrIS9_EEEESJ_SL_NS1_21upper_bound_search_opENSC_16wrapped_functionINS6_6system6detail7generic6detail18binary_search_lessEbEEEE10hipError_tPvRmT1_T2_T3_mmT4_T5_P12ihipStream_tbEUlRKS9_E_EESY_S12_S13_mS14_S17_bEUlT_E_NS1_11comp_targetILNS1_3genE3ELNS1_11target_archE908ELNS1_3gpuE7ELNS1_3repE0EEENS1_30default_config_static_selectorELNS0_4arch9wavefront6targetE0EEEvS11_,comdat
	.protected	_ZN7rocprim17ROCPRIM_400000_NS6detail17trampoline_kernelINS0_14default_configENS1_27upper_bound_config_selectorIN6thrust23THRUST_200600_302600_NS5tupleIiiNS6_9null_typeES8_S8_S8_S8_S8_S8_S8_EElEEZNS1_14transform_implILb0ES3_SA_NS6_6detail15normal_iteratorINS6_7pointerIS9_NS6_11hip_rocprim5par_tENS6_11use_defaultESH_EEEENSD_INSE_IlSG_SH_SH_EEEEZNS1_13binary_searchIS3_SA_NSD_INS6_10device_ptrIS9_EEEESJ_SL_NS1_21upper_bound_search_opENSC_16wrapped_functionINS6_6system6detail7generic6detail18binary_search_lessEbEEEE10hipError_tPvRmT1_T2_T3_mmT4_T5_P12ihipStream_tbEUlRKS9_E_EESY_S12_S13_mS14_S17_bEUlT_E_NS1_11comp_targetILNS1_3genE3ELNS1_11target_archE908ELNS1_3gpuE7ELNS1_3repE0EEENS1_30default_config_static_selectorELNS0_4arch9wavefront6targetE0EEEvS11_ ; -- Begin function _ZN7rocprim17ROCPRIM_400000_NS6detail17trampoline_kernelINS0_14default_configENS1_27upper_bound_config_selectorIN6thrust23THRUST_200600_302600_NS5tupleIiiNS6_9null_typeES8_S8_S8_S8_S8_S8_S8_EElEEZNS1_14transform_implILb0ES3_SA_NS6_6detail15normal_iteratorINS6_7pointerIS9_NS6_11hip_rocprim5par_tENS6_11use_defaultESH_EEEENSD_INSE_IlSG_SH_SH_EEEEZNS1_13binary_searchIS3_SA_NSD_INS6_10device_ptrIS9_EEEESJ_SL_NS1_21upper_bound_search_opENSC_16wrapped_functionINS6_6system6detail7generic6detail18binary_search_lessEbEEEE10hipError_tPvRmT1_T2_T3_mmT4_T5_P12ihipStream_tbEUlRKS9_E_EESY_S12_S13_mS14_S17_bEUlT_E_NS1_11comp_targetILNS1_3genE3ELNS1_11target_archE908ELNS1_3gpuE7ELNS1_3repE0EEENS1_30default_config_static_selectorELNS0_4arch9wavefront6targetE0EEEvS11_
	.globl	_ZN7rocprim17ROCPRIM_400000_NS6detail17trampoline_kernelINS0_14default_configENS1_27upper_bound_config_selectorIN6thrust23THRUST_200600_302600_NS5tupleIiiNS6_9null_typeES8_S8_S8_S8_S8_S8_S8_EElEEZNS1_14transform_implILb0ES3_SA_NS6_6detail15normal_iteratorINS6_7pointerIS9_NS6_11hip_rocprim5par_tENS6_11use_defaultESH_EEEENSD_INSE_IlSG_SH_SH_EEEEZNS1_13binary_searchIS3_SA_NSD_INS6_10device_ptrIS9_EEEESJ_SL_NS1_21upper_bound_search_opENSC_16wrapped_functionINS6_6system6detail7generic6detail18binary_search_lessEbEEEE10hipError_tPvRmT1_T2_T3_mmT4_T5_P12ihipStream_tbEUlRKS9_E_EESY_S12_S13_mS14_S17_bEUlT_E_NS1_11comp_targetILNS1_3genE3ELNS1_11target_archE908ELNS1_3gpuE7ELNS1_3repE0EEENS1_30default_config_static_selectorELNS0_4arch9wavefront6targetE0EEEvS11_
	.p2align	8
	.type	_ZN7rocprim17ROCPRIM_400000_NS6detail17trampoline_kernelINS0_14default_configENS1_27upper_bound_config_selectorIN6thrust23THRUST_200600_302600_NS5tupleIiiNS6_9null_typeES8_S8_S8_S8_S8_S8_S8_EElEEZNS1_14transform_implILb0ES3_SA_NS6_6detail15normal_iteratorINS6_7pointerIS9_NS6_11hip_rocprim5par_tENS6_11use_defaultESH_EEEENSD_INSE_IlSG_SH_SH_EEEEZNS1_13binary_searchIS3_SA_NSD_INS6_10device_ptrIS9_EEEESJ_SL_NS1_21upper_bound_search_opENSC_16wrapped_functionINS6_6system6detail7generic6detail18binary_search_lessEbEEEE10hipError_tPvRmT1_T2_T3_mmT4_T5_P12ihipStream_tbEUlRKS9_E_EESY_S12_S13_mS14_S17_bEUlT_E_NS1_11comp_targetILNS1_3genE3ELNS1_11target_archE908ELNS1_3gpuE7ELNS1_3repE0EEENS1_30default_config_static_selectorELNS0_4arch9wavefront6targetE0EEEvS11_,@function
_ZN7rocprim17ROCPRIM_400000_NS6detail17trampoline_kernelINS0_14default_configENS1_27upper_bound_config_selectorIN6thrust23THRUST_200600_302600_NS5tupleIiiNS6_9null_typeES8_S8_S8_S8_S8_S8_S8_EElEEZNS1_14transform_implILb0ES3_SA_NS6_6detail15normal_iteratorINS6_7pointerIS9_NS6_11hip_rocprim5par_tENS6_11use_defaultESH_EEEENSD_INSE_IlSG_SH_SH_EEEEZNS1_13binary_searchIS3_SA_NSD_INS6_10device_ptrIS9_EEEESJ_SL_NS1_21upper_bound_search_opENSC_16wrapped_functionINS6_6system6detail7generic6detail18binary_search_lessEbEEEE10hipError_tPvRmT1_T2_T3_mmT4_T5_P12ihipStream_tbEUlRKS9_E_EESY_S12_S13_mS14_S17_bEUlT_E_NS1_11comp_targetILNS1_3genE3ELNS1_11target_archE908ELNS1_3gpuE7ELNS1_3repE0EEENS1_30default_config_static_selectorELNS0_4arch9wavefront6targetE0EEEvS11_: ; @_ZN7rocprim17ROCPRIM_400000_NS6detail17trampoline_kernelINS0_14default_configENS1_27upper_bound_config_selectorIN6thrust23THRUST_200600_302600_NS5tupleIiiNS6_9null_typeES8_S8_S8_S8_S8_S8_S8_EElEEZNS1_14transform_implILb0ES3_SA_NS6_6detail15normal_iteratorINS6_7pointerIS9_NS6_11hip_rocprim5par_tENS6_11use_defaultESH_EEEENSD_INSE_IlSG_SH_SH_EEEEZNS1_13binary_searchIS3_SA_NSD_INS6_10device_ptrIS9_EEEESJ_SL_NS1_21upper_bound_search_opENSC_16wrapped_functionINS6_6system6detail7generic6detail18binary_search_lessEbEEEE10hipError_tPvRmT1_T2_T3_mmT4_T5_P12ihipStream_tbEUlRKS9_E_EESY_S12_S13_mS14_S17_bEUlT_E_NS1_11comp_targetILNS1_3genE3ELNS1_11target_archE908ELNS1_3gpuE7ELNS1_3repE0EEENS1_30default_config_static_selectorELNS0_4arch9wavefront6targetE0EEEvS11_
; %bb.0:
	.section	.rodata,"a",@progbits
	.p2align	6, 0x0
	.amdhsa_kernel _ZN7rocprim17ROCPRIM_400000_NS6detail17trampoline_kernelINS0_14default_configENS1_27upper_bound_config_selectorIN6thrust23THRUST_200600_302600_NS5tupleIiiNS6_9null_typeES8_S8_S8_S8_S8_S8_S8_EElEEZNS1_14transform_implILb0ES3_SA_NS6_6detail15normal_iteratorINS6_7pointerIS9_NS6_11hip_rocprim5par_tENS6_11use_defaultESH_EEEENSD_INSE_IlSG_SH_SH_EEEEZNS1_13binary_searchIS3_SA_NSD_INS6_10device_ptrIS9_EEEESJ_SL_NS1_21upper_bound_search_opENSC_16wrapped_functionINS6_6system6detail7generic6detail18binary_search_lessEbEEEE10hipError_tPvRmT1_T2_T3_mmT4_T5_P12ihipStream_tbEUlRKS9_E_EESY_S12_S13_mS14_S17_bEUlT_E_NS1_11comp_targetILNS1_3genE3ELNS1_11target_archE908ELNS1_3gpuE7ELNS1_3repE0EEENS1_30default_config_static_selectorELNS0_4arch9wavefront6targetE0EEEvS11_
		.amdhsa_group_segment_fixed_size 0
		.amdhsa_private_segment_fixed_size 0
		.amdhsa_kernarg_size 56
		.amdhsa_user_sgpr_count 6
		.amdhsa_user_sgpr_private_segment_buffer 1
		.amdhsa_user_sgpr_dispatch_ptr 0
		.amdhsa_user_sgpr_queue_ptr 0
		.amdhsa_user_sgpr_kernarg_segment_ptr 1
		.amdhsa_user_sgpr_dispatch_id 0
		.amdhsa_user_sgpr_flat_scratch_init 0
		.amdhsa_user_sgpr_private_segment_size 0
		.amdhsa_wavefront_size32 1
		.amdhsa_uses_dynamic_stack 0
		.amdhsa_system_sgpr_private_segment_wavefront_offset 0
		.amdhsa_system_sgpr_workgroup_id_x 1
		.amdhsa_system_sgpr_workgroup_id_y 0
		.amdhsa_system_sgpr_workgroup_id_z 0
		.amdhsa_system_sgpr_workgroup_info 0
		.amdhsa_system_vgpr_workitem_id 0
		.amdhsa_next_free_vgpr 1
		.amdhsa_next_free_sgpr 1
		.amdhsa_reserve_vcc 0
		.amdhsa_reserve_flat_scratch 0
		.amdhsa_float_round_mode_32 0
		.amdhsa_float_round_mode_16_64 0
		.amdhsa_float_denorm_mode_32 3
		.amdhsa_float_denorm_mode_16_64 3
		.amdhsa_dx10_clamp 1
		.amdhsa_ieee_mode 1
		.amdhsa_fp16_overflow 0
		.amdhsa_workgroup_processor_mode 1
		.amdhsa_memory_ordered 1
		.amdhsa_forward_progress 1
		.amdhsa_shared_vgpr_count 0
		.amdhsa_exception_fp_ieee_invalid_op 0
		.amdhsa_exception_fp_denorm_src 0
		.amdhsa_exception_fp_ieee_div_zero 0
		.amdhsa_exception_fp_ieee_overflow 0
		.amdhsa_exception_fp_ieee_underflow 0
		.amdhsa_exception_fp_ieee_inexact 0
		.amdhsa_exception_int_div_zero 0
	.end_amdhsa_kernel
	.section	.text._ZN7rocprim17ROCPRIM_400000_NS6detail17trampoline_kernelINS0_14default_configENS1_27upper_bound_config_selectorIN6thrust23THRUST_200600_302600_NS5tupleIiiNS6_9null_typeES8_S8_S8_S8_S8_S8_S8_EElEEZNS1_14transform_implILb0ES3_SA_NS6_6detail15normal_iteratorINS6_7pointerIS9_NS6_11hip_rocprim5par_tENS6_11use_defaultESH_EEEENSD_INSE_IlSG_SH_SH_EEEEZNS1_13binary_searchIS3_SA_NSD_INS6_10device_ptrIS9_EEEESJ_SL_NS1_21upper_bound_search_opENSC_16wrapped_functionINS6_6system6detail7generic6detail18binary_search_lessEbEEEE10hipError_tPvRmT1_T2_T3_mmT4_T5_P12ihipStream_tbEUlRKS9_E_EESY_S12_S13_mS14_S17_bEUlT_E_NS1_11comp_targetILNS1_3genE3ELNS1_11target_archE908ELNS1_3gpuE7ELNS1_3repE0EEENS1_30default_config_static_selectorELNS0_4arch9wavefront6targetE0EEEvS11_,"axG",@progbits,_ZN7rocprim17ROCPRIM_400000_NS6detail17trampoline_kernelINS0_14default_configENS1_27upper_bound_config_selectorIN6thrust23THRUST_200600_302600_NS5tupleIiiNS6_9null_typeES8_S8_S8_S8_S8_S8_S8_EElEEZNS1_14transform_implILb0ES3_SA_NS6_6detail15normal_iteratorINS6_7pointerIS9_NS6_11hip_rocprim5par_tENS6_11use_defaultESH_EEEENSD_INSE_IlSG_SH_SH_EEEEZNS1_13binary_searchIS3_SA_NSD_INS6_10device_ptrIS9_EEEESJ_SL_NS1_21upper_bound_search_opENSC_16wrapped_functionINS6_6system6detail7generic6detail18binary_search_lessEbEEEE10hipError_tPvRmT1_T2_T3_mmT4_T5_P12ihipStream_tbEUlRKS9_E_EESY_S12_S13_mS14_S17_bEUlT_E_NS1_11comp_targetILNS1_3genE3ELNS1_11target_archE908ELNS1_3gpuE7ELNS1_3repE0EEENS1_30default_config_static_selectorELNS0_4arch9wavefront6targetE0EEEvS11_,comdat
.Lfunc_end602:
	.size	_ZN7rocprim17ROCPRIM_400000_NS6detail17trampoline_kernelINS0_14default_configENS1_27upper_bound_config_selectorIN6thrust23THRUST_200600_302600_NS5tupleIiiNS6_9null_typeES8_S8_S8_S8_S8_S8_S8_EElEEZNS1_14transform_implILb0ES3_SA_NS6_6detail15normal_iteratorINS6_7pointerIS9_NS6_11hip_rocprim5par_tENS6_11use_defaultESH_EEEENSD_INSE_IlSG_SH_SH_EEEEZNS1_13binary_searchIS3_SA_NSD_INS6_10device_ptrIS9_EEEESJ_SL_NS1_21upper_bound_search_opENSC_16wrapped_functionINS6_6system6detail7generic6detail18binary_search_lessEbEEEE10hipError_tPvRmT1_T2_T3_mmT4_T5_P12ihipStream_tbEUlRKS9_E_EESY_S12_S13_mS14_S17_bEUlT_E_NS1_11comp_targetILNS1_3genE3ELNS1_11target_archE908ELNS1_3gpuE7ELNS1_3repE0EEENS1_30default_config_static_selectorELNS0_4arch9wavefront6targetE0EEEvS11_, .Lfunc_end602-_ZN7rocprim17ROCPRIM_400000_NS6detail17trampoline_kernelINS0_14default_configENS1_27upper_bound_config_selectorIN6thrust23THRUST_200600_302600_NS5tupleIiiNS6_9null_typeES8_S8_S8_S8_S8_S8_S8_EElEEZNS1_14transform_implILb0ES3_SA_NS6_6detail15normal_iteratorINS6_7pointerIS9_NS6_11hip_rocprim5par_tENS6_11use_defaultESH_EEEENSD_INSE_IlSG_SH_SH_EEEEZNS1_13binary_searchIS3_SA_NSD_INS6_10device_ptrIS9_EEEESJ_SL_NS1_21upper_bound_search_opENSC_16wrapped_functionINS6_6system6detail7generic6detail18binary_search_lessEbEEEE10hipError_tPvRmT1_T2_T3_mmT4_T5_P12ihipStream_tbEUlRKS9_E_EESY_S12_S13_mS14_S17_bEUlT_E_NS1_11comp_targetILNS1_3genE3ELNS1_11target_archE908ELNS1_3gpuE7ELNS1_3repE0EEENS1_30default_config_static_selectorELNS0_4arch9wavefront6targetE0EEEvS11_
                                        ; -- End function
	.set _ZN7rocprim17ROCPRIM_400000_NS6detail17trampoline_kernelINS0_14default_configENS1_27upper_bound_config_selectorIN6thrust23THRUST_200600_302600_NS5tupleIiiNS6_9null_typeES8_S8_S8_S8_S8_S8_S8_EElEEZNS1_14transform_implILb0ES3_SA_NS6_6detail15normal_iteratorINS6_7pointerIS9_NS6_11hip_rocprim5par_tENS6_11use_defaultESH_EEEENSD_INSE_IlSG_SH_SH_EEEEZNS1_13binary_searchIS3_SA_NSD_INS6_10device_ptrIS9_EEEESJ_SL_NS1_21upper_bound_search_opENSC_16wrapped_functionINS6_6system6detail7generic6detail18binary_search_lessEbEEEE10hipError_tPvRmT1_T2_T3_mmT4_T5_P12ihipStream_tbEUlRKS9_E_EESY_S12_S13_mS14_S17_bEUlT_E_NS1_11comp_targetILNS1_3genE3ELNS1_11target_archE908ELNS1_3gpuE7ELNS1_3repE0EEENS1_30default_config_static_selectorELNS0_4arch9wavefront6targetE0EEEvS11_.num_vgpr, 0
	.set _ZN7rocprim17ROCPRIM_400000_NS6detail17trampoline_kernelINS0_14default_configENS1_27upper_bound_config_selectorIN6thrust23THRUST_200600_302600_NS5tupleIiiNS6_9null_typeES8_S8_S8_S8_S8_S8_S8_EElEEZNS1_14transform_implILb0ES3_SA_NS6_6detail15normal_iteratorINS6_7pointerIS9_NS6_11hip_rocprim5par_tENS6_11use_defaultESH_EEEENSD_INSE_IlSG_SH_SH_EEEEZNS1_13binary_searchIS3_SA_NSD_INS6_10device_ptrIS9_EEEESJ_SL_NS1_21upper_bound_search_opENSC_16wrapped_functionINS6_6system6detail7generic6detail18binary_search_lessEbEEEE10hipError_tPvRmT1_T2_T3_mmT4_T5_P12ihipStream_tbEUlRKS9_E_EESY_S12_S13_mS14_S17_bEUlT_E_NS1_11comp_targetILNS1_3genE3ELNS1_11target_archE908ELNS1_3gpuE7ELNS1_3repE0EEENS1_30default_config_static_selectorELNS0_4arch9wavefront6targetE0EEEvS11_.num_agpr, 0
	.set _ZN7rocprim17ROCPRIM_400000_NS6detail17trampoline_kernelINS0_14default_configENS1_27upper_bound_config_selectorIN6thrust23THRUST_200600_302600_NS5tupleIiiNS6_9null_typeES8_S8_S8_S8_S8_S8_S8_EElEEZNS1_14transform_implILb0ES3_SA_NS6_6detail15normal_iteratorINS6_7pointerIS9_NS6_11hip_rocprim5par_tENS6_11use_defaultESH_EEEENSD_INSE_IlSG_SH_SH_EEEEZNS1_13binary_searchIS3_SA_NSD_INS6_10device_ptrIS9_EEEESJ_SL_NS1_21upper_bound_search_opENSC_16wrapped_functionINS6_6system6detail7generic6detail18binary_search_lessEbEEEE10hipError_tPvRmT1_T2_T3_mmT4_T5_P12ihipStream_tbEUlRKS9_E_EESY_S12_S13_mS14_S17_bEUlT_E_NS1_11comp_targetILNS1_3genE3ELNS1_11target_archE908ELNS1_3gpuE7ELNS1_3repE0EEENS1_30default_config_static_selectorELNS0_4arch9wavefront6targetE0EEEvS11_.numbered_sgpr, 0
	.set _ZN7rocprim17ROCPRIM_400000_NS6detail17trampoline_kernelINS0_14default_configENS1_27upper_bound_config_selectorIN6thrust23THRUST_200600_302600_NS5tupleIiiNS6_9null_typeES8_S8_S8_S8_S8_S8_S8_EElEEZNS1_14transform_implILb0ES3_SA_NS6_6detail15normal_iteratorINS6_7pointerIS9_NS6_11hip_rocprim5par_tENS6_11use_defaultESH_EEEENSD_INSE_IlSG_SH_SH_EEEEZNS1_13binary_searchIS3_SA_NSD_INS6_10device_ptrIS9_EEEESJ_SL_NS1_21upper_bound_search_opENSC_16wrapped_functionINS6_6system6detail7generic6detail18binary_search_lessEbEEEE10hipError_tPvRmT1_T2_T3_mmT4_T5_P12ihipStream_tbEUlRKS9_E_EESY_S12_S13_mS14_S17_bEUlT_E_NS1_11comp_targetILNS1_3genE3ELNS1_11target_archE908ELNS1_3gpuE7ELNS1_3repE0EEENS1_30default_config_static_selectorELNS0_4arch9wavefront6targetE0EEEvS11_.num_named_barrier, 0
	.set _ZN7rocprim17ROCPRIM_400000_NS6detail17trampoline_kernelINS0_14default_configENS1_27upper_bound_config_selectorIN6thrust23THRUST_200600_302600_NS5tupleIiiNS6_9null_typeES8_S8_S8_S8_S8_S8_S8_EElEEZNS1_14transform_implILb0ES3_SA_NS6_6detail15normal_iteratorINS6_7pointerIS9_NS6_11hip_rocprim5par_tENS6_11use_defaultESH_EEEENSD_INSE_IlSG_SH_SH_EEEEZNS1_13binary_searchIS3_SA_NSD_INS6_10device_ptrIS9_EEEESJ_SL_NS1_21upper_bound_search_opENSC_16wrapped_functionINS6_6system6detail7generic6detail18binary_search_lessEbEEEE10hipError_tPvRmT1_T2_T3_mmT4_T5_P12ihipStream_tbEUlRKS9_E_EESY_S12_S13_mS14_S17_bEUlT_E_NS1_11comp_targetILNS1_3genE3ELNS1_11target_archE908ELNS1_3gpuE7ELNS1_3repE0EEENS1_30default_config_static_selectorELNS0_4arch9wavefront6targetE0EEEvS11_.private_seg_size, 0
	.set _ZN7rocprim17ROCPRIM_400000_NS6detail17trampoline_kernelINS0_14default_configENS1_27upper_bound_config_selectorIN6thrust23THRUST_200600_302600_NS5tupleIiiNS6_9null_typeES8_S8_S8_S8_S8_S8_S8_EElEEZNS1_14transform_implILb0ES3_SA_NS6_6detail15normal_iteratorINS6_7pointerIS9_NS6_11hip_rocprim5par_tENS6_11use_defaultESH_EEEENSD_INSE_IlSG_SH_SH_EEEEZNS1_13binary_searchIS3_SA_NSD_INS6_10device_ptrIS9_EEEESJ_SL_NS1_21upper_bound_search_opENSC_16wrapped_functionINS6_6system6detail7generic6detail18binary_search_lessEbEEEE10hipError_tPvRmT1_T2_T3_mmT4_T5_P12ihipStream_tbEUlRKS9_E_EESY_S12_S13_mS14_S17_bEUlT_E_NS1_11comp_targetILNS1_3genE3ELNS1_11target_archE908ELNS1_3gpuE7ELNS1_3repE0EEENS1_30default_config_static_selectorELNS0_4arch9wavefront6targetE0EEEvS11_.uses_vcc, 0
	.set _ZN7rocprim17ROCPRIM_400000_NS6detail17trampoline_kernelINS0_14default_configENS1_27upper_bound_config_selectorIN6thrust23THRUST_200600_302600_NS5tupleIiiNS6_9null_typeES8_S8_S8_S8_S8_S8_S8_EElEEZNS1_14transform_implILb0ES3_SA_NS6_6detail15normal_iteratorINS6_7pointerIS9_NS6_11hip_rocprim5par_tENS6_11use_defaultESH_EEEENSD_INSE_IlSG_SH_SH_EEEEZNS1_13binary_searchIS3_SA_NSD_INS6_10device_ptrIS9_EEEESJ_SL_NS1_21upper_bound_search_opENSC_16wrapped_functionINS6_6system6detail7generic6detail18binary_search_lessEbEEEE10hipError_tPvRmT1_T2_T3_mmT4_T5_P12ihipStream_tbEUlRKS9_E_EESY_S12_S13_mS14_S17_bEUlT_E_NS1_11comp_targetILNS1_3genE3ELNS1_11target_archE908ELNS1_3gpuE7ELNS1_3repE0EEENS1_30default_config_static_selectorELNS0_4arch9wavefront6targetE0EEEvS11_.uses_flat_scratch, 0
	.set _ZN7rocprim17ROCPRIM_400000_NS6detail17trampoline_kernelINS0_14default_configENS1_27upper_bound_config_selectorIN6thrust23THRUST_200600_302600_NS5tupleIiiNS6_9null_typeES8_S8_S8_S8_S8_S8_S8_EElEEZNS1_14transform_implILb0ES3_SA_NS6_6detail15normal_iteratorINS6_7pointerIS9_NS6_11hip_rocprim5par_tENS6_11use_defaultESH_EEEENSD_INSE_IlSG_SH_SH_EEEEZNS1_13binary_searchIS3_SA_NSD_INS6_10device_ptrIS9_EEEESJ_SL_NS1_21upper_bound_search_opENSC_16wrapped_functionINS6_6system6detail7generic6detail18binary_search_lessEbEEEE10hipError_tPvRmT1_T2_T3_mmT4_T5_P12ihipStream_tbEUlRKS9_E_EESY_S12_S13_mS14_S17_bEUlT_E_NS1_11comp_targetILNS1_3genE3ELNS1_11target_archE908ELNS1_3gpuE7ELNS1_3repE0EEENS1_30default_config_static_selectorELNS0_4arch9wavefront6targetE0EEEvS11_.has_dyn_sized_stack, 0
	.set _ZN7rocprim17ROCPRIM_400000_NS6detail17trampoline_kernelINS0_14default_configENS1_27upper_bound_config_selectorIN6thrust23THRUST_200600_302600_NS5tupleIiiNS6_9null_typeES8_S8_S8_S8_S8_S8_S8_EElEEZNS1_14transform_implILb0ES3_SA_NS6_6detail15normal_iteratorINS6_7pointerIS9_NS6_11hip_rocprim5par_tENS6_11use_defaultESH_EEEENSD_INSE_IlSG_SH_SH_EEEEZNS1_13binary_searchIS3_SA_NSD_INS6_10device_ptrIS9_EEEESJ_SL_NS1_21upper_bound_search_opENSC_16wrapped_functionINS6_6system6detail7generic6detail18binary_search_lessEbEEEE10hipError_tPvRmT1_T2_T3_mmT4_T5_P12ihipStream_tbEUlRKS9_E_EESY_S12_S13_mS14_S17_bEUlT_E_NS1_11comp_targetILNS1_3genE3ELNS1_11target_archE908ELNS1_3gpuE7ELNS1_3repE0EEENS1_30default_config_static_selectorELNS0_4arch9wavefront6targetE0EEEvS11_.has_recursion, 0
	.set _ZN7rocprim17ROCPRIM_400000_NS6detail17trampoline_kernelINS0_14default_configENS1_27upper_bound_config_selectorIN6thrust23THRUST_200600_302600_NS5tupleIiiNS6_9null_typeES8_S8_S8_S8_S8_S8_S8_EElEEZNS1_14transform_implILb0ES3_SA_NS6_6detail15normal_iteratorINS6_7pointerIS9_NS6_11hip_rocprim5par_tENS6_11use_defaultESH_EEEENSD_INSE_IlSG_SH_SH_EEEEZNS1_13binary_searchIS3_SA_NSD_INS6_10device_ptrIS9_EEEESJ_SL_NS1_21upper_bound_search_opENSC_16wrapped_functionINS6_6system6detail7generic6detail18binary_search_lessEbEEEE10hipError_tPvRmT1_T2_T3_mmT4_T5_P12ihipStream_tbEUlRKS9_E_EESY_S12_S13_mS14_S17_bEUlT_E_NS1_11comp_targetILNS1_3genE3ELNS1_11target_archE908ELNS1_3gpuE7ELNS1_3repE0EEENS1_30default_config_static_selectorELNS0_4arch9wavefront6targetE0EEEvS11_.has_indirect_call, 0
	.section	.AMDGPU.csdata,"",@progbits
; Kernel info:
; codeLenInByte = 0
; TotalNumSgprs: 0
; NumVgprs: 0
; ScratchSize: 0
; MemoryBound: 0
; FloatMode: 240
; IeeeMode: 1
; LDSByteSize: 0 bytes/workgroup (compile time only)
; SGPRBlocks: 0
; VGPRBlocks: 0
; NumSGPRsForWavesPerEU: 1
; NumVGPRsForWavesPerEU: 1
; Occupancy: 16
; WaveLimiterHint : 0
; COMPUTE_PGM_RSRC2:SCRATCH_EN: 0
; COMPUTE_PGM_RSRC2:USER_SGPR: 6
; COMPUTE_PGM_RSRC2:TRAP_HANDLER: 0
; COMPUTE_PGM_RSRC2:TGID_X_EN: 1
; COMPUTE_PGM_RSRC2:TGID_Y_EN: 0
; COMPUTE_PGM_RSRC2:TGID_Z_EN: 0
; COMPUTE_PGM_RSRC2:TIDIG_COMP_CNT: 0
	.section	.text._ZN7rocprim17ROCPRIM_400000_NS6detail17trampoline_kernelINS0_14default_configENS1_27upper_bound_config_selectorIN6thrust23THRUST_200600_302600_NS5tupleIiiNS6_9null_typeES8_S8_S8_S8_S8_S8_S8_EElEEZNS1_14transform_implILb0ES3_SA_NS6_6detail15normal_iteratorINS6_7pointerIS9_NS6_11hip_rocprim5par_tENS6_11use_defaultESH_EEEENSD_INSE_IlSG_SH_SH_EEEEZNS1_13binary_searchIS3_SA_NSD_INS6_10device_ptrIS9_EEEESJ_SL_NS1_21upper_bound_search_opENSC_16wrapped_functionINS6_6system6detail7generic6detail18binary_search_lessEbEEEE10hipError_tPvRmT1_T2_T3_mmT4_T5_P12ihipStream_tbEUlRKS9_E_EESY_S12_S13_mS14_S17_bEUlT_E_NS1_11comp_targetILNS1_3genE2ELNS1_11target_archE906ELNS1_3gpuE6ELNS1_3repE0EEENS1_30default_config_static_selectorELNS0_4arch9wavefront6targetE0EEEvS11_,"axG",@progbits,_ZN7rocprim17ROCPRIM_400000_NS6detail17trampoline_kernelINS0_14default_configENS1_27upper_bound_config_selectorIN6thrust23THRUST_200600_302600_NS5tupleIiiNS6_9null_typeES8_S8_S8_S8_S8_S8_S8_EElEEZNS1_14transform_implILb0ES3_SA_NS6_6detail15normal_iteratorINS6_7pointerIS9_NS6_11hip_rocprim5par_tENS6_11use_defaultESH_EEEENSD_INSE_IlSG_SH_SH_EEEEZNS1_13binary_searchIS3_SA_NSD_INS6_10device_ptrIS9_EEEESJ_SL_NS1_21upper_bound_search_opENSC_16wrapped_functionINS6_6system6detail7generic6detail18binary_search_lessEbEEEE10hipError_tPvRmT1_T2_T3_mmT4_T5_P12ihipStream_tbEUlRKS9_E_EESY_S12_S13_mS14_S17_bEUlT_E_NS1_11comp_targetILNS1_3genE2ELNS1_11target_archE906ELNS1_3gpuE6ELNS1_3repE0EEENS1_30default_config_static_selectorELNS0_4arch9wavefront6targetE0EEEvS11_,comdat
	.protected	_ZN7rocprim17ROCPRIM_400000_NS6detail17trampoline_kernelINS0_14default_configENS1_27upper_bound_config_selectorIN6thrust23THRUST_200600_302600_NS5tupleIiiNS6_9null_typeES8_S8_S8_S8_S8_S8_S8_EElEEZNS1_14transform_implILb0ES3_SA_NS6_6detail15normal_iteratorINS6_7pointerIS9_NS6_11hip_rocprim5par_tENS6_11use_defaultESH_EEEENSD_INSE_IlSG_SH_SH_EEEEZNS1_13binary_searchIS3_SA_NSD_INS6_10device_ptrIS9_EEEESJ_SL_NS1_21upper_bound_search_opENSC_16wrapped_functionINS6_6system6detail7generic6detail18binary_search_lessEbEEEE10hipError_tPvRmT1_T2_T3_mmT4_T5_P12ihipStream_tbEUlRKS9_E_EESY_S12_S13_mS14_S17_bEUlT_E_NS1_11comp_targetILNS1_3genE2ELNS1_11target_archE906ELNS1_3gpuE6ELNS1_3repE0EEENS1_30default_config_static_selectorELNS0_4arch9wavefront6targetE0EEEvS11_ ; -- Begin function _ZN7rocprim17ROCPRIM_400000_NS6detail17trampoline_kernelINS0_14default_configENS1_27upper_bound_config_selectorIN6thrust23THRUST_200600_302600_NS5tupleIiiNS6_9null_typeES8_S8_S8_S8_S8_S8_S8_EElEEZNS1_14transform_implILb0ES3_SA_NS6_6detail15normal_iteratorINS6_7pointerIS9_NS6_11hip_rocprim5par_tENS6_11use_defaultESH_EEEENSD_INSE_IlSG_SH_SH_EEEEZNS1_13binary_searchIS3_SA_NSD_INS6_10device_ptrIS9_EEEESJ_SL_NS1_21upper_bound_search_opENSC_16wrapped_functionINS6_6system6detail7generic6detail18binary_search_lessEbEEEE10hipError_tPvRmT1_T2_T3_mmT4_T5_P12ihipStream_tbEUlRKS9_E_EESY_S12_S13_mS14_S17_bEUlT_E_NS1_11comp_targetILNS1_3genE2ELNS1_11target_archE906ELNS1_3gpuE6ELNS1_3repE0EEENS1_30default_config_static_selectorELNS0_4arch9wavefront6targetE0EEEvS11_
	.globl	_ZN7rocprim17ROCPRIM_400000_NS6detail17trampoline_kernelINS0_14default_configENS1_27upper_bound_config_selectorIN6thrust23THRUST_200600_302600_NS5tupleIiiNS6_9null_typeES8_S8_S8_S8_S8_S8_S8_EElEEZNS1_14transform_implILb0ES3_SA_NS6_6detail15normal_iteratorINS6_7pointerIS9_NS6_11hip_rocprim5par_tENS6_11use_defaultESH_EEEENSD_INSE_IlSG_SH_SH_EEEEZNS1_13binary_searchIS3_SA_NSD_INS6_10device_ptrIS9_EEEESJ_SL_NS1_21upper_bound_search_opENSC_16wrapped_functionINS6_6system6detail7generic6detail18binary_search_lessEbEEEE10hipError_tPvRmT1_T2_T3_mmT4_T5_P12ihipStream_tbEUlRKS9_E_EESY_S12_S13_mS14_S17_bEUlT_E_NS1_11comp_targetILNS1_3genE2ELNS1_11target_archE906ELNS1_3gpuE6ELNS1_3repE0EEENS1_30default_config_static_selectorELNS0_4arch9wavefront6targetE0EEEvS11_
	.p2align	8
	.type	_ZN7rocprim17ROCPRIM_400000_NS6detail17trampoline_kernelINS0_14default_configENS1_27upper_bound_config_selectorIN6thrust23THRUST_200600_302600_NS5tupleIiiNS6_9null_typeES8_S8_S8_S8_S8_S8_S8_EElEEZNS1_14transform_implILb0ES3_SA_NS6_6detail15normal_iteratorINS6_7pointerIS9_NS6_11hip_rocprim5par_tENS6_11use_defaultESH_EEEENSD_INSE_IlSG_SH_SH_EEEEZNS1_13binary_searchIS3_SA_NSD_INS6_10device_ptrIS9_EEEESJ_SL_NS1_21upper_bound_search_opENSC_16wrapped_functionINS6_6system6detail7generic6detail18binary_search_lessEbEEEE10hipError_tPvRmT1_T2_T3_mmT4_T5_P12ihipStream_tbEUlRKS9_E_EESY_S12_S13_mS14_S17_bEUlT_E_NS1_11comp_targetILNS1_3genE2ELNS1_11target_archE906ELNS1_3gpuE6ELNS1_3repE0EEENS1_30default_config_static_selectorELNS0_4arch9wavefront6targetE0EEEvS11_,@function
_ZN7rocprim17ROCPRIM_400000_NS6detail17trampoline_kernelINS0_14default_configENS1_27upper_bound_config_selectorIN6thrust23THRUST_200600_302600_NS5tupleIiiNS6_9null_typeES8_S8_S8_S8_S8_S8_S8_EElEEZNS1_14transform_implILb0ES3_SA_NS6_6detail15normal_iteratorINS6_7pointerIS9_NS6_11hip_rocprim5par_tENS6_11use_defaultESH_EEEENSD_INSE_IlSG_SH_SH_EEEEZNS1_13binary_searchIS3_SA_NSD_INS6_10device_ptrIS9_EEEESJ_SL_NS1_21upper_bound_search_opENSC_16wrapped_functionINS6_6system6detail7generic6detail18binary_search_lessEbEEEE10hipError_tPvRmT1_T2_T3_mmT4_T5_P12ihipStream_tbEUlRKS9_E_EESY_S12_S13_mS14_S17_bEUlT_E_NS1_11comp_targetILNS1_3genE2ELNS1_11target_archE906ELNS1_3gpuE6ELNS1_3repE0EEENS1_30default_config_static_selectorELNS0_4arch9wavefront6targetE0EEEvS11_: ; @_ZN7rocprim17ROCPRIM_400000_NS6detail17trampoline_kernelINS0_14default_configENS1_27upper_bound_config_selectorIN6thrust23THRUST_200600_302600_NS5tupleIiiNS6_9null_typeES8_S8_S8_S8_S8_S8_S8_EElEEZNS1_14transform_implILb0ES3_SA_NS6_6detail15normal_iteratorINS6_7pointerIS9_NS6_11hip_rocprim5par_tENS6_11use_defaultESH_EEEENSD_INSE_IlSG_SH_SH_EEEEZNS1_13binary_searchIS3_SA_NSD_INS6_10device_ptrIS9_EEEESJ_SL_NS1_21upper_bound_search_opENSC_16wrapped_functionINS6_6system6detail7generic6detail18binary_search_lessEbEEEE10hipError_tPvRmT1_T2_T3_mmT4_T5_P12ihipStream_tbEUlRKS9_E_EESY_S12_S13_mS14_S17_bEUlT_E_NS1_11comp_targetILNS1_3genE2ELNS1_11target_archE906ELNS1_3gpuE6ELNS1_3repE0EEENS1_30default_config_static_selectorELNS0_4arch9wavefront6targetE0EEEvS11_
; %bb.0:
	.section	.rodata,"a",@progbits
	.p2align	6, 0x0
	.amdhsa_kernel _ZN7rocprim17ROCPRIM_400000_NS6detail17trampoline_kernelINS0_14default_configENS1_27upper_bound_config_selectorIN6thrust23THRUST_200600_302600_NS5tupleIiiNS6_9null_typeES8_S8_S8_S8_S8_S8_S8_EElEEZNS1_14transform_implILb0ES3_SA_NS6_6detail15normal_iteratorINS6_7pointerIS9_NS6_11hip_rocprim5par_tENS6_11use_defaultESH_EEEENSD_INSE_IlSG_SH_SH_EEEEZNS1_13binary_searchIS3_SA_NSD_INS6_10device_ptrIS9_EEEESJ_SL_NS1_21upper_bound_search_opENSC_16wrapped_functionINS6_6system6detail7generic6detail18binary_search_lessEbEEEE10hipError_tPvRmT1_T2_T3_mmT4_T5_P12ihipStream_tbEUlRKS9_E_EESY_S12_S13_mS14_S17_bEUlT_E_NS1_11comp_targetILNS1_3genE2ELNS1_11target_archE906ELNS1_3gpuE6ELNS1_3repE0EEENS1_30default_config_static_selectorELNS0_4arch9wavefront6targetE0EEEvS11_
		.amdhsa_group_segment_fixed_size 0
		.amdhsa_private_segment_fixed_size 0
		.amdhsa_kernarg_size 56
		.amdhsa_user_sgpr_count 6
		.amdhsa_user_sgpr_private_segment_buffer 1
		.amdhsa_user_sgpr_dispatch_ptr 0
		.amdhsa_user_sgpr_queue_ptr 0
		.amdhsa_user_sgpr_kernarg_segment_ptr 1
		.amdhsa_user_sgpr_dispatch_id 0
		.amdhsa_user_sgpr_flat_scratch_init 0
		.amdhsa_user_sgpr_private_segment_size 0
		.amdhsa_wavefront_size32 1
		.amdhsa_uses_dynamic_stack 0
		.amdhsa_system_sgpr_private_segment_wavefront_offset 0
		.amdhsa_system_sgpr_workgroup_id_x 1
		.amdhsa_system_sgpr_workgroup_id_y 0
		.amdhsa_system_sgpr_workgroup_id_z 0
		.amdhsa_system_sgpr_workgroup_info 0
		.amdhsa_system_vgpr_workitem_id 0
		.amdhsa_next_free_vgpr 1
		.amdhsa_next_free_sgpr 1
		.amdhsa_reserve_vcc 0
		.amdhsa_reserve_flat_scratch 0
		.amdhsa_float_round_mode_32 0
		.amdhsa_float_round_mode_16_64 0
		.amdhsa_float_denorm_mode_32 3
		.amdhsa_float_denorm_mode_16_64 3
		.amdhsa_dx10_clamp 1
		.amdhsa_ieee_mode 1
		.amdhsa_fp16_overflow 0
		.amdhsa_workgroup_processor_mode 1
		.amdhsa_memory_ordered 1
		.amdhsa_forward_progress 1
		.amdhsa_shared_vgpr_count 0
		.amdhsa_exception_fp_ieee_invalid_op 0
		.amdhsa_exception_fp_denorm_src 0
		.amdhsa_exception_fp_ieee_div_zero 0
		.amdhsa_exception_fp_ieee_overflow 0
		.amdhsa_exception_fp_ieee_underflow 0
		.amdhsa_exception_fp_ieee_inexact 0
		.amdhsa_exception_int_div_zero 0
	.end_amdhsa_kernel
	.section	.text._ZN7rocprim17ROCPRIM_400000_NS6detail17trampoline_kernelINS0_14default_configENS1_27upper_bound_config_selectorIN6thrust23THRUST_200600_302600_NS5tupleIiiNS6_9null_typeES8_S8_S8_S8_S8_S8_S8_EElEEZNS1_14transform_implILb0ES3_SA_NS6_6detail15normal_iteratorINS6_7pointerIS9_NS6_11hip_rocprim5par_tENS6_11use_defaultESH_EEEENSD_INSE_IlSG_SH_SH_EEEEZNS1_13binary_searchIS3_SA_NSD_INS6_10device_ptrIS9_EEEESJ_SL_NS1_21upper_bound_search_opENSC_16wrapped_functionINS6_6system6detail7generic6detail18binary_search_lessEbEEEE10hipError_tPvRmT1_T2_T3_mmT4_T5_P12ihipStream_tbEUlRKS9_E_EESY_S12_S13_mS14_S17_bEUlT_E_NS1_11comp_targetILNS1_3genE2ELNS1_11target_archE906ELNS1_3gpuE6ELNS1_3repE0EEENS1_30default_config_static_selectorELNS0_4arch9wavefront6targetE0EEEvS11_,"axG",@progbits,_ZN7rocprim17ROCPRIM_400000_NS6detail17trampoline_kernelINS0_14default_configENS1_27upper_bound_config_selectorIN6thrust23THRUST_200600_302600_NS5tupleIiiNS6_9null_typeES8_S8_S8_S8_S8_S8_S8_EElEEZNS1_14transform_implILb0ES3_SA_NS6_6detail15normal_iteratorINS6_7pointerIS9_NS6_11hip_rocprim5par_tENS6_11use_defaultESH_EEEENSD_INSE_IlSG_SH_SH_EEEEZNS1_13binary_searchIS3_SA_NSD_INS6_10device_ptrIS9_EEEESJ_SL_NS1_21upper_bound_search_opENSC_16wrapped_functionINS6_6system6detail7generic6detail18binary_search_lessEbEEEE10hipError_tPvRmT1_T2_T3_mmT4_T5_P12ihipStream_tbEUlRKS9_E_EESY_S12_S13_mS14_S17_bEUlT_E_NS1_11comp_targetILNS1_3genE2ELNS1_11target_archE906ELNS1_3gpuE6ELNS1_3repE0EEENS1_30default_config_static_selectorELNS0_4arch9wavefront6targetE0EEEvS11_,comdat
.Lfunc_end603:
	.size	_ZN7rocprim17ROCPRIM_400000_NS6detail17trampoline_kernelINS0_14default_configENS1_27upper_bound_config_selectorIN6thrust23THRUST_200600_302600_NS5tupleIiiNS6_9null_typeES8_S8_S8_S8_S8_S8_S8_EElEEZNS1_14transform_implILb0ES3_SA_NS6_6detail15normal_iteratorINS6_7pointerIS9_NS6_11hip_rocprim5par_tENS6_11use_defaultESH_EEEENSD_INSE_IlSG_SH_SH_EEEEZNS1_13binary_searchIS3_SA_NSD_INS6_10device_ptrIS9_EEEESJ_SL_NS1_21upper_bound_search_opENSC_16wrapped_functionINS6_6system6detail7generic6detail18binary_search_lessEbEEEE10hipError_tPvRmT1_T2_T3_mmT4_T5_P12ihipStream_tbEUlRKS9_E_EESY_S12_S13_mS14_S17_bEUlT_E_NS1_11comp_targetILNS1_3genE2ELNS1_11target_archE906ELNS1_3gpuE6ELNS1_3repE0EEENS1_30default_config_static_selectorELNS0_4arch9wavefront6targetE0EEEvS11_, .Lfunc_end603-_ZN7rocprim17ROCPRIM_400000_NS6detail17trampoline_kernelINS0_14default_configENS1_27upper_bound_config_selectorIN6thrust23THRUST_200600_302600_NS5tupleIiiNS6_9null_typeES8_S8_S8_S8_S8_S8_S8_EElEEZNS1_14transform_implILb0ES3_SA_NS6_6detail15normal_iteratorINS6_7pointerIS9_NS6_11hip_rocprim5par_tENS6_11use_defaultESH_EEEENSD_INSE_IlSG_SH_SH_EEEEZNS1_13binary_searchIS3_SA_NSD_INS6_10device_ptrIS9_EEEESJ_SL_NS1_21upper_bound_search_opENSC_16wrapped_functionINS6_6system6detail7generic6detail18binary_search_lessEbEEEE10hipError_tPvRmT1_T2_T3_mmT4_T5_P12ihipStream_tbEUlRKS9_E_EESY_S12_S13_mS14_S17_bEUlT_E_NS1_11comp_targetILNS1_3genE2ELNS1_11target_archE906ELNS1_3gpuE6ELNS1_3repE0EEENS1_30default_config_static_selectorELNS0_4arch9wavefront6targetE0EEEvS11_
                                        ; -- End function
	.set _ZN7rocprim17ROCPRIM_400000_NS6detail17trampoline_kernelINS0_14default_configENS1_27upper_bound_config_selectorIN6thrust23THRUST_200600_302600_NS5tupleIiiNS6_9null_typeES8_S8_S8_S8_S8_S8_S8_EElEEZNS1_14transform_implILb0ES3_SA_NS6_6detail15normal_iteratorINS6_7pointerIS9_NS6_11hip_rocprim5par_tENS6_11use_defaultESH_EEEENSD_INSE_IlSG_SH_SH_EEEEZNS1_13binary_searchIS3_SA_NSD_INS6_10device_ptrIS9_EEEESJ_SL_NS1_21upper_bound_search_opENSC_16wrapped_functionINS6_6system6detail7generic6detail18binary_search_lessEbEEEE10hipError_tPvRmT1_T2_T3_mmT4_T5_P12ihipStream_tbEUlRKS9_E_EESY_S12_S13_mS14_S17_bEUlT_E_NS1_11comp_targetILNS1_3genE2ELNS1_11target_archE906ELNS1_3gpuE6ELNS1_3repE0EEENS1_30default_config_static_selectorELNS0_4arch9wavefront6targetE0EEEvS11_.num_vgpr, 0
	.set _ZN7rocprim17ROCPRIM_400000_NS6detail17trampoline_kernelINS0_14default_configENS1_27upper_bound_config_selectorIN6thrust23THRUST_200600_302600_NS5tupleIiiNS6_9null_typeES8_S8_S8_S8_S8_S8_S8_EElEEZNS1_14transform_implILb0ES3_SA_NS6_6detail15normal_iteratorINS6_7pointerIS9_NS6_11hip_rocprim5par_tENS6_11use_defaultESH_EEEENSD_INSE_IlSG_SH_SH_EEEEZNS1_13binary_searchIS3_SA_NSD_INS6_10device_ptrIS9_EEEESJ_SL_NS1_21upper_bound_search_opENSC_16wrapped_functionINS6_6system6detail7generic6detail18binary_search_lessEbEEEE10hipError_tPvRmT1_T2_T3_mmT4_T5_P12ihipStream_tbEUlRKS9_E_EESY_S12_S13_mS14_S17_bEUlT_E_NS1_11comp_targetILNS1_3genE2ELNS1_11target_archE906ELNS1_3gpuE6ELNS1_3repE0EEENS1_30default_config_static_selectorELNS0_4arch9wavefront6targetE0EEEvS11_.num_agpr, 0
	.set _ZN7rocprim17ROCPRIM_400000_NS6detail17trampoline_kernelINS0_14default_configENS1_27upper_bound_config_selectorIN6thrust23THRUST_200600_302600_NS5tupleIiiNS6_9null_typeES8_S8_S8_S8_S8_S8_S8_EElEEZNS1_14transform_implILb0ES3_SA_NS6_6detail15normal_iteratorINS6_7pointerIS9_NS6_11hip_rocprim5par_tENS6_11use_defaultESH_EEEENSD_INSE_IlSG_SH_SH_EEEEZNS1_13binary_searchIS3_SA_NSD_INS6_10device_ptrIS9_EEEESJ_SL_NS1_21upper_bound_search_opENSC_16wrapped_functionINS6_6system6detail7generic6detail18binary_search_lessEbEEEE10hipError_tPvRmT1_T2_T3_mmT4_T5_P12ihipStream_tbEUlRKS9_E_EESY_S12_S13_mS14_S17_bEUlT_E_NS1_11comp_targetILNS1_3genE2ELNS1_11target_archE906ELNS1_3gpuE6ELNS1_3repE0EEENS1_30default_config_static_selectorELNS0_4arch9wavefront6targetE0EEEvS11_.numbered_sgpr, 0
	.set _ZN7rocprim17ROCPRIM_400000_NS6detail17trampoline_kernelINS0_14default_configENS1_27upper_bound_config_selectorIN6thrust23THRUST_200600_302600_NS5tupleIiiNS6_9null_typeES8_S8_S8_S8_S8_S8_S8_EElEEZNS1_14transform_implILb0ES3_SA_NS6_6detail15normal_iteratorINS6_7pointerIS9_NS6_11hip_rocprim5par_tENS6_11use_defaultESH_EEEENSD_INSE_IlSG_SH_SH_EEEEZNS1_13binary_searchIS3_SA_NSD_INS6_10device_ptrIS9_EEEESJ_SL_NS1_21upper_bound_search_opENSC_16wrapped_functionINS6_6system6detail7generic6detail18binary_search_lessEbEEEE10hipError_tPvRmT1_T2_T3_mmT4_T5_P12ihipStream_tbEUlRKS9_E_EESY_S12_S13_mS14_S17_bEUlT_E_NS1_11comp_targetILNS1_3genE2ELNS1_11target_archE906ELNS1_3gpuE6ELNS1_3repE0EEENS1_30default_config_static_selectorELNS0_4arch9wavefront6targetE0EEEvS11_.num_named_barrier, 0
	.set _ZN7rocprim17ROCPRIM_400000_NS6detail17trampoline_kernelINS0_14default_configENS1_27upper_bound_config_selectorIN6thrust23THRUST_200600_302600_NS5tupleIiiNS6_9null_typeES8_S8_S8_S8_S8_S8_S8_EElEEZNS1_14transform_implILb0ES3_SA_NS6_6detail15normal_iteratorINS6_7pointerIS9_NS6_11hip_rocprim5par_tENS6_11use_defaultESH_EEEENSD_INSE_IlSG_SH_SH_EEEEZNS1_13binary_searchIS3_SA_NSD_INS6_10device_ptrIS9_EEEESJ_SL_NS1_21upper_bound_search_opENSC_16wrapped_functionINS6_6system6detail7generic6detail18binary_search_lessEbEEEE10hipError_tPvRmT1_T2_T3_mmT4_T5_P12ihipStream_tbEUlRKS9_E_EESY_S12_S13_mS14_S17_bEUlT_E_NS1_11comp_targetILNS1_3genE2ELNS1_11target_archE906ELNS1_3gpuE6ELNS1_3repE0EEENS1_30default_config_static_selectorELNS0_4arch9wavefront6targetE0EEEvS11_.private_seg_size, 0
	.set _ZN7rocprim17ROCPRIM_400000_NS6detail17trampoline_kernelINS0_14default_configENS1_27upper_bound_config_selectorIN6thrust23THRUST_200600_302600_NS5tupleIiiNS6_9null_typeES8_S8_S8_S8_S8_S8_S8_EElEEZNS1_14transform_implILb0ES3_SA_NS6_6detail15normal_iteratorINS6_7pointerIS9_NS6_11hip_rocprim5par_tENS6_11use_defaultESH_EEEENSD_INSE_IlSG_SH_SH_EEEEZNS1_13binary_searchIS3_SA_NSD_INS6_10device_ptrIS9_EEEESJ_SL_NS1_21upper_bound_search_opENSC_16wrapped_functionINS6_6system6detail7generic6detail18binary_search_lessEbEEEE10hipError_tPvRmT1_T2_T3_mmT4_T5_P12ihipStream_tbEUlRKS9_E_EESY_S12_S13_mS14_S17_bEUlT_E_NS1_11comp_targetILNS1_3genE2ELNS1_11target_archE906ELNS1_3gpuE6ELNS1_3repE0EEENS1_30default_config_static_selectorELNS0_4arch9wavefront6targetE0EEEvS11_.uses_vcc, 0
	.set _ZN7rocprim17ROCPRIM_400000_NS6detail17trampoline_kernelINS0_14default_configENS1_27upper_bound_config_selectorIN6thrust23THRUST_200600_302600_NS5tupleIiiNS6_9null_typeES8_S8_S8_S8_S8_S8_S8_EElEEZNS1_14transform_implILb0ES3_SA_NS6_6detail15normal_iteratorINS6_7pointerIS9_NS6_11hip_rocprim5par_tENS6_11use_defaultESH_EEEENSD_INSE_IlSG_SH_SH_EEEEZNS1_13binary_searchIS3_SA_NSD_INS6_10device_ptrIS9_EEEESJ_SL_NS1_21upper_bound_search_opENSC_16wrapped_functionINS6_6system6detail7generic6detail18binary_search_lessEbEEEE10hipError_tPvRmT1_T2_T3_mmT4_T5_P12ihipStream_tbEUlRKS9_E_EESY_S12_S13_mS14_S17_bEUlT_E_NS1_11comp_targetILNS1_3genE2ELNS1_11target_archE906ELNS1_3gpuE6ELNS1_3repE0EEENS1_30default_config_static_selectorELNS0_4arch9wavefront6targetE0EEEvS11_.uses_flat_scratch, 0
	.set _ZN7rocprim17ROCPRIM_400000_NS6detail17trampoline_kernelINS0_14default_configENS1_27upper_bound_config_selectorIN6thrust23THRUST_200600_302600_NS5tupleIiiNS6_9null_typeES8_S8_S8_S8_S8_S8_S8_EElEEZNS1_14transform_implILb0ES3_SA_NS6_6detail15normal_iteratorINS6_7pointerIS9_NS6_11hip_rocprim5par_tENS6_11use_defaultESH_EEEENSD_INSE_IlSG_SH_SH_EEEEZNS1_13binary_searchIS3_SA_NSD_INS6_10device_ptrIS9_EEEESJ_SL_NS1_21upper_bound_search_opENSC_16wrapped_functionINS6_6system6detail7generic6detail18binary_search_lessEbEEEE10hipError_tPvRmT1_T2_T3_mmT4_T5_P12ihipStream_tbEUlRKS9_E_EESY_S12_S13_mS14_S17_bEUlT_E_NS1_11comp_targetILNS1_3genE2ELNS1_11target_archE906ELNS1_3gpuE6ELNS1_3repE0EEENS1_30default_config_static_selectorELNS0_4arch9wavefront6targetE0EEEvS11_.has_dyn_sized_stack, 0
	.set _ZN7rocprim17ROCPRIM_400000_NS6detail17trampoline_kernelINS0_14default_configENS1_27upper_bound_config_selectorIN6thrust23THRUST_200600_302600_NS5tupleIiiNS6_9null_typeES8_S8_S8_S8_S8_S8_S8_EElEEZNS1_14transform_implILb0ES3_SA_NS6_6detail15normal_iteratorINS6_7pointerIS9_NS6_11hip_rocprim5par_tENS6_11use_defaultESH_EEEENSD_INSE_IlSG_SH_SH_EEEEZNS1_13binary_searchIS3_SA_NSD_INS6_10device_ptrIS9_EEEESJ_SL_NS1_21upper_bound_search_opENSC_16wrapped_functionINS6_6system6detail7generic6detail18binary_search_lessEbEEEE10hipError_tPvRmT1_T2_T3_mmT4_T5_P12ihipStream_tbEUlRKS9_E_EESY_S12_S13_mS14_S17_bEUlT_E_NS1_11comp_targetILNS1_3genE2ELNS1_11target_archE906ELNS1_3gpuE6ELNS1_3repE0EEENS1_30default_config_static_selectorELNS0_4arch9wavefront6targetE0EEEvS11_.has_recursion, 0
	.set _ZN7rocprim17ROCPRIM_400000_NS6detail17trampoline_kernelINS0_14default_configENS1_27upper_bound_config_selectorIN6thrust23THRUST_200600_302600_NS5tupleIiiNS6_9null_typeES8_S8_S8_S8_S8_S8_S8_EElEEZNS1_14transform_implILb0ES3_SA_NS6_6detail15normal_iteratorINS6_7pointerIS9_NS6_11hip_rocprim5par_tENS6_11use_defaultESH_EEEENSD_INSE_IlSG_SH_SH_EEEEZNS1_13binary_searchIS3_SA_NSD_INS6_10device_ptrIS9_EEEESJ_SL_NS1_21upper_bound_search_opENSC_16wrapped_functionINS6_6system6detail7generic6detail18binary_search_lessEbEEEE10hipError_tPvRmT1_T2_T3_mmT4_T5_P12ihipStream_tbEUlRKS9_E_EESY_S12_S13_mS14_S17_bEUlT_E_NS1_11comp_targetILNS1_3genE2ELNS1_11target_archE906ELNS1_3gpuE6ELNS1_3repE0EEENS1_30default_config_static_selectorELNS0_4arch9wavefront6targetE0EEEvS11_.has_indirect_call, 0
	.section	.AMDGPU.csdata,"",@progbits
; Kernel info:
; codeLenInByte = 0
; TotalNumSgprs: 0
; NumVgprs: 0
; ScratchSize: 0
; MemoryBound: 0
; FloatMode: 240
; IeeeMode: 1
; LDSByteSize: 0 bytes/workgroup (compile time only)
; SGPRBlocks: 0
; VGPRBlocks: 0
; NumSGPRsForWavesPerEU: 1
; NumVGPRsForWavesPerEU: 1
; Occupancy: 16
; WaveLimiterHint : 0
; COMPUTE_PGM_RSRC2:SCRATCH_EN: 0
; COMPUTE_PGM_RSRC2:USER_SGPR: 6
; COMPUTE_PGM_RSRC2:TRAP_HANDLER: 0
; COMPUTE_PGM_RSRC2:TGID_X_EN: 1
; COMPUTE_PGM_RSRC2:TGID_Y_EN: 0
; COMPUTE_PGM_RSRC2:TGID_Z_EN: 0
; COMPUTE_PGM_RSRC2:TIDIG_COMP_CNT: 0
	.section	.text._ZN7rocprim17ROCPRIM_400000_NS6detail17trampoline_kernelINS0_14default_configENS1_27upper_bound_config_selectorIN6thrust23THRUST_200600_302600_NS5tupleIiiNS6_9null_typeES8_S8_S8_S8_S8_S8_S8_EElEEZNS1_14transform_implILb0ES3_SA_NS6_6detail15normal_iteratorINS6_7pointerIS9_NS6_11hip_rocprim5par_tENS6_11use_defaultESH_EEEENSD_INSE_IlSG_SH_SH_EEEEZNS1_13binary_searchIS3_SA_NSD_INS6_10device_ptrIS9_EEEESJ_SL_NS1_21upper_bound_search_opENSC_16wrapped_functionINS6_6system6detail7generic6detail18binary_search_lessEbEEEE10hipError_tPvRmT1_T2_T3_mmT4_T5_P12ihipStream_tbEUlRKS9_E_EESY_S12_S13_mS14_S17_bEUlT_E_NS1_11comp_targetILNS1_3genE10ELNS1_11target_archE1201ELNS1_3gpuE5ELNS1_3repE0EEENS1_30default_config_static_selectorELNS0_4arch9wavefront6targetE0EEEvS11_,"axG",@progbits,_ZN7rocprim17ROCPRIM_400000_NS6detail17trampoline_kernelINS0_14default_configENS1_27upper_bound_config_selectorIN6thrust23THRUST_200600_302600_NS5tupleIiiNS6_9null_typeES8_S8_S8_S8_S8_S8_S8_EElEEZNS1_14transform_implILb0ES3_SA_NS6_6detail15normal_iteratorINS6_7pointerIS9_NS6_11hip_rocprim5par_tENS6_11use_defaultESH_EEEENSD_INSE_IlSG_SH_SH_EEEEZNS1_13binary_searchIS3_SA_NSD_INS6_10device_ptrIS9_EEEESJ_SL_NS1_21upper_bound_search_opENSC_16wrapped_functionINS6_6system6detail7generic6detail18binary_search_lessEbEEEE10hipError_tPvRmT1_T2_T3_mmT4_T5_P12ihipStream_tbEUlRKS9_E_EESY_S12_S13_mS14_S17_bEUlT_E_NS1_11comp_targetILNS1_3genE10ELNS1_11target_archE1201ELNS1_3gpuE5ELNS1_3repE0EEENS1_30default_config_static_selectorELNS0_4arch9wavefront6targetE0EEEvS11_,comdat
	.protected	_ZN7rocprim17ROCPRIM_400000_NS6detail17trampoline_kernelINS0_14default_configENS1_27upper_bound_config_selectorIN6thrust23THRUST_200600_302600_NS5tupleIiiNS6_9null_typeES8_S8_S8_S8_S8_S8_S8_EElEEZNS1_14transform_implILb0ES3_SA_NS6_6detail15normal_iteratorINS6_7pointerIS9_NS6_11hip_rocprim5par_tENS6_11use_defaultESH_EEEENSD_INSE_IlSG_SH_SH_EEEEZNS1_13binary_searchIS3_SA_NSD_INS6_10device_ptrIS9_EEEESJ_SL_NS1_21upper_bound_search_opENSC_16wrapped_functionINS6_6system6detail7generic6detail18binary_search_lessEbEEEE10hipError_tPvRmT1_T2_T3_mmT4_T5_P12ihipStream_tbEUlRKS9_E_EESY_S12_S13_mS14_S17_bEUlT_E_NS1_11comp_targetILNS1_3genE10ELNS1_11target_archE1201ELNS1_3gpuE5ELNS1_3repE0EEENS1_30default_config_static_selectorELNS0_4arch9wavefront6targetE0EEEvS11_ ; -- Begin function _ZN7rocprim17ROCPRIM_400000_NS6detail17trampoline_kernelINS0_14default_configENS1_27upper_bound_config_selectorIN6thrust23THRUST_200600_302600_NS5tupleIiiNS6_9null_typeES8_S8_S8_S8_S8_S8_S8_EElEEZNS1_14transform_implILb0ES3_SA_NS6_6detail15normal_iteratorINS6_7pointerIS9_NS6_11hip_rocprim5par_tENS6_11use_defaultESH_EEEENSD_INSE_IlSG_SH_SH_EEEEZNS1_13binary_searchIS3_SA_NSD_INS6_10device_ptrIS9_EEEESJ_SL_NS1_21upper_bound_search_opENSC_16wrapped_functionINS6_6system6detail7generic6detail18binary_search_lessEbEEEE10hipError_tPvRmT1_T2_T3_mmT4_T5_P12ihipStream_tbEUlRKS9_E_EESY_S12_S13_mS14_S17_bEUlT_E_NS1_11comp_targetILNS1_3genE10ELNS1_11target_archE1201ELNS1_3gpuE5ELNS1_3repE0EEENS1_30default_config_static_selectorELNS0_4arch9wavefront6targetE0EEEvS11_
	.globl	_ZN7rocprim17ROCPRIM_400000_NS6detail17trampoline_kernelINS0_14default_configENS1_27upper_bound_config_selectorIN6thrust23THRUST_200600_302600_NS5tupleIiiNS6_9null_typeES8_S8_S8_S8_S8_S8_S8_EElEEZNS1_14transform_implILb0ES3_SA_NS6_6detail15normal_iteratorINS6_7pointerIS9_NS6_11hip_rocprim5par_tENS6_11use_defaultESH_EEEENSD_INSE_IlSG_SH_SH_EEEEZNS1_13binary_searchIS3_SA_NSD_INS6_10device_ptrIS9_EEEESJ_SL_NS1_21upper_bound_search_opENSC_16wrapped_functionINS6_6system6detail7generic6detail18binary_search_lessEbEEEE10hipError_tPvRmT1_T2_T3_mmT4_T5_P12ihipStream_tbEUlRKS9_E_EESY_S12_S13_mS14_S17_bEUlT_E_NS1_11comp_targetILNS1_3genE10ELNS1_11target_archE1201ELNS1_3gpuE5ELNS1_3repE0EEENS1_30default_config_static_selectorELNS0_4arch9wavefront6targetE0EEEvS11_
	.p2align	8
	.type	_ZN7rocprim17ROCPRIM_400000_NS6detail17trampoline_kernelINS0_14default_configENS1_27upper_bound_config_selectorIN6thrust23THRUST_200600_302600_NS5tupleIiiNS6_9null_typeES8_S8_S8_S8_S8_S8_S8_EElEEZNS1_14transform_implILb0ES3_SA_NS6_6detail15normal_iteratorINS6_7pointerIS9_NS6_11hip_rocprim5par_tENS6_11use_defaultESH_EEEENSD_INSE_IlSG_SH_SH_EEEEZNS1_13binary_searchIS3_SA_NSD_INS6_10device_ptrIS9_EEEESJ_SL_NS1_21upper_bound_search_opENSC_16wrapped_functionINS6_6system6detail7generic6detail18binary_search_lessEbEEEE10hipError_tPvRmT1_T2_T3_mmT4_T5_P12ihipStream_tbEUlRKS9_E_EESY_S12_S13_mS14_S17_bEUlT_E_NS1_11comp_targetILNS1_3genE10ELNS1_11target_archE1201ELNS1_3gpuE5ELNS1_3repE0EEENS1_30default_config_static_selectorELNS0_4arch9wavefront6targetE0EEEvS11_,@function
_ZN7rocprim17ROCPRIM_400000_NS6detail17trampoline_kernelINS0_14default_configENS1_27upper_bound_config_selectorIN6thrust23THRUST_200600_302600_NS5tupleIiiNS6_9null_typeES8_S8_S8_S8_S8_S8_S8_EElEEZNS1_14transform_implILb0ES3_SA_NS6_6detail15normal_iteratorINS6_7pointerIS9_NS6_11hip_rocprim5par_tENS6_11use_defaultESH_EEEENSD_INSE_IlSG_SH_SH_EEEEZNS1_13binary_searchIS3_SA_NSD_INS6_10device_ptrIS9_EEEESJ_SL_NS1_21upper_bound_search_opENSC_16wrapped_functionINS6_6system6detail7generic6detail18binary_search_lessEbEEEE10hipError_tPvRmT1_T2_T3_mmT4_T5_P12ihipStream_tbEUlRKS9_E_EESY_S12_S13_mS14_S17_bEUlT_E_NS1_11comp_targetILNS1_3genE10ELNS1_11target_archE1201ELNS1_3gpuE5ELNS1_3repE0EEENS1_30default_config_static_selectorELNS0_4arch9wavefront6targetE0EEEvS11_: ; @_ZN7rocprim17ROCPRIM_400000_NS6detail17trampoline_kernelINS0_14default_configENS1_27upper_bound_config_selectorIN6thrust23THRUST_200600_302600_NS5tupleIiiNS6_9null_typeES8_S8_S8_S8_S8_S8_S8_EElEEZNS1_14transform_implILb0ES3_SA_NS6_6detail15normal_iteratorINS6_7pointerIS9_NS6_11hip_rocprim5par_tENS6_11use_defaultESH_EEEENSD_INSE_IlSG_SH_SH_EEEEZNS1_13binary_searchIS3_SA_NSD_INS6_10device_ptrIS9_EEEESJ_SL_NS1_21upper_bound_search_opENSC_16wrapped_functionINS6_6system6detail7generic6detail18binary_search_lessEbEEEE10hipError_tPvRmT1_T2_T3_mmT4_T5_P12ihipStream_tbEUlRKS9_E_EESY_S12_S13_mS14_S17_bEUlT_E_NS1_11comp_targetILNS1_3genE10ELNS1_11target_archE1201ELNS1_3gpuE5ELNS1_3repE0EEENS1_30default_config_static_selectorELNS0_4arch9wavefront6targetE0EEEvS11_
; %bb.0:
	.section	.rodata,"a",@progbits
	.p2align	6, 0x0
	.amdhsa_kernel _ZN7rocprim17ROCPRIM_400000_NS6detail17trampoline_kernelINS0_14default_configENS1_27upper_bound_config_selectorIN6thrust23THRUST_200600_302600_NS5tupleIiiNS6_9null_typeES8_S8_S8_S8_S8_S8_S8_EElEEZNS1_14transform_implILb0ES3_SA_NS6_6detail15normal_iteratorINS6_7pointerIS9_NS6_11hip_rocprim5par_tENS6_11use_defaultESH_EEEENSD_INSE_IlSG_SH_SH_EEEEZNS1_13binary_searchIS3_SA_NSD_INS6_10device_ptrIS9_EEEESJ_SL_NS1_21upper_bound_search_opENSC_16wrapped_functionINS6_6system6detail7generic6detail18binary_search_lessEbEEEE10hipError_tPvRmT1_T2_T3_mmT4_T5_P12ihipStream_tbEUlRKS9_E_EESY_S12_S13_mS14_S17_bEUlT_E_NS1_11comp_targetILNS1_3genE10ELNS1_11target_archE1201ELNS1_3gpuE5ELNS1_3repE0EEENS1_30default_config_static_selectorELNS0_4arch9wavefront6targetE0EEEvS11_
		.amdhsa_group_segment_fixed_size 0
		.amdhsa_private_segment_fixed_size 0
		.amdhsa_kernarg_size 56
		.amdhsa_user_sgpr_count 6
		.amdhsa_user_sgpr_private_segment_buffer 1
		.amdhsa_user_sgpr_dispatch_ptr 0
		.amdhsa_user_sgpr_queue_ptr 0
		.amdhsa_user_sgpr_kernarg_segment_ptr 1
		.amdhsa_user_sgpr_dispatch_id 0
		.amdhsa_user_sgpr_flat_scratch_init 0
		.amdhsa_user_sgpr_private_segment_size 0
		.amdhsa_wavefront_size32 1
		.amdhsa_uses_dynamic_stack 0
		.amdhsa_system_sgpr_private_segment_wavefront_offset 0
		.amdhsa_system_sgpr_workgroup_id_x 1
		.amdhsa_system_sgpr_workgroup_id_y 0
		.amdhsa_system_sgpr_workgroup_id_z 0
		.amdhsa_system_sgpr_workgroup_info 0
		.amdhsa_system_vgpr_workitem_id 0
		.amdhsa_next_free_vgpr 1
		.amdhsa_next_free_sgpr 1
		.amdhsa_reserve_vcc 0
		.amdhsa_reserve_flat_scratch 0
		.amdhsa_float_round_mode_32 0
		.amdhsa_float_round_mode_16_64 0
		.amdhsa_float_denorm_mode_32 3
		.amdhsa_float_denorm_mode_16_64 3
		.amdhsa_dx10_clamp 1
		.amdhsa_ieee_mode 1
		.amdhsa_fp16_overflow 0
		.amdhsa_workgroup_processor_mode 1
		.amdhsa_memory_ordered 1
		.amdhsa_forward_progress 1
		.amdhsa_shared_vgpr_count 0
		.amdhsa_exception_fp_ieee_invalid_op 0
		.amdhsa_exception_fp_denorm_src 0
		.amdhsa_exception_fp_ieee_div_zero 0
		.amdhsa_exception_fp_ieee_overflow 0
		.amdhsa_exception_fp_ieee_underflow 0
		.amdhsa_exception_fp_ieee_inexact 0
		.amdhsa_exception_int_div_zero 0
	.end_amdhsa_kernel
	.section	.text._ZN7rocprim17ROCPRIM_400000_NS6detail17trampoline_kernelINS0_14default_configENS1_27upper_bound_config_selectorIN6thrust23THRUST_200600_302600_NS5tupleIiiNS6_9null_typeES8_S8_S8_S8_S8_S8_S8_EElEEZNS1_14transform_implILb0ES3_SA_NS6_6detail15normal_iteratorINS6_7pointerIS9_NS6_11hip_rocprim5par_tENS6_11use_defaultESH_EEEENSD_INSE_IlSG_SH_SH_EEEEZNS1_13binary_searchIS3_SA_NSD_INS6_10device_ptrIS9_EEEESJ_SL_NS1_21upper_bound_search_opENSC_16wrapped_functionINS6_6system6detail7generic6detail18binary_search_lessEbEEEE10hipError_tPvRmT1_T2_T3_mmT4_T5_P12ihipStream_tbEUlRKS9_E_EESY_S12_S13_mS14_S17_bEUlT_E_NS1_11comp_targetILNS1_3genE10ELNS1_11target_archE1201ELNS1_3gpuE5ELNS1_3repE0EEENS1_30default_config_static_selectorELNS0_4arch9wavefront6targetE0EEEvS11_,"axG",@progbits,_ZN7rocprim17ROCPRIM_400000_NS6detail17trampoline_kernelINS0_14default_configENS1_27upper_bound_config_selectorIN6thrust23THRUST_200600_302600_NS5tupleIiiNS6_9null_typeES8_S8_S8_S8_S8_S8_S8_EElEEZNS1_14transform_implILb0ES3_SA_NS6_6detail15normal_iteratorINS6_7pointerIS9_NS6_11hip_rocprim5par_tENS6_11use_defaultESH_EEEENSD_INSE_IlSG_SH_SH_EEEEZNS1_13binary_searchIS3_SA_NSD_INS6_10device_ptrIS9_EEEESJ_SL_NS1_21upper_bound_search_opENSC_16wrapped_functionINS6_6system6detail7generic6detail18binary_search_lessEbEEEE10hipError_tPvRmT1_T2_T3_mmT4_T5_P12ihipStream_tbEUlRKS9_E_EESY_S12_S13_mS14_S17_bEUlT_E_NS1_11comp_targetILNS1_3genE10ELNS1_11target_archE1201ELNS1_3gpuE5ELNS1_3repE0EEENS1_30default_config_static_selectorELNS0_4arch9wavefront6targetE0EEEvS11_,comdat
.Lfunc_end604:
	.size	_ZN7rocprim17ROCPRIM_400000_NS6detail17trampoline_kernelINS0_14default_configENS1_27upper_bound_config_selectorIN6thrust23THRUST_200600_302600_NS5tupleIiiNS6_9null_typeES8_S8_S8_S8_S8_S8_S8_EElEEZNS1_14transform_implILb0ES3_SA_NS6_6detail15normal_iteratorINS6_7pointerIS9_NS6_11hip_rocprim5par_tENS6_11use_defaultESH_EEEENSD_INSE_IlSG_SH_SH_EEEEZNS1_13binary_searchIS3_SA_NSD_INS6_10device_ptrIS9_EEEESJ_SL_NS1_21upper_bound_search_opENSC_16wrapped_functionINS6_6system6detail7generic6detail18binary_search_lessEbEEEE10hipError_tPvRmT1_T2_T3_mmT4_T5_P12ihipStream_tbEUlRKS9_E_EESY_S12_S13_mS14_S17_bEUlT_E_NS1_11comp_targetILNS1_3genE10ELNS1_11target_archE1201ELNS1_3gpuE5ELNS1_3repE0EEENS1_30default_config_static_selectorELNS0_4arch9wavefront6targetE0EEEvS11_, .Lfunc_end604-_ZN7rocprim17ROCPRIM_400000_NS6detail17trampoline_kernelINS0_14default_configENS1_27upper_bound_config_selectorIN6thrust23THRUST_200600_302600_NS5tupleIiiNS6_9null_typeES8_S8_S8_S8_S8_S8_S8_EElEEZNS1_14transform_implILb0ES3_SA_NS6_6detail15normal_iteratorINS6_7pointerIS9_NS6_11hip_rocprim5par_tENS6_11use_defaultESH_EEEENSD_INSE_IlSG_SH_SH_EEEEZNS1_13binary_searchIS3_SA_NSD_INS6_10device_ptrIS9_EEEESJ_SL_NS1_21upper_bound_search_opENSC_16wrapped_functionINS6_6system6detail7generic6detail18binary_search_lessEbEEEE10hipError_tPvRmT1_T2_T3_mmT4_T5_P12ihipStream_tbEUlRKS9_E_EESY_S12_S13_mS14_S17_bEUlT_E_NS1_11comp_targetILNS1_3genE10ELNS1_11target_archE1201ELNS1_3gpuE5ELNS1_3repE0EEENS1_30default_config_static_selectorELNS0_4arch9wavefront6targetE0EEEvS11_
                                        ; -- End function
	.set _ZN7rocprim17ROCPRIM_400000_NS6detail17trampoline_kernelINS0_14default_configENS1_27upper_bound_config_selectorIN6thrust23THRUST_200600_302600_NS5tupleIiiNS6_9null_typeES8_S8_S8_S8_S8_S8_S8_EElEEZNS1_14transform_implILb0ES3_SA_NS6_6detail15normal_iteratorINS6_7pointerIS9_NS6_11hip_rocprim5par_tENS6_11use_defaultESH_EEEENSD_INSE_IlSG_SH_SH_EEEEZNS1_13binary_searchIS3_SA_NSD_INS6_10device_ptrIS9_EEEESJ_SL_NS1_21upper_bound_search_opENSC_16wrapped_functionINS6_6system6detail7generic6detail18binary_search_lessEbEEEE10hipError_tPvRmT1_T2_T3_mmT4_T5_P12ihipStream_tbEUlRKS9_E_EESY_S12_S13_mS14_S17_bEUlT_E_NS1_11comp_targetILNS1_3genE10ELNS1_11target_archE1201ELNS1_3gpuE5ELNS1_3repE0EEENS1_30default_config_static_selectorELNS0_4arch9wavefront6targetE0EEEvS11_.num_vgpr, 0
	.set _ZN7rocprim17ROCPRIM_400000_NS6detail17trampoline_kernelINS0_14default_configENS1_27upper_bound_config_selectorIN6thrust23THRUST_200600_302600_NS5tupleIiiNS6_9null_typeES8_S8_S8_S8_S8_S8_S8_EElEEZNS1_14transform_implILb0ES3_SA_NS6_6detail15normal_iteratorINS6_7pointerIS9_NS6_11hip_rocprim5par_tENS6_11use_defaultESH_EEEENSD_INSE_IlSG_SH_SH_EEEEZNS1_13binary_searchIS3_SA_NSD_INS6_10device_ptrIS9_EEEESJ_SL_NS1_21upper_bound_search_opENSC_16wrapped_functionINS6_6system6detail7generic6detail18binary_search_lessEbEEEE10hipError_tPvRmT1_T2_T3_mmT4_T5_P12ihipStream_tbEUlRKS9_E_EESY_S12_S13_mS14_S17_bEUlT_E_NS1_11comp_targetILNS1_3genE10ELNS1_11target_archE1201ELNS1_3gpuE5ELNS1_3repE0EEENS1_30default_config_static_selectorELNS0_4arch9wavefront6targetE0EEEvS11_.num_agpr, 0
	.set _ZN7rocprim17ROCPRIM_400000_NS6detail17trampoline_kernelINS0_14default_configENS1_27upper_bound_config_selectorIN6thrust23THRUST_200600_302600_NS5tupleIiiNS6_9null_typeES8_S8_S8_S8_S8_S8_S8_EElEEZNS1_14transform_implILb0ES3_SA_NS6_6detail15normal_iteratorINS6_7pointerIS9_NS6_11hip_rocprim5par_tENS6_11use_defaultESH_EEEENSD_INSE_IlSG_SH_SH_EEEEZNS1_13binary_searchIS3_SA_NSD_INS6_10device_ptrIS9_EEEESJ_SL_NS1_21upper_bound_search_opENSC_16wrapped_functionINS6_6system6detail7generic6detail18binary_search_lessEbEEEE10hipError_tPvRmT1_T2_T3_mmT4_T5_P12ihipStream_tbEUlRKS9_E_EESY_S12_S13_mS14_S17_bEUlT_E_NS1_11comp_targetILNS1_3genE10ELNS1_11target_archE1201ELNS1_3gpuE5ELNS1_3repE0EEENS1_30default_config_static_selectorELNS0_4arch9wavefront6targetE0EEEvS11_.numbered_sgpr, 0
	.set _ZN7rocprim17ROCPRIM_400000_NS6detail17trampoline_kernelINS0_14default_configENS1_27upper_bound_config_selectorIN6thrust23THRUST_200600_302600_NS5tupleIiiNS6_9null_typeES8_S8_S8_S8_S8_S8_S8_EElEEZNS1_14transform_implILb0ES3_SA_NS6_6detail15normal_iteratorINS6_7pointerIS9_NS6_11hip_rocprim5par_tENS6_11use_defaultESH_EEEENSD_INSE_IlSG_SH_SH_EEEEZNS1_13binary_searchIS3_SA_NSD_INS6_10device_ptrIS9_EEEESJ_SL_NS1_21upper_bound_search_opENSC_16wrapped_functionINS6_6system6detail7generic6detail18binary_search_lessEbEEEE10hipError_tPvRmT1_T2_T3_mmT4_T5_P12ihipStream_tbEUlRKS9_E_EESY_S12_S13_mS14_S17_bEUlT_E_NS1_11comp_targetILNS1_3genE10ELNS1_11target_archE1201ELNS1_3gpuE5ELNS1_3repE0EEENS1_30default_config_static_selectorELNS0_4arch9wavefront6targetE0EEEvS11_.num_named_barrier, 0
	.set _ZN7rocprim17ROCPRIM_400000_NS6detail17trampoline_kernelINS0_14default_configENS1_27upper_bound_config_selectorIN6thrust23THRUST_200600_302600_NS5tupleIiiNS6_9null_typeES8_S8_S8_S8_S8_S8_S8_EElEEZNS1_14transform_implILb0ES3_SA_NS6_6detail15normal_iteratorINS6_7pointerIS9_NS6_11hip_rocprim5par_tENS6_11use_defaultESH_EEEENSD_INSE_IlSG_SH_SH_EEEEZNS1_13binary_searchIS3_SA_NSD_INS6_10device_ptrIS9_EEEESJ_SL_NS1_21upper_bound_search_opENSC_16wrapped_functionINS6_6system6detail7generic6detail18binary_search_lessEbEEEE10hipError_tPvRmT1_T2_T3_mmT4_T5_P12ihipStream_tbEUlRKS9_E_EESY_S12_S13_mS14_S17_bEUlT_E_NS1_11comp_targetILNS1_3genE10ELNS1_11target_archE1201ELNS1_3gpuE5ELNS1_3repE0EEENS1_30default_config_static_selectorELNS0_4arch9wavefront6targetE0EEEvS11_.private_seg_size, 0
	.set _ZN7rocprim17ROCPRIM_400000_NS6detail17trampoline_kernelINS0_14default_configENS1_27upper_bound_config_selectorIN6thrust23THRUST_200600_302600_NS5tupleIiiNS6_9null_typeES8_S8_S8_S8_S8_S8_S8_EElEEZNS1_14transform_implILb0ES3_SA_NS6_6detail15normal_iteratorINS6_7pointerIS9_NS6_11hip_rocprim5par_tENS6_11use_defaultESH_EEEENSD_INSE_IlSG_SH_SH_EEEEZNS1_13binary_searchIS3_SA_NSD_INS6_10device_ptrIS9_EEEESJ_SL_NS1_21upper_bound_search_opENSC_16wrapped_functionINS6_6system6detail7generic6detail18binary_search_lessEbEEEE10hipError_tPvRmT1_T2_T3_mmT4_T5_P12ihipStream_tbEUlRKS9_E_EESY_S12_S13_mS14_S17_bEUlT_E_NS1_11comp_targetILNS1_3genE10ELNS1_11target_archE1201ELNS1_3gpuE5ELNS1_3repE0EEENS1_30default_config_static_selectorELNS0_4arch9wavefront6targetE0EEEvS11_.uses_vcc, 0
	.set _ZN7rocprim17ROCPRIM_400000_NS6detail17trampoline_kernelINS0_14default_configENS1_27upper_bound_config_selectorIN6thrust23THRUST_200600_302600_NS5tupleIiiNS6_9null_typeES8_S8_S8_S8_S8_S8_S8_EElEEZNS1_14transform_implILb0ES3_SA_NS6_6detail15normal_iteratorINS6_7pointerIS9_NS6_11hip_rocprim5par_tENS6_11use_defaultESH_EEEENSD_INSE_IlSG_SH_SH_EEEEZNS1_13binary_searchIS3_SA_NSD_INS6_10device_ptrIS9_EEEESJ_SL_NS1_21upper_bound_search_opENSC_16wrapped_functionINS6_6system6detail7generic6detail18binary_search_lessEbEEEE10hipError_tPvRmT1_T2_T3_mmT4_T5_P12ihipStream_tbEUlRKS9_E_EESY_S12_S13_mS14_S17_bEUlT_E_NS1_11comp_targetILNS1_3genE10ELNS1_11target_archE1201ELNS1_3gpuE5ELNS1_3repE0EEENS1_30default_config_static_selectorELNS0_4arch9wavefront6targetE0EEEvS11_.uses_flat_scratch, 0
	.set _ZN7rocprim17ROCPRIM_400000_NS6detail17trampoline_kernelINS0_14default_configENS1_27upper_bound_config_selectorIN6thrust23THRUST_200600_302600_NS5tupleIiiNS6_9null_typeES8_S8_S8_S8_S8_S8_S8_EElEEZNS1_14transform_implILb0ES3_SA_NS6_6detail15normal_iteratorINS6_7pointerIS9_NS6_11hip_rocprim5par_tENS6_11use_defaultESH_EEEENSD_INSE_IlSG_SH_SH_EEEEZNS1_13binary_searchIS3_SA_NSD_INS6_10device_ptrIS9_EEEESJ_SL_NS1_21upper_bound_search_opENSC_16wrapped_functionINS6_6system6detail7generic6detail18binary_search_lessEbEEEE10hipError_tPvRmT1_T2_T3_mmT4_T5_P12ihipStream_tbEUlRKS9_E_EESY_S12_S13_mS14_S17_bEUlT_E_NS1_11comp_targetILNS1_3genE10ELNS1_11target_archE1201ELNS1_3gpuE5ELNS1_3repE0EEENS1_30default_config_static_selectorELNS0_4arch9wavefront6targetE0EEEvS11_.has_dyn_sized_stack, 0
	.set _ZN7rocprim17ROCPRIM_400000_NS6detail17trampoline_kernelINS0_14default_configENS1_27upper_bound_config_selectorIN6thrust23THRUST_200600_302600_NS5tupleIiiNS6_9null_typeES8_S8_S8_S8_S8_S8_S8_EElEEZNS1_14transform_implILb0ES3_SA_NS6_6detail15normal_iteratorINS6_7pointerIS9_NS6_11hip_rocprim5par_tENS6_11use_defaultESH_EEEENSD_INSE_IlSG_SH_SH_EEEEZNS1_13binary_searchIS3_SA_NSD_INS6_10device_ptrIS9_EEEESJ_SL_NS1_21upper_bound_search_opENSC_16wrapped_functionINS6_6system6detail7generic6detail18binary_search_lessEbEEEE10hipError_tPvRmT1_T2_T3_mmT4_T5_P12ihipStream_tbEUlRKS9_E_EESY_S12_S13_mS14_S17_bEUlT_E_NS1_11comp_targetILNS1_3genE10ELNS1_11target_archE1201ELNS1_3gpuE5ELNS1_3repE0EEENS1_30default_config_static_selectorELNS0_4arch9wavefront6targetE0EEEvS11_.has_recursion, 0
	.set _ZN7rocprim17ROCPRIM_400000_NS6detail17trampoline_kernelINS0_14default_configENS1_27upper_bound_config_selectorIN6thrust23THRUST_200600_302600_NS5tupleIiiNS6_9null_typeES8_S8_S8_S8_S8_S8_S8_EElEEZNS1_14transform_implILb0ES3_SA_NS6_6detail15normal_iteratorINS6_7pointerIS9_NS6_11hip_rocprim5par_tENS6_11use_defaultESH_EEEENSD_INSE_IlSG_SH_SH_EEEEZNS1_13binary_searchIS3_SA_NSD_INS6_10device_ptrIS9_EEEESJ_SL_NS1_21upper_bound_search_opENSC_16wrapped_functionINS6_6system6detail7generic6detail18binary_search_lessEbEEEE10hipError_tPvRmT1_T2_T3_mmT4_T5_P12ihipStream_tbEUlRKS9_E_EESY_S12_S13_mS14_S17_bEUlT_E_NS1_11comp_targetILNS1_3genE10ELNS1_11target_archE1201ELNS1_3gpuE5ELNS1_3repE0EEENS1_30default_config_static_selectorELNS0_4arch9wavefront6targetE0EEEvS11_.has_indirect_call, 0
	.section	.AMDGPU.csdata,"",@progbits
; Kernel info:
; codeLenInByte = 0
; TotalNumSgprs: 0
; NumVgprs: 0
; ScratchSize: 0
; MemoryBound: 0
; FloatMode: 240
; IeeeMode: 1
; LDSByteSize: 0 bytes/workgroup (compile time only)
; SGPRBlocks: 0
; VGPRBlocks: 0
; NumSGPRsForWavesPerEU: 1
; NumVGPRsForWavesPerEU: 1
; Occupancy: 16
; WaveLimiterHint : 0
; COMPUTE_PGM_RSRC2:SCRATCH_EN: 0
; COMPUTE_PGM_RSRC2:USER_SGPR: 6
; COMPUTE_PGM_RSRC2:TRAP_HANDLER: 0
; COMPUTE_PGM_RSRC2:TGID_X_EN: 1
; COMPUTE_PGM_RSRC2:TGID_Y_EN: 0
; COMPUTE_PGM_RSRC2:TGID_Z_EN: 0
; COMPUTE_PGM_RSRC2:TIDIG_COMP_CNT: 0
	.section	.text._ZN7rocprim17ROCPRIM_400000_NS6detail17trampoline_kernelINS0_14default_configENS1_27upper_bound_config_selectorIN6thrust23THRUST_200600_302600_NS5tupleIiiNS6_9null_typeES8_S8_S8_S8_S8_S8_S8_EElEEZNS1_14transform_implILb0ES3_SA_NS6_6detail15normal_iteratorINS6_7pointerIS9_NS6_11hip_rocprim5par_tENS6_11use_defaultESH_EEEENSD_INSE_IlSG_SH_SH_EEEEZNS1_13binary_searchIS3_SA_NSD_INS6_10device_ptrIS9_EEEESJ_SL_NS1_21upper_bound_search_opENSC_16wrapped_functionINS6_6system6detail7generic6detail18binary_search_lessEbEEEE10hipError_tPvRmT1_T2_T3_mmT4_T5_P12ihipStream_tbEUlRKS9_E_EESY_S12_S13_mS14_S17_bEUlT_E_NS1_11comp_targetILNS1_3genE10ELNS1_11target_archE1200ELNS1_3gpuE4ELNS1_3repE0EEENS1_30default_config_static_selectorELNS0_4arch9wavefront6targetE0EEEvS11_,"axG",@progbits,_ZN7rocprim17ROCPRIM_400000_NS6detail17trampoline_kernelINS0_14default_configENS1_27upper_bound_config_selectorIN6thrust23THRUST_200600_302600_NS5tupleIiiNS6_9null_typeES8_S8_S8_S8_S8_S8_S8_EElEEZNS1_14transform_implILb0ES3_SA_NS6_6detail15normal_iteratorINS6_7pointerIS9_NS6_11hip_rocprim5par_tENS6_11use_defaultESH_EEEENSD_INSE_IlSG_SH_SH_EEEEZNS1_13binary_searchIS3_SA_NSD_INS6_10device_ptrIS9_EEEESJ_SL_NS1_21upper_bound_search_opENSC_16wrapped_functionINS6_6system6detail7generic6detail18binary_search_lessEbEEEE10hipError_tPvRmT1_T2_T3_mmT4_T5_P12ihipStream_tbEUlRKS9_E_EESY_S12_S13_mS14_S17_bEUlT_E_NS1_11comp_targetILNS1_3genE10ELNS1_11target_archE1200ELNS1_3gpuE4ELNS1_3repE0EEENS1_30default_config_static_selectorELNS0_4arch9wavefront6targetE0EEEvS11_,comdat
	.protected	_ZN7rocprim17ROCPRIM_400000_NS6detail17trampoline_kernelINS0_14default_configENS1_27upper_bound_config_selectorIN6thrust23THRUST_200600_302600_NS5tupleIiiNS6_9null_typeES8_S8_S8_S8_S8_S8_S8_EElEEZNS1_14transform_implILb0ES3_SA_NS6_6detail15normal_iteratorINS6_7pointerIS9_NS6_11hip_rocprim5par_tENS6_11use_defaultESH_EEEENSD_INSE_IlSG_SH_SH_EEEEZNS1_13binary_searchIS3_SA_NSD_INS6_10device_ptrIS9_EEEESJ_SL_NS1_21upper_bound_search_opENSC_16wrapped_functionINS6_6system6detail7generic6detail18binary_search_lessEbEEEE10hipError_tPvRmT1_T2_T3_mmT4_T5_P12ihipStream_tbEUlRKS9_E_EESY_S12_S13_mS14_S17_bEUlT_E_NS1_11comp_targetILNS1_3genE10ELNS1_11target_archE1200ELNS1_3gpuE4ELNS1_3repE0EEENS1_30default_config_static_selectorELNS0_4arch9wavefront6targetE0EEEvS11_ ; -- Begin function _ZN7rocprim17ROCPRIM_400000_NS6detail17trampoline_kernelINS0_14default_configENS1_27upper_bound_config_selectorIN6thrust23THRUST_200600_302600_NS5tupleIiiNS6_9null_typeES8_S8_S8_S8_S8_S8_S8_EElEEZNS1_14transform_implILb0ES3_SA_NS6_6detail15normal_iteratorINS6_7pointerIS9_NS6_11hip_rocprim5par_tENS6_11use_defaultESH_EEEENSD_INSE_IlSG_SH_SH_EEEEZNS1_13binary_searchIS3_SA_NSD_INS6_10device_ptrIS9_EEEESJ_SL_NS1_21upper_bound_search_opENSC_16wrapped_functionINS6_6system6detail7generic6detail18binary_search_lessEbEEEE10hipError_tPvRmT1_T2_T3_mmT4_T5_P12ihipStream_tbEUlRKS9_E_EESY_S12_S13_mS14_S17_bEUlT_E_NS1_11comp_targetILNS1_3genE10ELNS1_11target_archE1200ELNS1_3gpuE4ELNS1_3repE0EEENS1_30default_config_static_selectorELNS0_4arch9wavefront6targetE0EEEvS11_
	.globl	_ZN7rocprim17ROCPRIM_400000_NS6detail17trampoline_kernelINS0_14default_configENS1_27upper_bound_config_selectorIN6thrust23THRUST_200600_302600_NS5tupleIiiNS6_9null_typeES8_S8_S8_S8_S8_S8_S8_EElEEZNS1_14transform_implILb0ES3_SA_NS6_6detail15normal_iteratorINS6_7pointerIS9_NS6_11hip_rocprim5par_tENS6_11use_defaultESH_EEEENSD_INSE_IlSG_SH_SH_EEEEZNS1_13binary_searchIS3_SA_NSD_INS6_10device_ptrIS9_EEEESJ_SL_NS1_21upper_bound_search_opENSC_16wrapped_functionINS6_6system6detail7generic6detail18binary_search_lessEbEEEE10hipError_tPvRmT1_T2_T3_mmT4_T5_P12ihipStream_tbEUlRKS9_E_EESY_S12_S13_mS14_S17_bEUlT_E_NS1_11comp_targetILNS1_3genE10ELNS1_11target_archE1200ELNS1_3gpuE4ELNS1_3repE0EEENS1_30default_config_static_selectorELNS0_4arch9wavefront6targetE0EEEvS11_
	.p2align	8
	.type	_ZN7rocprim17ROCPRIM_400000_NS6detail17trampoline_kernelINS0_14default_configENS1_27upper_bound_config_selectorIN6thrust23THRUST_200600_302600_NS5tupleIiiNS6_9null_typeES8_S8_S8_S8_S8_S8_S8_EElEEZNS1_14transform_implILb0ES3_SA_NS6_6detail15normal_iteratorINS6_7pointerIS9_NS6_11hip_rocprim5par_tENS6_11use_defaultESH_EEEENSD_INSE_IlSG_SH_SH_EEEEZNS1_13binary_searchIS3_SA_NSD_INS6_10device_ptrIS9_EEEESJ_SL_NS1_21upper_bound_search_opENSC_16wrapped_functionINS6_6system6detail7generic6detail18binary_search_lessEbEEEE10hipError_tPvRmT1_T2_T3_mmT4_T5_P12ihipStream_tbEUlRKS9_E_EESY_S12_S13_mS14_S17_bEUlT_E_NS1_11comp_targetILNS1_3genE10ELNS1_11target_archE1200ELNS1_3gpuE4ELNS1_3repE0EEENS1_30default_config_static_selectorELNS0_4arch9wavefront6targetE0EEEvS11_,@function
_ZN7rocprim17ROCPRIM_400000_NS6detail17trampoline_kernelINS0_14default_configENS1_27upper_bound_config_selectorIN6thrust23THRUST_200600_302600_NS5tupleIiiNS6_9null_typeES8_S8_S8_S8_S8_S8_S8_EElEEZNS1_14transform_implILb0ES3_SA_NS6_6detail15normal_iteratorINS6_7pointerIS9_NS6_11hip_rocprim5par_tENS6_11use_defaultESH_EEEENSD_INSE_IlSG_SH_SH_EEEEZNS1_13binary_searchIS3_SA_NSD_INS6_10device_ptrIS9_EEEESJ_SL_NS1_21upper_bound_search_opENSC_16wrapped_functionINS6_6system6detail7generic6detail18binary_search_lessEbEEEE10hipError_tPvRmT1_T2_T3_mmT4_T5_P12ihipStream_tbEUlRKS9_E_EESY_S12_S13_mS14_S17_bEUlT_E_NS1_11comp_targetILNS1_3genE10ELNS1_11target_archE1200ELNS1_3gpuE4ELNS1_3repE0EEENS1_30default_config_static_selectorELNS0_4arch9wavefront6targetE0EEEvS11_: ; @_ZN7rocprim17ROCPRIM_400000_NS6detail17trampoline_kernelINS0_14default_configENS1_27upper_bound_config_selectorIN6thrust23THRUST_200600_302600_NS5tupleIiiNS6_9null_typeES8_S8_S8_S8_S8_S8_S8_EElEEZNS1_14transform_implILb0ES3_SA_NS6_6detail15normal_iteratorINS6_7pointerIS9_NS6_11hip_rocprim5par_tENS6_11use_defaultESH_EEEENSD_INSE_IlSG_SH_SH_EEEEZNS1_13binary_searchIS3_SA_NSD_INS6_10device_ptrIS9_EEEESJ_SL_NS1_21upper_bound_search_opENSC_16wrapped_functionINS6_6system6detail7generic6detail18binary_search_lessEbEEEE10hipError_tPvRmT1_T2_T3_mmT4_T5_P12ihipStream_tbEUlRKS9_E_EESY_S12_S13_mS14_S17_bEUlT_E_NS1_11comp_targetILNS1_3genE10ELNS1_11target_archE1200ELNS1_3gpuE4ELNS1_3repE0EEENS1_30default_config_static_selectorELNS0_4arch9wavefront6targetE0EEEvS11_
; %bb.0:
	.section	.rodata,"a",@progbits
	.p2align	6, 0x0
	.amdhsa_kernel _ZN7rocprim17ROCPRIM_400000_NS6detail17trampoline_kernelINS0_14default_configENS1_27upper_bound_config_selectorIN6thrust23THRUST_200600_302600_NS5tupleIiiNS6_9null_typeES8_S8_S8_S8_S8_S8_S8_EElEEZNS1_14transform_implILb0ES3_SA_NS6_6detail15normal_iteratorINS6_7pointerIS9_NS6_11hip_rocprim5par_tENS6_11use_defaultESH_EEEENSD_INSE_IlSG_SH_SH_EEEEZNS1_13binary_searchIS3_SA_NSD_INS6_10device_ptrIS9_EEEESJ_SL_NS1_21upper_bound_search_opENSC_16wrapped_functionINS6_6system6detail7generic6detail18binary_search_lessEbEEEE10hipError_tPvRmT1_T2_T3_mmT4_T5_P12ihipStream_tbEUlRKS9_E_EESY_S12_S13_mS14_S17_bEUlT_E_NS1_11comp_targetILNS1_3genE10ELNS1_11target_archE1200ELNS1_3gpuE4ELNS1_3repE0EEENS1_30default_config_static_selectorELNS0_4arch9wavefront6targetE0EEEvS11_
		.amdhsa_group_segment_fixed_size 0
		.amdhsa_private_segment_fixed_size 0
		.amdhsa_kernarg_size 56
		.amdhsa_user_sgpr_count 6
		.amdhsa_user_sgpr_private_segment_buffer 1
		.amdhsa_user_sgpr_dispatch_ptr 0
		.amdhsa_user_sgpr_queue_ptr 0
		.amdhsa_user_sgpr_kernarg_segment_ptr 1
		.amdhsa_user_sgpr_dispatch_id 0
		.amdhsa_user_sgpr_flat_scratch_init 0
		.amdhsa_user_sgpr_private_segment_size 0
		.amdhsa_wavefront_size32 1
		.amdhsa_uses_dynamic_stack 0
		.amdhsa_system_sgpr_private_segment_wavefront_offset 0
		.amdhsa_system_sgpr_workgroup_id_x 1
		.amdhsa_system_sgpr_workgroup_id_y 0
		.amdhsa_system_sgpr_workgroup_id_z 0
		.amdhsa_system_sgpr_workgroup_info 0
		.amdhsa_system_vgpr_workitem_id 0
		.amdhsa_next_free_vgpr 1
		.amdhsa_next_free_sgpr 1
		.amdhsa_reserve_vcc 0
		.amdhsa_reserve_flat_scratch 0
		.amdhsa_float_round_mode_32 0
		.amdhsa_float_round_mode_16_64 0
		.amdhsa_float_denorm_mode_32 3
		.amdhsa_float_denorm_mode_16_64 3
		.amdhsa_dx10_clamp 1
		.amdhsa_ieee_mode 1
		.amdhsa_fp16_overflow 0
		.amdhsa_workgroup_processor_mode 1
		.amdhsa_memory_ordered 1
		.amdhsa_forward_progress 1
		.amdhsa_shared_vgpr_count 0
		.amdhsa_exception_fp_ieee_invalid_op 0
		.amdhsa_exception_fp_denorm_src 0
		.amdhsa_exception_fp_ieee_div_zero 0
		.amdhsa_exception_fp_ieee_overflow 0
		.amdhsa_exception_fp_ieee_underflow 0
		.amdhsa_exception_fp_ieee_inexact 0
		.amdhsa_exception_int_div_zero 0
	.end_amdhsa_kernel
	.section	.text._ZN7rocprim17ROCPRIM_400000_NS6detail17trampoline_kernelINS0_14default_configENS1_27upper_bound_config_selectorIN6thrust23THRUST_200600_302600_NS5tupleIiiNS6_9null_typeES8_S8_S8_S8_S8_S8_S8_EElEEZNS1_14transform_implILb0ES3_SA_NS6_6detail15normal_iteratorINS6_7pointerIS9_NS6_11hip_rocprim5par_tENS6_11use_defaultESH_EEEENSD_INSE_IlSG_SH_SH_EEEEZNS1_13binary_searchIS3_SA_NSD_INS6_10device_ptrIS9_EEEESJ_SL_NS1_21upper_bound_search_opENSC_16wrapped_functionINS6_6system6detail7generic6detail18binary_search_lessEbEEEE10hipError_tPvRmT1_T2_T3_mmT4_T5_P12ihipStream_tbEUlRKS9_E_EESY_S12_S13_mS14_S17_bEUlT_E_NS1_11comp_targetILNS1_3genE10ELNS1_11target_archE1200ELNS1_3gpuE4ELNS1_3repE0EEENS1_30default_config_static_selectorELNS0_4arch9wavefront6targetE0EEEvS11_,"axG",@progbits,_ZN7rocprim17ROCPRIM_400000_NS6detail17trampoline_kernelINS0_14default_configENS1_27upper_bound_config_selectorIN6thrust23THRUST_200600_302600_NS5tupleIiiNS6_9null_typeES8_S8_S8_S8_S8_S8_S8_EElEEZNS1_14transform_implILb0ES3_SA_NS6_6detail15normal_iteratorINS6_7pointerIS9_NS6_11hip_rocprim5par_tENS6_11use_defaultESH_EEEENSD_INSE_IlSG_SH_SH_EEEEZNS1_13binary_searchIS3_SA_NSD_INS6_10device_ptrIS9_EEEESJ_SL_NS1_21upper_bound_search_opENSC_16wrapped_functionINS6_6system6detail7generic6detail18binary_search_lessEbEEEE10hipError_tPvRmT1_T2_T3_mmT4_T5_P12ihipStream_tbEUlRKS9_E_EESY_S12_S13_mS14_S17_bEUlT_E_NS1_11comp_targetILNS1_3genE10ELNS1_11target_archE1200ELNS1_3gpuE4ELNS1_3repE0EEENS1_30default_config_static_selectorELNS0_4arch9wavefront6targetE0EEEvS11_,comdat
.Lfunc_end605:
	.size	_ZN7rocprim17ROCPRIM_400000_NS6detail17trampoline_kernelINS0_14default_configENS1_27upper_bound_config_selectorIN6thrust23THRUST_200600_302600_NS5tupleIiiNS6_9null_typeES8_S8_S8_S8_S8_S8_S8_EElEEZNS1_14transform_implILb0ES3_SA_NS6_6detail15normal_iteratorINS6_7pointerIS9_NS6_11hip_rocprim5par_tENS6_11use_defaultESH_EEEENSD_INSE_IlSG_SH_SH_EEEEZNS1_13binary_searchIS3_SA_NSD_INS6_10device_ptrIS9_EEEESJ_SL_NS1_21upper_bound_search_opENSC_16wrapped_functionINS6_6system6detail7generic6detail18binary_search_lessEbEEEE10hipError_tPvRmT1_T2_T3_mmT4_T5_P12ihipStream_tbEUlRKS9_E_EESY_S12_S13_mS14_S17_bEUlT_E_NS1_11comp_targetILNS1_3genE10ELNS1_11target_archE1200ELNS1_3gpuE4ELNS1_3repE0EEENS1_30default_config_static_selectorELNS0_4arch9wavefront6targetE0EEEvS11_, .Lfunc_end605-_ZN7rocprim17ROCPRIM_400000_NS6detail17trampoline_kernelINS0_14default_configENS1_27upper_bound_config_selectorIN6thrust23THRUST_200600_302600_NS5tupleIiiNS6_9null_typeES8_S8_S8_S8_S8_S8_S8_EElEEZNS1_14transform_implILb0ES3_SA_NS6_6detail15normal_iteratorINS6_7pointerIS9_NS6_11hip_rocprim5par_tENS6_11use_defaultESH_EEEENSD_INSE_IlSG_SH_SH_EEEEZNS1_13binary_searchIS3_SA_NSD_INS6_10device_ptrIS9_EEEESJ_SL_NS1_21upper_bound_search_opENSC_16wrapped_functionINS6_6system6detail7generic6detail18binary_search_lessEbEEEE10hipError_tPvRmT1_T2_T3_mmT4_T5_P12ihipStream_tbEUlRKS9_E_EESY_S12_S13_mS14_S17_bEUlT_E_NS1_11comp_targetILNS1_3genE10ELNS1_11target_archE1200ELNS1_3gpuE4ELNS1_3repE0EEENS1_30default_config_static_selectorELNS0_4arch9wavefront6targetE0EEEvS11_
                                        ; -- End function
	.set _ZN7rocprim17ROCPRIM_400000_NS6detail17trampoline_kernelINS0_14default_configENS1_27upper_bound_config_selectorIN6thrust23THRUST_200600_302600_NS5tupleIiiNS6_9null_typeES8_S8_S8_S8_S8_S8_S8_EElEEZNS1_14transform_implILb0ES3_SA_NS6_6detail15normal_iteratorINS6_7pointerIS9_NS6_11hip_rocprim5par_tENS6_11use_defaultESH_EEEENSD_INSE_IlSG_SH_SH_EEEEZNS1_13binary_searchIS3_SA_NSD_INS6_10device_ptrIS9_EEEESJ_SL_NS1_21upper_bound_search_opENSC_16wrapped_functionINS6_6system6detail7generic6detail18binary_search_lessEbEEEE10hipError_tPvRmT1_T2_T3_mmT4_T5_P12ihipStream_tbEUlRKS9_E_EESY_S12_S13_mS14_S17_bEUlT_E_NS1_11comp_targetILNS1_3genE10ELNS1_11target_archE1200ELNS1_3gpuE4ELNS1_3repE0EEENS1_30default_config_static_selectorELNS0_4arch9wavefront6targetE0EEEvS11_.num_vgpr, 0
	.set _ZN7rocprim17ROCPRIM_400000_NS6detail17trampoline_kernelINS0_14default_configENS1_27upper_bound_config_selectorIN6thrust23THRUST_200600_302600_NS5tupleIiiNS6_9null_typeES8_S8_S8_S8_S8_S8_S8_EElEEZNS1_14transform_implILb0ES3_SA_NS6_6detail15normal_iteratorINS6_7pointerIS9_NS6_11hip_rocprim5par_tENS6_11use_defaultESH_EEEENSD_INSE_IlSG_SH_SH_EEEEZNS1_13binary_searchIS3_SA_NSD_INS6_10device_ptrIS9_EEEESJ_SL_NS1_21upper_bound_search_opENSC_16wrapped_functionINS6_6system6detail7generic6detail18binary_search_lessEbEEEE10hipError_tPvRmT1_T2_T3_mmT4_T5_P12ihipStream_tbEUlRKS9_E_EESY_S12_S13_mS14_S17_bEUlT_E_NS1_11comp_targetILNS1_3genE10ELNS1_11target_archE1200ELNS1_3gpuE4ELNS1_3repE0EEENS1_30default_config_static_selectorELNS0_4arch9wavefront6targetE0EEEvS11_.num_agpr, 0
	.set _ZN7rocprim17ROCPRIM_400000_NS6detail17trampoline_kernelINS0_14default_configENS1_27upper_bound_config_selectorIN6thrust23THRUST_200600_302600_NS5tupleIiiNS6_9null_typeES8_S8_S8_S8_S8_S8_S8_EElEEZNS1_14transform_implILb0ES3_SA_NS6_6detail15normal_iteratorINS6_7pointerIS9_NS6_11hip_rocprim5par_tENS6_11use_defaultESH_EEEENSD_INSE_IlSG_SH_SH_EEEEZNS1_13binary_searchIS3_SA_NSD_INS6_10device_ptrIS9_EEEESJ_SL_NS1_21upper_bound_search_opENSC_16wrapped_functionINS6_6system6detail7generic6detail18binary_search_lessEbEEEE10hipError_tPvRmT1_T2_T3_mmT4_T5_P12ihipStream_tbEUlRKS9_E_EESY_S12_S13_mS14_S17_bEUlT_E_NS1_11comp_targetILNS1_3genE10ELNS1_11target_archE1200ELNS1_3gpuE4ELNS1_3repE0EEENS1_30default_config_static_selectorELNS0_4arch9wavefront6targetE0EEEvS11_.numbered_sgpr, 0
	.set _ZN7rocprim17ROCPRIM_400000_NS6detail17trampoline_kernelINS0_14default_configENS1_27upper_bound_config_selectorIN6thrust23THRUST_200600_302600_NS5tupleIiiNS6_9null_typeES8_S8_S8_S8_S8_S8_S8_EElEEZNS1_14transform_implILb0ES3_SA_NS6_6detail15normal_iteratorINS6_7pointerIS9_NS6_11hip_rocprim5par_tENS6_11use_defaultESH_EEEENSD_INSE_IlSG_SH_SH_EEEEZNS1_13binary_searchIS3_SA_NSD_INS6_10device_ptrIS9_EEEESJ_SL_NS1_21upper_bound_search_opENSC_16wrapped_functionINS6_6system6detail7generic6detail18binary_search_lessEbEEEE10hipError_tPvRmT1_T2_T3_mmT4_T5_P12ihipStream_tbEUlRKS9_E_EESY_S12_S13_mS14_S17_bEUlT_E_NS1_11comp_targetILNS1_3genE10ELNS1_11target_archE1200ELNS1_3gpuE4ELNS1_3repE0EEENS1_30default_config_static_selectorELNS0_4arch9wavefront6targetE0EEEvS11_.num_named_barrier, 0
	.set _ZN7rocprim17ROCPRIM_400000_NS6detail17trampoline_kernelINS0_14default_configENS1_27upper_bound_config_selectorIN6thrust23THRUST_200600_302600_NS5tupleIiiNS6_9null_typeES8_S8_S8_S8_S8_S8_S8_EElEEZNS1_14transform_implILb0ES3_SA_NS6_6detail15normal_iteratorINS6_7pointerIS9_NS6_11hip_rocprim5par_tENS6_11use_defaultESH_EEEENSD_INSE_IlSG_SH_SH_EEEEZNS1_13binary_searchIS3_SA_NSD_INS6_10device_ptrIS9_EEEESJ_SL_NS1_21upper_bound_search_opENSC_16wrapped_functionINS6_6system6detail7generic6detail18binary_search_lessEbEEEE10hipError_tPvRmT1_T2_T3_mmT4_T5_P12ihipStream_tbEUlRKS9_E_EESY_S12_S13_mS14_S17_bEUlT_E_NS1_11comp_targetILNS1_3genE10ELNS1_11target_archE1200ELNS1_3gpuE4ELNS1_3repE0EEENS1_30default_config_static_selectorELNS0_4arch9wavefront6targetE0EEEvS11_.private_seg_size, 0
	.set _ZN7rocprim17ROCPRIM_400000_NS6detail17trampoline_kernelINS0_14default_configENS1_27upper_bound_config_selectorIN6thrust23THRUST_200600_302600_NS5tupleIiiNS6_9null_typeES8_S8_S8_S8_S8_S8_S8_EElEEZNS1_14transform_implILb0ES3_SA_NS6_6detail15normal_iteratorINS6_7pointerIS9_NS6_11hip_rocprim5par_tENS6_11use_defaultESH_EEEENSD_INSE_IlSG_SH_SH_EEEEZNS1_13binary_searchIS3_SA_NSD_INS6_10device_ptrIS9_EEEESJ_SL_NS1_21upper_bound_search_opENSC_16wrapped_functionINS6_6system6detail7generic6detail18binary_search_lessEbEEEE10hipError_tPvRmT1_T2_T3_mmT4_T5_P12ihipStream_tbEUlRKS9_E_EESY_S12_S13_mS14_S17_bEUlT_E_NS1_11comp_targetILNS1_3genE10ELNS1_11target_archE1200ELNS1_3gpuE4ELNS1_3repE0EEENS1_30default_config_static_selectorELNS0_4arch9wavefront6targetE0EEEvS11_.uses_vcc, 0
	.set _ZN7rocprim17ROCPRIM_400000_NS6detail17trampoline_kernelINS0_14default_configENS1_27upper_bound_config_selectorIN6thrust23THRUST_200600_302600_NS5tupleIiiNS6_9null_typeES8_S8_S8_S8_S8_S8_S8_EElEEZNS1_14transform_implILb0ES3_SA_NS6_6detail15normal_iteratorINS6_7pointerIS9_NS6_11hip_rocprim5par_tENS6_11use_defaultESH_EEEENSD_INSE_IlSG_SH_SH_EEEEZNS1_13binary_searchIS3_SA_NSD_INS6_10device_ptrIS9_EEEESJ_SL_NS1_21upper_bound_search_opENSC_16wrapped_functionINS6_6system6detail7generic6detail18binary_search_lessEbEEEE10hipError_tPvRmT1_T2_T3_mmT4_T5_P12ihipStream_tbEUlRKS9_E_EESY_S12_S13_mS14_S17_bEUlT_E_NS1_11comp_targetILNS1_3genE10ELNS1_11target_archE1200ELNS1_3gpuE4ELNS1_3repE0EEENS1_30default_config_static_selectorELNS0_4arch9wavefront6targetE0EEEvS11_.uses_flat_scratch, 0
	.set _ZN7rocprim17ROCPRIM_400000_NS6detail17trampoline_kernelINS0_14default_configENS1_27upper_bound_config_selectorIN6thrust23THRUST_200600_302600_NS5tupleIiiNS6_9null_typeES8_S8_S8_S8_S8_S8_S8_EElEEZNS1_14transform_implILb0ES3_SA_NS6_6detail15normal_iteratorINS6_7pointerIS9_NS6_11hip_rocprim5par_tENS6_11use_defaultESH_EEEENSD_INSE_IlSG_SH_SH_EEEEZNS1_13binary_searchIS3_SA_NSD_INS6_10device_ptrIS9_EEEESJ_SL_NS1_21upper_bound_search_opENSC_16wrapped_functionINS6_6system6detail7generic6detail18binary_search_lessEbEEEE10hipError_tPvRmT1_T2_T3_mmT4_T5_P12ihipStream_tbEUlRKS9_E_EESY_S12_S13_mS14_S17_bEUlT_E_NS1_11comp_targetILNS1_3genE10ELNS1_11target_archE1200ELNS1_3gpuE4ELNS1_3repE0EEENS1_30default_config_static_selectorELNS0_4arch9wavefront6targetE0EEEvS11_.has_dyn_sized_stack, 0
	.set _ZN7rocprim17ROCPRIM_400000_NS6detail17trampoline_kernelINS0_14default_configENS1_27upper_bound_config_selectorIN6thrust23THRUST_200600_302600_NS5tupleIiiNS6_9null_typeES8_S8_S8_S8_S8_S8_S8_EElEEZNS1_14transform_implILb0ES3_SA_NS6_6detail15normal_iteratorINS6_7pointerIS9_NS6_11hip_rocprim5par_tENS6_11use_defaultESH_EEEENSD_INSE_IlSG_SH_SH_EEEEZNS1_13binary_searchIS3_SA_NSD_INS6_10device_ptrIS9_EEEESJ_SL_NS1_21upper_bound_search_opENSC_16wrapped_functionINS6_6system6detail7generic6detail18binary_search_lessEbEEEE10hipError_tPvRmT1_T2_T3_mmT4_T5_P12ihipStream_tbEUlRKS9_E_EESY_S12_S13_mS14_S17_bEUlT_E_NS1_11comp_targetILNS1_3genE10ELNS1_11target_archE1200ELNS1_3gpuE4ELNS1_3repE0EEENS1_30default_config_static_selectorELNS0_4arch9wavefront6targetE0EEEvS11_.has_recursion, 0
	.set _ZN7rocprim17ROCPRIM_400000_NS6detail17trampoline_kernelINS0_14default_configENS1_27upper_bound_config_selectorIN6thrust23THRUST_200600_302600_NS5tupleIiiNS6_9null_typeES8_S8_S8_S8_S8_S8_S8_EElEEZNS1_14transform_implILb0ES3_SA_NS6_6detail15normal_iteratorINS6_7pointerIS9_NS6_11hip_rocprim5par_tENS6_11use_defaultESH_EEEENSD_INSE_IlSG_SH_SH_EEEEZNS1_13binary_searchIS3_SA_NSD_INS6_10device_ptrIS9_EEEESJ_SL_NS1_21upper_bound_search_opENSC_16wrapped_functionINS6_6system6detail7generic6detail18binary_search_lessEbEEEE10hipError_tPvRmT1_T2_T3_mmT4_T5_P12ihipStream_tbEUlRKS9_E_EESY_S12_S13_mS14_S17_bEUlT_E_NS1_11comp_targetILNS1_3genE10ELNS1_11target_archE1200ELNS1_3gpuE4ELNS1_3repE0EEENS1_30default_config_static_selectorELNS0_4arch9wavefront6targetE0EEEvS11_.has_indirect_call, 0
	.section	.AMDGPU.csdata,"",@progbits
; Kernel info:
; codeLenInByte = 0
; TotalNumSgprs: 0
; NumVgprs: 0
; ScratchSize: 0
; MemoryBound: 0
; FloatMode: 240
; IeeeMode: 1
; LDSByteSize: 0 bytes/workgroup (compile time only)
; SGPRBlocks: 0
; VGPRBlocks: 0
; NumSGPRsForWavesPerEU: 1
; NumVGPRsForWavesPerEU: 1
; Occupancy: 16
; WaveLimiterHint : 0
; COMPUTE_PGM_RSRC2:SCRATCH_EN: 0
; COMPUTE_PGM_RSRC2:USER_SGPR: 6
; COMPUTE_PGM_RSRC2:TRAP_HANDLER: 0
; COMPUTE_PGM_RSRC2:TGID_X_EN: 1
; COMPUTE_PGM_RSRC2:TGID_Y_EN: 0
; COMPUTE_PGM_RSRC2:TGID_Z_EN: 0
; COMPUTE_PGM_RSRC2:TIDIG_COMP_CNT: 0
	.section	.text._ZN7rocprim17ROCPRIM_400000_NS6detail17trampoline_kernelINS0_14default_configENS1_27upper_bound_config_selectorIN6thrust23THRUST_200600_302600_NS5tupleIiiNS6_9null_typeES8_S8_S8_S8_S8_S8_S8_EElEEZNS1_14transform_implILb0ES3_SA_NS6_6detail15normal_iteratorINS6_7pointerIS9_NS6_11hip_rocprim5par_tENS6_11use_defaultESH_EEEENSD_INSE_IlSG_SH_SH_EEEEZNS1_13binary_searchIS3_SA_NSD_INS6_10device_ptrIS9_EEEESJ_SL_NS1_21upper_bound_search_opENSC_16wrapped_functionINS6_6system6detail7generic6detail18binary_search_lessEbEEEE10hipError_tPvRmT1_T2_T3_mmT4_T5_P12ihipStream_tbEUlRKS9_E_EESY_S12_S13_mS14_S17_bEUlT_E_NS1_11comp_targetILNS1_3genE9ELNS1_11target_archE1100ELNS1_3gpuE3ELNS1_3repE0EEENS1_30default_config_static_selectorELNS0_4arch9wavefront6targetE0EEEvS11_,"axG",@progbits,_ZN7rocprim17ROCPRIM_400000_NS6detail17trampoline_kernelINS0_14default_configENS1_27upper_bound_config_selectorIN6thrust23THRUST_200600_302600_NS5tupleIiiNS6_9null_typeES8_S8_S8_S8_S8_S8_S8_EElEEZNS1_14transform_implILb0ES3_SA_NS6_6detail15normal_iteratorINS6_7pointerIS9_NS6_11hip_rocprim5par_tENS6_11use_defaultESH_EEEENSD_INSE_IlSG_SH_SH_EEEEZNS1_13binary_searchIS3_SA_NSD_INS6_10device_ptrIS9_EEEESJ_SL_NS1_21upper_bound_search_opENSC_16wrapped_functionINS6_6system6detail7generic6detail18binary_search_lessEbEEEE10hipError_tPvRmT1_T2_T3_mmT4_T5_P12ihipStream_tbEUlRKS9_E_EESY_S12_S13_mS14_S17_bEUlT_E_NS1_11comp_targetILNS1_3genE9ELNS1_11target_archE1100ELNS1_3gpuE3ELNS1_3repE0EEENS1_30default_config_static_selectorELNS0_4arch9wavefront6targetE0EEEvS11_,comdat
	.protected	_ZN7rocprim17ROCPRIM_400000_NS6detail17trampoline_kernelINS0_14default_configENS1_27upper_bound_config_selectorIN6thrust23THRUST_200600_302600_NS5tupleIiiNS6_9null_typeES8_S8_S8_S8_S8_S8_S8_EElEEZNS1_14transform_implILb0ES3_SA_NS6_6detail15normal_iteratorINS6_7pointerIS9_NS6_11hip_rocprim5par_tENS6_11use_defaultESH_EEEENSD_INSE_IlSG_SH_SH_EEEEZNS1_13binary_searchIS3_SA_NSD_INS6_10device_ptrIS9_EEEESJ_SL_NS1_21upper_bound_search_opENSC_16wrapped_functionINS6_6system6detail7generic6detail18binary_search_lessEbEEEE10hipError_tPvRmT1_T2_T3_mmT4_T5_P12ihipStream_tbEUlRKS9_E_EESY_S12_S13_mS14_S17_bEUlT_E_NS1_11comp_targetILNS1_3genE9ELNS1_11target_archE1100ELNS1_3gpuE3ELNS1_3repE0EEENS1_30default_config_static_selectorELNS0_4arch9wavefront6targetE0EEEvS11_ ; -- Begin function _ZN7rocprim17ROCPRIM_400000_NS6detail17trampoline_kernelINS0_14default_configENS1_27upper_bound_config_selectorIN6thrust23THRUST_200600_302600_NS5tupleIiiNS6_9null_typeES8_S8_S8_S8_S8_S8_S8_EElEEZNS1_14transform_implILb0ES3_SA_NS6_6detail15normal_iteratorINS6_7pointerIS9_NS6_11hip_rocprim5par_tENS6_11use_defaultESH_EEEENSD_INSE_IlSG_SH_SH_EEEEZNS1_13binary_searchIS3_SA_NSD_INS6_10device_ptrIS9_EEEESJ_SL_NS1_21upper_bound_search_opENSC_16wrapped_functionINS6_6system6detail7generic6detail18binary_search_lessEbEEEE10hipError_tPvRmT1_T2_T3_mmT4_T5_P12ihipStream_tbEUlRKS9_E_EESY_S12_S13_mS14_S17_bEUlT_E_NS1_11comp_targetILNS1_3genE9ELNS1_11target_archE1100ELNS1_3gpuE3ELNS1_3repE0EEENS1_30default_config_static_selectorELNS0_4arch9wavefront6targetE0EEEvS11_
	.globl	_ZN7rocprim17ROCPRIM_400000_NS6detail17trampoline_kernelINS0_14default_configENS1_27upper_bound_config_selectorIN6thrust23THRUST_200600_302600_NS5tupleIiiNS6_9null_typeES8_S8_S8_S8_S8_S8_S8_EElEEZNS1_14transform_implILb0ES3_SA_NS6_6detail15normal_iteratorINS6_7pointerIS9_NS6_11hip_rocprim5par_tENS6_11use_defaultESH_EEEENSD_INSE_IlSG_SH_SH_EEEEZNS1_13binary_searchIS3_SA_NSD_INS6_10device_ptrIS9_EEEESJ_SL_NS1_21upper_bound_search_opENSC_16wrapped_functionINS6_6system6detail7generic6detail18binary_search_lessEbEEEE10hipError_tPvRmT1_T2_T3_mmT4_T5_P12ihipStream_tbEUlRKS9_E_EESY_S12_S13_mS14_S17_bEUlT_E_NS1_11comp_targetILNS1_3genE9ELNS1_11target_archE1100ELNS1_3gpuE3ELNS1_3repE0EEENS1_30default_config_static_selectorELNS0_4arch9wavefront6targetE0EEEvS11_
	.p2align	8
	.type	_ZN7rocprim17ROCPRIM_400000_NS6detail17trampoline_kernelINS0_14default_configENS1_27upper_bound_config_selectorIN6thrust23THRUST_200600_302600_NS5tupleIiiNS6_9null_typeES8_S8_S8_S8_S8_S8_S8_EElEEZNS1_14transform_implILb0ES3_SA_NS6_6detail15normal_iteratorINS6_7pointerIS9_NS6_11hip_rocprim5par_tENS6_11use_defaultESH_EEEENSD_INSE_IlSG_SH_SH_EEEEZNS1_13binary_searchIS3_SA_NSD_INS6_10device_ptrIS9_EEEESJ_SL_NS1_21upper_bound_search_opENSC_16wrapped_functionINS6_6system6detail7generic6detail18binary_search_lessEbEEEE10hipError_tPvRmT1_T2_T3_mmT4_T5_P12ihipStream_tbEUlRKS9_E_EESY_S12_S13_mS14_S17_bEUlT_E_NS1_11comp_targetILNS1_3genE9ELNS1_11target_archE1100ELNS1_3gpuE3ELNS1_3repE0EEENS1_30default_config_static_selectorELNS0_4arch9wavefront6targetE0EEEvS11_,@function
_ZN7rocprim17ROCPRIM_400000_NS6detail17trampoline_kernelINS0_14default_configENS1_27upper_bound_config_selectorIN6thrust23THRUST_200600_302600_NS5tupleIiiNS6_9null_typeES8_S8_S8_S8_S8_S8_S8_EElEEZNS1_14transform_implILb0ES3_SA_NS6_6detail15normal_iteratorINS6_7pointerIS9_NS6_11hip_rocprim5par_tENS6_11use_defaultESH_EEEENSD_INSE_IlSG_SH_SH_EEEEZNS1_13binary_searchIS3_SA_NSD_INS6_10device_ptrIS9_EEEESJ_SL_NS1_21upper_bound_search_opENSC_16wrapped_functionINS6_6system6detail7generic6detail18binary_search_lessEbEEEE10hipError_tPvRmT1_T2_T3_mmT4_T5_P12ihipStream_tbEUlRKS9_E_EESY_S12_S13_mS14_S17_bEUlT_E_NS1_11comp_targetILNS1_3genE9ELNS1_11target_archE1100ELNS1_3gpuE3ELNS1_3repE0EEENS1_30default_config_static_selectorELNS0_4arch9wavefront6targetE0EEEvS11_: ; @_ZN7rocprim17ROCPRIM_400000_NS6detail17trampoline_kernelINS0_14default_configENS1_27upper_bound_config_selectorIN6thrust23THRUST_200600_302600_NS5tupleIiiNS6_9null_typeES8_S8_S8_S8_S8_S8_S8_EElEEZNS1_14transform_implILb0ES3_SA_NS6_6detail15normal_iteratorINS6_7pointerIS9_NS6_11hip_rocprim5par_tENS6_11use_defaultESH_EEEENSD_INSE_IlSG_SH_SH_EEEEZNS1_13binary_searchIS3_SA_NSD_INS6_10device_ptrIS9_EEEESJ_SL_NS1_21upper_bound_search_opENSC_16wrapped_functionINS6_6system6detail7generic6detail18binary_search_lessEbEEEE10hipError_tPvRmT1_T2_T3_mmT4_T5_P12ihipStream_tbEUlRKS9_E_EESY_S12_S13_mS14_S17_bEUlT_E_NS1_11comp_targetILNS1_3genE9ELNS1_11target_archE1100ELNS1_3gpuE3ELNS1_3repE0EEENS1_30default_config_static_selectorELNS0_4arch9wavefront6targetE0EEEvS11_
; %bb.0:
	.section	.rodata,"a",@progbits
	.p2align	6, 0x0
	.amdhsa_kernel _ZN7rocprim17ROCPRIM_400000_NS6detail17trampoline_kernelINS0_14default_configENS1_27upper_bound_config_selectorIN6thrust23THRUST_200600_302600_NS5tupleIiiNS6_9null_typeES8_S8_S8_S8_S8_S8_S8_EElEEZNS1_14transform_implILb0ES3_SA_NS6_6detail15normal_iteratorINS6_7pointerIS9_NS6_11hip_rocprim5par_tENS6_11use_defaultESH_EEEENSD_INSE_IlSG_SH_SH_EEEEZNS1_13binary_searchIS3_SA_NSD_INS6_10device_ptrIS9_EEEESJ_SL_NS1_21upper_bound_search_opENSC_16wrapped_functionINS6_6system6detail7generic6detail18binary_search_lessEbEEEE10hipError_tPvRmT1_T2_T3_mmT4_T5_P12ihipStream_tbEUlRKS9_E_EESY_S12_S13_mS14_S17_bEUlT_E_NS1_11comp_targetILNS1_3genE9ELNS1_11target_archE1100ELNS1_3gpuE3ELNS1_3repE0EEENS1_30default_config_static_selectorELNS0_4arch9wavefront6targetE0EEEvS11_
		.amdhsa_group_segment_fixed_size 0
		.amdhsa_private_segment_fixed_size 0
		.amdhsa_kernarg_size 56
		.amdhsa_user_sgpr_count 6
		.amdhsa_user_sgpr_private_segment_buffer 1
		.amdhsa_user_sgpr_dispatch_ptr 0
		.amdhsa_user_sgpr_queue_ptr 0
		.amdhsa_user_sgpr_kernarg_segment_ptr 1
		.amdhsa_user_sgpr_dispatch_id 0
		.amdhsa_user_sgpr_flat_scratch_init 0
		.amdhsa_user_sgpr_private_segment_size 0
		.amdhsa_wavefront_size32 1
		.amdhsa_uses_dynamic_stack 0
		.amdhsa_system_sgpr_private_segment_wavefront_offset 0
		.amdhsa_system_sgpr_workgroup_id_x 1
		.amdhsa_system_sgpr_workgroup_id_y 0
		.amdhsa_system_sgpr_workgroup_id_z 0
		.amdhsa_system_sgpr_workgroup_info 0
		.amdhsa_system_vgpr_workitem_id 0
		.amdhsa_next_free_vgpr 1
		.amdhsa_next_free_sgpr 1
		.amdhsa_reserve_vcc 0
		.amdhsa_reserve_flat_scratch 0
		.amdhsa_float_round_mode_32 0
		.amdhsa_float_round_mode_16_64 0
		.amdhsa_float_denorm_mode_32 3
		.amdhsa_float_denorm_mode_16_64 3
		.amdhsa_dx10_clamp 1
		.amdhsa_ieee_mode 1
		.amdhsa_fp16_overflow 0
		.amdhsa_workgroup_processor_mode 1
		.amdhsa_memory_ordered 1
		.amdhsa_forward_progress 1
		.amdhsa_shared_vgpr_count 0
		.amdhsa_exception_fp_ieee_invalid_op 0
		.amdhsa_exception_fp_denorm_src 0
		.amdhsa_exception_fp_ieee_div_zero 0
		.amdhsa_exception_fp_ieee_overflow 0
		.amdhsa_exception_fp_ieee_underflow 0
		.amdhsa_exception_fp_ieee_inexact 0
		.amdhsa_exception_int_div_zero 0
	.end_amdhsa_kernel
	.section	.text._ZN7rocprim17ROCPRIM_400000_NS6detail17trampoline_kernelINS0_14default_configENS1_27upper_bound_config_selectorIN6thrust23THRUST_200600_302600_NS5tupleIiiNS6_9null_typeES8_S8_S8_S8_S8_S8_S8_EElEEZNS1_14transform_implILb0ES3_SA_NS6_6detail15normal_iteratorINS6_7pointerIS9_NS6_11hip_rocprim5par_tENS6_11use_defaultESH_EEEENSD_INSE_IlSG_SH_SH_EEEEZNS1_13binary_searchIS3_SA_NSD_INS6_10device_ptrIS9_EEEESJ_SL_NS1_21upper_bound_search_opENSC_16wrapped_functionINS6_6system6detail7generic6detail18binary_search_lessEbEEEE10hipError_tPvRmT1_T2_T3_mmT4_T5_P12ihipStream_tbEUlRKS9_E_EESY_S12_S13_mS14_S17_bEUlT_E_NS1_11comp_targetILNS1_3genE9ELNS1_11target_archE1100ELNS1_3gpuE3ELNS1_3repE0EEENS1_30default_config_static_selectorELNS0_4arch9wavefront6targetE0EEEvS11_,"axG",@progbits,_ZN7rocprim17ROCPRIM_400000_NS6detail17trampoline_kernelINS0_14default_configENS1_27upper_bound_config_selectorIN6thrust23THRUST_200600_302600_NS5tupleIiiNS6_9null_typeES8_S8_S8_S8_S8_S8_S8_EElEEZNS1_14transform_implILb0ES3_SA_NS6_6detail15normal_iteratorINS6_7pointerIS9_NS6_11hip_rocprim5par_tENS6_11use_defaultESH_EEEENSD_INSE_IlSG_SH_SH_EEEEZNS1_13binary_searchIS3_SA_NSD_INS6_10device_ptrIS9_EEEESJ_SL_NS1_21upper_bound_search_opENSC_16wrapped_functionINS6_6system6detail7generic6detail18binary_search_lessEbEEEE10hipError_tPvRmT1_T2_T3_mmT4_T5_P12ihipStream_tbEUlRKS9_E_EESY_S12_S13_mS14_S17_bEUlT_E_NS1_11comp_targetILNS1_3genE9ELNS1_11target_archE1100ELNS1_3gpuE3ELNS1_3repE0EEENS1_30default_config_static_selectorELNS0_4arch9wavefront6targetE0EEEvS11_,comdat
.Lfunc_end606:
	.size	_ZN7rocprim17ROCPRIM_400000_NS6detail17trampoline_kernelINS0_14default_configENS1_27upper_bound_config_selectorIN6thrust23THRUST_200600_302600_NS5tupleIiiNS6_9null_typeES8_S8_S8_S8_S8_S8_S8_EElEEZNS1_14transform_implILb0ES3_SA_NS6_6detail15normal_iteratorINS6_7pointerIS9_NS6_11hip_rocprim5par_tENS6_11use_defaultESH_EEEENSD_INSE_IlSG_SH_SH_EEEEZNS1_13binary_searchIS3_SA_NSD_INS6_10device_ptrIS9_EEEESJ_SL_NS1_21upper_bound_search_opENSC_16wrapped_functionINS6_6system6detail7generic6detail18binary_search_lessEbEEEE10hipError_tPvRmT1_T2_T3_mmT4_T5_P12ihipStream_tbEUlRKS9_E_EESY_S12_S13_mS14_S17_bEUlT_E_NS1_11comp_targetILNS1_3genE9ELNS1_11target_archE1100ELNS1_3gpuE3ELNS1_3repE0EEENS1_30default_config_static_selectorELNS0_4arch9wavefront6targetE0EEEvS11_, .Lfunc_end606-_ZN7rocprim17ROCPRIM_400000_NS6detail17trampoline_kernelINS0_14default_configENS1_27upper_bound_config_selectorIN6thrust23THRUST_200600_302600_NS5tupleIiiNS6_9null_typeES8_S8_S8_S8_S8_S8_S8_EElEEZNS1_14transform_implILb0ES3_SA_NS6_6detail15normal_iteratorINS6_7pointerIS9_NS6_11hip_rocprim5par_tENS6_11use_defaultESH_EEEENSD_INSE_IlSG_SH_SH_EEEEZNS1_13binary_searchIS3_SA_NSD_INS6_10device_ptrIS9_EEEESJ_SL_NS1_21upper_bound_search_opENSC_16wrapped_functionINS6_6system6detail7generic6detail18binary_search_lessEbEEEE10hipError_tPvRmT1_T2_T3_mmT4_T5_P12ihipStream_tbEUlRKS9_E_EESY_S12_S13_mS14_S17_bEUlT_E_NS1_11comp_targetILNS1_3genE9ELNS1_11target_archE1100ELNS1_3gpuE3ELNS1_3repE0EEENS1_30default_config_static_selectorELNS0_4arch9wavefront6targetE0EEEvS11_
                                        ; -- End function
	.set _ZN7rocprim17ROCPRIM_400000_NS6detail17trampoline_kernelINS0_14default_configENS1_27upper_bound_config_selectorIN6thrust23THRUST_200600_302600_NS5tupleIiiNS6_9null_typeES8_S8_S8_S8_S8_S8_S8_EElEEZNS1_14transform_implILb0ES3_SA_NS6_6detail15normal_iteratorINS6_7pointerIS9_NS6_11hip_rocprim5par_tENS6_11use_defaultESH_EEEENSD_INSE_IlSG_SH_SH_EEEEZNS1_13binary_searchIS3_SA_NSD_INS6_10device_ptrIS9_EEEESJ_SL_NS1_21upper_bound_search_opENSC_16wrapped_functionINS6_6system6detail7generic6detail18binary_search_lessEbEEEE10hipError_tPvRmT1_T2_T3_mmT4_T5_P12ihipStream_tbEUlRKS9_E_EESY_S12_S13_mS14_S17_bEUlT_E_NS1_11comp_targetILNS1_3genE9ELNS1_11target_archE1100ELNS1_3gpuE3ELNS1_3repE0EEENS1_30default_config_static_selectorELNS0_4arch9wavefront6targetE0EEEvS11_.num_vgpr, 0
	.set _ZN7rocprim17ROCPRIM_400000_NS6detail17trampoline_kernelINS0_14default_configENS1_27upper_bound_config_selectorIN6thrust23THRUST_200600_302600_NS5tupleIiiNS6_9null_typeES8_S8_S8_S8_S8_S8_S8_EElEEZNS1_14transform_implILb0ES3_SA_NS6_6detail15normal_iteratorINS6_7pointerIS9_NS6_11hip_rocprim5par_tENS6_11use_defaultESH_EEEENSD_INSE_IlSG_SH_SH_EEEEZNS1_13binary_searchIS3_SA_NSD_INS6_10device_ptrIS9_EEEESJ_SL_NS1_21upper_bound_search_opENSC_16wrapped_functionINS6_6system6detail7generic6detail18binary_search_lessEbEEEE10hipError_tPvRmT1_T2_T3_mmT4_T5_P12ihipStream_tbEUlRKS9_E_EESY_S12_S13_mS14_S17_bEUlT_E_NS1_11comp_targetILNS1_3genE9ELNS1_11target_archE1100ELNS1_3gpuE3ELNS1_3repE0EEENS1_30default_config_static_selectorELNS0_4arch9wavefront6targetE0EEEvS11_.num_agpr, 0
	.set _ZN7rocprim17ROCPRIM_400000_NS6detail17trampoline_kernelINS0_14default_configENS1_27upper_bound_config_selectorIN6thrust23THRUST_200600_302600_NS5tupleIiiNS6_9null_typeES8_S8_S8_S8_S8_S8_S8_EElEEZNS1_14transform_implILb0ES3_SA_NS6_6detail15normal_iteratorINS6_7pointerIS9_NS6_11hip_rocprim5par_tENS6_11use_defaultESH_EEEENSD_INSE_IlSG_SH_SH_EEEEZNS1_13binary_searchIS3_SA_NSD_INS6_10device_ptrIS9_EEEESJ_SL_NS1_21upper_bound_search_opENSC_16wrapped_functionINS6_6system6detail7generic6detail18binary_search_lessEbEEEE10hipError_tPvRmT1_T2_T3_mmT4_T5_P12ihipStream_tbEUlRKS9_E_EESY_S12_S13_mS14_S17_bEUlT_E_NS1_11comp_targetILNS1_3genE9ELNS1_11target_archE1100ELNS1_3gpuE3ELNS1_3repE0EEENS1_30default_config_static_selectorELNS0_4arch9wavefront6targetE0EEEvS11_.numbered_sgpr, 0
	.set _ZN7rocprim17ROCPRIM_400000_NS6detail17trampoline_kernelINS0_14default_configENS1_27upper_bound_config_selectorIN6thrust23THRUST_200600_302600_NS5tupleIiiNS6_9null_typeES8_S8_S8_S8_S8_S8_S8_EElEEZNS1_14transform_implILb0ES3_SA_NS6_6detail15normal_iteratorINS6_7pointerIS9_NS6_11hip_rocprim5par_tENS6_11use_defaultESH_EEEENSD_INSE_IlSG_SH_SH_EEEEZNS1_13binary_searchIS3_SA_NSD_INS6_10device_ptrIS9_EEEESJ_SL_NS1_21upper_bound_search_opENSC_16wrapped_functionINS6_6system6detail7generic6detail18binary_search_lessEbEEEE10hipError_tPvRmT1_T2_T3_mmT4_T5_P12ihipStream_tbEUlRKS9_E_EESY_S12_S13_mS14_S17_bEUlT_E_NS1_11comp_targetILNS1_3genE9ELNS1_11target_archE1100ELNS1_3gpuE3ELNS1_3repE0EEENS1_30default_config_static_selectorELNS0_4arch9wavefront6targetE0EEEvS11_.num_named_barrier, 0
	.set _ZN7rocprim17ROCPRIM_400000_NS6detail17trampoline_kernelINS0_14default_configENS1_27upper_bound_config_selectorIN6thrust23THRUST_200600_302600_NS5tupleIiiNS6_9null_typeES8_S8_S8_S8_S8_S8_S8_EElEEZNS1_14transform_implILb0ES3_SA_NS6_6detail15normal_iteratorINS6_7pointerIS9_NS6_11hip_rocprim5par_tENS6_11use_defaultESH_EEEENSD_INSE_IlSG_SH_SH_EEEEZNS1_13binary_searchIS3_SA_NSD_INS6_10device_ptrIS9_EEEESJ_SL_NS1_21upper_bound_search_opENSC_16wrapped_functionINS6_6system6detail7generic6detail18binary_search_lessEbEEEE10hipError_tPvRmT1_T2_T3_mmT4_T5_P12ihipStream_tbEUlRKS9_E_EESY_S12_S13_mS14_S17_bEUlT_E_NS1_11comp_targetILNS1_3genE9ELNS1_11target_archE1100ELNS1_3gpuE3ELNS1_3repE0EEENS1_30default_config_static_selectorELNS0_4arch9wavefront6targetE0EEEvS11_.private_seg_size, 0
	.set _ZN7rocprim17ROCPRIM_400000_NS6detail17trampoline_kernelINS0_14default_configENS1_27upper_bound_config_selectorIN6thrust23THRUST_200600_302600_NS5tupleIiiNS6_9null_typeES8_S8_S8_S8_S8_S8_S8_EElEEZNS1_14transform_implILb0ES3_SA_NS6_6detail15normal_iteratorINS6_7pointerIS9_NS6_11hip_rocprim5par_tENS6_11use_defaultESH_EEEENSD_INSE_IlSG_SH_SH_EEEEZNS1_13binary_searchIS3_SA_NSD_INS6_10device_ptrIS9_EEEESJ_SL_NS1_21upper_bound_search_opENSC_16wrapped_functionINS6_6system6detail7generic6detail18binary_search_lessEbEEEE10hipError_tPvRmT1_T2_T3_mmT4_T5_P12ihipStream_tbEUlRKS9_E_EESY_S12_S13_mS14_S17_bEUlT_E_NS1_11comp_targetILNS1_3genE9ELNS1_11target_archE1100ELNS1_3gpuE3ELNS1_3repE0EEENS1_30default_config_static_selectorELNS0_4arch9wavefront6targetE0EEEvS11_.uses_vcc, 0
	.set _ZN7rocprim17ROCPRIM_400000_NS6detail17trampoline_kernelINS0_14default_configENS1_27upper_bound_config_selectorIN6thrust23THRUST_200600_302600_NS5tupleIiiNS6_9null_typeES8_S8_S8_S8_S8_S8_S8_EElEEZNS1_14transform_implILb0ES3_SA_NS6_6detail15normal_iteratorINS6_7pointerIS9_NS6_11hip_rocprim5par_tENS6_11use_defaultESH_EEEENSD_INSE_IlSG_SH_SH_EEEEZNS1_13binary_searchIS3_SA_NSD_INS6_10device_ptrIS9_EEEESJ_SL_NS1_21upper_bound_search_opENSC_16wrapped_functionINS6_6system6detail7generic6detail18binary_search_lessEbEEEE10hipError_tPvRmT1_T2_T3_mmT4_T5_P12ihipStream_tbEUlRKS9_E_EESY_S12_S13_mS14_S17_bEUlT_E_NS1_11comp_targetILNS1_3genE9ELNS1_11target_archE1100ELNS1_3gpuE3ELNS1_3repE0EEENS1_30default_config_static_selectorELNS0_4arch9wavefront6targetE0EEEvS11_.uses_flat_scratch, 0
	.set _ZN7rocprim17ROCPRIM_400000_NS6detail17trampoline_kernelINS0_14default_configENS1_27upper_bound_config_selectorIN6thrust23THRUST_200600_302600_NS5tupleIiiNS6_9null_typeES8_S8_S8_S8_S8_S8_S8_EElEEZNS1_14transform_implILb0ES3_SA_NS6_6detail15normal_iteratorINS6_7pointerIS9_NS6_11hip_rocprim5par_tENS6_11use_defaultESH_EEEENSD_INSE_IlSG_SH_SH_EEEEZNS1_13binary_searchIS3_SA_NSD_INS6_10device_ptrIS9_EEEESJ_SL_NS1_21upper_bound_search_opENSC_16wrapped_functionINS6_6system6detail7generic6detail18binary_search_lessEbEEEE10hipError_tPvRmT1_T2_T3_mmT4_T5_P12ihipStream_tbEUlRKS9_E_EESY_S12_S13_mS14_S17_bEUlT_E_NS1_11comp_targetILNS1_3genE9ELNS1_11target_archE1100ELNS1_3gpuE3ELNS1_3repE0EEENS1_30default_config_static_selectorELNS0_4arch9wavefront6targetE0EEEvS11_.has_dyn_sized_stack, 0
	.set _ZN7rocprim17ROCPRIM_400000_NS6detail17trampoline_kernelINS0_14default_configENS1_27upper_bound_config_selectorIN6thrust23THRUST_200600_302600_NS5tupleIiiNS6_9null_typeES8_S8_S8_S8_S8_S8_S8_EElEEZNS1_14transform_implILb0ES3_SA_NS6_6detail15normal_iteratorINS6_7pointerIS9_NS6_11hip_rocprim5par_tENS6_11use_defaultESH_EEEENSD_INSE_IlSG_SH_SH_EEEEZNS1_13binary_searchIS3_SA_NSD_INS6_10device_ptrIS9_EEEESJ_SL_NS1_21upper_bound_search_opENSC_16wrapped_functionINS6_6system6detail7generic6detail18binary_search_lessEbEEEE10hipError_tPvRmT1_T2_T3_mmT4_T5_P12ihipStream_tbEUlRKS9_E_EESY_S12_S13_mS14_S17_bEUlT_E_NS1_11comp_targetILNS1_3genE9ELNS1_11target_archE1100ELNS1_3gpuE3ELNS1_3repE0EEENS1_30default_config_static_selectorELNS0_4arch9wavefront6targetE0EEEvS11_.has_recursion, 0
	.set _ZN7rocprim17ROCPRIM_400000_NS6detail17trampoline_kernelINS0_14default_configENS1_27upper_bound_config_selectorIN6thrust23THRUST_200600_302600_NS5tupleIiiNS6_9null_typeES8_S8_S8_S8_S8_S8_S8_EElEEZNS1_14transform_implILb0ES3_SA_NS6_6detail15normal_iteratorINS6_7pointerIS9_NS6_11hip_rocprim5par_tENS6_11use_defaultESH_EEEENSD_INSE_IlSG_SH_SH_EEEEZNS1_13binary_searchIS3_SA_NSD_INS6_10device_ptrIS9_EEEESJ_SL_NS1_21upper_bound_search_opENSC_16wrapped_functionINS6_6system6detail7generic6detail18binary_search_lessEbEEEE10hipError_tPvRmT1_T2_T3_mmT4_T5_P12ihipStream_tbEUlRKS9_E_EESY_S12_S13_mS14_S17_bEUlT_E_NS1_11comp_targetILNS1_3genE9ELNS1_11target_archE1100ELNS1_3gpuE3ELNS1_3repE0EEENS1_30default_config_static_selectorELNS0_4arch9wavefront6targetE0EEEvS11_.has_indirect_call, 0
	.section	.AMDGPU.csdata,"",@progbits
; Kernel info:
; codeLenInByte = 0
; TotalNumSgprs: 0
; NumVgprs: 0
; ScratchSize: 0
; MemoryBound: 0
; FloatMode: 240
; IeeeMode: 1
; LDSByteSize: 0 bytes/workgroup (compile time only)
; SGPRBlocks: 0
; VGPRBlocks: 0
; NumSGPRsForWavesPerEU: 1
; NumVGPRsForWavesPerEU: 1
; Occupancy: 16
; WaveLimiterHint : 0
; COMPUTE_PGM_RSRC2:SCRATCH_EN: 0
; COMPUTE_PGM_RSRC2:USER_SGPR: 6
; COMPUTE_PGM_RSRC2:TRAP_HANDLER: 0
; COMPUTE_PGM_RSRC2:TGID_X_EN: 1
; COMPUTE_PGM_RSRC2:TGID_Y_EN: 0
; COMPUTE_PGM_RSRC2:TGID_Z_EN: 0
; COMPUTE_PGM_RSRC2:TIDIG_COMP_CNT: 0
	.section	.text._ZN7rocprim17ROCPRIM_400000_NS6detail17trampoline_kernelINS0_14default_configENS1_27upper_bound_config_selectorIN6thrust23THRUST_200600_302600_NS5tupleIiiNS6_9null_typeES8_S8_S8_S8_S8_S8_S8_EElEEZNS1_14transform_implILb0ES3_SA_NS6_6detail15normal_iteratorINS6_7pointerIS9_NS6_11hip_rocprim5par_tENS6_11use_defaultESH_EEEENSD_INSE_IlSG_SH_SH_EEEEZNS1_13binary_searchIS3_SA_NSD_INS6_10device_ptrIS9_EEEESJ_SL_NS1_21upper_bound_search_opENSC_16wrapped_functionINS6_6system6detail7generic6detail18binary_search_lessEbEEEE10hipError_tPvRmT1_T2_T3_mmT4_T5_P12ihipStream_tbEUlRKS9_E_EESY_S12_S13_mS14_S17_bEUlT_E_NS1_11comp_targetILNS1_3genE8ELNS1_11target_archE1030ELNS1_3gpuE2ELNS1_3repE0EEENS1_30default_config_static_selectorELNS0_4arch9wavefront6targetE0EEEvS11_,"axG",@progbits,_ZN7rocprim17ROCPRIM_400000_NS6detail17trampoline_kernelINS0_14default_configENS1_27upper_bound_config_selectorIN6thrust23THRUST_200600_302600_NS5tupleIiiNS6_9null_typeES8_S8_S8_S8_S8_S8_S8_EElEEZNS1_14transform_implILb0ES3_SA_NS6_6detail15normal_iteratorINS6_7pointerIS9_NS6_11hip_rocprim5par_tENS6_11use_defaultESH_EEEENSD_INSE_IlSG_SH_SH_EEEEZNS1_13binary_searchIS3_SA_NSD_INS6_10device_ptrIS9_EEEESJ_SL_NS1_21upper_bound_search_opENSC_16wrapped_functionINS6_6system6detail7generic6detail18binary_search_lessEbEEEE10hipError_tPvRmT1_T2_T3_mmT4_T5_P12ihipStream_tbEUlRKS9_E_EESY_S12_S13_mS14_S17_bEUlT_E_NS1_11comp_targetILNS1_3genE8ELNS1_11target_archE1030ELNS1_3gpuE2ELNS1_3repE0EEENS1_30default_config_static_selectorELNS0_4arch9wavefront6targetE0EEEvS11_,comdat
	.protected	_ZN7rocprim17ROCPRIM_400000_NS6detail17trampoline_kernelINS0_14default_configENS1_27upper_bound_config_selectorIN6thrust23THRUST_200600_302600_NS5tupleIiiNS6_9null_typeES8_S8_S8_S8_S8_S8_S8_EElEEZNS1_14transform_implILb0ES3_SA_NS6_6detail15normal_iteratorINS6_7pointerIS9_NS6_11hip_rocprim5par_tENS6_11use_defaultESH_EEEENSD_INSE_IlSG_SH_SH_EEEEZNS1_13binary_searchIS3_SA_NSD_INS6_10device_ptrIS9_EEEESJ_SL_NS1_21upper_bound_search_opENSC_16wrapped_functionINS6_6system6detail7generic6detail18binary_search_lessEbEEEE10hipError_tPvRmT1_T2_T3_mmT4_T5_P12ihipStream_tbEUlRKS9_E_EESY_S12_S13_mS14_S17_bEUlT_E_NS1_11comp_targetILNS1_3genE8ELNS1_11target_archE1030ELNS1_3gpuE2ELNS1_3repE0EEENS1_30default_config_static_selectorELNS0_4arch9wavefront6targetE0EEEvS11_ ; -- Begin function _ZN7rocprim17ROCPRIM_400000_NS6detail17trampoline_kernelINS0_14default_configENS1_27upper_bound_config_selectorIN6thrust23THRUST_200600_302600_NS5tupleIiiNS6_9null_typeES8_S8_S8_S8_S8_S8_S8_EElEEZNS1_14transform_implILb0ES3_SA_NS6_6detail15normal_iteratorINS6_7pointerIS9_NS6_11hip_rocprim5par_tENS6_11use_defaultESH_EEEENSD_INSE_IlSG_SH_SH_EEEEZNS1_13binary_searchIS3_SA_NSD_INS6_10device_ptrIS9_EEEESJ_SL_NS1_21upper_bound_search_opENSC_16wrapped_functionINS6_6system6detail7generic6detail18binary_search_lessEbEEEE10hipError_tPvRmT1_T2_T3_mmT4_T5_P12ihipStream_tbEUlRKS9_E_EESY_S12_S13_mS14_S17_bEUlT_E_NS1_11comp_targetILNS1_3genE8ELNS1_11target_archE1030ELNS1_3gpuE2ELNS1_3repE0EEENS1_30default_config_static_selectorELNS0_4arch9wavefront6targetE0EEEvS11_
	.globl	_ZN7rocprim17ROCPRIM_400000_NS6detail17trampoline_kernelINS0_14default_configENS1_27upper_bound_config_selectorIN6thrust23THRUST_200600_302600_NS5tupleIiiNS6_9null_typeES8_S8_S8_S8_S8_S8_S8_EElEEZNS1_14transform_implILb0ES3_SA_NS6_6detail15normal_iteratorINS6_7pointerIS9_NS6_11hip_rocprim5par_tENS6_11use_defaultESH_EEEENSD_INSE_IlSG_SH_SH_EEEEZNS1_13binary_searchIS3_SA_NSD_INS6_10device_ptrIS9_EEEESJ_SL_NS1_21upper_bound_search_opENSC_16wrapped_functionINS6_6system6detail7generic6detail18binary_search_lessEbEEEE10hipError_tPvRmT1_T2_T3_mmT4_T5_P12ihipStream_tbEUlRKS9_E_EESY_S12_S13_mS14_S17_bEUlT_E_NS1_11comp_targetILNS1_3genE8ELNS1_11target_archE1030ELNS1_3gpuE2ELNS1_3repE0EEENS1_30default_config_static_selectorELNS0_4arch9wavefront6targetE0EEEvS11_
	.p2align	8
	.type	_ZN7rocprim17ROCPRIM_400000_NS6detail17trampoline_kernelINS0_14default_configENS1_27upper_bound_config_selectorIN6thrust23THRUST_200600_302600_NS5tupleIiiNS6_9null_typeES8_S8_S8_S8_S8_S8_S8_EElEEZNS1_14transform_implILb0ES3_SA_NS6_6detail15normal_iteratorINS6_7pointerIS9_NS6_11hip_rocprim5par_tENS6_11use_defaultESH_EEEENSD_INSE_IlSG_SH_SH_EEEEZNS1_13binary_searchIS3_SA_NSD_INS6_10device_ptrIS9_EEEESJ_SL_NS1_21upper_bound_search_opENSC_16wrapped_functionINS6_6system6detail7generic6detail18binary_search_lessEbEEEE10hipError_tPvRmT1_T2_T3_mmT4_T5_P12ihipStream_tbEUlRKS9_E_EESY_S12_S13_mS14_S17_bEUlT_E_NS1_11comp_targetILNS1_3genE8ELNS1_11target_archE1030ELNS1_3gpuE2ELNS1_3repE0EEENS1_30default_config_static_selectorELNS0_4arch9wavefront6targetE0EEEvS11_,@function
_ZN7rocprim17ROCPRIM_400000_NS6detail17trampoline_kernelINS0_14default_configENS1_27upper_bound_config_selectorIN6thrust23THRUST_200600_302600_NS5tupleIiiNS6_9null_typeES8_S8_S8_S8_S8_S8_S8_EElEEZNS1_14transform_implILb0ES3_SA_NS6_6detail15normal_iteratorINS6_7pointerIS9_NS6_11hip_rocprim5par_tENS6_11use_defaultESH_EEEENSD_INSE_IlSG_SH_SH_EEEEZNS1_13binary_searchIS3_SA_NSD_INS6_10device_ptrIS9_EEEESJ_SL_NS1_21upper_bound_search_opENSC_16wrapped_functionINS6_6system6detail7generic6detail18binary_search_lessEbEEEE10hipError_tPvRmT1_T2_T3_mmT4_T5_P12ihipStream_tbEUlRKS9_E_EESY_S12_S13_mS14_S17_bEUlT_E_NS1_11comp_targetILNS1_3genE8ELNS1_11target_archE1030ELNS1_3gpuE2ELNS1_3repE0EEENS1_30default_config_static_selectorELNS0_4arch9wavefront6targetE0EEEvS11_: ; @_ZN7rocprim17ROCPRIM_400000_NS6detail17trampoline_kernelINS0_14default_configENS1_27upper_bound_config_selectorIN6thrust23THRUST_200600_302600_NS5tupleIiiNS6_9null_typeES8_S8_S8_S8_S8_S8_S8_EElEEZNS1_14transform_implILb0ES3_SA_NS6_6detail15normal_iteratorINS6_7pointerIS9_NS6_11hip_rocprim5par_tENS6_11use_defaultESH_EEEENSD_INSE_IlSG_SH_SH_EEEEZNS1_13binary_searchIS3_SA_NSD_INS6_10device_ptrIS9_EEEESJ_SL_NS1_21upper_bound_search_opENSC_16wrapped_functionINS6_6system6detail7generic6detail18binary_search_lessEbEEEE10hipError_tPvRmT1_T2_T3_mmT4_T5_P12ihipStream_tbEUlRKS9_E_EESY_S12_S13_mS14_S17_bEUlT_E_NS1_11comp_targetILNS1_3genE8ELNS1_11target_archE1030ELNS1_3gpuE2ELNS1_3repE0EEENS1_30default_config_static_selectorELNS0_4arch9wavefront6targetE0EEEvS11_
; %bb.0:
	s_clause 0x3
	s_load_dwordx4 s[16:19], s[4:5], 0x0
	s_load_dwordx4 s[8:11], s[4:5], 0x18
	s_load_dword s15, s[4:5], 0x38
	s_load_dwordx2 s[2:3], s[4:5], 0x28
	s_waitcnt lgkmcnt(0)
	s_lshl_b64 s[0:1], s[18:19], 3
	s_add_u32 s13, s16, s0
	s_addc_u32 s14, s17, s1
	s_add_u32 s7, s8, s0
	s_addc_u32 s12, s9, s1
	s_add_i32 s15, s15, -1
	s_lshl_b32 s8, s6, 8
	s_mov_b32 s9, 0
	s_cmp_lg_u32 s6, s15
	s_mov_b32 s0, -1
	s_cbranch_scc0 .LBB607_7
; %bb.1:
	s_cmp_eq_u64 s[2:3], 0
	s_cbranch_scc1 .LBB607_5
; %bb.2:
	v_lshlrev_b32_e32 v1, 3, v0
	s_lshl_b64 s[0:1], s[8:9], 3
	v_mov_b32_e32 v6, s3
	s_add_u32 s0, s13, s0
	s_addc_u32 s1, s14, s1
	v_add_co_u32 v1, s0, s0, v1
	v_add_co_ci_u32_e64 v2, null, s1, 0, s0
	v_mov_b32_e32 v5, s2
	s_mov_b32 s6, 0
	flat_load_dwordx2 v[3:4], v[1:2]
	v_mov_b32_e32 v1, 0
	v_mov_b32_e32 v2, 0
	s_inst_prefetch 0x1
	.p2align	6
.LBB607_3:                              ; =>This Inner Loop Header: Depth=1
	v_sub_co_u32 v7, vcc_lo, v5, v1
	v_sub_co_ci_u32_e64 v8, null, v6, v2, vcc_lo
	v_lshrrev_b64 v[9:10], 1, v[7:8]
	v_lshrrev_b64 v[7:8], 6, v[7:8]
	v_add_co_u32 v9, vcc_lo, v9, v1
	v_add_co_ci_u32_e64 v10, null, v10, v2, vcc_lo
	v_add_co_u32 v7, vcc_lo, v9, v7
	v_add_co_ci_u32_e64 v8, null, v10, v8, vcc_lo
	v_lshlrev_b64 v[9:10], 3, v[7:8]
	v_add_co_u32 v9, vcc_lo, s10, v9
	v_add_co_ci_u32_e64 v10, null, s11, v10, vcc_lo
	v_add_co_u32 v11, vcc_lo, v7, 1
	v_add_co_ci_u32_e64 v12, null, 0, v8, vcc_lo
	global_load_dwordx2 v[9:10], v[9:10], off
	s_waitcnt vmcnt(0) lgkmcnt(0)
	v_cmp_ge_i32_e32 vcc_lo, v9, v3
	v_cmp_lt_i32_e64 s0, v4, v10
	v_cmp_lt_i32_e64 s1, v3, v9
	s_and_b32 s0, vcc_lo, s0
	s_or_b32 vcc_lo, s1, s0
	v_cndmask_b32_e32 v6, v6, v8, vcc_lo
	v_cndmask_b32_e32 v5, v5, v7, vcc_lo
	v_cndmask_b32_e32 v2, v12, v2, vcc_lo
	v_cndmask_b32_e32 v1, v11, v1, vcc_lo
	v_cmp_ge_u64_e32 vcc_lo, v[1:2], v[5:6]
	s_or_b32 s6, vcc_lo, s6
	s_andn2_b32 exec_lo, exec_lo, s6
	s_cbranch_execnz .LBB607_3
; %bb.4:
	s_inst_prefetch 0x2
	s_or_b32 exec_lo, exec_lo, s6
	s_branch .LBB607_6
.LBB607_5:
	v_mov_b32_e32 v1, 0
	v_mov_b32_e32 v2, 0
.LBB607_6:
	v_lshlrev_b32_e32 v3, 3, v0
	s_lshl_b64 s[0:1], s[8:9], 3
	s_add_u32 s0, s7, s0
	s_addc_u32 s1, s12, s1
	v_add_co_u32 v3, s0, s0, v3
	v_add_co_ci_u32_e64 v4, null, s1, 0, s0
	s_mov_b32 s0, 0
	flat_store_dwordx2 v[3:4], v[1:2]
.LBB607_7:
	s_and_b32 vcc_lo, exec_lo, s0
	s_cbranch_vccz .LBB607_16
; %bb.8:
	s_load_dword s0, s[4:5], 0x10
	v_mov_b32_e32 v4, 0
	v_mov_b32_e32 v3, 0
	s_waitcnt lgkmcnt(0)
	s_sub_i32 s1, s0, s8
	v_cmp_le_u32_e64 s0, s1, v0
	v_cmp_gt_u32_e32 vcc_lo, s1, v0
	s_and_saveexec_b32 s1, vcc_lo
	s_cbranch_execz .LBB607_10
; %bb.9:
	v_lshlrev_b32_e32 v1, 3, v0
	s_lshl_b64 s[4:5], s[8:9], 3
	s_add_u32 s4, s13, s4
	s_addc_u32 s5, s14, s5
	v_add_co_u32 v1, s4, s4, v1
	v_add_co_ci_u32_e64 v2, null, s5, 0, s4
	flat_load_dwordx2 v[3:4], v[1:2]
.LBB607_10:
	s_or_b32 exec_lo, exec_lo, s1
	s_cmp_lg_u64 s[2:3], 0
	v_mov_b32_e32 v1, 0
	v_mov_b32_e32 v2, 0
	s_cselect_b32 s1, -1, 0
	s_xor_b32 s0, s0, -1
	s_and_b32 s0, s0, s1
	s_and_saveexec_b32 s4, s0
	s_cbranch_execz .LBB607_14
; %bb.11:
	v_mov_b32_e32 v1, 0
	v_mov_b32_e32 v6, s3
	;; [unrolled: 1-line block ×4, first 2 shown]
	s_mov_b32 s3, 0
.LBB607_12:                             ; =>This Inner Loop Header: Depth=1
	v_sub_co_u32 v7, s0, v5, v1
	v_sub_co_ci_u32_e64 v8, null, v6, v2, s0
	v_lshrrev_b64 v[9:10], 1, v[7:8]
	v_lshrrev_b64 v[7:8], 6, v[7:8]
	v_add_co_u32 v9, s0, v9, v1
	v_add_co_ci_u32_e64 v10, null, v10, v2, s0
	v_add_co_u32 v7, s0, v9, v7
	v_add_co_ci_u32_e64 v8, null, v10, v8, s0
	v_lshlrev_b64 v[9:10], 3, v[7:8]
	v_add_co_u32 v9, s0, s10, v9
	v_add_co_ci_u32_e64 v10, null, s11, v10, s0
	v_add_co_u32 v11, s0, v7, 1
	v_add_co_ci_u32_e64 v12, null, 0, v8, s0
	global_load_dwordx2 v[9:10], v[9:10], off
	s_waitcnt vmcnt(0) lgkmcnt(0)
	v_cmp_ge_i32_e64 s0, v9, v3
	v_cmp_lt_i32_e64 s1, v4, v10
	v_cmp_lt_i32_e64 s2, v3, v9
	s_and_b32 s0, s0, s1
	s_or_b32 s0, s2, s0
	v_cndmask_b32_e64 v6, v6, v8, s0
	v_cndmask_b32_e64 v5, v5, v7, s0
	;; [unrolled: 1-line block ×4, first 2 shown]
	v_cmp_ge_u64_e64 s0, v[1:2], v[5:6]
	s_or_b32 s3, s0, s3
	s_andn2_b32 exec_lo, exec_lo, s3
	s_cbranch_execnz .LBB607_12
; %bb.13:
	s_or_b32 exec_lo, exec_lo, s3
.LBB607_14:
	s_or_b32 exec_lo, exec_lo, s4
	s_and_saveexec_b32 s0, vcc_lo
	s_cbranch_execz .LBB607_16
; %bb.15:
	v_lshlrev_b32_e32 v0, 3, v0
	s_lshl_b64 s[0:1], s[8:9], 3
	s_add_u32 s0, s7, s0
	s_addc_u32 s1, s12, s1
	s_waitcnt vmcnt(0) lgkmcnt(0)
	v_add_co_u32 v3, s0, s0, v0
	v_add_co_ci_u32_e64 v4, null, s1, 0, s0
	flat_store_dwordx2 v[3:4], v[1:2]
.LBB607_16:
	s_endpgm
	.section	.rodata,"a",@progbits
	.p2align	6, 0x0
	.amdhsa_kernel _ZN7rocprim17ROCPRIM_400000_NS6detail17trampoline_kernelINS0_14default_configENS1_27upper_bound_config_selectorIN6thrust23THRUST_200600_302600_NS5tupleIiiNS6_9null_typeES8_S8_S8_S8_S8_S8_S8_EElEEZNS1_14transform_implILb0ES3_SA_NS6_6detail15normal_iteratorINS6_7pointerIS9_NS6_11hip_rocprim5par_tENS6_11use_defaultESH_EEEENSD_INSE_IlSG_SH_SH_EEEEZNS1_13binary_searchIS3_SA_NSD_INS6_10device_ptrIS9_EEEESJ_SL_NS1_21upper_bound_search_opENSC_16wrapped_functionINS6_6system6detail7generic6detail18binary_search_lessEbEEEE10hipError_tPvRmT1_T2_T3_mmT4_T5_P12ihipStream_tbEUlRKS9_E_EESY_S12_S13_mS14_S17_bEUlT_E_NS1_11comp_targetILNS1_3genE8ELNS1_11target_archE1030ELNS1_3gpuE2ELNS1_3repE0EEENS1_30default_config_static_selectorELNS0_4arch9wavefront6targetE0EEEvS11_
		.amdhsa_group_segment_fixed_size 0
		.amdhsa_private_segment_fixed_size 0
		.amdhsa_kernarg_size 312
		.amdhsa_user_sgpr_count 6
		.amdhsa_user_sgpr_private_segment_buffer 1
		.amdhsa_user_sgpr_dispatch_ptr 0
		.amdhsa_user_sgpr_queue_ptr 0
		.amdhsa_user_sgpr_kernarg_segment_ptr 1
		.amdhsa_user_sgpr_dispatch_id 0
		.amdhsa_user_sgpr_flat_scratch_init 0
		.amdhsa_user_sgpr_private_segment_size 0
		.amdhsa_wavefront_size32 1
		.amdhsa_uses_dynamic_stack 0
		.amdhsa_system_sgpr_private_segment_wavefront_offset 0
		.amdhsa_system_sgpr_workgroup_id_x 1
		.amdhsa_system_sgpr_workgroup_id_y 0
		.amdhsa_system_sgpr_workgroup_id_z 0
		.amdhsa_system_sgpr_workgroup_info 0
		.amdhsa_system_vgpr_workitem_id 0
		.amdhsa_next_free_vgpr 13
		.amdhsa_next_free_sgpr 20
		.amdhsa_reserve_vcc 1
		.amdhsa_reserve_flat_scratch 0
		.amdhsa_float_round_mode_32 0
		.amdhsa_float_round_mode_16_64 0
		.amdhsa_float_denorm_mode_32 3
		.amdhsa_float_denorm_mode_16_64 3
		.amdhsa_dx10_clamp 1
		.amdhsa_ieee_mode 1
		.amdhsa_fp16_overflow 0
		.amdhsa_workgroup_processor_mode 1
		.amdhsa_memory_ordered 1
		.amdhsa_forward_progress 1
		.amdhsa_shared_vgpr_count 0
		.amdhsa_exception_fp_ieee_invalid_op 0
		.amdhsa_exception_fp_denorm_src 0
		.amdhsa_exception_fp_ieee_div_zero 0
		.amdhsa_exception_fp_ieee_overflow 0
		.amdhsa_exception_fp_ieee_underflow 0
		.amdhsa_exception_fp_ieee_inexact 0
		.amdhsa_exception_int_div_zero 0
	.end_amdhsa_kernel
	.section	.text._ZN7rocprim17ROCPRIM_400000_NS6detail17trampoline_kernelINS0_14default_configENS1_27upper_bound_config_selectorIN6thrust23THRUST_200600_302600_NS5tupleIiiNS6_9null_typeES8_S8_S8_S8_S8_S8_S8_EElEEZNS1_14transform_implILb0ES3_SA_NS6_6detail15normal_iteratorINS6_7pointerIS9_NS6_11hip_rocprim5par_tENS6_11use_defaultESH_EEEENSD_INSE_IlSG_SH_SH_EEEEZNS1_13binary_searchIS3_SA_NSD_INS6_10device_ptrIS9_EEEESJ_SL_NS1_21upper_bound_search_opENSC_16wrapped_functionINS6_6system6detail7generic6detail18binary_search_lessEbEEEE10hipError_tPvRmT1_T2_T3_mmT4_T5_P12ihipStream_tbEUlRKS9_E_EESY_S12_S13_mS14_S17_bEUlT_E_NS1_11comp_targetILNS1_3genE8ELNS1_11target_archE1030ELNS1_3gpuE2ELNS1_3repE0EEENS1_30default_config_static_selectorELNS0_4arch9wavefront6targetE0EEEvS11_,"axG",@progbits,_ZN7rocprim17ROCPRIM_400000_NS6detail17trampoline_kernelINS0_14default_configENS1_27upper_bound_config_selectorIN6thrust23THRUST_200600_302600_NS5tupleIiiNS6_9null_typeES8_S8_S8_S8_S8_S8_S8_EElEEZNS1_14transform_implILb0ES3_SA_NS6_6detail15normal_iteratorINS6_7pointerIS9_NS6_11hip_rocprim5par_tENS6_11use_defaultESH_EEEENSD_INSE_IlSG_SH_SH_EEEEZNS1_13binary_searchIS3_SA_NSD_INS6_10device_ptrIS9_EEEESJ_SL_NS1_21upper_bound_search_opENSC_16wrapped_functionINS6_6system6detail7generic6detail18binary_search_lessEbEEEE10hipError_tPvRmT1_T2_T3_mmT4_T5_P12ihipStream_tbEUlRKS9_E_EESY_S12_S13_mS14_S17_bEUlT_E_NS1_11comp_targetILNS1_3genE8ELNS1_11target_archE1030ELNS1_3gpuE2ELNS1_3repE0EEENS1_30default_config_static_selectorELNS0_4arch9wavefront6targetE0EEEvS11_,comdat
.Lfunc_end607:
	.size	_ZN7rocprim17ROCPRIM_400000_NS6detail17trampoline_kernelINS0_14default_configENS1_27upper_bound_config_selectorIN6thrust23THRUST_200600_302600_NS5tupleIiiNS6_9null_typeES8_S8_S8_S8_S8_S8_S8_EElEEZNS1_14transform_implILb0ES3_SA_NS6_6detail15normal_iteratorINS6_7pointerIS9_NS6_11hip_rocprim5par_tENS6_11use_defaultESH_EEEENSD_INSE_IlSG_SH_SH_EEEEZNS1_13binary_searchIS3_SA_NSD_INS6_10device_ptrIS9_EEEESJ_SL_NS1_21upper_bound_search_opENSC_16wrapped_functionINS6_6system6detail7generic6detail18binary_search_lessEbEEEE10hipError_tPvRmT1_T2_T3_mmT4_T5_P12ihipStream_tbEUlRKS9_E_EESY_S12_S13_mS14_S17_bEUlT_E_NS1_11comp_targetILNS1_3genE8ELNS1_11target_archE1030ELNS1_3gpuE2ELNS1_3repE0EEENS1_30default_config_static_selectorELNS0_4arch9wavefront6targetE0EEEvS11_, .Lfunc_end607-_ZN7rocprim17ROCPRIM_400000_NS6detail17trampoline_kernelINS0_14default_configENS1_27upper_bound_config_selectorIN6thrust23THRUST_200600_302600_NS5tupleIiiNS6_9null_typeES8_S8_S8_S8_S8_S8_S8_EElEEZNS1_14transform_implILb0ES3_SA_NS6_6detail15normal_iteratorINS6_7pointerIS9_NS6_11hip_rocprim5par_tENS6_11use_defaultESH_EEEENSD_INSE_IlSG_SH_SH_EEEEZNS1_13binary_searchIS3_SA_NSD_INS6_10device_ptrIS9_EEEESJ_SL_NS1_21upper_bound_search_opENSC_16wrapped_functionINS6_6system6detail7generic6detail18binary_search_lessEbEEEE10hipError_tPvRmT1_T2_T3_mmT4_T5_P12ihipStream_tbEUlRKS9_E_EESY_S12_S13_mS14_S17_bEUlT_E_NS1_11comp_targetILNS1_3genE8ELNS1_11target_archE1030ELNS1_3gpuE2ELNS1_3repE0EEENS1_30default_config_static_selectorELNS0_4arch9wavefront6targetE0EEEvS11_
                                        ; -- End function
	.set _ZN7rocprim17ROCPRIM_400000_NS6detail17trampoline_kernelINS0_14default_configENS1_27upper_bound_config_selectorIN6thrust23THRUST_200600_302600_NS5tupleIiiNS6_9null_typeES8_S8_S8_S8_S8_S8_S8_EElEEZNS1_14transform_implILb0ES3_SA_NS6_6detail15normal_iteratorINS6_7pointerIS9_NS6_11hip_rocprim5par_tENS6_11use_defaultESH_EEEENSD_INSE_IlSG_SH_SH_EEEEZNS1_13binary_searchIS3_SA_NSD_INS6_10device_ptrIS9_EEEESJ_SL_NS1_21upper_bound_search_opENSC_16wrapped_functionINS6_6system6detail7generic6detail18binary_search_lessEbEEEE10hipError_tPvRmT1_T2_T3_mmT4_T5_P12ihipStream_tbEUlRKS9_E_EESY_S12_S13_mS14_S17_bEUlT_E_NS1_11comp_targetILNS1_3genE8ELNS1_11target_archE1030ELNS1_3gpuE2ELNS1_3repE0EEENS1_30default_config_static_selectorELNS0_4arch9wavefront6targetE0EEEvS11_.num_vgpr, 13
	.set _ZN7rocprim17ROCPRIM_400000_NS6detail17trampoline_kernelINS0_14default_configENS1_27upper_bound_config_selectorIN6thrust23THRUST_200600_302600_NS5tupleIiiNS6_9null_typeES8_S8_S8_S8_S8_S8_S8_EElEEZNS1_14transform_implILb0ES3_SA_NS6_6detail15normal_iteratorINS6_7pointerIS9_NS6_11hip_rocprim5par_tENS6_11use_defaultESH_EEEENSD_INSE_IlSG_SH_SH_EEEEZNS1_13binary_searchIS3_SA_NSD_INS6_10device_ptrIS9_EEEESJ_SL_NS1_21upper_bound_search_opENSC_16wrapped_functionINS6_6system6detail7generic6detail18binary_search_lessEbEEEE10hipError_tPvRmT1_T2_T3_mmT4_T5_P12ihipStream_tbEUlRKS9_E_EESY_S12_S13_mS14_S17_bEUlT_E_NS1_11comp_targetILNS1_3genE8ELNS1_11target_archE1030ELNS1_3gpuE2ELNS1_3repE0EEENS1_30default_config_static_selectorELNS0_4arch9wavefront6targetE0EEEvS11_.num_agpr, 0
	.set _ZN7rocprim17ROCPRIM_400000_NS6detail17trampoline_kernelINS0_14default_configENS1_27upper_bound_config_selectorIN6thrust23THRUST_200600_302600_NS5tupleIiiNS6_9null_typeES8_S8_S8_S8_S8_S8_S8_EElEEZNS1_14transform_implILb0ES3_SA_NS6_6detail15normal_iteratorINS6_7pointerIS9_NS6_11hip_rocprim5par_tENS6_11use_defaultESH_EEEENSD_INSE_IlSG_SH_SH_EEEEZNS1_13binary_searchIS3_SA_NSD_INS6_10device_ptrIS9_EEEESJ_SL_NS1_21upper_bound_search_opENSC_16wrapped_functionINS6_6system6detail7generic6detail18binary_search_lessEbEEEE10hipError_tPvRmT1_T2_T3_mmT4_T5_P12ihipStream_tbEUlRKS9_E_EESY_S12_S13_mS14_S17_bEUlT_E_NS1_11comp_targetILNS1_3genE8ELNS1_11target_archE1030ELNS1_3gpuE2ELNS1_3repE0EEENS1_30default_config_static_selectorELNS0_4arch9wavefront6targetE0EEEvS11_.numbered_sgpr, 20
	.set _ZN7rocprim17ROCPRIM_400000_NS6detail17trampoline_kernelINS0_14default_configENS1_27upper_bound_config_selectorIN6thrust23THRUST_200600_302600_NS5tupleIiiNS6_9null_typeES8_S8_S8_S8_S8_S8_S8_EElEEZNS1_14transform_implILb0ES3_SA_NS6_6detail15normal_iteratorINS6_7pointerIS9_NS6_11hip_rocprim5par_tENS6_11use_defaultESH_EEEENSD_INSE_IlSG_SH_SH_EEEEZNS1_13binary_searchIS3_SA_NSD_INS6_10device_ptrIS9_EEEESJ_SL_NS1_21upper_bound_search_opENSC_16wrapped_functionINS6_6system6detail7generic6detail18binary_search_lessEbEEEE10hipError_tPvRmT1_T2_T3_mmT4_T5_P12ihipStream_tbEUlRKS9_E_EESY_S12_S13_mS14_S17_bEUlT_E_NS1_11comp_targetILNS1_3genE8ELNS1_11target_archE1030ELNS1_3gpuE2ELNS1_3repE0EEENS1_30default_config_static_selectorELNS0_4arch9wavefront6targetE0EEEvS11_.num_named_barrier, 0
	.set _ZN7rocprim17ROCPRIM_400000_NS6detail17trampoline_kernelINS0_14default_configENS1_27upper_bound_config_selectorIN6thrust23THRUST_200600_302600_NS5tupleIiiNS6_9null_typeES8_S8_S8_S8_S8_S8_S8_EElEEZNS1_14transform_implILb0ES3_SA_NS6_6detail15normal_iteratorINS6_7pointerIS9_NS6_11hip_rocprim5par_tENS6_11use_defaultESH_EEEENSD_INSE_IlSG_SH_SH_EEEEZNS1_13binary_searchIS3_SA_NSD_INS6_10device_ptrIS9_EEEESJ_SL_NS1_21upper_bound_search_opENSC_16wrapped_functionINS6_6system6detail7generic6detail18binary_search_lessEbEEEE10hipError_tPvRmT1_T2_T3_mmT4_T5_P12ihipStream_tbEUlRKS9_E_EESY_S12_S13_mS14_S17_bEUlT_E_NS1_11comp_targetILNS1_3genE8ELNS1_11target_archE1030ELNS1_3gpuE2ELNS1_3repE0EEENS1_30default_config_static_selectorELNS0_4arch9wavefront6targetE0EEEvS11_.private_seg_size, 0
	.set _ZN7rocprim17ROCPRIM_400000_NS6detail17trampoline_kernelINS0_14default_configENS1_27upper_bound_config_selectorIN6thrust23THRUST_200600_302600_NS5tupleIiiNS6_9null_typeES8_S8_S8_S8_S8_S8_S8_EElEEZNS1_14transform_implILb0ES3_SA_NS6_6detail15normal_iteratorINS6_7pointerIS9_NS6_11hip_rocprim5par_tENS6_11use_defaultESH_EEEENSD_INSE_IlSG_SH_SH_EEEEZNS1_13binary_searchIS3_SA_NSD_INS6_10device_ptrIS9_EEEESJ_SL_NS1_21upper_bound_search_opENSC_16wrapped_functionINS6_6system6detail7generic6detail18binary_search_lessEbEEEE10hipError_tPvRmT1_T2_T3_mmT4_T5_P12ihipStream_tbEUlRKS9_E_EESY_S12_S13_mS14_S17_bEUlT_E_NS1_11comp_targetILNS1_3genE8ELNS1_11target_archE1030ELNS1_3gpuE2ELNS1_3repE0EEENS1_30default_config_static_selectorELNS0_4arch9wavefront6targetE0EEEvS11_.uses_vcc, 1
	.set _ZN7rocprim17ROCPRIM_400000_NS6detail17trampoline_kernelINS0_14default_configENS1_27upper_bound_config_selectorIN6thrust23THRUST_200600_302600_NS5tupleIiiNS6_9null_typeES8_S8_S8_S8_S8_S8_S8_EElEEZNS1_14transform_implILb0ES3_SA_NS6_6detail15normal_iteratorINS6_7pointerIS9_NS6_11hip_rocprim5par_tENS6_11use_defaultESH_EEEENSD_INSE_IlSG_SH_SH_EEEEZNS1_13binary_searchIS3_SA_NSD_INS6_10device_ptrIS9_EEEESJ_SL_NS1_21upper_bound_search_opENSC_16wrapped_functionINS6_6system6detail7generic6detail18binary_search_lessEbEEEE10hipError_tPvRmT1_T2_T3_mmT4_T5_P12ihipStream_tbEUlRKS9_E_EESY_S12_S13_mS14_S17_bEUlT_E_NS1_11comp_targetILNS1_3genE8ELNS1_11target_archE1030ELNS1_3gpuE2ELNS1_3repE0EEENS1_30default_config_static_selectorELNS0_4arch9wavefront6targetE0EEEvS11_.uses_flat_scratch, 0
	.set _ZN7rocprim17ROCPRIM_400000_NS6detail17trampoline_kernelINS0_14default_configENS1_27upper_bound_config_selectorIN6thrust23THRUST_200600_302600_NS5tupleIiiNS6_9null_typeES8_S8_S8_S8_S8_S8_S8_EElEEZNS1_14transform_implILb0ES3_SA_NS6_6detail15normal_iteratorINS6_7pointerIS9_NS6_11hip_rocprim5par_tENS6_11use_defaultESH_EEEENSD_INSE_IlSG_SH_SH_EEEEZNS1_13binary_searchIS3_SA_NSD_INS6_10device_ptrIS9_EEEESJ_SL_NS1_21upper_bound_search_opENSC_16wrapped_functionINS6_6system6detail7generic6detail18binary_search_lessEbEEEE10hipError_tPvRmT1_T2_T3_mmT4_T5_P12ihipStream_tbEUlRKS9_E_EESY_S12_S13_mS14_S17_bEUlT_E_NS1_11comp_targetILNS1_3genE8ELNS1_11target_archE1030ELNS1_3gpuE2ELNS1_3repE0EEENS1_30default_config_static_selectorELNS0_4arch9wavefront6targetE0EEEvS11_.has_dyn_sized_stack, 0
	.set _ZN7rocprim17ROCPRIM_400000_NS6detail17trampoline_kernelINS0_14default_configENS1_27upper_bound_config_selectorIN6thrust23THRUST_200600_302600_NS5tupleIiiNS6_9null_typeES8_S8_S8_S8_S8_S8_S8_EElEEZNS1_14transform_implILb0ES3_SA_NS6_6detail15normal_iteratorINS6_7pointerIS9_NS6_11hip_rocprim5par_tENS6_11use_defaultESH_EEEENSD_INSE_IlSG_SH_SH_EEEEZNS1_13binary_searchIS3_SA_NSD_INS6_10device_ptrIS9_EEEESJ_SL_NS1_21upper_bound_search_opENSC_16wrapped_functionINS6_6system6detail7generic6detail18binary_search_lessEbEEEE10hipError_tPvRmT1_T2_T3_mmT4_T5_P12ihipStream_tbEUlRKS9_E_EESY_S12_S13_mS14_S17_bEUlT_E_NS1_11comp_targetILNS1_3genE8ELNS1_11target_archE1030ELNS1_3gpuE2ELNS1_3repE0EEENS1_30default_config_static_selectorELNS0_4arch9wavefront6targetE0EEEvS11_.has_recursion, 0
	.set _ZN7rocprim17ROCPRIM_400000_NS6detail17trampoline_kernelINS0_14default_configENS1_27upper_bound_config_selectorIN6thrust23THRUST_200600_302600_NS5tupleIiiNS6_9null_typeES8_S8_S8_S8_S8_S8_S8_EElEEZNS1_14transform_implILb0ES3_SA_NS6_6detail15normal_iteratorINS6_7pointerIS9_NS6_11hip_rocprim5par_tENS6_11use_defaultESH_EEEENSD_INSE_IlSG_SH_SH_EEEEZNS1_13binary_searchIS3_SA_NSD_INS6_10device_ptrIS9_EEEESJ_SL_NS1_21upper_bound_search_opENSC_16wrapped_functionINS6_6system6detail7generic6detail18binary_search_lessEbEEEE10hipError_tPvRmT1_T2_T3_mmT4_T5_P12ihipStream_tbEUlRKS9_E_EESY_S12_S13_mS14_S17_bEUlT_E_NS1_11comp_targetILNS1_3genE8ELNS1_11target_archE1030ELNS1_3gpuE2ELNS1_3repE0EEENS1_30default_config_static_selectorELNS0_4arch9wavefront6targetE0EEEvS11_.has_indirect_call, 0
	.section	.AMDGPU.csdata,"",@progbits
; Kernel info:
; codeLenInByte = 844
; TotalNumSgprs: 22
; NumVgprs: 13
; ScratchSize: 0
; MemoryBound: 0
; FloatMode: 240
; IeeeMode: 1
; LDSByteSize: 0 bytes/workgroup (compile time only)
; SGPRBlocks: 0
; VGPRBlocks: 1
; NumSGPRsForWavesPerEU: 22
; NumVGPRsForWavesPerEU: 13
; Occupancy: 16
; WaveLimiterHint : 0
; COMPUTE_PGM_RSRC2:SCRATCH_EN: 0
; COMPUTE_PGM_RSRC2:USER_SGPR: 6
; COMPUTE_PGM_RSRC2:TRAP_HANDLER: 0
; COMPUTE_PGM_RSRC2:TGID_X_EN: 1
; COMPUTE_PGM_RSRC2:TGID_Y_EN: 0
; COMPUTE_PGM_RSRC2:TGID_Z_EN: 0
; COMPUTE_PGM_RSRC2:TIDIG_COMP_CNT: 0
	.section	.text._ZN7rocprim17ROCPRIM_400000_NS6detail17trampoline_kernelINS0_14default_configENS1_27upper_bound_config_selectorIiiEEZNS1_14transform_implILb0ES3_S5_N6thrust23THRUST_200600_302600_NS6detail15normal_iteratorINS8_10device_ptrIiEEEESD_ZNS1_13binary_searchIS3_S5_SD_SD_SD_NS1_21upper_bound_search_opENS9_16wrapped_functionINS0_4lessIvEEbEEEE10hipError_tPvRmT1_T2_T3_mmT4_T5_P12ihipStream_tbEUlRKiE_EESK_SO_SP_mSQ_ST_bEUlT_E_NS1_11comp_targetILNS1_3genE0ELNS1_11target_archE4294967295ELNS1_3gpuE0ELNS1_3repE0EEENS1_30default_config_static_selectorELNS0_4arch9wavefront6targetE0EEEvSN_,"axG",@progbits,_ZN7rocprim17ROCPRIM_400000_NS6detail17trampoline_kernelINS0_14default_configENS1_27upper_bound_config_selectorIiiEEZNS1_14transform_implILb0ES3_S5_N6thrust23THRUST_200600_302600_NS6detail15normal_iteratorINS8_10device_ptrIiEEEESD_ZNS1_13binary_searchIS3_S5_SD_SD_SD_NS1_21upper_bound_search_opENS9_16wrapped_functionINS0_4lessIvEEbEEEE10hipError_tPvRmT1_T2_T3_mmT4_T5_P12ihipStream_tbEUlRKiE_EESK_SO_SP_mSQ_ST_bEUlT_E_NS1_11comp_targetILNS1_3genE0ELNS1_11target_archE4294967295ELNS1_3gpuE0ELNS1_3repE0EEENS1_30default_config_static_selectorELNS0_4arch9wavefront6targetE0EEEvSN_,comdat
	.protected	_ZN7rocprim17ROCPRIM_400000_NS6detail17trampoline_kernelINS0_14default_configENS1_27upper_bound_config_selectorIiiEEZNS1_14transform_implILb0ES3_S5_N6thrust23THRUST_200600_302600_NS6detail15normal_iteratorINS8_10device_ptrIiEEEESD_ZNS1_13binary_searchIS3_S5_SD_SD_SD_NS1_21upper_bound_search_opENS9_16wrapped_functionINS0_4lessIvEEbEEEE10hipError_tPvRmT1_T2_T3_mmT4_T5_P12ihipStream_tbEUlRKiE_EESK_SO_SP_mSQ_ST_bEUlT_E_NS1_11comp_targetILNS1_3genE0ELNS1_11target_archE4294967295ELNS1_3gpuE0ELNS1_3repE0EEENS1_30default_config_static_selectorELNS0_4arch9wavefront6targetE0EEEvSN_ ; -- Begin function _ZN7rocprim17ROCPRIM_400000_NS6detail17trampoline_kernelINS0_14default_configENS1_27upper_bound_config_selectorIiiEEZNS1_14transform_implILb0ES3_S5_N6thrust23THRUST_200600_302600_NS6detail15normal_iteratorINS8_10device_ptrIiEEEESD_ZNS1_13binary_searchIS3_S5_SD_SD_SD_NS1_21upper_bound_search_opENS9_16wrapped_functionINS0_4lessIvEEbEEEE10hipError_tPvRmT1_T2_T3_mmT4_T5_P12ihipStream_tbEUlRKiE_EESK_SO_SP_mSQ_ST_bEUlT_E_NS1_11comp_targetILNS1_3genE0ELNS1_11target_archE4294967295ELNS1_3gpuE0ELNS1_3repE0EEENS1_30default_config_static_selectorELNS0_4arch9wavefront6targetE0EEEvSN_
	.globl	_ZN7rocprim17ROCPRIM_400000_NS6detail17trampoline_kernelINS0_14default_configENS1_27upper_bound_config_selectorIiiEEZNS1_14transform_implILb0ES3_S5_N6thrust23THRUST_200600_302600_NS6detail15normal_iteratorINS8_10device_ptrIiEEEESD_ZNS1_13binary_searchIS3_S5_SD_SD_SD_NS1_21upper_bound_search_opENS9_16wrapped_functionINS0_4lessIvEEbEEEE10hipError_tPvRmT1_T2_T3_mmT4_T5_P12ihipStream_tbEUlRKiE_EESK_SO_SP_mSQ_ST_bEUlT_E_NS1_11comp_targetILNS1_3genE0ELNS1_11target_archE4294967295ELNS1_3gpuE0ELNS1_3repE0EEENS1_30default_config_static_selectorELNS0_4arch9wavefront6targetE0EEEvSN_
	.p2align	8
	.type	_ZN7rocprim17ROCPRIM_400000_NS6detail17trampoline_kernelINS0_14default_configENS1_27upper_bound_config_selectorIiiEEZNS1_14transform_implILb0ES3_S5_N6thrust23THRUST_200600_302600_NS6detail15normal_iteratorINS8_10device_ptrIiEEEESD_ZNS1_13binary_searchIS3_S5_SD_SD_SD_NS1_21upper_bound_search_opENS9_16wrapped_functionINS0_4lessIvEEbEEEE10hipError_tPvRmT1_T2_T3_mmT4_T5_P12ihipStream_tbEUlRKiE_EESK_SO_SP_mSQ_ST_bEUlT_E_NS1_11comp_targetILNS1_3genE0ELNS1_11target_archE4294967295ELNS1_3gpuE0ELNS1_3repE0EEENS1_30default_config_static_selectorELNS0_4arch9wavefront6targetE0EEEvSN_,@function
_ZN7rocprim17ROCPRIM_400000_NS6detail17trampoline_kernelINS0_14default_configENS1_27upper_bound_config_selectorIiiEEZNS1_14transform_implILb0ES3_S5_N6thrust23THRUST_200600_302600_NS6detail15normal_iteratorINS8_10device_ptrIiEEEESD_ZNS1_13binary_searchIS3_S5_SD_SD_SD_NS1_21upper_bound_search_opENS9_16wrapped_functionINS0_4lessIvEEbEEEE10hipError_tPvRmT1_T2_T3_mmT4_T5_P12ihipStream_tbEUlRKiE_EESK_SO_SP_mSQ_ST_bEUlT_E_NS1_11comp_targetILNS1_3genE0ELNS1_11target_archE4294967295ELNS1_3gpuE0ELNS1_3repE0EEENS1_30default_config_static_selectorELNS0_4arch9wavefront6targetE0EEEvSN_: ; @_ZN7rocprim17ROCPRIM_400000_NS6detail17trampoline_kernelINS0_14default_configENS1_27upper_bound_config_selectorIiiEEZNS1_14transform_implILb0ES3_S5_N6thrust23THRUST_200600_302600_NS6detail15normal_iteratorINS8_10device_ptrIiEEEESD_ZNS1_13binary_searchIS3_S5_SD_SD_SD_NS1_21upper_bound_search_opENS9_16wrapped_functionINS0_4lessIvEEbEEEE10hipError_tPvRmT1_T2_T3_mmT4_T5_P12ihipStream_tbEUlRKiE_EESK_SO_SP_mSQ_ST_bEUlT_E_NS1_11comp_targetILNS1_3genE0ELNS1_11target_archE4294967295ELNS1_3gpuE0ELNS1_3repE0EEENS1_30default_config_static_selectorELNS0_4arch9wavefront6targetE0EEEvSN_
; %bb.0:
	.section	.rodata,"a",@progbits
	.p2align	6, 0x0
	.amdhsa_kernel _ZN7rocprim17ROCPRIM_400000_NS6detail17trampoline_kernelINS0_14default_configENS1_27upper_bound_config_selectorIiiEEZNS1_14transform_implILb0ES3_S5_N6thrust23THRUST_200600_302600_NS6detail15normal_iteratorINS8_10device_ptrIiEEEESD_ZNS1_13binary_searchIS3_S5_SD_SD_SD_NS1_21upper_bound_search_opENS9_16wrapped_functionINS0_4lessIvEEbEEEE10hipError_tPvRmT1_T2_T3_mmT4_T5_P12ihipStream_tbEUlRKiE_EESK_SO_SP_mSQ_ST_bEUlT_E_NS1_11comp_targetILNS1_3genE0ELNS1_11target_archE4294967295ELNS1_3gpuE0ELNS1_3repE0EEENS1_30default_config_static_selectorELNS0_4arch9wavefront6targetE0EEEvSN_
		.amdhsa_group_segment_fixed_size 0
		.amdhsa_private_segment_fixed_size 0
		.amdhsa_kernarg_size 56
		.amdhsa_user_sgpr_count 6
		.amdhsa_user_sgpr_private_segment_buffer 1
		.amdhsa_user_sgpr_dispatch_ptr 0
		.amdhsa_user_sgpr_queue_ptr 0
		.amdhsa_user_sgpr_kernarg_segment_ptr 1
		.amdhsa_user_sgpr_dispatch_id 0
		.amdhsa_user_sgpr_flat_scratch_init 0
		.amdhsa_user_sgpr_private_segment_size 0
		.amdhsa_wavefront_size32 1
		.amdhsa_uses_dynamic_stack 0
		.amdhsa_system_sgpr_private_segment_wavefront_offset 0
		.amdhsa_system_sgpr_workgroup_id_x 1
		.amdhsa_system_sgpr_workgroup_id_y 0
		.amdhsa_system_sgpr_workgroup_id_z 0
		.amdhsa_system_sgpr_workgroup_info 0
		.amdhsa_system_vgpr_workitem_id 0
		.amdhsa_next_free_vgpr 1
		.amdhsa_next_free_sgpr 1
		.amdhsa_reserve_vcc 0
		.amdhsa_reserve_flat_scratch 0
		.amdhsa_float_round_mode_32 0
		.amdhsa_float_round_mode_16_64 0
		.amdhsa_float_denorm_mode_32 3
		.amdhsa_float_denorm_mode_16_64 3
		.amdhsa_dx10_clamp 1
		.amdhsa_ieee_mode 1
		.amdhsa_fp16_overflow 0
		.amdhsa_workgroup_processor_mode 1
		.amdhsa_memory_ordered 1
		.amdhsa_forward_progress 1
		.amdhsa_shared_vgpr_count 0
		.amdhsa_exception_fp_ieee_invalid_op 0
		.amdhsa_exception_fp_denorm_src 0
		.amdhsa_exception_fp_ieee_div_zero 0
		.amdhsa_exception_fp_ieee_overflow 0
		.amdhsa_exception_fp_ieee_underflow 0
		.amdhsa_exception_fp_ieee_inexact 0
		.amdhsa_exception_int_div_zero 0
	.end_amdhsa_kernel
	.section	.text._ZN7rocprim17ROCPRIM_400000_NS6detail17trampoline_kernelINS0_14default_configENS1_27upper_bound_config_selectorIiiEEZNS1_14transform_implILb0ES3_S5_N6thrust23THRUST_200600_302600_NS6detail15normal_iteratorINS8_10device_ptrIiEEEESD_ZNS1_13binary_searchIS3_S5_SD_SD_SD_NS1_21upper_bound_search_opENS9_16wrapped_functionINS0_4lessIvEEbEEEE10hipError_tPvRmT1_T2_T3_mmT4_T5_P12ihipStream_tbEUlRKiE_EESK_SO_SP_mSQ_ST_bEUlT_E_NS1_11comp_targetILNS1_3genE0ELNS1_11target_archE4294967295ELNS1_3gpuE0ELNS1_3repE0EEENS1_30default_config_static_selectorELNS0_4arch9wavefront6targetE0EEEvSN_,"axG",@progbits,_ZN7rocprim17ROCPRIM_400000_NS6detail17trampoline_kernelINS0_14default_configENS1_27upper_bound_config_selectorIiiEEZNS1_14transform_implILb0ES3_S5_N6thrust23THRUST_200600_302600_NS6detail15normal_iteratorINS8_10device_ptrIiEEEESD_ZNS1_13binary_searchIS3_S5_SD_SD_SD_NS1_21upper_bound_search_opENS9_16wrapped_functionINS0_4lessIvEEbEEEE10hipError_tPvRmT1_T2_T3_mmT4_T5_P12ihipStream_tbEUlRKiE_EESK_SO_SP_mSQ_ST_bEUlT_E_NS1_11comp_targetILNS1_3genE0ELNS1_11target_archE4294967295ELNS1_3gpuE0ELNS1_3repE0EEENS1_30default_config_static_selectorELNS0_4arch9wavefront6targetE0EEEvSN_,comdat
.Lfunc_end608:
	.size	_ZN7rocprim17ROCPRIM_400000_NS6detail17trampoline_kernelINS0_14default_configENS1_27upper_bound_config_selectorIiiEEZNS1_14transform_implILb0ES3_S5_N6thrust23THRUST_200600_302600_NS6detail15normal_iteratorINS8_10device_ptrIiEEEESD_ZNS1_13binary_searchIS3_S5_SD_SD_SD_NS1_21upper_bound_search_opENS9_16wrapped_functionINS0_4lessIvEEbEEEE10hipError_tPvRmT1_T2_T3_mmT4_T5_P12ihipStream_tbEUlRKiE_EESK_SO_SP_mSQ_ST_bEUlT_E_NS1_11comp_targetILNS1_3genE0ELNS1_11target_archE4294967295ELNS1_3gpuE0ELNS1_3repE0EEENS1_30default_config_static_selectorELNS0_4arch9wavefront6targetE0EEEvSN_, .Lfunc_end608-_ZN7rocprim17ROCPRIM_400000_NS6detail17trampoline_kernelINS0_14default_configENS1_27upper_bound_config_selectorIiiEEZNS1_14transform_implILb0ES3_S5_N6thrust23THRUST_200600_302600_NS6detail15normal_iteratorINS8_10device_ptrIiEEEESD_ZNS1_13binary_searchIS3_S5_SD_SD_SD_NS1_21upper_bound_search_opENS9_16wrapped_functionINS0_4lessIvEEbEEEE10hipError_tPvRmT1_T2_T3_mmT4_T5_P12ihipStream_tbEUlRKiE_EESK_SO_SP_mSQ_ST_bEUlT_E_NS1_11comp_targetILNS1_3genE0ELNS1_11target_archE4294967295ELNS1_3gpuE0ELNS1_3repE0EEENS1_30default_config_static_selectorELNS0_4arch9wavefront6targetE0EEEvSN_
                                        ; -- End function
	.set _ZN7rocprim17ROCPRIM_400000_NS6detail17trampoline_kernelINS0_14default_configENS1_27upper_bound_config_selectorIiiEEZNS1_14transform_implILb0ES3_S5_N6thrust23THRUST_200600_302600_NS6detail15normal_iteratorINS8_10device_ptrIiEEEESD_ZNS1_13binary_searchIS3_S5_SD_SD_SD_NS1_21upper_bound_search_opENS9_16wrapped_functionINS0_4lessIvEEbEEEE10hipError_tPvRmT1_T2_T3_mmT4_T5_P12ihipStream_tbEUlRKiE_EESK_SO_SP_mSQ_ST_bEUlT_E_NS1_11comp_targetILNS1_3genE0ELNS1_11target_archE4294967295ELNS1_3gpuE0ELNS1_3repE0EEENS1_30default_config_static_selectorELNS0_4arch9wavefront6targetE0EEEvSN_.num_vgpr, 0
	.set _ZN7rocprim17ROCPRIM_400000_NS6detail17trampoline_kernelINS0_14default_configENS1_27upper_bound_config_selectorIiiEEZNS1_14transform_implILb0ES3_S5_N6thrust23THRUST_200600_302600_NS6detail15normal_iteratorINS8_10device_ptrIiEEEESD_ZNS1_13binary_searchIS3_S5_SD_SD_SD_NS1_21upper_bound_search_opENS9_16wrapped_functionINS0_4lessIvEEbEEEE10hipError_tPvRmT1_T2_T3_mmT4_T5_P12ihipStream_tbEUlRKiE_EESK_SO_SP_mSQ_ST_bEUlT_E_NS1_11comp_targetILNS1_3genE0ELNS1_11target_archE4294967295ELNS1_3gpuE0ELNS1_3repE0EEENS1_30default_config_static_selectorELNS0_4arch9wavefront6targetE0EEEvSN_.num_agpr, 0
	.set _ZN7rocprim17ROCPRIM_400000_NS6detail17trampoline_kernelINS0_14default_configENS1_27upper_bound_config_selectorIiiEEZNS1_14transform_implILb0ES3_S5_N6thrust23THRUST_200600_302600_NS6detail15normal_iteratorINS8_10device_ptrIiEEEESD_ZNS1_13binary_searchIS3_S5_SD_SD_SD_NS1_21upper_bound_search_opENS9_16wrapped_functionINS0_4lessIvEEbEEEE10hipError_tPvRmT1_T2_T3_mmT4_T5_P12ihipStream_tbEUlRKiE_EESK_SO_SP_mSQ_ST_bEUlT_E_NS1_11comp_targetILNS1_3genE0ELNS1_11target_archE4294967295ELNS1_3gpuE0ELNS1_3repE0EEENS1_30default_config_static_selectorELNS0_4arch9wavefront6targetE0EEEvSN_.numbered_sgpr, 0
	.set _ZN7rocprim17ROCPRIM_400000_NS6detail17trampoline_kernelINS0_14default_configENS1_27upper_bound_config_selectorIiiEEZNS1_14transform_implILb0ES3_S5_N6thrust23THRUST_200600_302600_NS6detail15normal_iteratorINS8_10device_ptrIiEEEESD_ZNS1_13binary_searchIS3_S5_SD_SD_SD_NS1_21upper_bound_search_opENS9_16wrapped_functionINS0_4lessIvEEbEEEE10hipError_tPvRmT1_T2_T3_mmT4_T5_P12ihipStream_tbEUlRKiE_EESK_SO_SP_mSQ_ST_bEUlT_E_NS1_11comp_targetILNS1_3genE0ELNS1_11target_archE4294967295ELNS1_3gpuE0ELNS1_3repE0EEENS1_30default_config_static_selectorELNS0_4arch9wavefront6targetE0EEEvSN_.num_named_barrier, 0
	.set _ZN7rocprim17ROCPRIM_400000_NS6detail17trampoline_kernelINS0_14default_configENS1_27upper_bound_config_selectorIiiEEZNS1_14transform_implILb0ES3_S5_N6thrust23THRUST_200600_302600_NS6detail15normal_iteratorINS8_10device_ptrIiEEEESD_ZNS1_13binary_searchIS3_S5_SD_SD_SD_NS1_21upper_bound_search_opENS9_16wrapped_functionINS0_4lessIvEEbEEEE10hipError_tPvRmT1_T2_T3_mmT4_T5_P12ihipStream_tbEUlRKiE_EESK_SO_SP_mSQ_ST_bEUlT_E_NS1_11comp_targetILNS1_3genE0ELNS1_11target_archE4294967295ELNS1_3gpuE0ELNS1_3repE0EEENS1_30default_config_static_selectorELNS0_4arch9wavefront6targetE0EEEvSN_.private_seg_size, 0
	.set _ZN7rocprim17ROCPRIM_400000_NS6detail17trampoline_kernelINS0_14default_configENS1_27upper_bound_config_selectorIiiEEZNS1_14transform_implILb0ES3_S5_N6thrust23THRUST_200600_302600_NS6detail15normal_iteratorINS8_10device_ptrIiEEEESD_ZNS1_13binary_searchIS3_S5_SD_SD_SD_NS1_21upper_bound_search_opENS9_16wrapped_functionINS0_4lessIvEEbEEEE10hipError_tPvRmT1_T2_T3_mmT4_T5_P12ihipStream_tbEUlRKiE_EESK_SO_SP_mSQ_ST_bEUlT_E_NS1_11comp_targetILNS1_3genE0ELNS1_11target_archE4294967295ELNS1_3gpuE0ELNS1_3repE0EEENS1_30default_config_static_selectorELNS0_4arch9wavefront6targetE0EEEvSN_.uses_vcc, 0
	.set _ZN7rocprim17ROCPRIM_400000_NS6detail17trampoline_kernelINS0_14default_configENS1_27upper_bound_config_selectorIiiEEZNS1_14transform_implILb0ES3_S5_N6thrust23THRUST_200600_302600_NS6detail15normal_iteratorINS8_10device_ptrIiEEEESD_ZNS1_13binary_searchIS3_S5_SD_SD_SD_NS1_21upper_bound_search_opENS9_16wrapped_functionINS0_4lessIvEEbEEEE10hipError_tPvRmT1_T2_T3_mmT4_T5_P12ihipStream_tbEUlRKiE_EESK_SO_SP_mSQ_ST_bEUlT_E_NS1_11comp_targetILNS1_3genE0ELNS1_11target_archE4294967295ELNS1_3gpuE0ELNS1_3repE0EEENS1_30default_config_static_selectorELNS0_4arch9wavefront6targetE0EEEvSN_.uses_flat_scratch, 0
	.set _ZN7rocprim17ROCPRIM_400000_NS6detail17trampoline_kernelINS0_14default_configENS1_27upper_bound_config_selectorIiiEEZNS1_14transform_implILb0ES3_S5_N6thrust23THRUST_200600_302600_NS6detail15normal_iteratorINS8_10device_ptrIiEEEESD_ZNS1_13binary_searchIS3_S5_SD_SD_SD_NS1_21upper_bound_search_opENS9_16wrapped_functionINS0_4lessIvEEbEEEE10hipError_tPvRmT1_T2_T3_mmT4_T5_P12ihipStream_tbEUlRKiE_EESK_SO_SP_mSQ_ST_bEUlT_E_NS1_11comp_targetILNS1_3genE0ELNS1_11target_archE4294967295ELNS1_3gpuE0ELNS1_3repE0EEENS1_30default_config_static_selectorELNS0_4arch9wavefront6targetE0EEEvSN_.has_dyn_sized_stack, 0
	.set _ZN7rocprim17ROCPRIM_400000_NS6detail17trampoline_kernelINS0_14default_configENS1_27upper_bound_config_selectorIiiEEZNS1_14transform_implILb0ES3_S5_N6thrust23THRUST_200600_302600_NS6detail15normal_iteratorINS8_10device_ptrIiEEEESD_ZNS1_13binary_searchIS3_S5_SD_SD_SD_NS1_21upper_bound_search_opENS9_16wrapped_functionINS0_4lessIvEEbEEEE10hipError_tPvRmT1_T2_T3_mmT4_T5_P12ihipStream_tbEUlRKiE_EESK_SO_SP_mSQ_ST_bEUlT_E_NS1_11comp_targetILNS1_3genE0ELNS1_11target_archE4294967295ELNS1_3gpuE0ELNS1_3repE0EEENS1_30default_config_static_selectorELNS0_4arch9wavefront6targetE0EEEvSN_.has_recursion, 0
	.set _ZN7rocprim17ROCPRIM_400000_NS6detail17trampoline_kernelINS0_14default_configENS1_27upper_bound_config_selectorIiiEEZNS1_14transform_implILb0ES3_S5_N6thrust23THRUST_200600_302600_NS6detail15normal_iteratorINS8_10device_ptrIiEEEESD_ZNS1_13binary_searchIS3_S5_SD_SD_SD_NS1_21upper_bound_search_opENS9_16wrapped_functionINS0_4lessIvEEbEEEE10hipError_tPvRmT1_T2_T3_mmT4_T5_P12ihipStream_tbEUlRKiE_EESK_SO_SP_mSQ_ST_bEUlT_E_NS1_11comp_targetILNS1_3genE0ELNS1_11target_archE4294967295ELNS1_3gpuE0ELNS1_3repE0EEENS1_30default_config_static_selectorELNS0_4arch9wavefront6targetE0EEEvSN_.has_indirect_call, 0
	.section	.AMDGPU.csdata,"",@progbits
; Kernel info:
; codeLenInByte = 0
; TotalNumSgprs: 0
; NumVgprs: 0
; ScratchSize: 0
; MemoryBound: 0
; FloatMode: 240
; IeeeMode: 1
; LDSByteSize: 0 bytes/workgroup (compile time only)
; SGPRBlocks: 0
; VGPRBlocks: 0
; NumSGPRsForWavesPerEU: 1
; NumVGPRsForWavesPerEU: 1
; Occupancy: 16
; WaveLimiterHint : 0
; COMPUTE_PGM_RSRC2:SCRATCH_EN: 0
; COMPUTE_PGM_RSRC2:USER_SGPR: 6
; COMPUTE_PGM_RSRC2:TRAP_HANDLER: 0
; COMPUTE_PGM_RSRC2:TGID_X_EN: 1
; COMPUTE_PGM_RSRC2:TGID_Y_EN: 0
; COMPUTE_PGM_RSRC2:TGID_Z_EN: 0
; COMPUTE_PGM_RSRC2:TIDIG_COMP_CNT: 0
	.section	.text._ZN7rocprim17ROCPRIM_400000_NS6detail17trampoline_kernelINS0_14default_configENS1_27upper_bound_config_selectorIiiEEZNS1_14transform_implILb0ES3_S5_N6thrust23THRUST_200600_302600_NS6detail15normal_iteratorINS8_10device_ptrIiEEEESD_ZNS1_13binary_searchIS3_S5_SD_SD_SD_NS1_21upper_bound_search_opENS9_16wrapped_functionINS0_4lessIvEEbEEEE10hipError_tPvRmT1_T2_T3_mmT4_T5_P12ihipStream_tbEUlRKiE_EESK_SO_SP_mSQ_ST_bEUlT_E_NS1_11comp_targetILNS1_3genE5ELNS1_11target_archE942ELNS1_3gpuE9ELNS1_3repE0EEENS1_30default_config_static_selectorELNS0_4arch9wavefront6targetE0EEEvSN_,"axG",@progbits,_ZN7rocprim17ROCPRIM_400000_NS6detail17trampoline_kernelINS0_14default_configENS1_27upper_bound_config_selectorIiiEEZNS1_14transform_implILb0ES3_S5_N6thrust23THRUST_200600_302600_NS6detail15normal_iteratorINS8_10device_ptrIiEEEESD_ZNS1_13binary_searchIS3_S5_SD_SD_SD_NS1_21upper_bound_search_opENS9_16wrapped_functionINS0_4lessIvEEbEEEE10hipError_tPvRmT1_T2_T3_mmT4_T5_P12ihipStream_tbEUlRKiE_EESK_SO_SP_mSQ_ST_bEUlT_E_NS1_11comp_targetILNS1_3genE5ELNS1_11target_archE942ELNS1_3gpuE9ELNS1_3repE0EEENS1_30default_config_static_selectorELNS0_4arch9wavefront6targetE0EEEvSN_,comdat
	.protected	_ZN7rocprim17ROCPRIM_400000_NS6detail17trampoline_kernelINS0_14default_configENS1_27upper_bound_config_selectorIiiEEZNS1_14transform_implILb0ES3_S5_N6thrust23THRUST_200600_302600_NS6detail15normal_iteratorINS8_10device_ptrIiEEEESD_ZNS1_13binary_searchIS3_S5_SD_SD_SD_NS1_21upper_bound_search_opENS9_16wrapped_functionINS0_4lessIvEEbEEEE10hipError_tPvRmT1_T2_T3_mmT4_T5_P12ihipStream_tbEUlRKiE_EESK_SO_SP_mSQ_ST_bEUlT_E_NS1_11comp_targetILNS1_3genE5ELNS1_11target_archE942ELNS1_3gpuE9ELNS1_3repE0EEENS1_30default_config_static_selectorELNS0_4arch9wavefront6targetE0EEEvSN_ ; -- Begin function _ZN7rocprim17ROCPRIM_400000_NS6detail17trampoline_kernelINS0_14default_configENS1_27upper_bound_config_selectorIiiEEZNS1_14transform_implILb0ES3_S5_N6thrust23THRUST_200600_302600_NS6detail15normal_iteratorINS8_10device_ptrIiEEEESD_ZNS1_13binary_searchIS3_S5_SD_SD_SD_NS1_21upper_bound_search_opENS9_16wrapped_functionINS0_4lessIvEEbEEEE10hipError_tPvRmT1_T2_T3_mmT4_T5_P12ihipStream_tbEUlRKiE_EESK_SO_SP_mSQ_ST_bEUlT_E_NS1_11comp_targetILNS1_3genE5ELNS1_11target_archE942ELNS1_3gpuE9ELNS1_3repE0EEENS1_30default_config_static_selectorELNS0_4arch9wavefront6targetE0EEEvSN_
	.globl	_ZN7rocprim17ROCPRIM_400000_NS6detail17trampoline_kernelINS0_14default_configENS1_27upper_bound_config_selectorIiiEEZNS1_14transform_implILb0ES3_S5_N6thrust23THRUST_200600_302600_NS6detail15normal_iteratorINS8_10device_ptrIiEEEESD_ZNS1_13binary_searchIS3_S5_SD_SD_SD_NS1_21upper_bound_search_opENS9_16wrapped_functionINS0_4lessIvEEbEEEE10hipError_tPvRmT1_T2_T3_mmT4_T5_P12ihipStream_tbEUlRKiE_EESK_SO_SP_mSQ_ST_bEUlT_E_NS1_11comp_targetILNS1_3genE5ELNS1_11target_archE942ELNS1_3gpuE9ELNS1_3repE0EEENS1_30default_config_static_selectorELNS0_4arch9wavefront6targetE0EEEvSN_
	.p2align	8
	.type	_ZN7rocprim17ROCPRIM_400000_NS6detail17trampoline_kernelINS0_14default_configENS1_27upper_bound_config_selectorIiiEEZNS1_14transform_implILb0ES3_S5_N6thrust23THRUST_200600_302600_NS6detail15normal_iteratorINS8_10device_ptrIiEEEESD_ZNS1_13binary_searchIS3_S5_SD_SD_SD_NS1_21upper_bound_search_opENS9_16wrapped_functionINS0_4lessIvEEbEEEE10hipError_tPvRmT1_T2_T3_mmT4_T5_P12ihipStream_tbEUlRKiE_EESK_SO_SP_mSQ_ST_bEUlT_E_NS1_11comp_targetILNS1_3genE5ELNS1_11target_archE942ELNS1_3gpuE9ELNS1_3repE0EEENS1_30default_config_static_selectorELNS0_4arch9wavefront6targetE0EEEvSN_,@function
_ZN7rocprim17ROCPRIM_400000_NS6detail17trampoline_kernelINS0_14default_configENS1_27upper_bound_config_selectorIiiEEZNS1_14transform_implILb0ES3_S5_N6thrust23THRUST_200600_302600_NS6detail15normal_iteratorINS8_10device_ptrIiEEEESD_ZNS1_13binary_searchIS3_S5_SD_SD_SD_NS1_21upper_bound_search_opENS9_16wrapped_functionINS0_4lessIvEEbEEEE10hipError_tPvRmT1_T2_T3_mmT4_T5_P12ihipStream_tbEUlRKiE_EESK_SO_SP_mSQ_ST_bEUlT_E_NS1_11comp_targetILNS1_3genE5ELNS1_11target_archE942ELNS1_3gpuE9ELNS1_3repE0EEENS1_30default_config_static_selectorELNS0_4arch9wavefront6targetE0EEEvSN_: ; @_ZN7rocprim17ROCPRIM_400000_NS6detail17trampoline_kernelINS0_14default_configENS1_27upper_bound_config_selectorIiiEEZNS1_14transform_implILb0ES3_S5_N6thrust23THRUST_200600_302600_NS6detail15normal_iteratorINS8_10device_ptrIiEEEESD_ZNS1_13binary_searchIS3_S5_SD_SD_SD_NS1_21upper_bound_search_opENS9_16wrapped_functionINS0_4lessIvEEbEEEE10hipError_tPvRmT1_T2_T3_mmT4_T5_P12ihipStream_tbEUlRKiE_EESK_SO_SP_mSQ_ST_bEUlT_E_NS1_11comp_targetILNS1_3genE5ELNS1_11target_archE942ELNS1_3gpuE9ELNS1_3repE0EEENS1_30default_config_static_selectorELNS0_4arch9wavefront6targetE0EEEvSN_
; %bb.0:
	.section	.rodata,"a",@progbits
	.p2align	6, 0x0
	.amdhsa_kernel _ZN7rocprim17ROCPRIM_400000_NS6detail17trampoline_kernelINS0_14default_configENS1_27upper_bound_config_selectorIiiEEZNS1_14transform_implILb0ES3_S5_N6thrust23THRUST_200600_302600_NS6detail15normal_iteratorINS8_10device_ptrIiEEEESD_ZNS1_13binary_searchIS3_S5_SD_SD_SD_NS1_21upper_bound_search_opENS9_16wrapped_functionINS0_4lessIvEEbEEEE10hipError_tPvRmT1_T2_T3_mmT4_T5_P12ihipStream_tbEUlRKiE_EESK_SO_SP_mSQ_ST_bEUlT_E_NS1_11comp_targetILNS1_3genE5ELNS1_11target_archE942ELNS1_3gpuE9ELNS1_3repE0EEENS1_30default_config_static_selectorELNS0_4arch9wavefront6targetE0EEEvSN_
		.amdhsa_group_segment_fixed_size 0
		.amdhsa_private_segment_fixed_size 0
		.amdhsa_kernarg_size 56
		.amdhsa_user_sgpr_count 6
		.amdhsa_user_sgpr_private_segment_buffer 1
		.amdhsa_user_sgpr_dispatch_ptr 0
		.amdhsa_user_sgpr_queue_ptr 0
		.amdhsa_user_sgpr_kernarg_segment_ptr 1
		.amdhsa_user_sgpr_dispatch_id 0
		.amdhsa_user_sgpr_flat_scratch_init 0
		.amdhsa_user_sgpr_private_segment_size 0
		.amdhsa_wavefront_size32 1
		.amdhsa_uses_dynamic_stack 0
		.amdhsa_system_sgpr_private_segment_wavefront_offset 0
		.amdhsa_system_sgpr_workgroup_id_x 1
		.amdhsa_system_sgpr_workgroup_id_y 0
		.amdhsa_system_sgpr_workgroup_id_z 0
		.amdhsa_system_sgpr_workgroup_info 0
		.amdhsa_system_vgpr_workitem_id 0
		.amdhsa_next_free_vgpr 1
		.amdhsa_next_free_sgpr 1
		.amdhsa_reserve_vcc 0
		.amdhsa_reserve_flat_scratch 0
		.amdhsa_float_round_mode_32 0
		.amdhsa_float_round_mode_16_64 0
		.amdhsa_float_denorm_mode_32 3
		.amdhsa_float_denorm_mode_16_64 3
		.amdhsa_dx10_clamp 1
		.amdhsa_ieee_mode 1
		.amdhsa_fp16_overflow 0
		.amdhsa_workgroup_processor_mode 1
		.amdhsa_memory_ordered 1
		.amdhsa_forward_progress 1
		.amdhsa_shared_vgpr_count 0
		.amdhsa_exception_fp_ieee_invalid_op 0
		.amdhsa_exception_fp_denorm_src 0
		.amdhsa_exception_fp_ieee_div_zero 0
		.amdhsa_exception_fp_ieee_overflow 0
		.amdhsa_exception_fp_ieee_underflow 0
		.amdhsa_exception_fp_ieee_inexact 0
		.amdhsa_exception_int_div_zero 0
	.end_amdhsa_kernel
	.section	.text._ZN7rocprim17ROCPRIM_400000_NS6detail17trampoline_kernelINS0_14default_configENS1_27upper_bound_config_selectorIiiEEZNS1_14transform_implILb0ES3_S5_N6thrust23THRUST_200600_302600_NS6detail15normal_iteratorINS8_10device_ptrIiEEEESD_ZNS1_13binary_searchIS3_S5_SD_SD_SD_NS1_21upper_bound_search_opENS9_16wrapped_functionINS0_4lessIvEEbEEEE10hipError_tPvRmT1_T2_T3_mmT4_T5_P12ihipStream_tbEUlRKiE_EESK_SO_SP_mSQ_ST_bEUlT_E_NS1_11comp_targetILNS1_3genE5ELNS1_11target_archE942ELNS1_3gpuE9ELNS1_3repE0EEENS1_30default_config_static_selectorELNS0_4arch9wavefront6targetE0EEEvSN_,"axG",@progbits,_ZN7rocprim17ROCPRIM_400000_NS6detail17trampoline_kernelINS0_14default_configENS1_27upper_bound_config_selectorIiiEEZNS1_14transform_implILb0ES3_S5_N6thrust23THRUST_200600_302600_NS6detail15normal_iteratorINS8_10device_ptrIiEEEESD_ZNS1_13binary_searchIS3_S5_SD_SD_SD_NS1_21upper_bound_search_opENS9_16wrapped_functionINS0_4lessIvEEbEEEE10hipError_tPvRmT1_T2_T3_mmT4_T5_P12ihipStream_tbEUlRKiE_EESK_SO_SP_mSQ_ST_bEUlT_E_NS1_11comp_targetILNS1_3genE5ELNS1_11target_archE942ELNS1_3gpuE9ELNS1_3repE0EEENS1_30default_config_static_selectorELNS0_4arch9wavefront6targetE0EEEvSN_,comdat
.Lfunc_end609:
	.size	_ZN7rocprim17ROCPRIM_400000_NS6detail17trampoline_kernelINS0_14default_configENS1_27upper_bound_config_selectorIiiEEZNS1_14transform_implILb0ES3_S5_N6thrust23THRUST_200600_302600_NS6detail15normal_iteratorINS8_10device_ptrIiEEEESD_ZNS1_13binary_searchIS3_S5_SD_SD_SD_NS1_21upper_bound_search_opENS9_16wrapped_functionINS0_4lessIvEEbEEEE10hipError_tPvRmT1_T2_T3_mmT4_T5_P12ihipStream_tbEUlRKiE_EESK_SO_SP_mSQ_ST_bEUlT_E_NS1_11comp_targetILNS1_3genE5ELNS1_11target_archE942ELNS1_3gpuE9ELNS1_3repE0EEENS1_30default_config_static_selectorELNS0_4arch9wavefront6targetE0EEEvSN_, .Lfunc_end609-_ZN7rocprim17ROCPRIM_400000_NS6detail17trampoline_kernelINS0_14default_configENS1_27upper_bound_config_selectorIiiEEZNS1_14transform_implILb0ES3_S5_N6thrust23THRUST_200600_302600_NS6detail15normal_iteratorINS8_10device_ptrIiEEEESD_ZNS1_13binary_searchIS3_S5_SD_SD_SD_NS1_21upper_bound_search_opENS9_16wrapped_functionINS0_4lessIvEEbEEEE10hipError_tPvRmT1_T2_T3_mmT4_T5_P12ihipStream_tbEUlRKiE_EESK_SO_SP_mSQ_ST_bEUlT_E_NS1_11comp_targetILNS1_3genE5ELNS1_11target_archE942ELNS1_3gpuE9ELNS1_3repE0EEENS1_30default_config_static_selectorELNS0_4arch9wavefront6targetE0EEEvSN_
                                        ; -- End function
	.set _ZN7rocprim17ROCPRIM_400000_NS6detail17trampoline_kernelINS0_14default_configENS1_27upper_bound_config_selectorIiiEEZNS1_14transform_implILb0ES3_S5_N6thrust23THRUST_200600_302600_NS6detail15normal_iteratorINS8_10device_ptrIiEEEESD_ZNS1_13binary_searchIS3_S5_SD_SD_SD_NS1_21upper_bound_search_opENS9_16wrapped_functionINS0_4lessIvEEbEEEE10hipError_tPvRmT1_T2_T3_mmT4_T5_P12ihipStream_tbEUlRKiE_EESK_SO_SP_mSQ_ST_bEUlT_E_NS1_11comp_targetILNS1_3genE5ELNS1_11target_archE942ELNS1_3gpuE9ELNS1_3repE0EEENS1_30default_config_static_selectorELNS0_4arch9wavefront6targetE0EEEvSN_.num_vgpr, 0
	.set _ZN7rocprim17ROCPRIM_400000_NS6detail17trampoline_kernelINS0_14default_configENS1_27upper_bound_config_selectorIiiEEZNS1_14transform_implILb0ES3_S5_N6thrust23THRUST_200600_302600_NS6detail15normal_iteratorINS8_10device_ptrIiEEEESD_ZNS1_13binary_searchIS3_S5_SD_SD_SD_NS1_21upper_bound_search_opENS9_16wrapped_functionINS0_4lessIvEEbEEEE10hipError_tPvRmT1_T2_T3_mmT4_T5_P12ihipStream_tbEUlRKiE_EESK_SO_SP_mSQ_ST_bEUlT_E_NS1_11comp_targetILNS1_3genE5ELNS1_11target_archE942ELNS1_3gpuE9ELNS1_3repE0EEENS1_30default_config_static_selectorELNS0_4arch9wavefront6targetE0EEEvSN_.num_agpr, 0
	.set _ZN7rocprim17ROCPRIM_400000_NS6detail17trampoline_kernelINS0_14default_configENS1_27upper_bound_config_selectorIiiEEZNS1_14transform_implILb0ES3_S5_N6thrust23THRUST_200600_302600_NS6detail15normal_iteratorINS8_10device_ptrIiEEEESD_ZNS1_13binary_searchIS3_S5_SD_SD_SD_NS1_21upper_bound_search_opENS9_16wrapped_functionINS0_4lessIvEEbEEEE10hipError_tPvRmT1_T2_T3_mmT4_T5_P12ihipStream_tbEUlRKiE_EESK_SO_SP_mSQ_ST_bEUlT_E_NS1_11comp_targetILNS1_3genE5ELNS1_11target_archE942ELNS1_3gpuE9ELNS1_3repE0EEENS1_30default_config_static_selectorELNS0_4arch9wavefront6targetE0EEEvSN_.numbered_sgpr, 0
	.set _ZN7rocprim17ROCPRIM_400000_NS6detail17trampoline_kernelINS0_14default_configENS1_27upper_bound_config_selectorIiiEEZNS1_14transform_implILb0ES3_S5_N6thrust23THRUST_200600_302600_NS6detail15normal_iteratorINS8_10device_ptrIiEEEESD_ZNS1_13binary_searchIS3_S5_SD_SD_SD_NS1_21upper_bound_search_opENS9_16wrapped_functionINS0_4lessIvEEbEEEE10hipError_tPvRmT1_T2_T3_mmT4_T5_P12ihipStream_tbEUlRKiE_EESK_SO_SP_mSQ_ST_bEUlT_E_NS1_11comp_targetILNS1_3genE5ELNS1_11target_archE942ELNS1_3gpuE9ELNS1_3repE0EEENS1_30default_config_static_selectorELNS0_4arch9wavefront6targetE0EEEvSN_.num_named_barrier, 0
	.set _ZN7rocprim17ROCPRIM_400000_NS6detail17trampoline_kernelINS0_14default_configENS1_27upper_bound_config_selectorIiiEEZNS1_14transform_implILb0ES3_S5_N6thrust23THRUST_200600_302600_NS6detail15normal_iteratorINS8_10device_ptrIiEEEESD_ZNS1_13binary_searchIS3_S5_SD_SD_SD_NS1_21upper_bound_search_opENS9_16wrapped_functionINS0_4lessIvEEbEEEE10hipError_tPvRmT1_T2_T3_mmT4_T5_P12ihipStream_tbEUlRKiE_EESK_SO_SP_mSQ_ST_bEUlT_E_NS1_11comp_targetILNS1_3genE5ELNS1_11target_archE942ELNS1_3gpuE9ELNS1_3repE0EEENS1_30default_config_static_selectorELNS0_4arch9wavefront6targetE0EEEvSN_.private_seg_size, 0
	.set _ZN7rocprim17ROCPRIM_400000_NS6detail17trampoline_kernelINS0_14default_configENS1_27upper_bound_config_selectorIiiEEZNS1_14transform_implILb0ES3_S5_N6thrust23THRUST_200600_302600_NS6detail15normal_iteratorINS8_10device_ptrIiEEEESD_ZNS1_13binary_searchIS3_S5_SD_SD_SD_NS1_21upper_bound_search_opENS9_16wrapped_functionINS0_4lessIvEEbEEEE10hipError_tPvRmT1_T2_T3_mmT4_T5_P12ihipStream_tbEUlRKiE_EESK_SO_SP_mSQ_ST_bEUlT_E_NS1_11comp_targetILNS1_3genE5ELNS1_11target_archE942ELNS1_3gpuE9ELNS1_3repE0EEENS1_30default_config_static_selectorELNS0_4arch9wavefront6targetE0EEEvSN_.uses_vcc, 0
	.set _ZN7rocprim17ROCPRIM_400000_NS6detail17trampoline_kernelINS0_14default_configENS1_27upper_bound_config_selectorIiiEEZNS1_14transform_implILb0ES3_S5_N6thrust23THRUST_200600_302600_NS6detail15normal_iteratorINS8_10device_ptrIiEEEESD_ZNS1_13binary_searchIS3_S5_SD_SD_SD_NS1_21upper_bound_search_opENS9_16wrapped_functionINS0_4lessIvEEbEEEE10hipError_tPvRmT1_T2_T3_mmT4_T5_P12ihipStream_tbEUlRKiE_EESK_SO_SP_mSQ_ST_bEUlT_E_NS1_11comp_targetILNS1_3genE5ELNS1_11target_archE942ELNS1_3gpuE9ELNS1_3repE0EEENS1_30default_config_static_selectorELNS0_4arch9wavefront6targetE0EEEvSN_.uses_flat_scratch, 0
	.set _ZN7rocprim17ROCPRIM_400000_NS6detail17trampoline_kernelINS0_14default_configENS1_27upper_bound_config_selectorIiiEEZNS1_14transform_implILb0ES3_S5_N6thrust23THRUST_200600_302600_NS6detail15normal_iteratorINS8_10device_ptrIiEEEESD_ZNS1_13binary_searchIS3_S5_SD_SD_SD_NS1_21upper_bound_search_opENS9_16wrapped_functionINS0_4lessIvEEbEEEE10hipError_tPvRmT1_T2_T3_mmT4_T5_P12ihipStream_tbEUlRKiE_EESK_SO_SP_mSQ_ST_bEUlT_E_NS1_11comp_targetILNS1_3genE5ELNS1_11target_archE942ELNS1_3gpuE9ELNS1_3repE0EEENS1_30default_config_static_selectorELNS0_4arch9wavefront6targetE0EEEvSN_.has_dyn_sized_stack, 0
	.set _ZN7rocprim17ROCPRIM_400000_NS6detail17trampoline_kernelINS0_14default_configENS1_27upper_bound_config_selectorIiiEEZNS1_14transform_implILb0ES3_S5_N6thrust23THRUST_200600_302600_NS6detail15normal_iteratorINS8_10device_ptrIiEEEESD_ZNS1_13binary_searchIS3_S5_SD_SD_SD_NS1_21upper_bound_search_opENS9_16wrapped_functionINS0_4lessIvEEbEEEE10hipError_tPvRmT1_T2_T3_mmT4_T5_P12ihipStream_tbEUlRKiE_EESK_SO_SP_mSQ_ST_bEUlT_E_NS1_11comp_targetILNS1_3genE5ELNS1_11target_archE942ELNS1_3gpuE9ELNS1_3repE0EEENS1_30default_config_static_selectorELNS0_4arch9wavefront6targetE0EEEvSN_.has_recursion, 0
	.set _ZN7rocprim17ROCPRIM_400000_NS6detail17trampoline_kernelINS0_14default_configENS1_27upper_bound_config_selectorIiiEEZNS1_14transform_implILb0ES3_S5_N6thrust23THRUST_200600_302600_NS6detail15normal_iteratorINS8_10device_ptrIiEEEESD_ZNS1_13binary_searchIS3_S5_SD_SD_SD_NS1_21upper_bound_search_opENS9_16wrapped_functionINS0_4lessIvEEbEEEE10hipError_tPvRmT1_T2_T3_mmT4_T5_P12ihipStream_tbEUlRKiE_EESK_SO_SP_mSQ_ST_bEUlT_E_NS1_11comp_targetILNS1_3genE5ELNS1_11target_archE942ELNS1_3gpuE9ELNS1_3repE0EEENS1_30default_config_static_selectorELNS0_4arch9wavefront6targetE0EEEvSN_.has_indirect_call, 0
	.section	.AMDGPU.csdata,"",@progbits
; Kernel info:
; codeLenInByte = 0
; TotalNumSgprs: 0
; NumVgprs: 0
; ScratchSize: 0
; MemoryBound: 0
; FloatMode: 240
; IeeeMode: 1
; LDSByteSize: 0 bytes/workgroup (compile time only)
; SGPRBlocks: 0
; VGPRBlocks: 0
; NumSGPRsForWavesPerEU: 1
; NumVGPRsForWavesPerEU: 1
; Occupancy: 16
; WaveLimiterHint : 0
; COMPUTE_PGM_RSRC2:SCRATCH_EN: 0
; COMPUTE_PGM_RSRC2:USER_SGPR: 6
; COMPUTE_PGM_RSRC2:TRAP_HANDLER: 0
; COMPUTE_PGM_RSRC2:TGID_X_EN: 1
; COMPUTE_PGM_RSRC2:TGID_Y_EN: 0
; COMPUTE_PGM_RSRC2:TGID_Z_EN: 0
; COMPUTE_PGM_RSRC2:TIDIG_COMP_CNT: 0
	.section	.text._ZN7rocprim17ROCPRIM_400000_NS6detail17trampoline_kernelINS0_14default_configENS1_27upper_bound_config_selectorIiiEEZNS1_14transform_implILb0ES3_S5_N6thrust23THRUST_200600_302600_NS6detail15normal_iteratorINS8_10device_ptrIiEEEESD_ZNS1_13binary_searchIS3_S5_SD_SD_SD_NS1_21upper_bound_search_opENS9_16wrapped_functionINS0_4lessIvEEbEEEE10hipError_tPvRmT1_T2_T3_mmT4_T5_P12ihipStream_tbEUlRKiE_EESK_SO_SP_mSQ_ST_bEUlT_E_NS1_11comp_targetILNS1_3genE4ELNS1_11target_archE910ELNS1_3gpuE8ELNS1_3repE0EEENS1_30default_config_static_selectorELNS0_4arch9wavefront6targetE0EEEvSN_,"axG",@progbits,_ZN7rocprim17ROCPRIM_400000_NS6detail17trampoline_kernelINS0_14default_configENS1_27upper_bound_config_selectorIiiEEZNS1_14transform_implILb0ES3_S5_N6thrust23THRUST_200600_302600_NS6detail15normal_iteratorINS8_10device_ptrIiEEEESD_ZNS1_13binary_searchIS3_S5_SD_SD_SD_NS1_21upper_bound_search_opENS9_16wrapped_functionINS0_4lessIvEEbEEEE10hipError_tPvRmT1_T2_T3_mmT4_T5_P12ihipStream_tbEUlRKiE_EESK_SO_SP_mSQ_ST_bEUlT_E_NS1_11comp_targetILNS1_3genE4ELNS1_11target_archE910ELNS1_3gpuE8ELNS1_3repE0EEENS1_30default_config_static_selectorELNS0_4arch9wavefront6targetE0EEEvSN_,comdat
	.protected	_ZN7rocprim17ROCPRIM_400000_NS6detail17trampoline_kernelINS0_14default_configENS1_27upper_bound_config_selectorIiiEEZNS1_14transform_implILb0ES3_S5_N6thrust23THRUST_200600_302600_NS6detail15normal_iteratorINS8_10device_ptrIiEEEESD_ZNS1_13binary_searchIS3_S5_SD_SD_SD_NS1_21upper_bound_search_opENS9_16wrapped_functionINS0_4lessIvEEbEEEE10hipError_tPvRmT1_T2_T3_mmT4_T5_P12ihipStream_tbEUlRKiE_EESK_SO_SP_mSQ_ST_bEUlT_E_NS1_11comp_targetILNS1_3genE4ELNS1_11target_archE910ELNS1_3gpuE8ELNS1_3repE0EEENS1_30default_config_static_selectorELNS0_4arch9wavefront6targetE0EEEvSN_ ; -- Begin function _ZN7rocprim17ROCPRIM_400000_NS6detail17trampoline_kernelINS0_14default_configENS1_27upper_bound_config_selectorIiiEEZNS1_14transform_implILb0ES3_S5_N6thrust23THRUST_200600_302600_NS6detail15normal_iteratorINS8_10device_ptrIiEEEESD_ZNS1_13binary_searchIS3_S5_SD_SD_SD_NS1_21upper_bound_search_opENS9_16wrapped_functionINS0_4lessIvEEbEEEE10hipError_tPvRmT1_T2_T3_mmT4_T5_P12ihipStream_tbEUlRKiE_EESK_SO_SP_mSQ_ST_bEUlT_E_NS1_11comp_targetILNS1_3genE4ELNS1_11target_archE910ELNS1_3gpuE8ELNS1_3repE0EEENS1_30default_config_static_selectorELNS0_4arch9wavefront6targetE0EEEvSN_
	.globl	_ZN7rocprim17ROCPRIM_400000_NS6detail17trampoline_kernelINS0_14default_configENS1_27upper_bound_config_selectorIiiEEZNS1_14transform_implILb0ES3_S5_N6thrust23THRUST_200600_302600_NS6detail15normal_iteratorINS8_10device_ptrIiEEEESD_ZNS1_13binary_searchIS3_S5_SD_SD_SD_NS1_21upper_bound_search_opENS9_16wrapped_functionINS0_4lessIvEEbEEEE10hipError_tPvRmT1_T2_T3_mmT4_T5_P12ihipStream_tbEUlRKiE_EESK_SO_SP_mSQ_ST_bEUlT_E_NS1_11comp_targetILNS1_3genE4ELNS1_11target_archE910ELNS1_3gpuE8ELNS1_3repE0EEENS1_30default_config_static_selectorELNS0_4arch9wavefront6targetE0EEEvSN_
	.p2align	8
	.type	_ZN7rocprim17ROCPRIM_400000_NS6detail17trampoline_kernelINS0_14default_configENS1_27upper_bound_config_selectorIiiEEZNS1_14transform_implILb0ES3_S5_N6thrust23THRUST_200600_302600_NS6detail15normal_iteratorINS8_10device_ptrIiEEEESD_ZNS1_13binary_searchIS3_S5_SD_SD_SD_NS1_21upper_bound_search_opENS9_16wrapped_functionINS0_4lessIvEEbEEEE10hipError_tPvRmT1_T2_T3_mmT4_T5_P12ihipStream_tbEUlRKiE_EESK_SO_SP_mSQ_ST_bEUlT_E_NS1_11comp_targetILNS1_3genE4ELNS1_11target_archE910ELNS1_3gpuE8ELNS1_3repE0EEENS1_30default_config_static_selectorELNS0_4arch9wavefront6targetE0EEEvSN_,@function
_ZN7rocprim17ROCPRIM_400000_NS6detail17trampoline_kernelINS0_14default_configENS1_27upper_bound_config_selectorIiiEEZNS1_14transform_implILb0ES3_S5_N6thrust23THRUST_200600_302600_NS6detail15normal_iteratorINS8_10device_ptrIiEEEESD_ZNS1_13binary_searchIS3_S5_SD_SD_SD_NS1_21upper_bound_search_opENS9_16wrapped_functionINS0_4lessIvEEbEEEE10hipError_tPvRmT1_T2_T3_mmT4_T5_P12ihipStream_tbEUlRKiE_EESK_SO_SP_mSQ_ST_bEUlT_E_NS1_11comp_targetILNS1_3genE4ELNS1_11target_archE910ELNS1_3gpuE8ELNS1_3repE0EEENS1_30default_config_static_selectorELNS0_4arch9wavefront6targetE0EEEvSN_: ; @_ZN7rocprim17ROCPRIM_400000_NS6detail17trampoline_kernelINS0_14default_configENS1_27upper_bound_config_selectorIiiEEZNS1_14transform_implILb0ES3_S5_N6thrust23THRUST_200600_302600_NS6detail15normal_iteratorINS8_10device_ptrIiEEEESD_ZNS1_13binary_searchIS3_S5_SD_SD_SD_NS1_21upper_bound_search_opENS9_16wrapped_functionINS0_4lessIvEEbEEEE10hipError_tPvRmT1_T2_T3_mmT4_T5_P12ihipStream_tbEUlRKiE_EESK_SO_SP_mSQ_ST_bEUlT_E_NS1_11comp_targetILNS1_3genE4ELNS1_11target_archE910ELNS1_3gpuE8ELNS1_3repE0EEENS1_30default_config_static_selectorELNS0_4arch9wavefront6targetE0EEEvSN_
; %bb.0:
	.section	.rodata,"a",@progbits
	.p2align	6, 0x0
	.amdhsa_kernel _ZN7rocprim17ROCPRIM_400000_NS6detail17trampoline_kernelINS0_14default_configENS1_27upper_bound_config_selectorIiiEEZNS1_14transform_implILb0ES3_S5_N6thrust23THRUST_200600_302600_NS6detail15normal_iteratorINS8_10device_ptrIiEEEESD_ZNS1_13binary_searchIS3_S5_SD_SD_SD_NS1_21upper_bound_search_opENS9_16wrapped_functionINS0_4lessIvEEbEEEE10hipError_tPvRmT1_T2_T3_mmT4_T5_P12ihipStream_tbEUlRKiE_EESK_SO_SP_mSQ_ST_bEUlT_E_NS1_11comp_targetILNS1_3genE4ELNS1_11target_archE910ELNS1_3gpuE8ELNS1_3repE0EEENS1_30default_config_static_selectorELNS0_4arch9wavefront6targetE0EEEvSN_
		.amdhsa_group_segment_fixed_size 0
		.amdhsa_private_segment_fixed_size 0
		.amdhsa_kernarg_size 56
		.amdhsa_user_sgpr_count 6
		.amdhsa_user_sgpr_private_segment_buffer 1
		.amdhsa_user_sgpr_dispatch_ptr 0
		.amdhsa_user_sgpr_queue_ptr 0
		.amdhsa_user_sgpr_kernarg_segment_ptr 1
		.amdhsa_user_sgpr_dispatch_id 0
		.amdhsa_user_sgpr_flat_scratch_init 0
		.amdhsa_user_sgpr_private_segment_size 0
		.amdhsa_wavefront_size32 1
		.amdhsa_uses_dynamic_stack 0
		.amdhsa_system_sgpr_private_segment_wavefront_offset 0
		.amdhsa_system_sgpr_workgroup_id_x 1
		.amdhsa_system_sgpr_workgroup_id_y 0
		.amdhsa_system_sgpr_workgroup_id_z 0
		.amdhsa_system_sgpr_workgroup_info 0
		.amdhsa_system_vgpr_workitem_id 0
		.amdhsa_next_free_vgpr 1
		.amdhsa_next_free_sgpr 1
		.amdhsa_reserve_vcc 0
		.amdhsa_reserve_flat_scratch 0
		.amdhsa_float_round_mode_32 0
		.amdhsa_float_round_mode_16_64 0
		.amdhsa_float_denorm_mode_32 3
		.amdhsa_float_denorm_mode_16_64 3
		.amdhsa_dx10_clamp 1
		.amdhsa_ieee_mode 1
		.amdhsa_fp16_overflow 0
		.amdhsa_workgroup_processor_mode 1
		.amdhsa_memory_ordered 1
		.amdhsa_forward_progress 1
		.amdhsa_shared_vgpr_count 0
		.amdhsa_exception_fp_ieee_invalid_op 0
		.amdhsa_exception_fp_denorm_src 0
		.amdhsa_exception_fp_ieee_div_zero 0
		.amdhsa_exception_fp_ieee_overflow 0
		.amdhsa_exception_fp_ieee_underflow 0
		.amdhsa_exception_fp_ieee_inexact 0
		.amdhsa_exception_int_div_zero 0
	.end_amdhsa_kernel
	.section	.text._ZN7rocprim17ROCPRIM_400000_NS6detail17trampoline_kernelINS0_14default_configENS1_27upper_bound_config_selectorIiiEEZNS1_14transform_implILb0ES3_S5_N6thrust23THRUST_200600_302600_NS6detail15normal_iteratorINS8_10device_ptrIiEEEESD_ZNS1_13binary_searchIS3_S5_SD_SD_SD_NS1_21upper_bound_search_opENS9_16wrapped_functionINS0_4lessIvEEbEEEE10hipError_tPvRmT1_T2_T3_mmT4_T5_P12ihipStream_tbEUlRKiE_EESK_SO_SP_mSQ_ST_bEUlT_E_NS1_11comp_targetILNS1_3genE4ELNS1_11target_archE910ELNS1_3gpuE8ELNS1_3repE0EEENS1_30default_config_static_selectorELNS0_4arch9wavefront6targetE0EEEvSN_,"axG",@progbits,_ZN7rocprim17ROCPRIM_400000_NS6detail17trampoline_kernelINS0_14default_configENS1_27upper_bound_config_selectorIiiEEZNS1_14transform_implILb0ES3_S5_N6thrust23THRUST_200600_302600_NS6detail15normal_iteratorINS8_10device_ptrIiEEEESD_ZNS1_13binary_searchIS3_S5_SD_SD_SD_NS1_21upper_bound_search_opENS9_16wrapped_functionINS0_4lessIvEEbEEEE10hipError_tPvRmT1_T2_T3_mmT4_T5_P12ihipStream_tbEUlRKiE_EESK_SO_SP_mSQ_ST_bEUlT_E_NS1_11comp_targetILNS1_3genE4ELNS1_11target_archE910ELNS1_3gpuE8ELNS1_3repE0EEENS1_30default_config_static_selectorELNS0_4arch9wavefront6targetE0EEEvSN_,comdat
.Lfunc_end610:
	.size	_ZN7rocprim17ROCPRIM_400000_NS6detail17trampoline_kernelINS0_14default_configENS1_27upper_bound_config_selectorIiiEEZNS1_14transform_implILb0ES3_S5_N6thrust23THRUST_200600_302600_NS6detail15normal_iteratorINS8_10device_ptrIiEEEESD_ZNS1_13binary_searchIS3_S5_SD_SD_SD_NS1_21upper_bound_search_opENS9_16wrapped_functionINS0_4lessIvEEbEEEE10hipError_tPvRmT1_T2_T3_mmT4_T5_P12ihipStream_tbEUlRKiE_EESK_SO_SP_mSQ_ST_bEUlT_E_NS1_11comp_targetILNS1_3genE4ELNS1_11target_archE910ELNS1_3gpuE8ELNS1_3repE0EEENS1_30default_config_static_selectorELNS0_4arch9wavefront6targetE0EEEvSN_, .Lfunc_end610-_ZN7rocprim17ROCPRIM_400000_NS6detail17trampoline_kernelINS0_14default_configENS1_27upper_bound_config_selectorIiiEEZNS1_14transform_implILb0ES3_S5_N6thrust23THRUST_200600_302600_NS6detail15normal_iteratorINS8_10device_ptrIiEEEESD_ZNS1_13binary_searchIS3_S5_SD_SD_SD_NS1_21upper_bound_search_opENS9_16wrapped_functionINS0_4lessIvEEbEEEE10hipError_tPvRmT1_T2_T3_mmT4_T5_P12ihipStream_tbEUlRKiE_EESK_SO_SP_mSQ_ST_bEUlT_E_NS1_11comp_targetILNS1_3genE4ELNS1_11target_archE910ELNS1_3gpuE8ELNS1_3repE0EEENS1_30default_config_static_selectorELNS0_4arch9wavefront6targetE0EEEvSN_
                                        ; -- End function
	.set _ZN7rocprim17ROCPRIM_400000_NS6detail17trampoline_kernelINS0_14default_configENS1_27upper_bound_config_selectorIiiEEZNS1_14transform_implILb0ES3_S5_N6thrust23THRUST_200600_302600_NS6detail15normal_iteratorINS8_10device_ptrIiEEEESD_ZNS1_13binary_searchIS3_S5_SD_SD_SD_NS1_21upper_bound_search_opENS9_16wrapped_functionINS0_4lessIvEEbEEEE10hipError_tPvRmT1_T2_T3_mmT4_T5_P12ihipStream_tbEUlRKiE_EESK_SO_SP_mSQ_ST_bEUlT_E_NS1_11comp_targetILNS1_3genE4ELNS1_11target_archE910ELNS1_3gpuE8ELNS1_3repE0EEENS1_30default_config_static_selectorELNS0_4arch9wavefront6targetE0EEEvSN_.num_vgpr, 0
	.set _ZN7rocprim17ROCPRIM_400000_NS6detail17trampoline_kernelINS0_14default_configENS1_27upper_bound_config_selectorIiiEEZNS1_14transform_implILb0ES3_S5_N6thrust23THRUST_200600_302600_NS6detail15normal_iteratorINS8_10device_ptrIiEEEESD_ZNS1_13binary_searchIS3_S5_SD_SD_SD_NS1_21upper_bound_search_opENS9_16wrapped_functionINS0_4lessIvEEbEEEE10hipError_tPvRmT1_T2_T3_mmT4_T5_P12ihipStream_tbEUlRKiE_EESK_SO_SP_mSQ_ST_bEUlT_E_NS1_11comp_targetILNS1_3genE4ELNS1_11target_archE910ELNS1_3gpuE8ELNS1_3repE0EEENS1_30default_config_static_selectorELNS0_4arch9wavefront6targetE0EEEvSN_.num_agpr, 0
	.set _ZN7rocprim17ROCPRIM_400000_NS6detail17trampoline_kernelINS0_14default_configENS1_27upper_bound_config_selectorIiiEEZNS1_14transform_implILb0ES3_S5_N6thrust23THRUST_200600_302600_NS6detail15normal_iteratorINS8_10device_ptrIiEEEESD_ZNS1_13binary_searchIS3_S5_SD_SD_SD_NS1_21upper_bound_search_opENS9_16wrapped_functionINS0_4lessIvEEbEEEE10hipError_tPvRmT1_T2_T3_mmT4_T5_P12ihipStream_tbEUlRKiE_EESK_SO_SP_mSQ_ST_bEUlT_E_NS1_11comp_targetILNS1_3genE4ELNS1_11target_archE910ELNS1_3gpuE8ELNS1_3repE0EEENS1_30default_config_static_selectorELNS0_4arch9wavefront6targetE0EEEvSN_.numbered_sgpr, 0
	.set _ZN7rocprim17ROCPRIM_400000_NS6detail17trampoline_kernelINS0_14default_configENS1_27upper_bound_config_selectorIiiEEZNS1_14transform_implILb0ES3_S5_N6thrust23THRUST_200600_302600_NS6detail15normal_iteratorINS8_10device_ptrIiEEEESD_ZNS1_13binary_searchIS3_S5_SD_SD_SD_NS1_21upper_bound_search_opENS9_16wrapped_functionINS0_4lessIvEEbEEEE10hipError_tPvRmT1_T2_T3_mmT4_T5_P12ihipStream_tbEUlRKiE_EESK_SO_SP_mSQ_ST_bEUlT_E_NS1_11comp_targetILNS1_3genE4ELNS1_11target_archE910ELNS1_3gpuE8ELNS1_3repE0EEENS1_30default_config_static_selectorELNS0_4arch9wavefront6targetE0EEEvSN_.num_named_barrier, 0
	.set _ZN7rocprim17ROCPRIM_400000_NS6detail17trampoline_kernelINS0_14default_configENS1_27upper_bound_config_selectorIiiEEZNS1_14transform_implILb0ES3_S5_N6thrust23THRUST_200600_302600_NS6detail15normal_iteratorINS8_10device_ptrIiEEEESD_ZNS1_13binary_searchIS3_S5_SD_SD_SD_NS1_21upper_bound_search_opENS9_16wrapped_functionINS0_4lessIvEEbEEEE10hipError_tPvRmT1_T2_T3_mmT4_T5_P12ihipStream_tbEUlRKiE_EESK_SO_SP_mSQ_ST_bEUlT_E_NS1_11comp_targetILNS1_3genE4ELNS1_11target_archE910ELNS1_3gpuE8ELNS1_3repE0EEENS1_30default_config_static_selectorELNS0_4arch9wavefront6targetE0EEEvSN_.private_seg_size, 0
	.set _ZN7rocprim17ROCPRIM_400000_NS6detail17trampoline_kernelINS0_14default_configENS1_27upper_bound_config_selectorIiiEEZNS1_14transform_implILb0ES3_S5_N6thrust23THRUST_200600_302600_NS6detail15normal_iteratorINS8_10device_ptrIiEEEESD_ZNS1_13binary_searchIS3_S5_SD_SD_SD_NS1_21upper_bound_search_opENS9_16wrapped_functionINS0_4lessIvEEbEEEE10hipError_tPvRmT1_T2_T3_mmT4_T5_P12ihipStream_tbEUlRKiE_EESK_SO_SP_mSQ_ST_bEUlT_E_NS1_11comp_targetILNS1_3genE4ELNS1_11target_archE910ELNS1_3gpuE8ELNS1_3repE0EEENS1_30default_config_static_selectorELNS0_4arch9wavefront6targetE0EEEvSN_.uses_vcc, 0
	.set _ZN7rocprim17ROCPRIM_400000_NS6detail17trampoline_kernelINS0_14default_configENS1_27upper_bound_config_selectorIiiEEZNS1_14transform_implILb0ES3_S5_N6thrust23THRUST_200600_302600_NS6detail15normal_iteratorINS8_10device_ptrIiEEEESD_ZNS1_13binary_searchIS3_S5_SD_SD_SD_NS1_21upper_bound_search_opENS9_16wrapped_functionINS0_4lessIvEEbEEEE10hipError_tPvRmT1_T2_T3_mmT4_T5_P12ihipStream_tbEUlRKiE_EESK_SO_SP_mSQ_ST_bEUlT_E_NS1_11comp_targetILNS1_3genE4ELNS1_11target_archE910ELNS1_3gpuE8ELNS1_3repE0EEENS1_30default_config_static_selectorELNS0_4arch9wavefront6targetE0EEEvSN_.uses_flat_scratch, 0
	.set _ZN7rocprim17ROCPRIM_400000_NS6detail17trampoline_kernelINS0_14default_configENS1_27upper_bound_config_selectorIiiEEZNS1_14transform_implILb0ES3_S5_N6thrust23THRUST_200600_302600_NS6detail15normal_iteratorINS8_10device_ptrIiEEEESD_ZNS1_13binary_searchIS3_S5_SD_SD_SD_NS1_21upper_bound_search_opENS9_16wrapped_functionINS0_4lessIvEEbEEEE10hipError_tPvRmT1_T2_T3_mmT4_T5_P12ihipStream_tbEUlRKiE_EESK_SO_SP_mSQ_ST_bEUlT_E_NS1_11comp_targetILNS1_3genE4ELNS1_11target_archE910ELNS1_3gpuE8ELNS1_3repE0EEENS1_30default_config_static_selectorELNS0_4arch9wavefront6targetE0EEEvSN_.has_dyn_sized_stack, 0
	.set _ZN7rocprim17ROCPRIM_400000_NS6detail17trampoline_kernelINS0_14default_configENS1_27upper_bound_config_selectorIiiEEZNS1_14transform_implILb0ES3_S5_N6thrust23THRUST_200600_302600_NS6detail15normal_iteratorINS8_10device_ptrIiEEEESD_ZNS1_13binary_searchIS3_S5_SD_SD_SD_NS1_21upper_bound_search_opENS9_16wrapped_functionINS0_4lessIvEEbEEEE10hipError_tPvRmT1_T2_T3_mmT4_T5_P12ihipStream_tbEUlRKiE_EESK_SO_SP_mSQ_ST_bEUlT_E_NS1_11comp_targetILNS1_3genE4ELNS1_11target_archE910ELNS1_3gpuE8ELNS1_3repE0EEENS1_30default_config_static_selectorELNS0_4arch9wavefront6targetE0EEEvSN_.has_recursion, 0
	.set _ZN7rocprim17ROCPRIM_400000_NS6detail17trampoline_kernelINS0_14default_configENS1_27upper_bound_config_selectorIiiEEZNS1_14transform_implILb0ES3_S5_N6thrust23THRUST_200600_302600_NS6detail15normal_iteratorINS8_10device_ptrIiEEEESD_ZNS1_13binary_searchIS3_S5_SD_SD_SD_NS1_21upper_bound_search_opENS9_16wrapped_functionINS0_4lessIvEEbEEEE10hipError_tPvRmT1_T2_T3_mmT4_T5_P12ihipStream_tbEUlRKiE_EESK_SO_SP_mSQ_ST_bEUlT_E_NS1_11comp_targetILNS1_3genE4ELNS1_11target_archE910ELNS1_3gpuE8ELNS1_3repE0EEENS1_30default_config_static_selectorELNS0_4arch9wavefront6targetE0EEEvSN_.has_indirect_call, 0
	.section	.AMDGPU.csdata,"",@progbits
; Kernel info:
; codeLenInByte = 0
; TotalNumSgprs: 0
; NumVgprs: 0
; ScratchSize: 0
; MemoryBound: 0
; FloatMode: 240
; IeeeMode: 1
; LDSByteSize: 0 bytes/workgroup (compile time only)
; SGPRBlocks: 0
; VGPRBlocks: 0
; NumSGPRsForWavesPerEU: 1
; NumVGPRsForWavesPerEU: 1
; Occupancy: 16
; WaveLimiterHint : 0
; COMPUTE_PGM_RSRC2:SCRATCH_EN: 0
; COMPUTE_PGM_RSRC2:USER_SGPR: 6
; COMPUTE_PGM_RSRC2:TRAP_HANDLER: 0
; COMPUTE_PGM_RSRC2:TGID_X_EN: 1
; COMPUTE_PGM_RSRC2:TGID_Y_EN: 0
; COMPUTE_PGM_RSRC2:TGID_Z_EN: 0
; COMPUTE_PGM_RSRC2:TIDIG_COMP_CNT: 0
	.section	.text._ZN7rocprim17ROCPRIM_400000_NS6detail17trampoline_kernelINS0_14default_configENS1_27upper_bound_config_selectorIiiEEZNS1_14transform_implILb0ES3_S5_N6thrust23THRUST_200600_302600_NS6detail15normal_iteratorINS8_10device_ptrIiEEEESD_ZNS1_13binary_searchIS3_S5_SD_SD_SD_NS1_21upper_bound_search_opENS9_16wrapped_functionINS0_4lessIvEEbEEEE10hipError_tPvRmT1_T2_T3_mmT4_T5_P12ihipStream_tbEUlRKiE_EESK_SO_SP_mSQ_ST_bEUlT_E_NS1_11comp_targetILNS1_3genE3ELNS1_11target_archE908ELNS1_3gpuE7ELNS1_3repE0EEENS1_30default_config_static_selectorELNS0_4arch9wavefront6targetE0EEEvSN_,"axG",@progbits,_ZN7rocprim17ROCPRIM_400000_NS6detail17trampoline_kernelINS0_14default_configENS1_27upper_bound_config_selectorIiiEEZNS1_14transform_implILb0ES3_S5_N6thrust23THRUST_200600_302600_NS6detail15normal_iteratorINS8_10device_ptrIiEEEESD_ZNS1_13binary_searchIS3_S5_SD_SD_SD_NS1_21upper_bound_search_opENS9_16wrapped_functionINS0_4lessIvEEbEEEE10hipError_tPvRmT1_T2_T3_mmT4_T5_P12ihipStream_tbEUlRKiE_EESK_SO_SP_mSQ_ST_bEUlT_E_NS1_11comp_targetILNS1_3genE3ELNS1_11target_archE908ELNS1_3gpuE7ELNS1_3repE0EEENS1_30default_config_static_selectorELNS0_4arch9wavefront6targetE0EEEvSN_,comdat
	.protected	_ZN7rocprim17ROCPRIM_400000_NS6detail17trampoline_kernelINS0_14default_configENS1_27upper_bound_config_selectorIiiEEZNS1_14transform_implILb0ES3_S5_N6thrust23THRUST_200600_302600_NS6detail15normal_iteratorINS8_10device_ptrIiEEEESD_ZNS1_13binary_searchIS3_S5_SD_SD_SD_NS1_21upper_bound_search_opENS9_16wrapped_functionINS0_4lessIvEEbEEEE10hipError_tPvRmT1_T2_T3_mmT4_T5_P12ihipStream_tbEUlRKiE_EESK_SO_SP_mSQ_ST_bEUlT_E_NS1_11comp_targetILNS1_3genE3ELNS1_11target_archE908ELNS1_3gpuE7ELNS1_3repE0EEENS1_30default_config_static_selectorELNS0_4arch9wavefront6targetE0EEEvSN_ ; -- Begin function _ZN7rocprim17ROCPRIM_400000_NS6detail17trampoline_kernelINS0_14default_configENS1_27upper_bound_config_selectorIiiEEZNS1_14transform_implILb0ES3_S5_N6thrust23THRUST_200600_302600_NS6detail15normal_iteratorINS8_10device_ptrIiEEEESD_ZNS1_13binary_searchIS3_S5_SD_SD_SD_NS1_21upper_bound_search_opENS9_16wrapped_functionINS0_4lessIvEEbEEEE10hipError_tPvRmT1_T2_T3_mmT4_T5_P12ihipStream_tbEUlRKiE_EESK_SO_SP_mSQ_ST_bEUlT_E_NS1_11comp_targetILNS1_3genE3ELNS1_11target_archE908ELNS1_3gpuE7ELNS1_3repE0EEENS1_30default_config_static_selectorELNS0_4arch9wavefront6targetE0EEEvSN_
	.globl	_ZN7rocprim17ROCPRIM_400000_NS6detail17trampoline_kernelINS0_14default_configENS1_27upper_bound_config_selectorIiiEEZNS1_14transform_implILb0ES3_S5_N6thrust23THRUST_200600_302600_NS6detail15normal_iteratorINS8_10device_ptrIiEEEESD_ZNS1_13binary_searchIS3_S5_SD_SD_SD_NS1_21upper_bound_search_opENS9_16wrapped_functionINS0_4lessIvEEbEEEE10hipError_tPvRmT1_T2_T3_mmT4_T5_P12ihipStream_tbEUlRKiE_EESK_SO_SP_mSQ_ST_bEUlT_E_NS1_11comp_targetILNS1_3genE3ELNS1_11target_archE908ELNS1_3gpuE7ELNS1_3repE0EEENS1_30default_config_static_selectorELNS0_4arch9wavefront6targetE0EEEvSN_
	.p2align	8
	.type	_ZN7rocprim17ROCPRIM_400000_NS6detail17trampoline_kernelINS0_14default_configENS1_27upper_bound_config_selectorIiiEEZNS1_14transform_implILb0ES3_S5_N6thrust23THRUST_200600_302600_NS6detail15normal_iteratorINS8_10device_ptrIiEEEESD_ZNS1_13binary_searchIS3_S5_SD_SD_SD_NS1_21upper_bound_search_opENS9_16wrapped_functionINS0_4lessIvEEbEEEE10hipError_tPvRmT1_T2_T3_mmT4_T5_P12ihipStream_tbEUlRKiE_EESK_SO_SP_mSQ_ST_bEUlT_E_NS1_11comp_targetILNS1_3genE3ELNS1_11target_archE908ELNS1_3gpuE7ELNS1_3repE0EEENS1_30default_config_static_selectorELNS0_4arch9wavefront6targetE0EEEvSN_,@function
_ZN7rocprim17ROCPRIM_400000_NS6detail17trampoline_kernelINS0_14default_configENS1_27upper_bound_config_selectorIiiEEZNS1_14transform_implILb0ES3_S5_N6thrust23THRUST_200600_302600_NS6detail15normal_iteratorINS8_10device_ptrIiEEEESD_ZNS1_13binary_searchIS3_S5_SD_SD_SD_NS1_21upper_bound_search_opENS9_16wrapped_functionINS0_4lessIvEEbEEEE10hipError_tPvRmT1_T2_T3_mmT4_T5_P12ihipStream_tbEUlRKiE_EESK_SO_SP_mSQ_ST_bEUlT_E_NS1_11comp_targetILNS1_3genE3ELNS1_11target_archE908ELNS1_3gpuE7ELNS1_3repE0EEENS1_30default_config_static_selectorELNS0_4arch9wavefront6targetE0EEEvSN_: ; @_ZN7rocprim17ROCPRIM_400000_NS6detail17trampoline_kernelINS0_14default_configENS1_27upper_bound_config_selectorIiiEEZNS1_14transform_implILb0ES3_S5_N6thrust23THRUST_200600_302600_NS6detail15normal_iteratorINS8_10device_ptrIiEEEESD_ZNS1_13binary_searchIS3_S5_SD_SD_SD_NS1_21upper_bound_search_opENS9_16wrapped_functionINS0_4lessIvEEbEEEE10hipError_tPvRmT1_T2_T3_mmT4_T5_P12ihipStream_tbEUlRKiE_EESK_SO_SP_mSQ_ST_bEUlT_E_NS1_11comp_targetILNS1_3genE3ELNS1_11target_archE908ELNS1_3gpuE7ELNS1_3repE0EEENS1_30default_config_static_selectorELNS0_4arch9wavefront6targetE0EEEvSN_
; %bb.0:
	.section	.rodata,"a",@progbits
	.p2align	6, 0x0
	.amdhsa_kernel _ZN7rocprim17ROCPRIM_400000_NS6detail17trampoline_kernelINS0_14default_configENS1_27upper_bound_config_selectorIiiEEZNS1_14transform_implILb0ES3_S5_N6thrust23THRUST_200600_302600_NS6detail15normal_iteratorINS8_10device_ptrIiEEEESD_ZNS1_13binary_searchIS3_S5_SD_SD_SD_NS1_21upper_bound_search_opENS9_16wrapped_functionINS0_4lessIvEEbEEEE10hipError_tPvRmT1_T2_T3_mmT4_T5_P12ihipStream_tbEUlRKiE_EESK_SO_SP_mSQ_ST_bEUlT_E_NS1_11comp_targetILNS1_3genE3ELNS1_11target_archE908ELNS1_3gpuE7ELNS1_3repE0EEENS1_30default_config_static_selectorELNS0_4arch9wavefront6targetE0EEEvSN_
		.amdhsa_group_segment_fixed_size 0
		.amdhsa_private_segment_fixed_size 0
		.amdhsa_kernarg_size 56
		.amdhsa_user_sgpr_count 6
		.amdhsa_user_sgpr_private_segment_buffer 1
		.amdhsa_user_sgpr_dispatch_ptr 0
		.amdhsa_user_sgpr_queue_ptr 0
		.amdhsa_user_sgpr_kernarg_segment_ptr 1
		.amdhsa_user_sgpr_dispatch_id 0
		.amdhsa_user_sgpr_flat_scratch_init 0
		.amdhsa_user_sgpr_private_segment_size 0
		.amdhsa_wavefront_size32 1
		.amdhsa_uses_dynamic_stack 0
		.amdhsa_system_sgpr_private_segment_wavefront_offset 0
		.amdhsa_system_sgpr_workgroup_id_x 1
		.amdhsa_system_sgpr_workgroup_id_y 0
		.amdhsa_system_sgpr_workgroup_id_z 0
		.amdhsa_system_sgpr_workgroup_info 0
		.amdhsa_system_vgpr_workitem_id 0
		.amdhsa_next_free_vgpr 1
		.amdhsa_next_free_sgpr 1
		.amdhsa_reserve_vcc 0
		.amdhsa_reserve_flat_scratch 0
		.amdhsa_float_round_mode_32 0
		.amdhsa_float_round_mode_16_64 0
		.amdhsa_float_denorm_mode_32 3
		.amdhsa_float_denorm_mode_16_64 3
		.amdhsa_dx10_clamp 1
		.amdhsa_ieee_mode 1
		.amdhsa_fp16_overflow 0
		.amdhsa_workgroup_processor_mode 1
		.amdhsa_memory_ordered 1
		.amdhsa_forward_progress 1
		.amdhsa_shared_vgpr_count 0
		.amdhsa_exception_fp_ieee_invalid_op 0
		.amdhsa_exception_fp_denorm_src 0
		.amdhsa_exception_fp_ieee_div_zero 0
		.amdhsa_exception_fp_ieee_overflow 0
		.amdhsa_exception_fp_ieee_underflow 0
		.amdhsa_exception_fp_ieee_inexact 0
		.amdhsa_exception_int_div_zero 0
	.end_amdhsa_kernel
	.section	.text._ZN7rocprim17ROCPRIM_400000_NS6detail17trampoline_kernelINS0_14default_configENS1_27upper_bound_config_selectorIiiEEZNS1_14transform_implILb0ES3_S5_N6thrust23THRUST_200600_302600_NS6detail15normal_iteratorINS8_10device_ptrIiEEEESD_ZNS1_13binary_searchIS3_S5_SD_SD_SD_NS1_21upper_bound_search_opENS9_16wrapped_functionINS0_4lessIvEEbEEEE10hipError_tPvRmT1_T2_T3_mmT4_T5_P12ihipStream_tbEUlRKiE_EESK_SO_SP_mSQ_ST_bEUlT_E_NS1_11comp_targetILNS1_3genE3ELNS1_11target_archE908ELNS1_3gpuE7ELNS1_3repE0EEENS1_30default_config_static_selectorELNS0_4arch9wavefront6targetE0EEEvSN_,"axG",@progbits,_ZN7rocprim17ROCPRIM_400000_NS6detail17trampoline_kernelINS0_14default_configENS1_27upper_bound_config_selectorIiiEEZNS1_14transform_implILb0ES3_S5_N6thrust23THRUST_200600_302600_NS6detail15normal_iteratorINS8_10device_ptrIiEEEESD_ZNS1_13binary_searchIS3_S5_SD_SD_SD_NS1_21upper_bound_search_opENS9_16wrapped_functionINS0_4lessIvEEbEEEE10hipError_tPvRmT1_T2_T3_mmT4_T5_P12ihipStream_tbEUlRKiE_EESK_SO_SP_mSQ_ST_bEUlT_E_NS1_11comp_targetILNS1_3genE3ELNS1_11target_archE908ELNS1_3gpuE7ELNS1_3repE0EEENS1_30default_config_static_selectorELNS0_4arch9wavefront6targetE0EEEvSN_,comdat
.Lfunc_end611:
	.size	_ZN7rocprim17ROCPRIM_400000_NS6detail17trampoline_kernelINS0_14default_configENS1_27upper_bound_config_selectorIiiEEZNS1_14transform_implILb0ES3_S5_N6thrust23THRUST_200600_302600_NS6detail15normal_iteratorINS8_10device_ptrIiEEEESD_ZNS1_13binary_searchIS3_S5_SD_SD_SD_NS1_21upper_bound_search_opENS9_16wrapped_functionINS0_4lessIvEEbEEEE10hipError_tPvRmT1_T2_T3_mmT4_T5_P12ihipStream_tbEUlRKiE_EESK_SO_SP_mSQ_ST_bEUlT_E_NS1_11comp_targetILNS1_3genE3ELNS1_11target_archE908ELNS1_3gpuE7ELNS1_3repE0EEENS1_30default_config_static_selectorELNS0_4arch9wavefront6targetE0EEEvSN_, .Lfunc_end611-_ZN7rocprim17ROCPRIM_400000_NS6detail17trampoline_kernelINS0_14default_configENS1_27upper_bound_config_selectorIiiEEZNS1_14transform_implILb0ES3_S5_N6thrust23THRUST_200600_302600_NS6detail15normal_iteratorINS8_10device_ptrIiEEEESD_ZNS1_13binary_searchIS3_S5_SD_SD_SD_NS1_21upper_bound_search_opENS9_16wrapped_functionINS0_4lessIvEEbEEEE10hipError_tPvRmT1_T2_T3_mmT4_T5_P12ihipStream_tbEUlRKiE_EESK_SO_SP_mSQ_ST_bEUlT_E_NS1_11comp_targetILNS1_3genE3ELNS1_11target_archE908ELNS1_3gpuE7ELNS1_3repE0EEENS1_30default_config_static_selectorELNS0_4arch9wavefront6targetE0EEEvSN_
                                        ; -- End function
	.set _ZN7rocprim17ROCPRIM_400000_NS6detail17trampoline_kernelINS0_14default_configENS1_27upper_bound_config_selectorIiiEEZNS1_14transform_implILb0ES3_S5_N6thrust23THRUST_200600_302600_NS6detail15normal_iteratorINS8_10device_ptrIiEEEESD_ZNS1_13binary_searchIS3_S5_SD_SD_SD_NS1_21upper_bound_search_opENS9_16wrapped_functionINS0_4lessIvEEbEEEE10hipError_tPvRmT1_T2_T3_mmT4_T5_P12ihipStream_tbEUlRKiE_EESK_SO_SP_mSQ_ST_bEUlT_E_NS1_11comp_targetILNS1_3genE3ELNS1_11target_archE908ELNS1_3gpuE7ELNS1_3repE0EEENS1_30default_config_static_selectorELNS0_4arch9wavefront6targetE0EEEvSN_.num_vgpr, 0
	.set _ZN7rocprim17ROCPRIM_400000_NS6detail17trampoline_kernelINS0_14default_configENS1_27upper_bound_config_selectorIiiEEZNS1_14transform_implILb0ES3_S5_N6thrust23THRUST_200600_302600_NS6detail15normal_iteratorINS8_10device_ptrIiEEEESD_ZNS1_13binary_searchIS3_S5_SD_SD_SD_NS1_21upper_bound_search_opENS9_16wrapped_functionINS0_4lessIvEEbEEEE10hipError_tPvRmT1_T2_T3_mmT4_T5_P12ihipStream_tbEUlRKiE_EESK_SO_SP_mSQ_ST_bEUlT_E_NS1_11comp_targetILNS1_3genE3ELNS1_11target_archE908ELNS1_3gpuE7ELNS1_3repE0EEENS1_30default_config_static_selectorELNS0_4arch9wavefront6targetE0EEEvSN_.num_agpr, 0
	.set _ZN7rocprim17ROCPRIM_400000_NS6detail17trampoline_kernelINS0_14default_configENS1_27upper_bound_config_selectorIiiEEZNS1_14transform_implILb0ES3_S5_N6thrust23THRUST_200600_302600_NS6detail15normal_iteratorINS8_10device_ptrIiEEEESD_ZNS1_13binary_searchIS3_S5_SD_SD_SD_NS1_21upper_bound_search_opENS9_16wrapped_functionINS0_4lessIvEEbEEEE10hipError_tPvRmT1_T2_T3_mmT4_T5_P12ihipStream_tbEUlRKiE_EESK_SO_SP_mSQ_ST_bEUlT_E_NS1_11comp_targetILNS1_3genE3ELNS1_11target_archE908ELNS1_3gpuE7ELNS1_3repE0EEENS1_30default_config_static_selectorELNS0_4arch9wavefront6targetE0EEEvSN_.numbered_sgpr, 0
	.set _ZN7rocprim17ROCPRIM_400000_NS6detail17trampoline_kernelINS0_14default_configENS1_27upper_bound_config_selectorIiiEEZNS1_14transform_implILb0ES3_S5_N6thrust23THRUST_200600_302600_NS6detail15normal_iteratorINS8_10device_ptrIiEEEESD_ZNS1_13binary_searchIS3_S5_SD_SD_SD_NS1_21upper_bound_search_opENS9_16wrapped_functionINS0_4lessIvEEbEEEE10hipError_tPvRmT1_T2_T3_mmT4_T5_P12ihipStream_tbEUlRKiE_EESK_SO_SP_mSQ_ST_bEUlT_E_NS1_11comp_targetILNS1_3genE3ELNS1_11target_archE908ELNS1_3gpuE7ELNS1_3repE0EEENS1_30default_config_static_selectorELNS0_4arch9wavefront6targetE0EEEvSN_.num_named_barrier, 0
	.set _ZN7rocprim17ROCPRIM_400000_NS6detail17trampoline_kernelINS0_14default_configENS1_27upper_bound_config_selectorIiiEEZNS1_14transform_implILb0ES3_S5_N6thrust23THRUST_200600_302600_NS6detail15normal_iteratorINS8_10device_ptrIiEEEESD_ZNS1_13binary_searchIS3_S5_SD_SD_SD_NS1_21upper_bound_search_opENS9_16wrapped_functionINS0_4lessIvEEbEEEE10hipError_tPvRmT1_T2_T3_mmT4_T5_P12ihipStream_tbEUlRKiE_EESK_SO_SP_mSQ_ST_bEUlT_E_NS1_11comp_targetILNS1_3genE3ELNS1_11target_archE908ELNS1_3gpuE7ELNS1_3repE0EEENS1_30default_config_static_selectorELNS0_4arch9wavefront6targetE0EEEvSN_.private_seg_size, 0
	.set _ZN7rocprim17ROCPRIM_400000_NS6detail17trampoline_kernelINS0_14default_configENS1_27upper_bound_config_selectorIiiEEZNS1_14transform_implILb0ES3_S5_N6thrust23THRUST_200600_302600_NS6detail15normal_iteratorINS8_10device_ptrIiEEEESD_ZNS1_13binary_searchIS3_S5_SD_SD_SD_NS1_21upper_bound_search_opENS9_16wrapped_functionINS0_4lessIvEEbEEEE10hipError_tPvRmT1_T2_T3_mmT4_T5_P12ihipStream_tbEUlRKiE_EESK_SO_SP_mSQ_ST_bEUlT_E_NS1_11comp_targetILNS1_3genE3ELNS1_11target_archE908ELNS1_3gpuE7ELNS1_3repE0EEENS1_30default_config_static_selectorELNS0_4arch9wavefront6targetE0EEEvSN_.uses_vcc, 0
	.set _ZN7rocprim17ROCPRIM_400000_NS6detail17trampoline_kernelINS0_14default_configENS1_27upper_bound_config_selectorIiiEEZNS1_14transform_implILb0ES3_S5_N6thrust23THRUST_200600_302600_NS6detail15normal_iteratorINS8_10device_ptrIiEEEESD_ZNS1_13binary_searchIS3_S5_SD_SD_SD_NS1_21upper_bound_search_opENS9_16wrapped_functionINS0_4lessIvEEbEEEE10hipError_tPvRmT1_T2_T3_mmT4_T5_P12ihipStream_tbEUlRKiE_EESK_SO_SP_mSQ_ST_bEUlT_E_NS1_11comp_targetILNS1_3genE3ELNS1_11target_archE908ELNS1_3gpuE7ELNS1_3repE0EEENS1_30default_config_static_selectorELNS0_4arch9wavefront6targetE0EEEvSN_.uses_flat_scratch, 0
	.set _ZN7rocprim17ROCPRIM_400000_NS6detail17trampoline_kernelINS0_14default_configENS1_27upper_bound_config_selectorIiiEEZNS1_14transform_implILb0ES3_S5_N6thrust23THRUST_200600_302600_NS6detail15normal_iteratorINS8_10device_ptrIiEEEESD_ZNS1_13binary_searchIS3_S5_SD_SD_SD_NS1_21upper_bound_search_opENS9_16wrapped_functionINS0_4lessIvEEbEEEE10hipError_tPvRmT1_T2_T3_mmT4_T5_P12ihipStream_tbEUlRKiE_EESK_SO_SP_mSQ_ST_bEUlT_E_NS1_11comp_targetILNS1_3genE3ELNS1_11target_archE908ELNS1_3gpuE7ELNS1_3repE0EEENS1_30default_config_static_selectorELNS0_4arch9wavefront6targetE0EEEvSN_.has_dyn_sized_stack, 0
	.set _ZN7rocprim17ROCPRIM_400000_NS6detail17trampoline_kernelINS0_14default_configENS1_27upper_bound_config_selectorIiiEEZNS1_14transform_implILb0ES3_S5_N6thrust23THRUST_200600_302600_NS6detail15normal_iteratorINS8_10device_ptrIiEEEESD_ZNS1_13binary_searchIS3_S5_SD_SD_SD_NS1_21upper_bound_search_opENS9_16wrapped_functionINS0_4lessIvEEbEEEE10hipError_tPvRmT1_T2_T3_mmT4_T5_P12ihipStream_tbEUlRKiE_EESK_SO_SP_mSQ_ST_bEUlT_E_NS1_11comp_targetILNS1_3genE3ELNS1_11target_archE908ELNS1_3gpuE7ELNS1_3repE0EEENS1_30default_config_static_selectorELNS0_4arch9wavefront6targetE0EEEvSN_.has_recursion, 0
	.set _ZN7rocprim17ROCPRIM_400000_NS6detail17trampoline_kernelINS0_14default_configENS1_27upper_bound_config_selectorIiiEEZNS1_14transform_implILb0ES3_S5_N6thrust23THRUST_200600_302600_NS6detail15normal_iteratorINS8_10device_ptrIiEEEESD_ZNS1_13binary_searchIS3_S5_SD_SD_SD_NS1_21upper_bound_search_opENS9_16wrapped_functionINS0_4lessIvEEbEEEE10hipError_tPvRmT1_T2_T3_mmT4_T5_P12ihipStream_tbEUlRKiE_EESK_SO_SP_mSQ_ST_bEUlT_E_NS1_11comp_targetILNS1_3genE3ELNS1_11target_archE908ELNS1_3gpuE7ELNS1_3repE0EEENS1_30default_config_static_selectorELNS0_4arch9wavefront6targetE0EEEvSN_.has_indirect_call, 0
	.section	.AMDGPU.csdata,"",@progbits
; Kernel info:
; codeLenInByte = 0
; TotalNumSgprs: 0
; NumVgprs: 0
; ScratchSize: 0
; MemoryBound: 0
; FloatMode: 240
; IeeeMode: 1
; LDSByteSize: 0 bytes/workgroup (compile time only)
; SGPRBlocks: 0
; VGPRBlocks: 0
; NumSGPRsForWavesPerEU: 1
; NumVGPRsForWavesPerEU: 1
; Occupancy: 16
; WaveLimiterHint : 0
; COMPUTE_PGM_RSRC2:SCRATCH_EN: 0
; COMPUTE_PGM_RSRC2:USER_SGPR: 6
; COMPUTE_PGM_RSRC2:TRAP_HANDLER: 0
; COMPUTE_PGM_RSRC2:TGID_X_EN: 1
; COMPUTE_PGM_RSRC2:TGID_Y_EN: 0
; COMPUTE_PGM_RSRC2:TGID_Z_EN: 0
; COMPUTE_PGM_RSRC2:TIDIG_COMP_CNT: 0
	.section	.text._ZN7rocprim17ROCPRIM_400000_NS6detail17trampoline_kernelINS0_14default_configENS1_27upper_bound_config_selectorIiiEEZNS1_14transform_implILb0ES3_S5_N6thrust23THRUST_200600_302600_NS6detail15normal_iteratorINS8_10device_ptrIiEEEESD_ZNS1_13binary_searchIS3_S5_SD_SD_SD_NS1_21upper_bound_search_opENS9_16wrapped_functionINS0_4lessIvEEbEEEE10hipError_tPvRmT1_T2_T3_mmT4_T5_P12ihipStream_tbEUlRKiE_EESK_SO_SP_mSQ_ST_bEUlT_E_NS1_11comp_targetILNS1_3genE2ELNS1_11target_archE906ELNS1_3gpuE6ELNS1_3repE0EEENS1_30default_config_static_selectorELNS0_4arch9wavefront6targetE0EEEvSN_,"axG",@progbits,_ZN7rocprim17ROCPRIM_400000_NS6detail17trampoline_kernelINS0_14default_configENS1_27upper_bound_config_selectorIiiEEZNS1_14transform_implILb0ES3_S5_N6thrust23THRUST_200600_302600_NS6detail15normal_iteratorINS8_10device_ptrIiEEEESD_ZNS1_13binary_searchIS3_S5_SD_SD_SD_NS1_21upper_bound_search_opENS9_16wrapped_functionINS0_4lessIvEEbEEEE10hipError_tPvRmT1_T2_T3_mmT4_T5_P12ihipStream_tbEUlRKiE_EESK_SO_SP_mSQ_ST_bEUlT_E_NS1_11comp_targetILNS1_3genE2ELNS1_11target_archE906ELNS1_3gpuE6ELNS1_3repE0EEENS1_30default_config_static_selectorELNS0_4arch9wavefront6targetE0EEEvSN_,comdat
	.protected	_ZN7rocprim17ROCPRIM_400000_NS6detail17trampoline_kernelINS0_14default_configENS1_27upper_bound_config_selectorIiiEEZNS1_14transform_implILb0ES3_S5_N6thrust23THRUST_200600_302600_NS6detail15normal_iteratorINS8_10device_ptrIiEEEESD_ZNS1_13binary_searchIS3_S5_SD_SD_SD_NS1_21upper_bound_search_opENS9_16wrapped_functionINS0_4lessIvEEbEEEE10hipError_tPvRmT1_T2_T3_mmT4_T5_P12ihipStream_tbEUlRKiE_EESK_SO_SP_mSQ_ST_bEUlT_E_NS1_11comp_targetILNS1_3genE2ELNS1_11target_archE906ELNS1_3gpuE6ELNS1_3repE0EEENS1_30default_config_static_selectorELNS0_4arch9wavefront6targetE0EEEvSN_ ; -- Begin function _ZN7rocprim17ROCPRIM_400000_NS6detail17trampoline_kernelINS0_14default_configENS1_27upper_bound_config_selectorIiiEEZNS1_14transform_implILb0ES3_S5_N6thrust23THRUST_200600_302600_NS6detail15normal_iteratorINS8_10device_ptrIiEEEESD_ZNS1_13binary_searchIS3_S5_SD_SD_SD_NS1_21upper_bound_search_opENS9_16wrapped_functionINS0_4lessIvEEbEEEE10hipError_tPvRmT1_T2_T3_mmT4_T5_P12ihipStream_tbEUlRKiE_EESK_SO_SP_mSQ_ST_bEUlT_E_NS1_11comp_targetILNS1_3genE2ELNS1_11target_archE906ELNS1_3gpuE6ELNS1_3repE0EEENS1_30default_config_static_selectorELNS0_4arch9wavefront6targetE0EEEvSN_
	.globl	_ZN7rocprim17ROCPRIM_400000_NS6detail17trampoline_kernelINS0_14default_configENS1_27upper_bound_config_selectorIiiEEZNS1_14transform_implILb0ES3_S5_N6thrust23THRUST_200600_302600_NS6detail15normal_iteratorINS8_10device_ptrIiEEEESD_ZNS1_13binary_searchIS3_S5_SD_SD_SD_NS1_21upper_bound_search_opENS9_16wrapped_functionINS0_4lessIvEEbEEEE10hipError_tPvRmT1_T2_T3_mmT4_T5_P12ihipStream_tbEUlRKiE_EESK_SO_SP_mSQ_ST_bEUlT_E_NS1_11comp_targetILNS1_3genE2ELNS1_11target_archE906ELNS1_3gpuE6ELNS1_3repE0EEENS1_30default_config_static_selectorELNS0_4arch9wavefront6targetE0EEEvSN_
	.p2align	8
	.type	_ZN7rocprim17ROCPRIM_400000_NS6detail17trampoline_kernelINS0_14default_configENS1_27upper_bound_config_selectorIiiEEZNS1_14transform_implILb0ES3_S5_N6thrust23THRUST_200600_302600_NS6detail15normal_iteratorINS8_10device_ptrIiEEEESD_ZNS1_13binary_searchIS3_S5_SD_SD_SD_NS1_21upper_bound_search_opENS9_16wrapped_functionINS0_4lessIvEEbEEEE10hipError_tPvRmT1_T2_T3_mmT4_T5_P12ihipStream_tbEUlRKiE_EESK_SO_SP_mSQ_ST_bEUlT_E_NS1_11comp_targetILNS1_3genE2ELNS1_11target_archE906ELNS1_3gpuE6ELNS1_3repE0EEENS1_30default_config_static_selectorELNS0_4arch9wavefront6targetE0EEEvSN_,@function
_ZN7rocprim17ROCPRIM_400000_NS6detail17trampoline_kernelINS0_14default_configENS1_27upper_bound_config_selectorIiiEEZNS1_14transform_implILb0ES3_S5_N6thrust23THRUST_200600_302600_NS6detail15normal_iteratorINS8_10device_ptrIiEEEESD_ZNS1_13binary_searchIS3_S5_SD_SD_SD_NS1_21upper_bound_search_opENS9_16wrapped_functionINS0_4lessIvEEbEEEE10hipError_tPvRmT1_T2_T3_mmT4_T5_P12ihipStream_tbEUlRKiE_EESK_SO_SP_mSQ_ST_bEUlT_E_NS1_11comp_targetILNS1_3genE2ELNS1_11target_archE906ELNS1_3gpuE6ELNS1_3repE0EEENS1_30default_config_static_selectorELNS0_4arch9wavefront6targetE0EEEvSN_: ; @_ZN7rocprim17ROCPRIM_400000_NS6detail17trampoline_kernelINS0_14default_configENS1_27upper_bound_config_selectorIiiEEZNS1_14transform_implILb0ES3_S5_N6thrust23THRUST_200600_302600_NS6detail15normal_iteratorINS8_10device_ptrIiEEEESD_ZNS1_13binary_searchIS3_S5_SD_SD_SD_NS1_21upper_bound_search_opENS9_16wrapped_functionINS0_4lessIvEEbEEEE10hipError_tPvRmT1_T2_T3_mmT4_T5_P12ihipStream_tbEUlRKiE_EESK_SO_SP_mSQ_ST_bEUlT_E_NS1_11comp_targetILNS1_3genE2ELNS1_11target_archE906ELNS1_3gpuE6ELNS1_3repE0EEENS1_30default_config_static_selectorELNS0_4arch9wavefront6targetE0EEEvSN_
; %bb.0:
	.section	.rodata,"a",@progbits
	.p2align	6, 0x0
	.amdhsa_kernel _ZN7rocprim17ROCPRIM_400000_NS6detail17trampoline_kernelINS0_14default_configENS1_27upper_bound_config_selectorIiiEEZNS1_14transform_implILb0ES3_S5_N6thrust23THRUST_200600_302600_NS6detail15normal_iteratorINS8_10device_ptrIiEEEESD_ZNS1_13binary_searchIS3_S5_SD_SD_SD_NS1_21upper_bound_search_opENS9_16wrapped_functionINS0_4lessIvEEbEEEE10hipError_tPvRmT1_T2_T3_mmT4_T5_P12ihipStream_tbEUlRKiE_EESK_SO_SP_mSQ_ST_bEUlT_E_NS1_11comp_targetILNS1_3genE2ELNS1_11target_archE906ELNS1_3gpuE6ELNS1_3repE0EEENS1_30default_config_static_selectorELNS0_4arch9wavefront6targetE0EEEvSN_
		.amdhsa_group_segment_fixed_size 0
		.amdhsa_private_segment_fixed_size 0
		.amdhsa_kernarg_size 56
		.amdhsa_user_sgpr_count 6
		.amdhsa_user_sgpr_private_segment_buffer 1
		.amdhsa_user_sgpr_dispatch_ptr 0
		.amdhsa_user_sgpr_queue_ptr 0
		.amdhsa_user_sgpr_kernarg_segment_ptr 1
		.amdhsa_user_sgpr_dispatch_id 0
		.amdhsa_user_sgpr_flat_scratch_init 0
		.amdhsa_user_sgpr_private_segment_size 0
		.amdhsa_wavefront_size32 1
		.amdhsa_uses_dynamic_stack 0
		.amdhsa_system_sgpr_private_segment_wavefront_offset 0
		.amdhsa_system_sgpr_workgroup_id_x 1
		.amdhsa_system_sgpr_workgroup_id_y 0
		.amdhsa_system_sgpr_workgroup_id_z 0
		.amdhsa_system_sgpr_workgroup_info 0
		.amdhsa_system_vgpr_workitem_id 0
		.amdhsa_next_free_vgpr 1
		.amdhsa_next_free_sgpr 1
		.amdhsa_reserve_vcc 0
		.amdhsa_reserve_flat_scratch 0
		.amdhsa_float_round_mode_32 0
		.amdhsa_float_round_mode_16_64 0
		.amdhsa_float_denorm_mode_32 3
		.amdhsa_float_denorm_mode_16_64 3
		.amdhsa_dx10_clamp 1
		.amdhsa_ieee_mode 1
		.amdhsa_fp16_overflow 0
		.amdhsa_workgroup_processor_mode 1
		.amdhsa_memory_ordered 1
		.amdhsa_forward_progress 1
		.amdhsa_shared_vgpr_count 0
		.amdhsa_exception_fp_ieee_invalid_op 0
		.amdhsa_exception_fp_denorm_src 0
		.amdhsa_exception_fp_ieee_div_zero 0
		.amdhsa_exception_fp_ieee_overflow 0
		.amdhsa_exception_fp_ieee_underflow 0
		.amdhsa_exception_fp_ieee_inexact 0
		.amdhsa_exception_int_div_zero 0
	.end_amdhsa_kernel
	.section	.text._ZN7rocprim17ROCPRIM_400000_NS6detail17trampoline_kernelINS0_14default_configENS1_27upper_bound_config_selectorIiiEEZNS1_14transform_implILb0ES3_S5_N6thrust23THRUST_200600_302600_NS6detail15normal_iteratorINS8_10device_ptrIiEEEESD_ZNS1_13binary_searchIS3_S5_SD_SD_SD_NS1_21upper_bound_search_opENS9_16wrapped_functionINS0_4lessIvEEbEEEE10hipError_tPvRmT1_T2_T3_mmT4_T5_P12ihipStream_tbEUlRKiE_EESK_SO_SP_mSQ_ST_bEUlT_E_NS1_11comp_targetILNS1_3genE2ELNS1_11target_archE906ELNS1_3gpuE6ELNS1_3repE0EEENS1_30default_config_static_selectorELNS0_4arch9wavefront6targetE0EEEvSN_,"axG",@progbits,_ZN7rocprim17ROCPRIM_400000_NS6detail17trampoline_kernelINS0_14default_configENS1_27upper_bound_config_selectorIiiEEZNS1_14transform_implILb0ES3_S5_N6thrust23THRUST_200600_302600_NS6detail15normal_iteratorINS8_10device_ptrIiEEEESD_ZNS1_13binary_searchIS3_S5_SD_SD_SD_NS1_21upper_bound_search_opENS9_16wrapped_functionINS0_4lessIvEEbEEEE10hipError_tPvRmT1_T2_T3_mmT4_T5_P12ihipStream_tbEUlRKiE_EESK_SO_SP_mSQ_ST_bEUlT_E_NS1_11comp_targetILNS1_3genE2ELNS1_11target_archE906ELNS1_3gpuE6ELNS1_3repE0EEENS1_30default_config_static_selectorELNS0_4arch9wavefront6targetE0EEEvSN_,comdat
.Lfunc_end612:
	.size	_ZN7rocprim17ROCPRIM_400000_NS6detail17trampoline_kernelINS0_14default_configENS1_27upper_bound_config_selectorIiiEEZNS1_14transform_implILb0ES3_S5_N6thrust23THRUST_200600_302600_NS6detail15normal_iteratorINS8_10device_ptrIiEEEESD_ZNS1_13binary_searchIS3_S5_SD_SD_SD_NS1_21upper_bound_search_opENS9_16wrapped_functionINS0_4lessIvEEbEEEE10hipError_tPvRmT1_T2_T3_mmT4_T5_P12ihipStream_tbEUlRKiE_EESK_SO_SP_mSQ_ST_bEUlT_E_NS1_11comp_targetILNS1_3genE2ELNS1_11target_archE906ELNS1_3gpuE6ELNS1_3repE0EEENS1_30default_config_static_selectorELNS0_4arch9wavefront6targetE0EEEvSN_, .Lfunc_end612-_ZN7rocprim17ROCPRIM_400000_NS6detail17trampoline_kernelINS0_14default_configENS1_27upper_bound_config_selectorIiiEEZNS1_14transform_implILb0ES3_S5_N6thrust23THRUST_200600_302600_NS6detail15normal_iteratorINS8_10device_ptrIiEEEESD_ZNS1_13binary_searchIS3_S5_SD_SD_SD_NS1_21upper_bound_search_opENS9_16wrapped_functionINS0_4lessIvEEbEEEE10hipError_tPvRmT1_T2_T3_mmT4_T5_P12ihipStream_tbEUlRKiE_EESK_SO_SP_mSQ_ST_bEUlT_E_NS1_11comp_targetILNS1_3genE2ELNS1_11target_archE906ELNS1_3gpuE6ELNS1_3repE0EEENS1_30default_config_static_selectorELNS0_4arch9wavefront6targetE0EEEvSN_
                                        ; -- End function
	.set _ZN7rocprim17ROCPRIM_400000_NS6detail17trampoline_kernelINS0_14default_configENS1_27upper_bound_config_selectorIiiEEZNS1_14transform_implILb0ES3_S5_N6thrust23THRUST_200600_302600_NS6detail15normal_iteratorINS8_10device_ptrIiEEEESD_ZNS1_13binary_searchIS3_S5_SD_SD_SD_NS1_21upper_bound_search_opENS9_16wrapped_functionINS0_4lessIvEEbEEEE10hipError_tPvRmT1_T2_T3_mmT4_T5_P12ihipStream_tbEUlRKiE_EESK_SO_SP_mSQ_ST_bEUlT_E_NS1_11comp_targetILNS1_3genE2ELNS1_11target_archE906ELNS1_3gpuE6ELNS1_3repE0EEENS1_30default_config_static_selectorELNS0_4arch9wavefront6targetE0EEEvSN_.num_vgpr, 0
	.set _ZN7rocprim17ROCPRIM_400000_NS6detail17trampoline_kernelINS0_14default_configENS1_27upper_bound_config_selectorIiiEEZNS1_14transform_implILb0ES3_S5_N6thrust23THRUST_200600_302600_NS6detail15normal_iteratorINS8_10device_ptrIiEEEESD_ZNS1_13binary_searchIS3_S5_SD_SD_SD_NS1_21upper_bound_search_opENS9_16wrapped_functionINS0_4lessIvEEbEEEE10hipError_tPvRmT1_T2_T3_mmT4_T5_P12ihipStream_tbEUlRKiE_EESK_SO_SP_mSQ_ST_bEUlT_E_NS1_11comp_targetILNS1_3genE2ELNS1_11target_archE906ELNS1_3gpuE6ELNS1_3repE0EEENS1_30default_config_static_selectorELNS0_4arch9wavefront6targetE0EEEvSN_.num_agpr, 0
	.set _ZN7rocprim17ROCPRIM_400000_NS6detail17trampoline_kernelINS0_14default_configENS1_27upper_bound_config_selectorIiiEEZNS1_14transform_implILb0ES3_S5_N6thrust23THRUST_200600_302600_NS6detail15normal_iteratorINS8_10device_ptrIiEEEESD_ZNS1_13binary_searchIS3_S5_SD_SD_SD_NS1_21upper_bound_search_opENS9_16wrapped_functionINS0_4lessIvEEbEEEE10hipError_tPvRmT1_T2_T3_mmT4_T5_P12ihipStream_tbEUlRKiE_EESK_SO_SP_mSQ_ST_bEUlT_E_NS1_11comp_targetILNS1_3genE2ELNS1_11target_archE906ELNS1_3gpuE6ELNS1_3repE0EEENS1_30default_config_static_selectorELNS0_4arch9wavefront6targetE0EEEvSN_.numbered_sgpr, 0
	.set _ZN7rocprim17ROCPRIM_400000_NS6detail17trampoline_kernelINS0_14default_configENS1_27upper_bound_config_selectorIiiEEZNS1_14transform_implILb0ES3_S5_N6thrust23THRUST_200600_302600_NS6detail15normal_iteratorINS8_10device_ptrIiEEEESD_ZNS1_13binary_searchIS3_S5_SD_SD_SD_NS1_21upper_bound_search_opENS9_16wrapped_functionINS0_4lessIvEEbEEEE10hipError_tPvRmT1_T2_T3_mmT4_T5_P12ihipStream_tbEUlRKiE_EESK_SO_SP_mSQ_ST_bEUlT_E_NS1_11comp_targetILNS1_3genE2ELNS1_11target_archE906ELNS1_3gpuE6ELNS1_3repE0EEENS1_30default_config_static_selectorELNS0_4arch9wavefront6targetE0EEEvSN_.num_named_barrier, 0
	.set _ZN7rocprim17ROCPRIM_400000_NS6detail17trampoline_kernelINS0_14default_configENS1_27upper_bound_config_selectorIiiEEZNS1_14transform_implILb0ES3_S5_N6thrust23THRUST_200600_302600_NS6detail15normal_iteratorINS8_10device_ptrIiEEEESD_ZNS1_13binary_searchIS3_S5_SD_SD_SD_NS1_21upper_bound_search_opENS9_16wrapped_functionINS0_4lessIvEEbEEEE10hipError_tPvRmT1_T2_T3_mmT4_T5_P12ihipStream_tbEUlRKiE_EESK_SO_SP_mSQ_ST_bEUlT_E_NS1_11comp_targetILNS1_3genE2ELNS1_11target_archE906ELNS1_3gpuE6ELNS1_3repE0EEENS1_30default_config_static_selectorELNS0_4arch9wavefront6targetE0EEEvSN_.private_seg_size, 0
	.set _ZN7rocprim17ROCPRIM_400000_NS6detail17trampoline_kernelINS0_14default_configENS1_27upper_bound_config_selectorIiiEEZNS1_14transform_implILb0ES3_S5_N6thrust23THRUST_200600_302600_NS6detail15normal_iteratorINS8_10device_ptrIiEEEESD_ZNS1_13binary_searchIS3_S5_SD_SD_SD_NS1_21upper_bound_search_opENS9_16wrapped_functionINS0_4lessIvEEbEEEE10hipError_tPvRmT1_T2_T3_mmT4_T5_P12ihipStream_tbEUlRKiE_EESK_SO_SP_mSQ_ST_bEUlT_E_NS1_11comp_targetILNS1_3genE2ELNS1_11target_archE906ELNS1_3gpuE6ELNS1_3repE0EEENS1_30default_config_static_selectorELNS0_4arch9wavefront6targetE0EEEvSN_.uses_vcc, 0
	.set _ZN7rocprim17ROCPRIM_400000_NS6detail17trampoline_kernelINS0_14default_configENS1_27upper_bound_config_selectorIiiEEZNS1_14transform_implILb0ES3_S5_N6thrust23THRUST_200600_302600_NS6detail15normal_iteratorINS8_10device_ptrIiEEEESD_ZNS1_13binary_searchIS3_S5_SD_SD_SD_NS1_21upper_bound_search_opENS9_16wrapped_functionINS0_4lessIvEEbEEEE10hipError_tPvRmT1_T2_T3_mmT4_T5_P12ihipStream_tbEUlRKiE_EESK_SO_SP_mSQ_ST_bEUlT_E_NS1_11comp_targetILNS1_3genE2ELNS1_11target_archE906ELNS1_3gpuE6ELNS1_3repE0EEENS1_30default_config_static_selectorELNS0_4arch9wavefront6targetE0EEEvSN_.uses_flat_scratch, 0
	.set _ZN7rocprim17ROCPRIM_400000_NS6detail17trampoline_kernelINS0_14default_configENS1_27upper_bound_config_selectorIiiEEZNS1_14transform_implILb0ES3_S5_N6thrust23THRUST_200600_302600_NS6detail15normal_iteratorINS8_10device_ptrIiEEEESD_ZNS1_13binary_searchIS3_S5_SD_SD_SD_NS1_21upper_bound_search_opENS9_16wrapped_functionINS0_4lessIvEEbEEEE10hipError_tPvRmT1_T2_T3_mmT4_T5_P12ihipStream_tbEUlRKiE_EESK_SO_SP_mSQ_ST_bEUlT_E_NS1_11comp_targetILNS1_3genE2ELNS1_11target_archE906ELNS1_3gpuE6ELNS1_3repE0EEENS1_30default_config_static_selectorELNS0_4arch9wavefront6targetE0EEEvSN_.has_dyn_sized_stack, 0
	.set _ZN7rocprim17ROCPRIM_400000_NS6detail17trampoline_kernelINS0_14default_configENS1_27upper_bound_config_selectorIiiEEZNS1_14transform_implILb0ES3_S5_N6thrust23THRUST_200600_302600_NS6detail15normal_iteratorINS8_10device_ptrIiEEEESD_ZNS1_13binary_searchIS3_S5_SD_SD_SD_NS1_21upper_bound_search_opENS9_16wrapped_functionINS0_4lessIvEEbEEEE10hipError_tPvRmT1_T2_T3_mmT4_T5_P12ihipStream_tbEUlRKiE_EESK_SO_SP_mSQ_ST_bEUlT_E_NS1_11comp_targetILNS1_3genE2ELNS1_11target_archE906ELNS1_3gpuE6ELNS1_3repE0EEENS1_30default_config_static_selectorELNS0_4arch9wavefront6targetE0EEEvSN_.has_recursion, 0
	.set _ZN7rocprim17ROCPRIM_400000_NS6detail17trampoline_kernelINS0_14default_configENS1_27upper_bound_config_selectorIiiEEZNS1_14transform_implILb0ES3_S5_N6thrust23THRUST_200600_302600_NS6detail15normal_iteratorINS8_10device_ptrIiEEEESD_ZNS1_13binary_searchIS3_S5_SD_SD_SD_NS1_21upper_bound_search_opENS9_16wrapped_functionINS0_4lessIvEEbEEEE10hipError_tPvRmT1_T2_T3_mmT4_T5_P12ihipStream_tbEUlRKiE_EESK_SO_SP_mSQ_ST_bEUlT_E_NS1_11comp_targetILNS1_3genE2ELNS1_11target_archE906ELNS1_3gpuE6ELNS1_3repE0EEENS1_30default_config_static_selectorELNS0_4arch9wavefront6targetE0EEEvSN_.has_indirect_call, 0
	.section	.AMDGPU.csdata,"",@progbits
; Kernel info:
; codeLenInByte = 0
; TotalNumSgprs: 0
; NumVgprs: 0
; ScratchSize: 0
; MemoryBound: 0
; FloatMode: 240
; IeeeMode: 1
; LDSByteSize: 0 bytes/workgroup (compile time only)
; SGPRBlocks: 0
; VGPRBlocks: 0
; NumSGPRsForWavesPerEU: 1
; NumVGPRsForWavesPerEU: 1
; Occupancy: 16
; WaveLimiterHint : 0
; COMPUTE_PGM_RSRC2:SCRATCH_EN: 0
; COMPUTE_PGM_RSRC2:USER_SGPR: 6
; COMPUTE_PGM_RSRC2:TRAP_HANDLER: 0
; COMPUTE_PGM_RSRC2:TGID_X_EN: 1
; COMPUTE_PGM_RSRC2:TGID_Y_EN: 0
; COMPUTE_PGM_RSRC2:TGID_Z_EN: 0
; COMPUTE_PGM_RSRC2:TIDIG_COMP_CNT: 0
	.section	.text._ZN7rocprim17ROCPRIM_400000_NS6detail17trampoline_kernelINS0_14default_configENS1_27upper_bound_config_selectorIiiEEZNS1_14transform_implILb0ES3_S5_N6thrust23THRUST_200600_302600_NS6detail15normal_iteratorINS8_10device_ptrIiEEEESD_ZNS1_13binary_searchIS3_S5_SD_SD_SD_NS1_21upper_bound_search_opENS9_16wrapped_functionINS0_4lessIvEEbEEEE10hipError_tPvRmT1_T2_T3_mmT4_T5_P12ihipStream_tbEUlRKiE_EESK_SO_SP_mSQ_ST_bEUlT_E_NS1_11comp_targetILNS1_3genE10ELNS1_11target_archE1201ELNS1_3gpuE5ELNS1_3repE0EEENS1_30default_config_static_selectorELNS0_4arch9wavefront6targetE0EEEvSN_,"axG",@progbits,_ZN7rocprim17ROCPRIM_400000_NS6detail17trampoline_kernelINS0_14default_configENS1_27upper_bound_config_selectorIiiEEZNS1_14transform_implILb0ES3_S5_N6thrust23THRUST_200600_302600_NS6detail15normal_iteratorINS8_10device_ptrIiEEEESD_ZNS1_13binary_searchIS3_S5_SD_SD_SD_NS1_21upper_bound_search_opENS9_16wrapped_functionINS0_4lessIvEEbEEEE10hipError_tPvRmT1_T2_T3_mmT4_T5_P12ihipStream_tbEUlRKiE_EESK_SO_SP_mSQ_ST_bEUlT_E_NS1_11comp_targetILNS1_3genE10ELNS1_11target_archE1201ELNS1_3gpuE5ELNS1_3repE0EEENS1_30default_config_static_selectorELNS0_4arch9wavefront6targetE0EEEvSN_,comdat
	.protected	_ZN7rocprim17ROCPRIM_400000_NS6detail17trampoline_kernelINS0_14default_configENS1_27upper_bound_config_selectorIiiEEZNS1_14transform_implILb0ES3_S5_N6thrust23THRUST_200600_302600_NS6detail15normal_iteratorINS8_10device_ptrIiEEEESD_ZNS1_13binary_searchIS3_S5_SD_SD_SD_NS1_21upper_bound_search_opENS9_16wrapped_functionINS0_4lessIvEEbEEEE10hipError_tPvRmT1_T2_T3_mmT4_T5_P12ihipStream_tbEUlRKiE_EESK_SO_SP_mSQ_ST_bEUlT_E_NS1_11comp_targetILNS1_3genE10ELNS1_11target_archE1201ELNS1_3gpuE5ELNS1_3repE0EEENS1_30default_config_static_selectorELNS0_4arch9wavefront6targetE0EEEvSN_ ; -- Begin function _ZN7rocprim17ROCPRIM_400000_NS6detail17trampoline_kernelINS0_14default_configENS1_27upper_bound_config_selectorIiiEEZNS1_14transform_implILb0ES3_S5_N6thrust23THRUST_200600_302600_NS6detail15normal_iteratorINS8_10device_ptrIiEEEESD_ZNS1_13binary_searchIS3_S5_SD_SD_SD_NS1_21upper_bound_search_opENS9_16wrapped_functionINS0_4lessIvEEbEEEE10hipError_tPvRmT1_T2_T3_mmT4_T5_P12ihipStream_tbEUlRKiE_EESK_SO_SP_mSQ_ST_bEUlT_E_NS1_11comp_targetILNS1_3genE10ELNS1_11target_archE1201ELNS1_3gpuE5ELNS1_3repE0EEENS1_30default_config_static_selectorELNS0_4arch9wavefront6targetE0EEEvSN_
	.globl	_ZN7rocprim17ROCPRIM_400000_NS6detail17trampoline_kernelINS0_14default_configENS1_27upper_bound_config_selectorIiiEEZNS1_14transform_implILb0ES3_S5_N6thrust23THRUST_200600_302600_NS6detail15normal_iteratorINS8_10device_ptrIiEEEESD_ZNS1_13binary_searchIS3_S5_SD_SD_SD_NS1_21upper_bound_search_opENS9_16wrapped_functionINS0_4lessIvEEbEEEE10hipError_tPvRmT1_T2_T3_mmT4_T5_P12ihipStream_tbEUlRKiE_EESK_SO_SP_mSQ_ST_bEUlT_E_NS1_11comp_targetILNS1_3genE10ELNS1_11target_archE1201ELNS1_3gpuE5ELNS1_3repE0EEENS1_30default_config_static_selectorELNS0_4arch9wavefront6targetE0EEEvSN_
	.p2align	8
	.type	_ZN7rocprim17ROCPRIM_400000_NS6detail17trampoline_kernelINS0_14default_configENS1_27upper_bound_config_selectorIiiEEZNS1_14transform_implILb0ES3_S5_N6thrust23THRUST_200600_302600_NS6detail15normal_iteratorINS8_10device_ptrIiEEEESD_ZNS1_13binary_searchIS3_S5_SD_SD_SD_NS1_21upper_bound_search_opENS9_16wrapped_functionINS0_4lessIvEEbEEEE10hipError_tPvRmT1_T2_T3_mmT4_T5_P12ihipStream_tbEUlRKiE_EESK_SO_SP_mSQ_ST_bEUlT_E_NS1_11comp_targetILNS1_3genE10ELNS1_11target_archE1201ELNS1_3gpuE5ELNS1_3repE0EEENS1_30default_config_static_selectorELNS0_4arch9wavefront6targetE0EEEvSN_,@function
_ZN7rocprim17ROCPRIM_400000_NS6detail17trampoline_kernelINS0_14default_configENS1_27upper_bound_config_selectorIiiEEZNS1_14transform_implILb0ES3_S5_N6thrust23THRUST_200600_302600_NS6detail15normal_iteratorINS8_10device_ptrIiEEEESD_ZNS1_13binary_searchIS3_S5_SD_SD_SD_NS1_21upper_bound_search_opENS9_16wrapped_functionINS0_4lessIvEEbEEEE10hipError_tPvRmT1_T2_T3_mmT4_T5_P12ihipStream_tbEUlRKiE_EESK_SO_SP_mSQ_ST_bEUlT_E_NS1_11comp_targetILNS1_3genE10ELNS1_11target_archE1201ELNS1_3gpuE5ELNS1_3repE0EEENS1_30default_config_static_selectorELNS0_4arch9wavefront6targetE0EEEvSN_: ; @_ZN7rocprim17ROCPRIM_400000_NS6detail17trampoline_kernelINS0_14default_configENS1_27upper_bound_config_selectorIiiEEZNS1_14transform_implILb0ES3_S5_N6thrust23THRUST_200600_302600_NS6detail15normal_iteratorINS8_10device_ptrIiEEEESD_ZNS1_13binary_searchIS3_S5_SD_SD_SD_NS1_21upper_bound_search_opENS9_16wrapped_functionINS0_4lessIvEEbEEEE10hipError_tPvRmT1_T2_T3_mmT4_T5_P12ihipStream_tbEUlRKiE_EESK_SO_SP_mSQ_ST_bEUlT_E_NS1_11comp_targetILNS1_3genE10ELNS1_11target_archE1201ELNS1_3gpuE5ELNS1_3repE0EEENS1_30default_config_static_selectorELNS0_4arch9wavefront6targetE0EEEvSN_
; %bb.0:
	.section	.rodata,"a",@progbits
	.p2align	6, 0x0
	.amdhsa_kernel _ZN7rocprim17ROCPRIM_400000_NS6detail17trampoline_kernelINS0_14default_configENS1_27upper_bound_config_selectorIiiEEZNS1_14transform_implILb0ES3_S5_N6thrust23THRUST_200600_302600_NS6detail15normal_iteratorINS8_10device_ptrIiEEEESD_ZNS1_13binary_searchIS3_S5_SD_SD_SD_NS1_21upper_bound_search_opENS9_16wrapped_functionINS0_4lessIvEEbEEEE10hipError_tPvRmT1_T2_T3_mmT4_T5_P12ihipStream_tbEUlRKiE_EESK_SO_SP_mSQ_ST_bEUlT_E_NS1_11comp_targetILNS1_3genE10ELNS1_11target_archE1201ELNS1_3gpuE5ELNS1_3repE0EEENS1_30default_config_static_selectorELNS0_4arch9wavefront6targetE0EEEvSN_
		.amdhsa_group_segment_fixed_size 0
		.amdhsa_private_segment_fixed_size 0
		.amdhsa_kernarg_size 56
		.amdhsa_user_sgpr_count 6
		.amdhsa_user_sgpr_private_segment_buffer 1
		.amdhsa_user_sgpr_dispatch_ptr 0
		.amdhsa_user_sgpr_queue_ptr 0
		.amdhsa_user_sgpr_kernarg_segment_ptr 1
		.amdhsa_user_sgpr_dispatch_id 0
		.amdhsa_user_sgpr_flat_scratch_init 0
		.amdhsa_user_sgpr_private_segment_size 0
		.amdhsa_wavefront_size32 1
		.amdhsa_uses_dynamic_stack 0
		.amdhsa_system_sgpr_private_segment_wavefront_offset 0
		.amdhsa_system_sgpr_workgroup_id_x 1
		.amdhsa_system_sgpr_workgroup_id_y 0
		.amdhsa_system_sgpr_workgroup_id_z 0
		.amdhsa_system_sgpr_workgroup_info 0
		.amdhsa_system_vgpr_workitem_id 0
		.amdhsa_next_free_vgpr 1
		.amdhsa_next_free_sgpr 1
		.amdhsa_reserve_vcc 0
		.amdhsa_reserve_flat_scratch 0
		.amdhsa_float_round_mode_32 0
		.amdhsa_float_round_mode_16_64 0
		.amdhsa_float_denorm_mode_32 3
		.amdhsa_float_denorm_mode_16_64 3
		.amdhsa_dx10_clamp 1
		.amdhsa_ieee_mode 1
		.amdhsa_fp16_overflow 0
		.amdhsa_workgroup_processor_mode 1
		.amdhsa_memory_ordered 1
		.amdhsa_forward_progress 1
		.amdhsa_shared_vgpr_count 0
		.amdhsa_exception_fp_ieee_invalid_op 0
		.amdhsa_exception_fp_denorm_src 0
		.amdhsa_exception_fp_ieee_div_zero 0
		.amdhsa_exception_fp_ieee_overflow 0
		.amdhsa_exception_fp_ieee_underflow 0
		.amdhsa_exception_fp_ieee_inexact 0
		.amdhsa_exception_int_div_zero 0
	.end_amdhsa_kernel
	.section	.text._ZN7rocprim17ROCPRIM_400000_NS6detail17trampoline_kernelINS0_14default_configENS1_27upper_bound_config_selectorIiiEEZNS1_14transform_implILb0ES3_S5_N6thrust23THRUST_200600_302600_NS6detail15normal_iteratorINS8_10device_ptrIiEEEESD_ZNS1_13binary_searchIS3_S5_SD_SD_SD_NS1_21upper_bound_search_opENS9_16wrapped_functionINS0_4lessIvEEbEEEE10hipError_tPvRmT1_T2_T3_mmT4_T5_P12ihipStream_tbEUlRKiE_EESK_SO_SP_mSQ_ST_bEUlT_E_NS1_11comp_targetILNS1_3genE10ELNS1_11target_archE1201ELNS1_3gpuE5ELNS1_3repE0EEENS1_30default_config_static_selectorELNS0_4arch9wavefront6targetE0EEEvSN_,"axG",@progbits,_ZN7rocprim17ROCPRIM_400000_NS6detail17trampoline_kernelINS0_14default_configENS1_27upper_bound_config_selectorIiiEEZNS1_14transform_implILb0ES3_S5_N6thrust23THRUST_200600_302600_NS6detail15normal_iteratorINS8_10device_ptrIiEEEESD_ZNS1_13binary_searchIS3_S5_SD_SD_SD_NS1_21upper_bound_search_opENS9_16wrapped_functionINS0_4lessIvEEbEEEE10hipError_tPvRmT1_T2_T3_mmT4_T5_P12ihipStream_tbEUlRKiE_EESK_SO_SP_mSQ_ST_bEUlT_E_NS1_11comp_targetILNS1_3genE10ELNS1_11target_archE1201ELNS1_3gpuE5ELNS1_3repE0EEENS1_30default_config_static_selectorELNS0_4arch9wavefront6targetE0EEEvSN_,comdat
.Lfunc_end613:
	.size	_ZN7rocprim17ROCPRIM_400000_NS6detail17trampoline_kernelINS0_14default_configENS1_27upper_bound_config_selectorIiiEEZNS1_14transform_implILb0ES3_S5_N6thrust23THRUST_200600_302600_NS6detail15normal_iteratorINS8_10device_ptrIiEEEESD_ZNS1_13binary_searchIS3_S5_SD_SD_SD_NS1_21upper_bound_search_opENS9_16wrapped_functionINS0_4lessIvEEbEEEE10hipError_tPvRmT1_T2_T3_mmT4_T5_P12ihipStream_tbEUlRKiE_EESK_SO_SP_mSQ_ST_bEUlT_E_NS1_11comp_targetILNS1_3genE10ELNS1_11target_archE1201ELNS1_3gpuE5ELNS1_3repE0EEENS1_30default_config_static_selectorELNS0_4arch9wavefront6targetE0EEEvSN_, .Lfunc_end613-_ZN7rocprim17ROCPRIM_400000_NS6detail17trampoline_kernelINS0_14default_configENS1_27upper_bound_config_selectorIiiEEZNS1_14transform_implILb0ES3_S5_N6thrust23THRUST_200600_302600_NS6detail15normal_iteratorINS8_10device_ptrIiEEEESD_ZNS1_13binary_searchIS3_S5_SD_SD_SD_NS1_21upper_bound_search_opENS9_16wrapped_functionINS0_4lessIvEEbEEEE10hipError_tPvRmT1_T2_T3_mmT4_T5_P12ihipStream_tbEUlRKiE_EESK_SO_SP_mSQ_ST_bEUlT_E_NS1_11comp_targetILNS1_3genE10ELNS1_11target_archE1201ELNS1_3gpuE5ELNS1_3repE0EEENS1_30default_config_static_selectorELNS0_4arch9wavefront6targetE0EEEvSN_
                                        ; -- End function
	.set _ZN7rocprim17ROCPRIM_400000_NS6detail17trampoline_kernelINS0_14default_configENS1_27upper_bound_config_selectorIiiEEZNS1_14transform_implILb0ES3_S5_N6thrust23THRUST_200600_302600_NS6detail15normal_iteratorINS8_10device_ptrIiEEEESD_ZNS1_13binary_searchIS3_S5_SD_SD_SD_NS1_21upper_bound_search_opENS9_16wrapped_functionINS0_4lessIvEEbEEEE10hipError_tPvRmT1_T2_T3_mmT4_T5_P12ihipStream_tbEUlRKiE_EESK_SO_SP_mSQ_ST_bEUlT_E_NS1_11comp_targetILNS1_3genE10ELNS1_11target_archE1201ELNS1_3gpuE5ELNS1_3repE0EEENS1_30default_config_static_selectorELNS0_4arch9wavefront6targetE0EEEvSN_.num_vgpr, 0
	.set _ZN7rocprim17ROCPRIM_400000_NS6detail17trampoline_kernelINS0_14default_configENS1_27upper_bound_config_selectorIiiEEZNS1_14transform_implILb0ES3_S5_N6thrust23THRUST_200600_302600_NS6detail15normal_iteratorINS8_10device_ptrIiEEEESD_ZNS1_13binary_searchIS3_S5_SD_SD_SD_NS1_21upper_bound_search_opENS9_16wrapped_functionINS0_4lessIvEEbEEEE10hipError_tPvRmT1_T2_T3_mmT4_T5_P12ihipStream_tbEUlRKiE_EESK_SO_SP_mSQ_ST_bEUlT_E_NS1_11comp_targetILNS1_3genE10ELNS1_11target_archE1201ELNS1_3gpuE5ELNS1_3repE0EEENS1_30default_config_static_selectorELNS0_4arch9wavefront6targetE0EEEvSN_.num_agpr, 0
	.set _ZN7rocprim17ROCPRIM_400000_NS6detail17trampoline_kernelINS0_14default_configENS1_27upper_bound_config_selectorIiiEEZNS1_14transform_implILb0ES3_S5_N6thrust23THRUST_200600_302600_NS6detail15normal_iteratorINS8_10device_ptrIiEEEESD_ZNS1_13binary_searchIS3_S5_SD_SD_SD_NS1_21upper_bound_search_opENS9_16wrapped_functionINS0_4lessIvEEbEEEE10hipError_tPvRmT1_T2_T3_mmT4_T5_P12ihipStream_tbEUlRKiE_EESK_SO_SP_mSQ_ST_bEUlT_E_NS1_11comp_targetILNS1_3genE10ELNS1_11target_archE1201ELNS1_3gpuE5ELNS1_3repE0EEENS1_30default_config_static_selectorELNS0_4arch9wavefront6targetE0EEEvSN_.numbered_sgpr, 0
	.set _ZN7rocprim17ROCPRIM_400000_NS6detail17trampoline_kernelINS0_14default_configENS1_27upper_bound_config_selectorIiiEEZNS1_14transform_implILb0ES3_S5_N6thrust23THRUST_200600_302600_NS6detail15normal_iteratorINS8_10device_ptrIiEEEESD_ZNS1_13binary_searchIS3_S5_SD_SD_SD_NS1_21upper_bound_search_opENS9_16wrapped_functionINS0_4lessIvEEbEEEE10hipError_tPvRmT1_T2_T3_mmT4_T5_P12ihipStream_tbEUlRKiE_EESK_SO_SP_mSQ_ST_bEUlT_E_NS1_11comp_targetILNS1_3genE10ELNS1_11target_archE1201ELNS1_3gpuE5ELNS1_3repE0EEENS1_30default_config_static_selectorELNS0_4arch9wavefront6targetE0EEEvSN_.num_named_barrier, 0
	.set _ZN7rocprim17ROCPRIM_400000_NS6detail17trampoline_kernelINS0_14default_configENS1_27upper_bound_config_selectorIiiEEZNS1_14transform_implILb0ES3_S5_N6thrust23THRUST_200600_302600_NS6detail15normal_iteratorINS8_10device_ptrIiEEEESD_ZNS1_13binary_searchIS3_S5_SD_SD_SD_NS1_21upper_bound_search_opENS9_16wrapped_functionINS0_4lessIvEEbEEEE10hipError_tPvRmT1_T2_T3_mmT4_T5_P12ihipStream_tbEUlRKiE_EESK_SO_SP_mSQ_ST_bEUlT_E_NS1_11comp_targetILNS1_3genE10ELNS1_11target_archE1201ELNS1_3gpuE5ELNS1_3repE0EEENS1_30default_config_static_selectorELNS0_4arch9wavefront6targetE0EEEvSN_.private_seg_size, 0
	.set _ZN7rocprim17ROCPRIM_400000_NS6detail17trampoline_kernelINS0_14default_configENS1_27upper_bound_config_selectorIiiEEZNS1_14transform_implILb0ES3_S5_N6thrust23THRUST_200600_302600_NS6detail15normal_iteratorINS8_10device_ptrIiEEEESD_ZNS1_13binary_searchIS3_S5_SD_SD_SD_NS1_21upper_bound_search_opENS9_16wrapped_functionINS0_4lessIvEEbEEEE10hipError_tPvRmT1_T2_T3_mmT4_T5_P12ihipStream_tbEUlRKiE_EESK_SO_SP_mSQ_ST_bEUlT_E_NS1_11comp_targetILNS1_3genE10ELNS1_11target_archE1201ELNS1_3gpuE5ELNS1_3repE0EEENS1_30default_config_static_selectorELNS0_4arch9wavefront6targetE0EEEvSN_.uses_vcc, 0
	.set _ZN7rocprim17ROCPRIM_400000_NS6detail17trampoline_kernelINS0_14default_configENS1_27upper_bound_config_selectorIiiEEZNS1_14transform_implILb0ES3_S5_N6thrust23THRUST_200600_302600_NS6detail15normal_iteratorINS8_10device_ptrIiEEEESD_ZNS1_13binary_searchIS3_S5_SD_SD_SD_NS1_21upper_bound_search_opENS9_16wrapped_functionINS0_4lessIvEEbEEEE10hipError_tPvRmT1_T2_T3_mmT4_T5_P12ihipStream_tbEUlRKiE_EESK_SO_SP_mSQ_ST_bEUlT_E_NS1_11comp_targetILNS1_3genE10ELNS1_11target_archE1201ELNS1_3gpuE5ELNS1_3repE0EEENS1_30default_config_static_selectorELNS0_4arch9wavefront6targetE0EEEvSN_.uses_flat_scratch, 0
	.set _ZN7rocprim17ROCPRIM_400000_NS6detail17trampoline_kernelINS0_14default_configENS1_27upper_bound_config_selectorIiiEEZNS1_14transform_implILb0ES3_S5_N6thrust23THRUST_200600_302600_NS6detail15normal_iteratorINS8_10device_ptrIiEEEESD_ZNS1_13binary_searchIS3_S5_SD_SD_SD_NS1_21upper_bound_search_opENS9_16wrapped_functionINS0_4lessIvEEbEEEE10hipError_tPvRmT1_T2_T3_mmT4_T5_P12ihipStream_tbEUlRKiE_EESK_SO_SP_mSQ_ST_bEUlT_E_NS1_11comp_targetILNS1_3genE10ELNS1_11target_archE1201ELNS1_3gpuE5ELNS1_3repE0EEENS1_30default_config_static_selectorELNS0_4arch9wavefront6targetE0EEEvSN_.has_dyn_sized_stack, 0
	.set _ZN7rocprim17ROCPRIM_400000_NS6detail17trampoline_kernelINS0_14default_configENS1_27upper_bound_config_selectorIiiEEZNS1_14transform_implILb0ES3_S5_N6thrust23THRUST_200600_302600_NS6detail15normal_iteratorINS8_10device_ptrIiEEEESD_ZNS1_13binary_searchIS3_S5_SD_SD_SD_NS1_21upper_bound_search_opENS9_16wrapped_functionINS0_4lessIvEEbEEEE10hipError_tPvRmT1_T2_T3_mmT4_T5_P12ihipStream_tbEUlRKiE_EESK_SO_SP_mSQ_ST_bEUlT_E_NS1_11comp_targetILNS1_3genE10ELNS1_11target_archE1201ELNS1_3gpuE5ELNS1_3repE0EEENS1_30default_config_static_selectorELNS0_4arch9wavefront6targetE0EEEvSN_.has_recursion, 0
	.set _ZN7rocprim17ROCPRIM_400000_NS6detail17trampoline_kernelINS0_14default_configENS1_27upper_bound_config_selectorIiiEEZNS1_14transform_implILb0ES3_S5_N6thrust23THRUST_200600_302600_NS6detail15normal_iteratorINS8_10device_ptrIiEEEESD_ZNS1_13binary_searchIS3_S5_SD_SD_SD_NS1_21upper_bound_search_opENS9_16wrapped_functionINS0_4lessIvEEbEEEE10hipError_tPvRmT1_T2_T3_mmT4_T5_P12ihipStream_tbEUlRKiE_EESK_SO_SP_mSQ_ST_bEUlT_E_NS1_11comp_targetILNS1_3genE10ELNS1_11target_archE1201ELNS1_3gpuE5ELNS1_3repE0EEENS1_30default_config_static_selectorELNS0_4arch9wavefront6targetE0EEEvSN_.has_indirect_call, 0
	.section	.AMDGPU.csdata,"",@progbits
; Kernel info:
; codeLenInByte = 0
; TotalNumSgprs: 0
; NumVgprs: 0
; ScratchSize: 0
; MemoryBound: 0
; FloatMode: 240
; IeeeMode: 1
; LDSByteSize: 0 bytes/workgroup (compile time only)
; SGPRBlocks: 0
; VGPRBlocks: 0
; NumSGPRsForWavesPerEU: 1
; NumVGPRsForWavesPerEU: 1
; Occupancy: 16
; WaveLimiterHint : 0
; COMPUTE_PGM_RSRC2:SCRATCH_EN: 0
; COMPUTE_PGM_RSRC2:USER_SGPR: 6
; COMPUTE_PGM_RSRC2:TRAP_HANDLER: 0
; COMPUTE_PGM_RSRC2:TGID_X_EN: 1
; COMPUTE_PGM_RSRC2:TGID_Y_EN: 0
; COMPUTE_PGM_RSRC2:TGID_Z_EN: 0
; COMPUTE_PGM_RSRC2:TIDIG_COMP_CNT: 0
	.section	.text._ZN7rocprim17ROCPRIM_400000_NS6detail17trampoline_kernelINS0_14default_configENS1_27upper_bound_config_selectorIiiEEZNS1_14transform_implILb0ES3_S5_N6thrust23THRUST_200600_302600_NS6detail15normal_iteratorINS8_10device_ptrIiEEEESD_ZNS1_13binary_searchIS3_S5_SD_SD_SD_NS1_21upper_bound_search_opENS9_16wrapped_functionINS0_4lessIvEEbEEEE10hipError_tPvRmT1_T2_T3_mmT4_T5_P12ihipStream_tbEUlRKiE_EESK_SO_SP_mSQ_ST_bEUlT_E_NS1_11comp_targetILNS1_3genE10ELNS1_11target_archE1200ELNS1_3gpuE4ELNS1_3repE0EEENS1_30default_config_static_selectorELNS0_4arch9wavefront6targetE0EEEvSN_,"axG",@progbits,_ZN7rocprim17ROCPRIM_400000_NS6detail17trampoline_kernelINS0_14default_configENS1_27upper_bound_config_selectorIiiEEZNS1_14transform_implILb0ES3_S5_N6thrust23THRUST_200600_302600_NS6detail15normal_iteratorINS8_10device_ptrIiEEEESD_ZNS1_13binary_searchIS3_S5_SD_SD_SD_NS1_21upper_bound_search_opENS9_16wrapped_functionINS0_4lessIvEEbEEEE10hipError_tPvRmT1_T2_T3_mmT4_T5_P12ihipStream_tbEUlRKiE_EESK_SO_SP_mSQ_ST_bEUlT_E_NS1_11comp_targetILNS1_3genE10ELNS1_11target_archE1200ELNS1_3gpuE4ELNS1_3repE0EEENS1_30default_config_static_selectorELNS0_4arch9wavefront6targetE0EEEvSN_,comdat
	.protected	_ZN7rocprim17ROCPRIM_400000_NS6detail17trampoline_kernelINS0_14default_configENS1_27upper_bound_config_selectorIiiEEZNS1_14transform_implILb0ES3_S5_N6thrust23THRUST_200600_302600_NS6detail15normal_iteratorINS8_10device_ptrIiEEEESD_ZNS1_13binary_searchIS3_S5_SD_SD_SD_NS1_21upper_bound_search_opENS9_16wrapped_functionINS0_4lessIvEEbEEEE10hipError_tPvRmT1_T2_T3_mmT4_T5_P12ihipStream_tbEUlRKiE_EESK_SO_SP_mSQ_ST_bEUlT_E_NS1_11comp_targetILNS1_3genE10ELNS1_11target_archE1200ELNS1_3gpuE4ELNS1_3repE0EEENS1_30default_config_static_selectorELNS0_4arch9wavefront6targetE0EEEvSN_ ; -- Begin function _ZN7rocprim17ROCPRIM_400000_NS6detail17trampoline_kernelINS0_14default_configENS1_27upper_bound_config_selectorIiiEEZNS1_14transform_implILb0ES3_S5_N6thrust23THRUST_200600_302600_NS6detail15normal_iteratorINS8_10device_ptrIiEEEESD_ZNS1_13binary_searchIS3_S5_SD_SD_SD_NS1_21upper_bound_search_opENS9_16wrapped_functionINS0_4lessIvEEbEEEE10hipError_tPvRmT1_T2_T3_mmT4_T5_P12ihipStream_tbEUlRKiE_EESK_SO_SP_mSQ_ST_bEUlT_E_NS1_11comp_targetILNS1_3genE10ELNS1_11target_archE1200ELNS1_3gpuE4ELNS1_3repE0EEENS1_30default_config_static_selectorELNS0_4arch9wavefront6targetE0EEEvSN_
	.globl	_ZN7rocprim17ROCPRIM_400000_NS6detail17trampoline_kernelINS0_14default_configENS1_27upper_bound_config_selectorIiiEEZNS1_14transform_implILb0ES3_S5_N6thrust23THRUST_200600_302600_NS6detail15normal_iteratorINS8_10device_ptrIiEEEESD_ZNS1_13binary_searchIS3_S5_SD_SD_SD_NS1_21upper_bound_search_opENS9_16wrapped_functionINS0_4lessIvEEbEEEE10hipError_tPvRmT1_T2_T3_mmT4_T5_P12ihipStream_tbEUlRKiE_EESK_SO_SP_mSQ_ST_bEUlT_E_NS1_11comp_targetILNS1_3genE10ELNS1_11target_archE1200ELNS1_3gpuE4ELNS1_3repE0EEENS1_30default_config_static_selectorELNS0_4arch9wavefront6targetE0EEEvSN_
	.p2align	8
	.type	_ZN7rocprim17ROCPRIM_400000_NS6detail17trampoline_kernelINS0_14default_configENS1_27upper_bound_config_selectorIiiEEZNS1_14transform_implILb0ES3_S5_N6thrust23THRUST_200600_302600_NS6detail15normal_iteratorINS8_10device_ptrIiEEEESD_ZNS1_13binary_searchIS3_S5_SD_SD_SD_NS1_21upper_bound_search_opENS9_16wrapped_functionINS0_4lessIvEEbEEEE10hipError_tPvRmT1_T2_T3_mmT4_T5_P12ihipStream_tbEUlRKiE_EESK_SO_SP_mSQ_ST_bEUlT_E_NS1_11comp_targetILNS1_3genE10ELNS1_11target_archE1200ELNS1_3gpuE4ELNS1_3repE0EEENS1_30default_config_static_selectorELNS0_4arch9wavefront6targetE0EEEvSN_,@function
_ZN7rocprim17ROCPRIM_400000_NS6detail17trampoline_kernelINS0_14default_configENS1_27upper_bound_config_selectorIiiEEZNS1_14transform_implILb0ES3_S5_N6thrust23THRUST_200600_302600_NS6detail15normal_iteratorINS8_10device_ptrIiEEEESD_ZNS1_13binary_searchIS3_S5_SD_SD_SD_NS1_21upper_bound_search_opENS9_16wrapped_functionINS0_4lessIvEEbEEEE10hipError_tPvRmT1_T2_T3_mmT4_T5_P12ihipStream_tbEUlRKiE_EESK_SO_SP_mSQ_ST_bEUlT_E_NS1_11comp_targetILNS1_3genE10ELNS1_11target_archE1200ELNS1_3gpuE4ELNS1_3repE0EEENS1_30default_config_static_selectorELNS0_4arch9wavefront6targetE0EEEvSN_: ; @_ZN7rocprim17ROCPRIM_400000_NS6detail17trampoline_kernelINS0_14default_configENS1_27upper_bound_config_selectorIiiEEZNS1_14transform_implILb0ES3_S5_N6thrust23THRUST_200600_302600_NS6detail15normal_iteratorINS8_10device_ptrIiEEEESD_ZNS1_13binary_searchIS3_S5_SD_SD_SD_NS1_21upper_bound_search_opENS9_16wrapped_functionINS0_4lessIvEEbEEEE10hipError_tPvRmT1_T2_T3_mmT4_T5_P12ihipStream_tbEUlRKiE_EESK_SO_SP_mSQ_ST_bEUlT_E_NS1_11comp_targetILNS1_3genE10ELNS1_11target_archE1200ELNS1_3gpuE4ELNS1_3repE0EEENS1_30default_config_static_selectorELNS0_4arch9wavefront6targetE0EEEvSN_
; %bb.0:
	.section	.rodata,"a",@progbits
	.p2align	6, 0x0
	.amdhsa_kernel _ZN7rocprim17ROCPRIM_400000_NS6detail17trampoline_kernelINS0_14default_configENS1_27upper_bound_config_selectorIiiEEZNS1_14transform_implILb0ES3_S5_N6thrust23THRUST_200600_302600_NS6detail15normal_iteratorINS8_10device_ptrIiEEEESD_ZNS1_13binary_searchIS3_S5_SD_SD_SD_NS1_21upper_bound_search_opENS9_16wrapped_functionINS0_4lessIvEEbEEEE10hipError_tPvRmT1_T2_T3_mmT4_T5_P12ihipStream_tbEUlRKiE_EESK_SO_SP_mSQ_ST_bEUlT_E_NS1_11comp_targetILNS1_3genE10ELNS1_11target_archE1200ELNS1_3gpuE4ELNS1_3repE0EEENS1_30default_config_static_selectorELNS0_4arch9wavefront6targetE0EEEvSN_
		.amdhsa_group_segment_fixed_size 0
		.amdhsa_private_segment_fixed_size 0
		.amdhsa_kernarg_size 56
		.amdhsa_user_sgpr_count 6
		.amdhsa_user_sgpr_private_segment_buffer 1
		.amdhsa_user_sgpr_dispatch_ptr 0
		.amdhsa_user_sgpr_queue_ptr 0
		.amdhsa_user_sgpr_kernarg_segment_ptr 1
		.amdhsa_user_sgpr_dispatch_id 0
		.amdhsa_user_sgpr_flat_scratch_init 0
		.amdhsa_user_sgpr_private_segment_size 0
		.amdhsa_wavefront_size32 1
		.amdhsa_uses_dynamic_stack 0
		.amdhsa_system_sgpr_private_segment_wavefront_offset 0
		.amdhsa_system_sgpr_workgroup_id_x 1
		.amdhsa_system_sgpr_workgroup_id_y 0
		.amdhsa_system_sgpr_workgroup_id_z 0
		.amdhsa_system_sgpr_workgroup_info 0
		.amdhsa_system_vgpr_workitem_id 0
		.amdhsa_next_free_vgpr 1
		.amdhsa_next_free_sgpr 1
		.amdhsa_reserve_vcc 0
		.amdhsa_reserve_flat_scratch 0
		.amdhsa_float_round_mode_32 0
		.amdhsa_float_round_mode_16_64 0
		.amdhsa_float_denorm_mode_32 3
		.amdhsa_float_denorm_mode_16_64 3
		.amdhsa_dx10_clamp 1
		.amdhsa_ieee_mode 1
		.amdhsa_fp16_overflow 0
		.amdhsa_workgroup_processor_mode 1
		.amdhsa_memory_ordered 1
		.amdhsa_forward_progress 1
		.amdhsa_shared_vgpr_count 0
		.amdhsa_exception_fp_ieee_invalid_op 0
		.amdhsa_exception_fp_denorm_src 0
		.amdhsa_exception_fp_ieee_div_zero 0
		.amdhsa_exception_fp_ieee_overflow 0
		.amdhsa_exception_fp_ieee_underflow 0
		.amdhsa_exception_fp_ieee_inexact 0
		.amdhsa_exception_int_div_zero 0
	.end_amdhsa_kernel
	.section	.text._ZN7rocprim17ROCPRIM_400000_NS6detail17trampoline_kernelINS0_14default_configENS1_27upper_bound_config_selectorIiiEEZNS1_14transform_implILb0ES3_S5_N6thrust23THRUST_200600_302600_NS6detail15normal_iteratorINS8_10device_ptrIiEEEESD_ZNS1_13binary_searchIS3_S5_SD_SD_SD_NS1_21upper_bound_search_opENS9_16wrapped_functionINS0_4lessIvEEbEEEE10hipError_tPvRmT1_T2_T3_mmT4_T5_P12ihipStream_tbEUlRKiE_EESK_SO_SP_mSQ_ST_bEUlT_E_NS1_11comp_targetILNS1_3genE10ELNS1_11target_archE1200ELNS1_3gpuE4ELNS1_3repE0EEENS1_30default_config_static_selectorELNS0_4arch9wavefront6targetE0EEEvSN_,"axG",@progbits,_ZN7rocprim17ROCPRIM_400000_NS6detail17trampoline_kernelINS0_14default_configENS1_27upper_bound_config_selectorIiiEEZNS1_14transform_implILb0ES3_S5_N6thrust23THRUST_200600_302600_NS6detail15normal_iteratorINS8_10device_ptrIiEEEESD_ZNS1_13binary_searchIS3_S5_SD_SD_SD_NS1_21upper_bound_search_opENS9_16wrapped_functionINS0_4lessIvEEbEEEE10hipError_tPvRmT1_T2_T3_mmT4_T5_P12ihipStream_tbEUlRKiE_EESK_SO_SP_mSQ_ST_bEUlT_E_NS1_11comp_targetILNS1_3genE10ELNS1_11target_archE1200ELNS1_3gpuE4ELNS1_3repE0EEENS1_30default_config_static_selectorELNS0_4arch9wavefront6targetE0EEEvSN_,comdat
.Lfunc_end614:
	.size	_ZN7rocprim17ROCPRIM_400000_NS6detail17trampoline_kernelINS0_14default_configENS1_27upper_bound_config_selectorIiiEEZNS1_14transform_implILb0ES3_S5_N6thrust23THRUST_200600_302600_NS6detail15normal_iteratorINS8_10device_ptrIiEEEESD_ZNS1_13binary_searchIS3_S5_SD_SD_SD_NS1_21upper_bound_search_opENS9_16wrapped_functionINS0_4lessIvEEbEEEE10hipError_tPvRmT1_T2_T3_mmT4_T5_P12ihipStream_tbEUlRKiE_EESK_SO_SP_mSQ_ST_bEUlT_E_NS1_11comp_targetILNS1_3genE10ELNS1_11target_archE1200ELNS1_3gpuE4ELNS1_3repE0EEENS1_30default_config_static_selectorELNS0_4arch9wavefront6targetE0EEEvSN_, .Lfunc_end614-_ZN7rocprim17ROCPRIM_400000_NS6detail17trampoline_kernelINS0_14default_configENS1_27upper_bound_config_selectorIiiEEZNS1_14transform_implILb0ES3_S5_N6thrust23THRUST_200600_302600_NS6detail15normal_iteratorINS8_10device_ptrIiEEEESD_ZNS1_13binary_searchIS3_S5_SD_SD_SD_NS1_21upper_bound_search_opENS9_16wrapped_functionINS0_4lessIvEEbEEEE10hipError_tPvRmT1_T2_T3_mmT4_T5_P12ihipStream_tbEUlRKiE_EESK_SO_SP_mSQ_ST_bEUlT_E_NS1_11comp_targetILNS1_3genE10ELNS1_11target_archE1200ELNS1_3gpuE4ELNS1_3repE0EEENS1_30default_config_static_selectorELNS0_4arch9wavefront6targetE0EEEvSN_
                                        ; -- End function
	.set _ZN7rocprim17ROCPRIM_400000_NS6detail17trampoline_kernelINS0_14default_configENS1_27upper_bound_config_selectorIiiEEZNS1_14transform_implILb0ES3_S5_N6thrust23THRUST_200600_302600_NS6detail15normal_iteratorINS8_10device_ptrIiEEEESD_ZNS1_13binary_searchIS3_S5_SD_SD_SD_NS1_21upper_bound_search_opENS9_16wrapped_functionINS0_4lessIvEEbEEEE10hipError_tPvRmT1_T2_T3_mmT4_T5_P12ihipStream_tbEUlRKiE_EESK_SO_SP_mSQ_ST_bEUlT_E_NS1_11comp_targetILNS1_3genE10ELNS1_11target_archE1200ELNS1_3gpuE4ELNS1_3repE0EEENS1_30default_config_static_selectorELNS0_4arch9wavefront6targetE0EEEvSN_.num_vgpr, 0
	.set _ZN7rocprim17ROCPRIM_400000_NS6detail17trampoline_kernelINS0_14default_configENS1_27upper_bound_config_selectorIiiEEZNS1_14transform_implILb0ES3_S5_N6thrust23THRUST_200600_302600_NS6detail15normal_iteratorINS8_10device_ptrIiEEEESD_ZNS1_13binary_searchIS3_S5_SD_SD_SD_NS1_21upper_bound_search_opENS9_16wrapped_functionINS0_4lessIvEEbEEEE10hipError_tPvRmT1_T2_T3_mmT4_T5_P12ihipStream_tbEUlRKiE_EESK_SO_SP_mSQ_ST_bEUlT_E_NS1_11comp_targetILNS1_3genE10ELNS1_11target_archE1200ELNS1_3gpuE4ELNS1_3repE0EEENS1_30default_config_static_selectorELNS0_4arch9wavefront6targetE0EEEvSN_.num_agpr, 0
	.set _ZN7rocprim17ROCPRIM_400000_NS6detail17trampoline_kernelINS0_14default_configENS1_27upper_bound_config_selectorIiiEEZNS1_14transform_implILb0ES3_S5_N6thrust23THRUST_200600_302600_NS6detail15normal_iteratorINS8_10device_ptrIiEEEESD_ZNS1_13binary_searchIS3_S5_SD_SD_SD_NS1_21upper_bound_search_opENS9_16wrapped_functionINS0_4lessIvEEbEEEE10hipError_tPvRmT1_T2_T3_mmT4_T5_P12ihipStream_tbEUlRKiE_EESK_SO_SP_mSQ_ST_bEUlT_E_NS1_11comp_targetILNS1_3genE10ELNS1_11target_archE1200ELNS1_3gpuE4ELNS1_3repE0EEENS1_30default_config_static_selectorELNS0_4arch9wavefront6targetE0EEEvSN_.numbered_sgpr, 0
	.set _ZN7rocprim17ROCPRIM_400000_NS6detail17trampoline_kernelINS0_14default_configENS1_27upper_bound_config_selectorIiiEEZNS1_14transform_implILb0ES3_S5_N6thrust23THRUST_200600_302600_NS6detail15normal_iteratorINS8_10device_ptrIiEEEESD_ZNS1_13binary_searchIS3_S5_SD_SD_SD_NS1_21upper_bound_search_opENS9_16wrapped_functionINS0_4lessIvEEbEEEE10hipError_tPvRmT1_T2_T3_mmT4_T5_P12ihipStream_tbEUlRKiE_EESK_SO_SP_mSQ_ST_bEUlT_E_NS1_11comp_targetILNS1_3genE10ELNS1_11target_archE1200ELNS1_3gpuE4ELNS1_3repE0EEENS1_30default_config_static_selectorELNS0_4arch9wavefront6targetE0EEEvSN_.num_named_barrier, 0
	.set _ZN7rocprim17ROCPRIM_400000_NS6detail17trampoline_kernelINS0_14default_configENS1_27upper_bound_config_selectorIiiEEZNS1_14transform_implILb0ES3_S5_N6thrust23THRUST_200600_302600_NS6detail15normal_iteratorINS8_10device_ptrIiEEEESD_ZNS1_13binary_searchIS3_S5_SD_SD_SD_NS1_21upper_bound_search_opENS9_16wrapped_functionINS0_4lessIvEEbEEEE10hipError_tPvRmT1_T2_T3_mmT4_T5_P12ihipStream_tbEUlRKiE_EESK_SO_SP_mSQ_ST_bEUlT_E_NS1_11comp_targetILNS1_3genE10ELNS1_11target_archE1200ELNS1_3gpuE4ELNS1_3repE0EEENS1_30default_config_static_selectorELNS0_4arch9wavefront6targetE0EEEvSN_.private_seg_size, 0
	.set _ZN7rocprim17ROCPRIM_400000_NS6detail17trampoline_kernelINS0_14default_configENS1_27upper_bound_config_selectorIiiEEZNS1_14transform_implILb0ES3_S5_N6thrust23THRUST_200600_302600_NS6detail15normal_iteratorINS8_10device_ptrIiEEEESD_ZNS1_13binary_searchIS3_S5_SD_SD_SD_NS1_21upper_bound_search_opENS9_16wrapped_functionINS0_4lessIvEEbEEEE10hipError_tPvRmT1_T2_T3_mmT4_T5_P12ihipStream_tbEUlRKiE_EESK_SO_SP_mSQ_ST_bEUlT_E_NS1_11comp_targetILNS1_3genE10ELNS1_11target_archE1200ELNS1_3gpuE4ELNS1_3repE0EEENS1_30default_config_static_selectorELNS0_4arch9wavefront6targetE0EEEvSN_.uses_vcc, 0
	.set _ZN7rocprim17ROCPRIM_400000_NS6detail17trampoline_kernelINS0_14default_configENS1_27upper_bound_config_selectorIiiEEZNS1_14transform_implILb0ES3_S5_N6thrust23THRUST_200600_302600_NS6detail15normal_iteratorINS8_10device_ptrIiEEEESD_ZNS1_13binary_searchIS3_S5_SD_SD_SD_NS1_21upper_bound_search_opENS9_16wrapped_functionINS0_4lessIvEEbEEEE10hipError_tPvRmT1_T2_T3_mmT4_T5_P12ihipStream_tbEUlRKiE_EESK_SO_SP_mSQ_ST_bEUlT_E_NS1_11comp_targetILNS1_3genE10ELNS1_11target_archE1200ELNS1_3gpuE4ELNS1_3repE0EEENS1_30default_config_static_selectorELNS0_4arch9wavefront6targetE0EEEvSN_.uses_flat_scratch, 0
	.set _ZN7rocprim17ROCPRIM_400000_NS6detail17trampoline_kernelINS0_14default_configENS1_27upper_bound_config_selectorIiiEEZNS1_14transform_implILb0ES3_S5_N6thrust23THRUST_200600_302600_NS6detail15normal_iteratorINS8_10device_ptrIiEEEESD_ZNS1_13binary_searchIS3_S5_SD_SD_SD_NS1_21upper_bound_search_opENS9_16wrapped_functionINS0_4lessIvEEbEEEE10hipError_tPvRmT1_T2_T3_mmT4_T5_P12ihipStream_tbEUlRKiE_EESK_SO_SP_mSQ_ST_bEUlT_E_NS1_11comp_targetILNS1_3genE10ELNS1_11target_archE1200ELNS1_3gpuE4ELNS1_3repE0EEENS1_30default_config_static_selectorELNS0_4arch9wavefront6targetE0EEEvSN_.has_dyn_sized_stack, 0
	.set _ZN7rocprim17ROCPRIM_400000_NS6detail17trampoline_kernelINS0_14default_configENS1_27upper_bound_config_selectorIiiEEZNS1_14transform_implILb0ES3_S5_N6thrust23THRUST_200600_302600_NS6detail15normal_iteratorINS8_10device_ptrIiEEEESD_ZNS1_13binary_searchIS3_S5_SD_SD_SD_NS1_21upper_bound_search_opENS9_16wrapped_functionINS0_4lessIvEEbEEEE10hipError_tPvRmT1_T2_T3_mmT4_T5_P12ihipStream_tbEUlRKiE_EESK_SO_SP_mSQ_ST_bEUlT_E_NS1_11comp_targetILNS1_3genE10ELNS1_11target_archE1200ELNS1_3gpuE4ELNS1_3repE0EEENS1_30default_config_static_selectorELNS0_4arch9wavefront6targetE0EEEvSN_.has_recursion, 0
	.set _ZN7rocprim17ROCPRIM_400000_NS6detail17trampoline_kernelINS0_14default_configENS1_27upper_bound_config_selectorIiiEEZNS1_14transform_implILb0ES3_S5_N6thrust23THRUST_200600_302600_NS6detail15normal_iteratorINS8_10device_ptrIiEEEESD_ZNS1_13binary_searchIS3_S5_SD_SD_SD_NS1_21upper_bound_search_opENS9_16wrapped_functionINS0_4lessIvEEbEEEE10hipError_tPvRmT1_T2_T3_mmT4_T5_P12ihipStream_tbEUlRKiE_EESK_SO_SP_mSQ_ST_bEUlT_E_NS1_11comp_targetILNS1_3genE10ELNS1_11target_archE1200ELNS1_3gpuE4ELNS1_3repE0EEENS1_30default_config_static_selectorELNS0_4arch9wavefront6targetE0EEEvSN_.has_indirect_call, 0
	.section	.AMDGPU.csdata,"",@progbits
; Kernel info:
; codeLenInByte = 0
; TotalNumSgprs: 0
; NumVgprs: 0
; ScratchSize: 0
; MemoryBound: 0
; FloatMode: 240
; IeeeMode: 1
; LDSByteSize: 0 bytes/workgroup (compile time only)
; SGPRBlocks: 0
; VGPRBlocks: 0
; NumSGPRsForWavesPerEU: 1
; NumVGPRsForWavesPerEU: 1
; Occupancy: 16
; WaveLimiterHint : 0
; COMPUTE_PGM_RSRC2:SCRATCH_EN: 0
; COMPUTE_PGM_RSRC2:USER_SGPR: 6
; COMPUTE_PGM_RSRC2:TRAP_HANDLER: 0
; COMPUTE_PGM_RSRC2:TGID_X_EN: 1
; COMPUTE_PGM_RSRC2:TGID_Y_EN: 0
; COMPUTE_PGM_RSRC2:TGID_Z_EN: 0
; COMPUTE_PGM_RSRC2:TIDIG_COMP_CNT: 0
	.section	.text._ZN7rocprim17ROCPRIM_400000_NS6detail17trampoline_kernelINS0_14default_configENS1_27upper_bound_config_selectorIiiEEZNS1_14transform_implILb0ES3_S5_N6thrust23THRUST_200600_302600_NS6detail15normal_iteratorINS8_10device_ptrIiEEEESD_ZNS1_13binary_searchIS3_S5_SD_SD_SD_NS1_21upper_bound_search_opENS9_16wrapped_functionINS0_4lessIvEEbEEEE10hipError_tPvRmT1_T2_T3_mmT4_T5_P12ihipStream_tbEUlRKiE_EESK_SO_SP_mSQ_ST_bEUlT_E_NS1_11comp_targetILNS1_3genE9ELNS1_11target_archE1100ELNS1_3gpuE3ELNS1_3repE0EEENS1_30default_config_static_selectorELNS0_4arch9wavefront6targetE0EEEvSN_,"axG",@progbits,_ZN7rocprim17ROCPRIM_400000_NS6detail17trampoline_kernelINS0_14default_configENS1_27upper_bound_config_selectorIiiEEZNS1_14transform_implILb0ES3_S5_N6thrust23THRUST_200600_302600_NS6detail15normal_iteratorINS8_10device_ptrIiEEEESD_ZNS1_13binary_searchIS3_S5_SD_SD_SD_NS1_21upper_bound_search_opENS9_16wrapped_functionINS0_4lessIvEEbEEEE10hipError_tPvRmT1_T2_T3_mmT4_T5_P12ihipStream_tbEUlRKiE_EESK_SO_SP_mSQ_ST_bEUlT_E_NS1_11comp_targetILNS1_3genE9ELNS1_11target_archE1100ELNS1_3gpuE3ELNS1_3repE0EEENS1_30default_config_static_selectorELNS0_4arch9wavefront6targetE0EEEvSN_,comdat
	.protected	_ZN7rocprim17ROCPRIM_400000_NS6detail17trampoline_kernelINS0_14default_configENS1_27upper_bound_config_selectorIiiEEZNS1_14transform_implILb0ES3_S5_N6thrust23THRUST_200600_302600_NS6detail15normal_iteratorINS8_10device_ptrIiEEEESD_ZNS1_13binary_searchIS3_S5_SD_SD_SD_NS1_21upper_bound_search_opENS9_16wrapped_functionINS0_4lessIvEEbEEEE10hipError_tPvRmT1_T2_T3_mmT4_T5_P12ihipStream_tbEUlRKiE_EESK_SO_SP_mSQ_ST_bEUlT_E_NS1_11comp_targetILNS1_3genE9ELNS1_11target_archE1100ELNS1_3gpuE3ELNS1_3repE0EEENS1_30default_config_static_selectorELNS0_4arch9wavefront6targetE0EEEvSN_ ; -- Begin function _ZN7rocprim17ROCPRIM_400000_NS6detail17trampoline_kernelINS0_14default_configENS1_27upper_bound_config_selectorIiiEEZNS1_14transform_implILb0ES3_S5_N6thrust23THRUST_200600_302600_NS6detail15normal_iteratorINS8_10device_ptrIiEEEESD_ZNS1_13binary_searchIS3_S5_SD_SD_SD_NS1_21upper_bound_search_opENS9_16wrapped_functionINS0_4lessIvEEbEEEE10hipError_tPvRmT1_T2_T3_mmT4_T5_P12ihipStream_tbEUlRKiE_EESK_SO_SP_mSQ_ST_bEUlT_E_NS1_11comp_targetILNS1_3genE9ELNS1_11target_archE1100ELNS1_3gpuE3ELNS1_3repE0EEENS1_30default_config_static_selectorELNS0_4arch9wavefront6targetE0EEEvSN_
	.globl	_ZN7rocprim17ROCPRIM_400000_NS6detail17trampoline_kernelINS0_14default_configENS1_27upper_bound_config_selectorIiiEEZNS1_14transform_implILb0ES3_S5_N6thrust23THRUST_200600_302600_NS6detail15normal_iteratorINS8_10device_ptrIiEEEESD_ZNS1_13binary_searchIS3_S5_SD_SD_SD_NS1_21upper_bound_search_opENS9_16wrapped_functionINS0_4lessIvEEbEEEE10hipError_tPvRmT1_T2_T3_mmT4_T5_P12ihipStream_tbEUlRKiE_EESK_SO_SP_mSQ_ST_bEUlT_E_NS1_11comp_targetILNS1_3genE9ELNS1_11target_archE1100ELNS1_3gpuE3ELNS1_3repE0EEENS1_30default_config_static_selectorELNS0_4arch9wavefront6targetE0EEEvSN_
	.p2align	8
	.type	_ZN7rocprim17ROCPRIM_400000_NS6detail17trampoline_kernelINS0_14default_configENS1_27upper_bound_config_selectorIiiEEZNS1_14transform_implILb0ES3_S5_N6thrust23THRUST_200600_302600_NS6detail15normal_iteratorINS8_10device_ptrIiEEEESD_ZNS1_13binary_searchIS3_S5_SD_SD_SD_NS1_21upper_bound_search_opENS9_16wrapped_functionINS0_4lessIvEEbEEEE10hipError_tPvRmT1_T2_T3_mmT4_T5_P12ihipStream_tbEUlRKiE_EESK_SO_SP_mSQ_ST_bEUlT_E_NS1_11comp_targetILNS1_3genE9ELNS1_11target_archE1100ELNS1_3gpuE3ELNS1_3repE0EEENS1_30default_config_static_selectorELNS0_4arch9wavefront6targetE0EEEvSN_,@function
_ZN7rocprim17ROCPRIM_400000_NS6detail17trampoline_kernelINS0_14default_configENS1_27upper_bound_config_selectorIiiEEZNS1_14transform_implILb0ES3_S5_N6thrust23THRUST_200600_302600_NS6detail15normal_iteratorINS8_10device_ptrIiEEEESD_ZNS1_13binary_searchIS3_S5_SD_SD_SD_NS1_21upper_bound_search_opENS9_16wrapped_functionINS0_4lessIvEEbEEEE10hipError_tPvRmT1_T2_T3_mmT4_T5_P12ihipStream_tbEUlRKiE_EESK_SO_SP_mSQ_ST_bEUlT_E_NS1_11comp_targetILNS1_3genE9ELNS1_11target_archE1100ELNS1_3gpuE3ELNS1_3repE0EEENS1_30default_config_static_selectorELNS0_4arch9wavefront6targetE0EEEvSN_: ; @_ZN7rocprim17ROCPRIM_400000_NS6detail17trampoline_kernelINS0_14default_configENS1_27upper_bound_config_selectorIiiEEZNS1_14transform_implILb0ES3_S5_N6thrust23THRUST_200600_302600_NS6detail15normal_iteratorINS8_10device_ptrIiEEEESD_ZNS1_13binary_searchIS3_S5_SD_SD_SD_NS1_21upper_bound_search_opENS9_16wrapped_functionINS0_4lessIvEEbEEEE10hipError_tPvRmT1_T2_T3_mmT4_T5_P12ihipStream_tbEUlRKiE_EESK_SO_SP_mSQ_ST_bEUlT_E_NS1_11comp_targetILNS1_3genE9ELNS1_11target_archE1100ELNS1_3gpuE3ELNS1_3repE0EEENS1_30default_config_static_selectorELNS0_4arch9wavefront6targetE0EEEvSN_
; %bb.0:
	.section	.rodata,"a",@progbits
	.p2align	6, 0x0
	.amdhsa_kernel _ZN7rocprim17ROCPRIM_400000_NS6detail17trampoline_kernelINS0_14default_configENS1_27upper_bound_config_selectorIiiEEZNS1_14transform_implILb0ES3_S5_N6thrust23THRUST_200600_302600_NS6detail15normal_iteratorINS8_10device_ptrIiEEEESD_ZNS1_13binary_searchIS3_S5_SD_SD_SD_NS1_21upper_bound_search_opENS9_16wrapped_functionINS0_4lessIvEEbEEEE10hipError_tPvRmT1_T2_T3_mmT4_T5_P12ihipStream_tbEUlRKiE_EESK_SO_SP_mSQ_ST_bEUlT_E_NS1_11comp_targetILNS1_3genE9ELNS1_11target_archE1100ELNS1_3gpuE3ELNS1_3repE0EEENS1_30default_config_static_selectorELNS0_4arch9wavefront6targetE0EEEvSN_
		.amdhsa_group_segment_fixed_size 0
		.amdhsa_private_segment_fixed_size 0
		.amdhsa_kernarg_size 56
		.amdhsa_user_sgpr_count 6
		.amdhsa_user_sgpr_private_segment_buffer 1
		.amdhsa_user_sgpr_dispatch_ptr 0
		.amdhsa_user_sgpr_queue_ptr 0
		.amdhsa_user_sgpr_kernarg_segment_ptr 1
		.amdhsa_user_sgpr_dispatch_id 0
		.amdhsa_user_sgpr_flat_scratch_init 0
		.amdhsa_user_sgpr_private_segment_size 0
		.amdhsa_wavefront_size32 1
		.amdhsa_uses_dynamic_stack 0
		.amdhsa_system_sgpr_private_segment_wavefront_offset 0
		.amdhsa_system_sgpr_workgroup_id_x 1
		.amdhsa_system_sgpr_workgroup_id_y 0
		.amdhsa_system_sgpr_workgroup_id_z 0
		.amdhsa_system_sgpr_workgroup_info 0
		.amdhsa_system_vgpr_workitem_id 0
		.amdhsa_next_free_vgpr 1
		.amdhsa_next_free_sgpr 1
		.amdhsa_reserve_vcc 0
		.amdhsa_reserve_flat_scratch 0
		.amdhsa_float_round_mode_32 0
		.amdhsa_float_round_mode_16_64 0
		.amdhsa_float_denorm_mode_32 3
		.amdhsa_float_denorm_mode_16_64 3
		.amdhsa_dx10_clamp 1
		.amdhsa_ieee_mode 1
		.amdhsa_fp16_overflow 0
		.amdhsa_workgroup_processor_mode 1
		.amdhsa_memory_ordered 1
		.amdhsa_forward_progress 1
		.amdhsa_shared_vgpr_count 0
		.amdhsa_exception_fp_ieee_invalid_op 0
		.amdhsa_exception_fp_denorm_src 0
		.amdhsa_exception_fp_ieee_div_zero 0
		.amdhsa_exception_fp_ieee_overflow 0
		.amdhsa_exception_fp_ieee_underflow 0
		.amdhsa_exception_fp_ieee_inexact 0
		.amdhsa_exception_int_div_zero 0
	.end_amdhsa_kernel
	.section	.text._ZN7rocprim17ROCPRIM_400000_NS6detail17trampoline_kernelINS0_14default_configENS1_27upper_bound_config_selectorIiiEEZNS1_14transform_implILb0ES3_S5_N6thrust23THRUST_200600_302600_NS6detail15normal_iteratorINS8_10device_ptrIiEEEESD_ZNS1_13binary_searchIS3_S5_SD_SD_SD_NS1_21upper_bound_search_opENS9_16wrapped_functionINS0_4lessIvEEbEEEE10hipError_tPvRmT1_T2_T3_mmT4_T5_P12ihipStream_tbEUlRKiE_EESK_SO_SP_mSQ_ST_bEUlT_E_NS1_11comp_targetILNS1_3genE9ELNS1_11target_archE1100ELNS1_3gpuE3ELNS1_3repE0EEENS1_30default_config_static_selectorELNS0_4arch9wavefront6targetE0EEEvSN_,"axG",@progbits,_ZN7rocprim17ROCPRIM_400000_NS6detail17trampoline_kernelINS0_14default_configENS1_27upper_bound_config_selectorIiiEEZNS1_14transform_implILb0ES3_S5_N6thrust23THRUST_200600_302600_NS6detail15normal_iteratorINS8_10device_ptrIiEEEESD_ZNS1_13binary_searchIS3_S5_SD_SD_SD_NS1_21upper_bound_search_opENS9_16wrapped_functionINS0_4lessIvEEbEEEE10hipError_tPvRmT1_T2_T3_mmT4_T5_P12ihipStream_tbEUlRKiE_EESK_SO_SP_mSQ_ST_bEUlT_E_NS1_11comp_targetILNS1_3genE9ELNS1_11target_archE1100ELNS1_3gpuE3ELNS1_3repE0EEENS1_30default_config_static_selectorELNS0_4arch9wavefront6targetE0EEEvSN_,comdat
.Lfunc_end615:
	.size	_ZN7rocprim17ROCPRIM_400000_NS6detail17trampoline_kernelINS0_14default_configENS1_27upper_bound_config_selectorIiiEEZNS1_14transform_implILb0ES3_S5_N6thrust23THRUST_200600_302600_NS6detail15normal_iteratorINS8_10device_ptrIiEEEESD_ZNS1_13binary_searchIS3_S5_SD_SD_SD_NS1_21upper_bound_search_opENS9_16wrapped_functionINS0_4lessIvEEbEEEE10hipError_tPvRmT1_T2_T3_mmT4_T5_P12ihipStream_tbEUlRKiE_EESK_SO_SP_mSQ_ST_bEUlT_E_NS1_11comp_targetILNS1_3genE9ELNS1_11target_archE1100ELNS1_3gpuE3ELNS1_3repE0EEENS1_30default_config_static_selectorELNS0_4arch9wavefront6targetE0EEEvSN_, .Lfunc_end615-_ZN7rocprim17ROCPRIM_400000_NS6detail17trampoline_kernelINS0_14default_configENS1_27upper_bound_config_selectorIiiEEZNS1_14transform_implILb0ES3_S5_N6thrust23THRUST_200600_302600_NS6detail15normal_iteratorINS8_10device_ptrIiEEEESD_ZNS1_13binary_searchIS3_S5_SD_SD_SD_NS1_21upper_bound_search_opENS9_16wrapped_functionINS0_4lessIvEEbEEEE10hipError_tPvRmT1_T2_T3_mmT4_T5_P12ihipStream_tbEUlRKiE_EESK_SO_SP_mSQ_ST_bEUlT_E_NS1_11comp_targetILNS1_3genE9ELNS1_11target_archE1100ELNS1_3gpuE3ELNS1_3repE0EEENS1_30default_config_static_selectorELNS0_4arch9wavefront6targetE0EEEvSN_
                                        ; -- End function
	.set _ZN7rocprim17ROCPRIM_400000_NS6detail17trampoline_kernelINS0_14default_configENS1_27upper_bound_config_selectorIiiEEZNS1_14transform_implILb0ES3_S5_N6thrust23THRUST_200600_302600_NS6detail15normal_iteratorINS8_10device_ptrIiEEEESD_ZNS1_13binary_searchIS3_S5_SD_SD_SD_NS1_21upper_bound_search_opENS9_16wrapped_functionINS0_4lessIvEEbEEEE10hipError_tPvRmT1_T2_T3_mmT4_T5_P12ihipStream_tbEUlRKiE_EESK_SO_SP_mSQ_ST_bEUlT_E_NS1_11comp_targetILNS1_3genE9ELNS1_11target_archE1100ELNS1_3gpuE3ELNS1_3repE0EEENS1_30default_config_static_selectorELNS0_4arch9wavefront6targetE0EEEvSN_.num_vgpr, 0
	.set _ZN7rocprim17ROCPRIM_400000_NS6detail17trampoline_kernelINS0_14default_configENS1_27upper_bound_config_selectorIiiEEZNS1_14transform_implILb0ES3_S5_N6thrust23THRUST_200600_302600_NS6detail15normal_iteratorINS8_10device_ptrIiEEEESD_ZNS1_13binary_searchIS3_S5_SD_SD_SD_NS1_21upper_bound_search_opENS9_16wrapped_functionINS0_4lessIvEEbEEEE10hipError_tPvRmT1_T2_T3_mmT4_T5_P12ihipStream_tbEUlRKiE_EESK_SO_SP_mSQ_ST_bEUlT_E_NS1_11comp_targetILNS1_3genE9ELNS1_11target_archE1100ELNS1_3gpuE3ELNS1_3repE0EEENS1_30default_config_static_selectorELNS0_4arch9wavefront6targetE0EEEvSN_.num_agpr, 0
	.set _ZN7rocprim17ROCPRIM_400000_NS6detail17trampoline_kernelINS0_14default_configENS1_27upper_bound_config_selectorIiiEEZNS1_14transform_implILb0ES3_S5_N6thrust23THRUST_200600_302600_NS6detail15normal_iteratorINS8_10device_ptrIiEEEESD_ZNS1_13binary_searchIS3_S5_SD_SD_SD_NS1_21upper_bound_search_opENS9_16wrapped_functionINS0_4lessIvEEbEEEE10hipError_tPvRmT1_T2_T3_mmT4_T5_P12ihipStream_tbEUlRKiE_EESK_SO_SP_mSQ_ST_bEUlT_E_NS1_11comp_targetILNS1_3genE9ELNS1_11target_archE1100ELNS1_3gpuE3ELNS1_3repE0EEENS1_30default_config_static_selectorELNS0_4arch9wavefront6targetE0EEEvSN_.numbered_sgpr, 0
	.set _ZN7rocprim17ROCPRIM_400000_NS6detail17trampoline_kernelINS0_14default_configENS1_27upper_bound_config_selectorIiiEEZNS1_14transform_implILb0ES3_S5_N6thrust23THRUST_200600_302600_NS6detail15normal_iteratorINS8_10device_ptrIiEEEESD_ZNS1_13binary_searchIS3_S5_SD_SD_SD_NS1_21upper_bound_search_opENS9_16wrapped_functionINS0_4lessIvEEbEEEE10hipError_tPvRmT1_T2_T3_mmT4_T5_P12ihipStream_tbEUlRKiE_EESK_SO_SP_mSQ_ST_bEUlT_E_NS1_11comp_targetILNS1_3genE9ELNS1_11target_archE1100ELNS1_3gpuE3ELNS1_3repE0EEENS1_30default_config_static_selectorELNS0_4arch9wavefront6targetE0EEEvSN_.num_named_barrier, 0
	.set _ZN7rocprim17ROCPRIM_400000_NS6detail17trampoline_kernelINS0_14default_configENS1_27upper_bound_config_selectorIiiEEZNS1_14transform_implILb0ES3_S5_N6thrust23THRUST_200600_302600_NS6detail15normal_iteratorINS8_10device_ptrIiEEEESD_ZNS1_13binary_searchIS3_S5_SD_SD_SD_NS1_21upper_bound_search_opENS9_16wrapped_functionINS0_4lessIvEEbEEEE10hipError_tPvRmT1_T2_T3_mmT4_T5_P12ihipStream_tbEUlRKiE_EESK_SO_SP_mSQ_ST_bEUlT_E_NS1_11comp_targetILNS1_3genE9ELNS1_11target_archE1100ELNS1_3gpuE3ELNS1_3repE0EEENS1_30default_config_static_selectorELNS0_4arch9wavefront6targetE0EEEvSN_.private_seg_size, 0
	.set _ZN7rocprim17ROCPRIM_400000_NS6detail17trampoline_kernelINS0_14default_configENS1_27upper_bound_config_selectorIiiEEZNS1_14transform_implILb0ES3_S5_N6thrust23THRUST_200600_302600_NS6detail15normal_iteratorINS8_10device_ptrIiEEEESD_ZNS1_13binary_searchIS3_S5_SD_SD_SD_NS1_21upper_bound_search_opENS9_16wrapped_functionINS0_4lessIvEEbEEEE10hipError_tPvRmT1_T2_T3_mmT4_T5_P12ihipStream_tbEUlRKiE_EESK_SO_SP_mSQ_ST_bEUlT_E_NS1_11comp_targetILNS1_3genE9ELNS1_11target_archE1100ELNS1_3gpuE3ELNS1_3repE0EEENS1_30default_config_static_selectorELNS0_4arch9wavefront6targetE0EEEvSN_.uses_vcc, 0
	.set _ZN7rocprim17ROCPRIM_400000_NS6detail17trampoline_kernelINS0_14default_configENS1_27upper_bound_config_selectorIiiEEZNS1_14transform_implILb0ES3_S5_N6thrust23THRUST_200600_302600_NS6detail15normal_iteratorINS8_10device_ptrIiEEEESD_ZNS1_13binary_searchIS3_S5_SD_SD_SD_NS1_21upper_bound_search_opENS9_16wrapped_functionINS0_4lessIvEEbEEEE10hipError_tPvRmT1_T2_T3_mmT4_T5_P12ihipStream_tbEUlRKiE_EESK_SO_SP_mSQ_ST_bEUlT_E_NS1_11comp_targetILNS1_3genE9ELNS1_11target_archE1100ELNS1_3gpuE3ELNS1_3repE0EEENS1_30default_config_static_selectorELNS0_4arch9wavefront6targetE0EEEvSN_.uses_flat_scratch, 0
	.set _ZN7rocprim17ROCPRIM_400000_NS6detail17trampoline_kernelINS0_14default_configENS1_27upper_bound_config_selectorIiiEEZNS1_14transform_implILb0ES3_S5_N6thrust23THRUST_200600_302600_NS6detail15normal_iteratorINS8_10device_ptrIiEEEESD_ZNS1_13binary_searchIS3_S5_SD_SD_SD_NS1_21upper_bound_search_opENS9_16wrapped_functionINS0_4lessIvEEbEEEE10hipError_tPvRmT1_T2_T3_mmT4_T5_P12ihipStream_tbEUlRKiE_EESK_SO_SP_mSQ_ST_bEUlT_E_NS1_11comp_targetILNS1_3genE9ELNS1_11target_archE1100ELNS1_3gpuE3ELNS1_3repE0EEENS1_30default_config_static_selectorELNS0_4arch9wavefront6targetE0EEEvSN_.has_dyn_sized_stack, 0
	.set _ZN7rocprim17ROCPRIM_400000_NS6detail17trampoline_kernelINS0_14default_configENS1_27upper_bound_config_selectorIiiEEZNS1_14transform_implILb0ES3_S5_N6thrust23THRUST_200600_302600_NS6detail15normal_iteratorINS8_10device_ptrIiEEEESD_ZNS1_13binary_searchIS3_S5_SD_SD_SD_NS1_21upper_bound_search_opENS9_16wrapped_functionINS0_4lessIvEEbEEEE10hipError_tPvRmT1_T2_T3_mmT4_T5_P12ihipStream_tbEUlRKiE_EESK_SO_SP_mSQ_ST_bEUlT_E_NS1_11comp_targetILNS1_3genE9ELNS1_11target_archE1100ELNS1_3gpuE3ELNS1_3repE0EEENS1_30default_config_static_selectorELNS0_4arch9wavefront6targetE0EEEvSN_.has_recursion, 0
	.set _ZN7rocprim17ROCPRIM_400000_NS6detail17trampoline_kernelINS0_14default_configENS1_27upper_bound_config_selectorIiiEEZNS1_14transform_implILb0ES3_S5_N6thrust23THRUST_200600_302600_NS6detail15normal_iteratorINS8_10device_ptrIiEEEESD_ZNS1_13binary_searchIS3_S5_SD_SD_SD_NS1_21upper_bound_search_opENS9_16wrapped_functionINS0_4lessIvEEbEEEE10hipError_tPvRmT1_T2_T3_mmT4_T5_P12ihipStream_tbEUlRKiE_EESK_SO_SP_mSQ_ST_bEUlT_E_NS1_11comp_targetILNS1_3genE9ELNS1_11target_archE1100ELNS1_3gpuE3ELNS1_3repE0EEENS1_30default_config_static_selectorELNS0_4arch9wavefront6targetE0EEEvSN_.has_indirect_call, 0
	.section	.AMDGPU.csdata,"",@progbits
; Kernel info:
; codeLenInByte = 0
; TotalNumSgprs: 0
; NumVgprs: 0
; ScratchSize: 0
; MemoryBound: 0
; FloatMode: 240
; IeeeMode: 1
; LDSByteSize: 0 bytes/workgroup (compile time only)
; SGPRBlocks: 0
; VGPRBlocks: 0
; NumSGPRsForWavesPerEU: 1
; NumVGPRsForWavesPerEU: 1
; Occupancy: 16
; WaveLimiterHint : 0
; COMPUTE_PGM_RSRC2:SCRATCH_EN: 0
; COMPUTE_PGM_RSRC2:USER_SGPR: 6
; COMPUTE_PGM_RSRC2:TRAP_HANDLER: 0
; COMPUTE_PGM_RSRC2:TGID_X_EN: 1
; COMPUTE_PGM_RSRC2:TGID_Y_EN: 0
; COMPUTE_PGM_RSRC2:TGID_Z_EN: 0
; COMPUTE_PGM_RSRC2:TIDIG_COMP_CNT: 0
	.section	.text._ZN7rocprim17ROCPRIM_400000_NS6detail17trampoline_kernelINS0_14default_configENS1_27upper_bound_config_selectorIiiEEZNS1_14transform_implILb0ES3_S5_N6thrust23THRUST_200600_302600_NS6detail15normal_iteratorINS8_10device_ptrIiEEEESD_ZNS1_13binary_searchIS3_S5_SD_SD_SD_NS1_21upper_bound_search_opENS9_16wrapped_functionINS0_4lessIvEEbEEEE10hipError_tPvRmT1_T2_T3_mmT4_T5_P12ihipStream_tbEUlRKiE_EESK_SO_SP_mSQ_ST_bEUlT_E_NS1_11comp_targetILNS1_3genE8ELNS1_11target_archE1030ELNS1_3gpuE2ELNS1_3repE0EEENS1_30default_config_static_selectorELNS0_4arch9wavefront6targetE0EEEvSN_,"axG",@progbits,_ZN7rocprim17ROCPRIM_400000_NS6detail17trampoline_kernelINS0_14default_configENS1_27upper_bound_config_selectorIiiEEZNS1_14transform_implILb0ES3_S5_N6thrust23THRUST_200600_302600_NS6detail15normal_iteratorINS8_10device_ptrIiEEEESD_ZNS1_13binary_searchIS3_S5_SD_SD_SD_NS1_21upper_bound_search_opENS9_16wrapped_functionINS0_4lessIvEEbEEEE10hipError_tPvRmT1_T2_T3_mmT4_T5_P12ihipStream_tbEUlRKiE_EESK_SO_SP_mSQ_ST_bEUlT_E_NS1_11comp_targetILNS1_3genE8ELNS1_11target_archE1030ELNS1_3gpuE2ELNS1_3repE0EEENS1_30default_config_static_selectorELNS0_4arch9wavefront6targetE0EEEvSN_,comdat
	.protected	_ZN7rocprim17ROCPRIM_400000_NS6detail17trampoline_kernelINS0_14default_configENS1_27upper_bound_config_selectorIiiEEZNS1_14transform_implILb0ES3_S5_N6thrust23THRUST_200600_302600_NS6detail15normal_iteratorINS8_10device_ptrIiEEEESD_ZNS1_13binary_searchIS3_S5_SD_SD_SD_NS1_21upper_bound_search_opENS9_16wrapped_functionINS0_4lessIvEEbEEEE10hipError_tPvRmT1_T2_T3_mmT4_T5_P12ihipStream_tbEUlRKiE_EESK_SO_SP_mSQ_ST_bEUlT_E_NS1_11comp_targetILNS1_3genE8ELNS1_11target_archE1030ELNS1_3gpuE2ELNS1_3repE0EEENS1_30default_config_static_selectorELNS0_4arch9wavefront6targetE0EEEvSN_ ; -- Begin function _ZN7rocprim17ROCPRIM_400000_NS6detail17trampoline_kernelINS0_14default_configENS1_27upper_bound_config_selectorIiiEEZNS1_14transform_implILb0ES3_S5_N6thrust23THRUST_200600_302600_NS6detail15normal_iteratorINS8_10device_ptrIiEEEESD_ZNS1_13binary_searchIS3_S5_SD_SD_SD_NS1_21upper_bound_search_opENS9_16wrapped_functionINS0_4lessIvEEbEEEE10hipError_tPvRmT1_T2_T3_mmT4_T5_P12ihipStream_tbEUlRKiE_EESK_SO_SP_mSQ_ST_bEUlT_E_NS1_11comp_targetILNS1_3genE8ELNS1_11target_archE1030ELNS1_3gpuE2ELNS1_3repE0EEENS1_30default_config_static_selectorELNS0_4arch9wavefront6targetE0EEEvSN_
	.globl	_ZN7rocprim17ROCPRIM_400000_NS6detail17trampoline_kernelINS0_14default_configENS1_27upper_bound_config_selectorIiiEEZNS1_14transform_implILb0ES3_S5_N6thrust23THRUST_200600_302600_NS6detail15normal_iteratorINS8_10device_ptrIiEEEESD_ZNS1_13binary_searchIS3_S5_SD_SD_SD_NS1_21upper_bound_search_opENS9_16wrapped_functionINS0_4lessIvEEbEEEE10hipError_tPvRmT1_T2_T3_mmT4_T5_P12ihipStream_tbEUlRKiE_EESK_SO_SP_mSQ_ST_bEUlT_E_NS1_11comp_targetILNS1_3genE8ELNS1_11target_archE1030ELNS1_3gpuE2ELNS1_3repE0EEENS1_30default_config_static_selectorELNS0_4arch9wavefront6targetE0EEEvSN_
	.p2align	8
	.type	_ZN7rocprim17ROCPRIM_400000_NS6detail17trampoline_kernelINS0_14default_configENS1_27upper_bound_config_selectorIiiEEZNS1_14transform_implILb0ES3_S5_N6thrust23THRUST_200600_302600_NS6detail15normal_iteratorINS8_10device_ptrIiEEEESD_ZNS1_13binary_searchIS3_S5_SD_SD_SD_NS1_21upper_bound_search_opENS9_16wrapped_functionINS0_4lessIvEEbEEEE10hipError_tPvRmT1_T2_T3_mmT4_T5_P12ihipStream_tbEUlRKiE_EESK_SO_SP_mSQ_ST_bEUlT_E_NS1_11comp_targetILNS1_3genE8ELNS1_11target_archE1030ELNS1_3gpuE2ELNS1_3repE0EEENS1_30default_config_static_selectorELNS0_4arch9wavefront6targetE0EEEvSN_,@function
_ZN7rocprim17ROCPRIM_400000_NS6detail17trampoline_kernelINS0_14default_configENS1_27upper_bound_config_selectorIiiEEZNS1_14transform_implILb0ES3_S5_N6thrust23THRUST_200600_302600_NS6detail15normal_iteratorINS8_10device_ptrIiEEEESD_ZNS1_13binary_searchIS3_S5_SD_SD_SD_NS1_21upper_bound_search_opENS9_16wrapped_functionINS0_4lessIvEEbEEEE10hipError_tPvRmT1_T2_T3_mmT4_T5_P12ihipStream_tbEUlRKiE_EESK_SO_SP_mSQ_ST_bEUlT_E_NS1_11comp_targetILNS1_3genE8ELNS1_11target_archE1030ELNS1_3gpuE2ELNS1_3repE0EEENS1_30default_config_static_selectorELNS0_4arch9wavefront6targetE0EEEvSN_: ; @_ZN7rocprim17ROCPRIM_400000_NS6detail17trampoline_kernelINS0_14default_configENS1_27upper_bound_config_selectorIiiEEZNS1_14transform_implILb0ES3_S5_N6thrust23THRUST_200600_302600_NS6detail15normal_iteratorINS8_10device_ptrIiEEEESD_ZNS1_13binary_searchIS3_S5_SD_SD_SD_NS1_21upper_bound_search_opENS9_16wrapped_functionINS0_4lessIvEEbEEEE10hipError_tPvRmT1_T2_T3_mmT4_T5_P12ihipStream_tbEUlRKiE_EESK_SO_SP_mSQ_ST_bEUlT_E_NS1_11comp_targetILNS1_3genE8ELNS1_11target_archE1030ELNS1_3gpuE2ELNS1_3repE0EEENS1_30default_config_static_selectorELNS0_4arch9wavefront6targetE0EEEvSN_
; %bb.0:
	s_clause 0x3
	s_load_dwordx4 s[8:11], s[4:5], 0x0
	s_load_dword s15, s[4:5], 0x38
	s_load_dwordx2 s[12:13], s[4:5], 0x28
	s_load_dwordx4 s[0:3], s[4:5], 0x18
	s_waitcnt lgkmcnt(0)
	s_lshl_b64 s[10:11], s[10:11], 2
	s_add_u32 s7, s8, s10
	s_addc_u32 s14, s9, s11
	s_add_i32 s15, s15, -1
	s_lshl_b32 s8, s6, 8
	s_mov_b32 s9, 0
	s_cmp_lg_u32 s6, s15
	s_mov_b32 s15, -1
	s_cbranch_scc0 .LBB616_6
; %bb.1:
	v_mov_b32_e32 v1, 0
	s_cmp_eq_u64 s[12:13], 0
	v_mov_b32_e32 v2, v1
	s_cbranch_scc1 .LBB616_5
; %bb.2:
	v_lshlrev_b32_e32 v2, 2, v0
	s_lshl_b64 s[16:17], s[8:9], 2
	v_mov_b32_e32 v4, s12
	s_add_u32 s6, s7, s16
	s_addc_u32 s15, s14, s17
	v_add_co_u32 v2, s6, s6, v2
	v_add_co_ci_u32_e64 v3, null, s15, 0, s6
	v_mov_b32_e32 v5, s13
	s_mov_b32 s6, 0
	flat_load_dword v6, v[2:3]
	v_mov_b32_e32 v2, 0
	v_mov_b32_e32 v3, 0
	s_inst_prefetch 0x1
	.p2align	6
.LBB616_3:                              ; =>This Inner Loop Header: Depth=1
	v_sub_co_u32 v7, vcc_lo, v4, v2
	v_sub_co_ci_u32_e64 v8, null, v5, v3, vcc_lo
	v_lshrrev_b64 v[9:10], 1, v[7:8]
	v_lshrrev_b64 v[7:8], 6, v[7:8]
	v_add_co_u32 v9, vcc_lo, v9, v2
	v_add_co_ci_u32_e64 v10, null, v10, v3, vcc_lo
	v_add_co_u32 v7, vcc_lo, v9, v7
	v_add_co_ci_u32_e64 v8, null, v10, v8, vcc_lo
	v_lshlrev_b64 v[9:10], 2, v[7:8]
	v_add_co_u32 v9, vcc_lo, s2, v9
	v_add_co_ci_u32_e64 v10, null, s3, v10, vcc_lo
	global_load_dword v9, v[9:10], off
	v_add_co_u32 v10, vcc_lo, v7, 1
	v_add_co_ci_u32_e64 v11, null, 0, v8, vcc_lo
	s_waitcnt vmcnt(0) lgkmcnt(0)
	v_cmp_lt_i32_e32 vcc_lo, v6, v9
	v_cndmask_b32_e32 v5, v5, v8, vcc_lo
	v_cndmask_b32_e32 v4, v4, v7, vcc_lo
	;; [unrolled: 1-line block ×4, first 2 shown]
	v_cmp_ge_u64_e32 vcc_lo, v[2:3], v[4:5]
	s_or_b32 s6, vcc_lo, s6
	s_andn2_b32 exec_lo, exec_lo, s6
	s_cbranch_execnz .LBB616_3
; %bb.4:
	s_inst_prefetch 0x2
	s_or_b32 exec_lo, exec_lo, s6
.LBB616_5:
	s_mov_b32 s6, -1
	s_cbranch_execz .LBB616_7
	s_branch .LBB616_14
.LBB616_6:
	s_mov_b32 s6, s9
                                        ; implicit-def: $vgpr2
	s_andn2_b32 vcc_lo, exec_lo, s15
	s_cbranch_vccnz .LBB616_14
.LBB616_7:
	s_load_dword s4, s[4:5], 0x10
                                        ; implicit-def: $vgpr2
	s_waitcnt lgkmcnt(0)
	s_sub_i32 s4, s4, s8
	v_cmp_gt_u32_e32 vcc_lo, s4, v0
	s_and_saveexec_b32 s4, vcc_lo
	s_cbranch_execz .LBB616_13
; %bb.8:
	v_mov_b32_e32 v1, 0
	s_cmp_eq_u64 s[12:13], 0
	v_mov_b32_e32 v2, v1
	s_cbranch_scc1 .LBB616_12
; %bb.9:
	v_lshlrev_b32_e32 v2, 2, v0
	s_lshl_b64 s[16:17], s[8:9], 2
	v_mov_b32_e32 v4, s12
	s_add_u32 s5, s7, s16
	s_addc_u32 s7, s14, s17
	v_add_co_u32 v2, s5, s5, v2
	v_add_co_ci_u32_e64 v3, null, s7, 0, s5
	v_mov_b32_e32 v5, s13
	s_mov_b32 s5, 0
	flat_load_dword v6, v[2:3]
	v_mov_b32_e32 v2, 0
	v_mov_b32_e32 v3, 0
	s_inst_prefetch 0x1
	.p2align	6
.LBB616_10:                             ; =>This Inner Loop Header: Depth=1
	v_sub_co_u32 v7, vcc_lo, v4, v2
	v_sub_co_ci_u32_e64 v8, null, v5, v3, vcc_lo
	v_lshrrev_b64 v[9:10], 1, v[7:8]
	v_lshrrev_b64 v[7:8], 6, v[7:8]
	v_add_co_u32 v9, vcc_lo, v9, v2
	v_add_co_ci_u32_e64 v10, null, v10, v3, vcc_lo
	v_add_co_u32 v7, vcc_lo, v9, v7
	v_add_co_ci_u32_e64 v8, null, v10, v8, vcc_lo
	v_lshlrev_b64 v[9:10], 2, v[7:8]
	v_add_co_u32 v9, vcc_lo, s2, v9
	v_add_co_ci_u32_e64 v10, null, s3, v10, vcc_lo
	global_load_dword v9, v[9:10], off
	v_add_co_u32 v10, vcc_lo, v7, 1
	v_add_co_ci_u32_e64 v11, null, 0, v8, vcc_lo
	s_waitcnt vmcnt(0) lgkmcnt(0)
	v_cmp_lt_i32_e32 vcc_lo, v6, v9
	v_cndmask_b32_e32 v5, v5, v8, vcc_lo
	v_cndmask_b32_e32 v4, v4, v7, vcc_lo
	v_cndmask_b32_e32 v3, v11, v3, vcc_lo
	v_cndmask_b32_e32 v2, v10, v2, vcc_lo
	v_cmp_ge_u64_e32 vcc_lo, v[2:3], v[4:5]
	s_or_b32 s5, vcc_lo, s5
	s_andn2_b32 exec_lo, exec_lo, s5
	s_cbranch_execnz .LBB616_10
; %bb.11:
	s_inst_prefetch 0x2
	s_or_b32 exec_lo, exec_lo, s5
.LBB616_12:
	s_or_b32 s6, s6, exec_lo
.LBB616_13:
	s_or_b32 exec_lo, exec_lo, s4
.LBB616_14:
	s_and_saveexec_b32 s2, s6
	s_cbranch_execnz .LBB616_16
; %bb.15:
	s_endpgm
.LBB616_16:
	v_lshlrev_b64 v[0:1], 2, v[0:1]
	s_add_u32 s2, s0, s10
	s_addc_u32 s3, s1, s11
	s_lshl_b64 s[0:1], s[8:9], 2
	s_add_u32 s0, s2, s0
	s_addc_u32 s1, s3, s1
	v_add_co_u32 v0, vcc_lo, s0, v0
	v_add_co_ci_u32_e64 v1, null, s1, v1, vcc_lo
	flat_store_dword v[0:1], v2
	s_endpgm
	.section	.rodata,"a",@progbits
	.p2align	6, 0x0
	.amdhsa_kernel _ZN7rocprim17ROCPRIM_400000_NS6detail17trampoline_kernelINS0_14default_configENS1_27upper_bound_config_selectorIiiEEZNS1_14transform_implILb0ES3_S5_N6thrust23THRUST_200600_302600_NS6detail15normal_iteratorINS8_10device_ptrIiEEEESD_ZNS1_13binary_searchIS3_S5_SD_SD_SD_NS1_21upper_bound_search_opENS9_16wrapped_functionINS0_4lessIvEEbEEEE10hipError_tPvRmT1_T2_T3_mmT4_T5_P12ihipStream_tbEUlRKiE_EESK_SO_SP_mSQ_ST_bEUlT_E_NS1_11comp_targetILNS1_3genE8ELNS1_11target_archE1030ELNS1_3gpuE2ELNS1_3repE0EEENS1_30default_config_static_selectorELNS0_4arch9wavefront6targetE0EEEvSN_
		.amdhsa_group_segment_fixed_size 0
		.amdhsa_private_segment_fixed_size 0
		.amdhsa_kernarg_size 312
		.amdhsa_user_sgpr_count 6
		.amdhsa_user_sgpr_private_segment_buffer 1
		.amdhsa_user_sgpr_dispatch_ptr 0
		.amdhsa_user_sgpr_queue_ptr 0
		.amdhsa_user_sgpr_kernarg_segment_ptr 1
		.amdhsa_user_sgpr_dispatch_id 0
		.amdhsa_user_sgpr_flat_scratch_init 0
		.amdhsa_user_sgpr_private_segment_size 0
		.amdhsa_wavefront_size32 1
		.amdhsa_uses_dynamic_stack 0
		.amdhsa_system_sgpr_private_segment_wavefront_offset 0
		.amdhsa_system_sgpr_workgroup_id_x 1
		.amdhsa_system_sgpr_workgroup_id_y 0
		.amdhsa_system_sgpr_workgroup_id_z 0
		.amdhsa_system_sgpr_workgroup_info 0
		.amdhsa_system_vgpr_workitem_id 0
		.amdhsa_next_free_vgpr 12
		.amdhsa_next_free_sgpr 18
		.amdhsa_reserve_vcc 1
		.amdhsa_reserve_flat_scratch 0
		.amdhsa_float_round_mode_32 0
		.amdhsa_float_round_mode_16_64 0
		.amdhsa_float_denorm_mode_32 3
		.amdhsa_float_denorm_mode_16_64 3
		.amdhsa_dx10_clamp 1
		.amdhsa_ieee_mode 1
		.amdhsa_fp16_overflow 0
		.amdhsa_workgroup_processor_mode 1
		.amdhsa_memory_ordered 1
		.amdhsa_forward_progress 1
		.amdhsa_shared_vgpr_count 0
		.amdhsa_exception_fp_ieee_invalid_op 0
		.amdhsa_exception_fp_denorm_src 0
		.amdhsa_exception_fp_ieee_div_zero 0
		.amdhsa_exception_fp_ieee_overflow 0
		.amdhsa_exception_fp_ieee_underflow 0
		.amdhsa_exception_fp_ieee_inexact 0
		.amdhsa_exception_int_div_zero 0
	.end_amdhsa_kernel
	.section	.text._ZN7rocprim17ROCPRIM_400000_NS6detail17trampoline_kernelINS0_14default_configENS1_27upper_bound_config_selectorIiiEEZNS1_14transform_implILb0ES3_S5_N6thrust23THRUST_200600_302600_NS6detail15normal_iteratorINS8_10device_ptrIiEEEESD_ZNS1_13binary_searchIS3_S5_SD_SD_SD_NS1_21upper_bound_search_opENS9_16wrapped_functionINS0_4lessIvEEbEEEE10hipError_tPvRmT1_T2_T3_mmT4_T5_P12ihipStream_tbEUlRKiE_EESK_SO_SP_mSQ_ST_bEUlT_E_NS1_11comp_targetILNS1_3genE8ELNS1_11target_archE1030ELNS1_3gpuE2ELNS1_3repE0EEENS1_30default_config_static_selectorELNS0_4arch9wavefront6targetE0EEEvSN_,"axG",@progbits,_ZN7rocprim17ROCPRIM_400000_NS6detail17trampoline_kernelINS0_14default_configENS1_27upper_bound_config_selectorIiiEEZNS1_14transform_implILb0ES3_S5_N6thrust23THRUST_200600_302600_NS6detail15normal_iteratorINS8_10device_ptrIiEEEESD_ZNS1_13binary_searchIS3_S5_SD_SD_SD_NS1_21upper_bound_search_opENS9_16wrapped_functionINS0_4lessIvEEbEEEE10hipError_tPvRmT1_T2_T3_mmT4_T5_P12ihipStream_tbEUlRKiE_EESK_SO_SP_mSQ_ST_bEUlT_E_NS1_11comp_targetILNS1_3genE8ELNS1_11target_archE1030ELNS1_3gpuE2ELNS1_3repE0EEENS1_30default_config_static_selectorELNS0_4arch9wavefront6targetE0EEEvSN_,comdat
.Lfunc_end616:
	.size	_ZN7rocprim17ROCPRIM_400000_NS6detail17trampoline_kernelINS0_14default_configENS1_27upper_bound_config_selectorIiiEEZNS1_14transform_implILb0ES3_S5_N6thrust23THRUST_200600_302600_NS6detail15normal_iteratorINS8_10device_ptrIiEEEESD_ZNS1_13binary_searchIS3_S5_SD_SD_SD_NS1_21upper_bound_search_opENS9_16wrapped_functionINS0_4lessIvEEbEEEE10hipError_tPvRmT1_T2_T3_mmT4_T5_P12ihipStream_tbEUlRKiE_EESK_SO_SP_mSQ_ST_bEUlT_E_NS1_11comp_targetILNS1_3genE8ELNS1_11target_archE1030ELNS1_3gpuE2ELNS1_3repE0EEENS1_30default_config_static_selectorELNS0_4arch9wavefront6targetE0EEEvSN_, .Lfunc_end616-_ZN7rocprim17ROCPRIM_400000_NS6detail17trampoline_kernelINS0_14default_configENS1_27upper_bound_config_selectorIiiEEZNS1_14transform_implILb0ES3_S5_N6thrust23THRUST_200600_302600_NS6detail15normal_iteratorINS8_10device_ptrIiEEEESD_ZNS1_13binary_searchIS3_S5_SD_SD_SD_NS1_21upper_bound_search_opENS9_16wrapped_functionINS0_4lessIvEEbEEEE10hipError_tPvRmT1_T2_T3_mmT4_T5_P12ihipStream_tbEUlRKiE_EESK_SO_SP_mSQ_ST_bEUlT_E_NS1_11comp_targetILNS1_3genE8ELNS1_11target_archE1030ELNS1_3gpuE2ELNS1_3repE0EEENS1_30default_config_static_selectorELNS0_4arch9wavefront6targetE0EEEvSN_
                                        ; -- End function
	.set _ZN7rocprim17ROCPRIM_400000_NS6detail17trampoline_kernelINS0_14default_configENS1_27upper_bound_config_selectorIiiEEZNS1_14transform_implILb0ES3_S5_N6thrust23THRUST_200600_302600_NS6detail15normal_iteratorINS8_10device_ptrIiEEEESD_ZNS1_13binary_searchIS3_S5_SD_SD_SD_NS1_21upper_bound_search_opENS9_16wrapped_functionINS0_4lessIvEEbEEEE10hipError_tPvRmT1_T2_T3_mmT4_T5_P12ihipStream_tbEUlRKiE_EESK_SO_SP_mSQ_ST_bEUlT_E_NS1_11comp_targetILNS1_3genE8ELNS1_11target_archE1030ELNS1_3gpuE2ELNS1_3repE0EEENS1_30default_config_static_selectorELNS0_4arch9wavefront6targetE0EEEvSN_.num_vgpr, 12
	.set _ZN7rocprim17ROCPRIM_400000_NS6detail17trampoline_kernelINS0_14default_configENS1_27upper_bound_config_selectorIiiEEZNS1_14transform_implILb0ES3_S5_N6thrust23THRUST_200600_302600_NS6detail15normal_iteratorINS8_10device_ptrIiEEEESD_ZNS1_13binary_searchIS3_S5_SD_SD_SD_NS1_21upper_bound_search_opENS9_16wrapped_functionINS0_4lessIvEEbEEEE10hipError_tPvRmT1_T2_T3_mmT4_T5_P12ihipStream_tbEUlRKiE_EESK_SO_SP_mSQ_ST_bEUlT_E_NS1_11comp_targetILNS1_3genE8ELNS1_11target_archE1030ELNS1_3gpuE2ELNS1_3repE0EEENS1_30default_config_static_selectorELNS0_4arch9wavefront6targetE0EEEvSN_.num_agpr, 0
	.set _ZN7rocprim17ROCPRIM_400000_NS6detail17trampoline_kernelINS0_14default_configENS1_27upper_bound_config_selectorIiiEEZNS1_14transform_implILb0ES3_S5_N6thrust23THRUST_200600_302600_NS6detail15normal_iteratorINS8_10device_ptrIiEEEESD_ZNS1_13binary_searchIS3_S5_SD_SD_SD_NS1_21upper_bound_search_opENS9_16wrapped_functionINS0_4lessIvEEbEEEE10hipError_tPvRmT1_T2_T3_mmT4_T5_P12ihipStream_tbEUlRKiE_EESK_SO_SP_mSQ_ST_bEUlT_E_NS1_11comp_targetILNS1_3genE8ELNS1_11target_archE1030ELNS1_3gpuE2ELNS1_3repE0EEENS1_30default_config_static_selectorELNS0_4arch9wavefront6targetE0EEEvSN_.numbered_sgpr, 18
	.set _ZN7rocprim17ROCPRIM_400000_NS6detail17trampoline_kernelINS0_14default_configENS1_27upper_bound_config_selectorIiiEEZNS1_14transform_implILb0ES3_S5_N6thrust23THRUST_200600_302600_NS6detail15normal_iteratorINS8_10device_ptrIiEEEESD_ZNS1_13binary_searchIS3_S5_SD_SD_SD_NS1_21upper_bound_search_opENS9_16wrapped_functionINS0_4lessIvEEbEEEE10hipError_tPvRmT1_T2_T3_mmT4_T5_P12ihipStream_tbEUlRKiE_EESK_SO_SP_mSQ_ST_bEUlT_E_NS1_11comp_targetILNS1_3genE8ELNS1_11target_archE1030ELNS1_3gpuE2ELNS1_3repE0EEENS1_30default_config_static_selectorELNS0_4arch9wavefront6targetE0EEEvSN_.num_named_barrier, 0
	.set _ZN7rocprim17ROCPRIM_400000_NS6detail17trampoline_kernelINS0_14default_configENS1_27upper_bound_config_selectorIiiEEZNS1_14transform_implILb0ES3_S5_N6thrust23THRUST_200600_302600_NS6detail15normal_iteratorINS8_10device_ptrIiEEEESD_ZNS1_13binary_searchIS3_S5_SD_SD_SD_NS1_21upper_bound_search_opENS9_16wrapped_functionINS0_4lessIvEEbEEEE10hipError_tPvRmT1_T2_T3_mmT4_T5_P12ihipStream_tbEUlRKiE_EESK_SO_SP_mSQ_ST_bEUlT_E_NS1_11comp_targetILNS1_3genE8ELNS1_11target_archE1030ELNS1_3gpuE2ELNS1_3repE0EEENS1_30default_config_static_selectorELNS0_4arch9wavefront6targetE0EEEvSN_.private_seg_size, 0
	.set _ZN7rocprim17ROCPRIM_400000_NS6detail17trampoline_kernelINS0_14default_configENS1_27upper_bound_config_selectorIiiEEZNS1_14transform_implILb0ES3_S5_N6thrust23THRUST_200600_302600_NS6detail15normal_iteratorINS8_10device_ptrIiEEEESD_ZNS1_13binary_searchIS3_S5_SD_SD_SD_NS1_21upper_bound_search_opENS9_16wrapped_functionINS0_4lessIvEEbEEEE10hipError_tPvRmT1_T2_T3_mmT4_T5_P12ihipStream_tbEUlRKiE_EESK_SO_SP_mSQ_ST_bEUlT_E_NS1_11comp_targetILNS1_3genE8ELNS1_11target_archE1030ELNS1_3gpuE2ELNS1_3repE0EEENS1_30default_config_static_selectorELNS0_4arch9wavefront6targetE0EEEvSN_.uses_vcc, 1
	.set _ZN7rocprim17ROCPRIM_400000_NS6detail17trampoline_kernelINS0_14default_configENS1_27upper_bound_config_selectorIiiEEZNS1_14transform_implILb0ES3_S5_N6thrust23THRUST_200600_302600_NS6detail15normal_iteratorINS8_10device_ptrIiEEEESD_ZNS1_13binary_searchIS3_S5_SD_SD_SD_NS1_21upper_bound_search_opENS9_16wrapped_functionINS0_4lessIvEEbEEEE10hipError_tPvRmT1_T2_T3_mmT4_T5_P12ihipStream_tbEUlRKiE_EESK_SO_SP_mSQ_ST_bEUlT_E_NS1_11comp_targetILNS1_3genE8ELNS1_11target_archE1030ELNS1_3gpuE2ELNS1_3repE0EEENS1_30default_config_static_selectorELNS0_4arch9wavefront6targetE0EEEvSN_.uses_flat_scratch, 0
	.set _ZN7rocprim17ROCPRIM_400000_NS6detail17trampoline_kernelINS0_14default_configENS1_27upper_bound_config_selectorIiiEEZNS1_14transform_implILb0ES3_S5_N6thrust23THRUST_200600_302600_NS6detail15normal_iteratorINS8_10device_ptrIiEEEESD_ZNS1_13binary_searchIS3_S5_SD_SD_SD_NS1_21upper_bound_search_opENS9_16wrapped_functionINS0_4lessIvEEbEEEE10hipError_tPvRmT1_T2_T3_mmT4_T5_P12ihipStream_tbEUlRKiE_EESK_SO_SP_mSQ_ST_bEUlT_E_NS1_11comp_targetILNS1_3genE8ELNS1_11target_archE1030ELNS1_3gpuE2ELNS1_3repE0EEENS1_30default_config_static_selectorELNS0_4arch9wavefront6targetE0EEEvSN_.has_dyn_sized_stack, 0
	.set _ZN7rocprim17ROCPRIM_400000_NS6detail17trampoline_kernelINS0_14default_configENS1_27upper_bound_config_selectorIiiEEZNS1_14transform_implILb0ES3_S5_N6thrust23THRUST_200600_302600_NS6detail15normal_iteratorINS8_10device_ptrIiEEEESD_ZNS1_13binary_searchIS3_S5_SD_SD_SD_NS1_21upper_bound_search_opENS9_16wrapped_functionINS0_4lessIvEEbEEEE10hipError_tPvRmT1_T2_T3_mmT4_T5_P12ihipStream_tbEUlRKiE_EESK_SO_SP_mSQ_ST_bEUlT_E_NS1_11comp_targetILNS1_3genE8ELNS1_11target_archE1030ELNS1_3gpuE2ELNS1_3repE0EEENS1_30default_config_static_selectorELNS0_4arch9wavefront6targetE0EEEvSN_.has_recursion, 0
	.set _ZN7rocprim17ROCPRIM_400000_NS6detail17trampoline_kernelINS0_14default_configENS1_27upper_bound_config_selectorIiiEEZNS1_14transform_implILb0ES3_S5_N6thrust23THRUST_200600_302600_NS6detail15normal_iteratorINS8_10device_ptrIiEEEESD_ZNS1_13binary_searchIS3_S5_SD_SD_SD_NS1_21upper_bound_search_opENS9_16wrapped_functionINS0_4lessIvEEbEEEE10hipError_tPvRmT1_T2_T3_mmT4_T5_P12ihipStream_tbEUlRKiE_EESK_SO_SP_mSQ_ST_bEUlT_E_NS1_11comp_targetILNS1_3genE8ELNS1_11target_archE1030ELNS1_3gpuE2ELNS1_3repE0EEENS1_30default_config_static_selectorELNS0_4arch9wavefront6targetE0EEEvSN_.has_indirect_call, 0
	.section	.AMDGPU.csdata,"",@progbits
; Kernel info:
; codeLenInByte = 748
; TotalNumSgprs: 20
; NumVgprs: 12
; ScratchSize: 0
; MemoryBound: 0
; FloatMode: 240
; IeeeMode: 1
; LDSByteSize: 0 bytes/workgroup (compile time only)
; SGPRBlocks: 0
; VGPRBlocks: 1
; NumSGPRsForWavesPerEU: 20
; NumVGPRsForWavesPerEU: 12
; Occupancy: 16
; WaveLimiterHint : 0
; COMPUTE_PGM_RSRC2:SCRATCH_EN: 0
; COMPUTE_PGM_RSRC2:USER_SGPR: 6
; COMPUTE_PGM_RSRC2:TRAP_HANDLER: 0
; COMPUTE_PGM_RSRC2:TGID_X_EN: 1
; COMPUTE_PGM_RSRC2:TGID_Y_EN: 0
; COMPUTE_PGM_RSRC2:TGID_Z_EN: 0
; COMPUTE_PGM_RSRC2:TIDIG_COMP_CNT: 0
	.section	.text._ZN7rocprim17ROCPRIM_400000_NS6detail17trampoline_kernelINS0_14default_configENS1_27upper_bound_config_selectorIN6thrust23THRUST_200600_302600_NS5tupleIiiNS6_9null_typeES8_S8_S8_S8_S8_S8_S8_EEiEEZNS1_14transform_implILb0ES3_SA_NS6_6detail15normal_iteratorINS6_10device_ptrIS9_EEEENSD_INSE_IiEEEEZNS1_13binary_searchIS3_SA_SG_SG_SI_NS1_21upper_bound_search_opENSC_16wrapped_functionINS0_4lessIvEEbEEEE10hipError_tPvRmT1_T2_T3_mmT4_T5_P12ihipStream_tbEUlRKS9_E_EESP_ST_SU_mSV_SY_bEUlT_E_NS1_11comp_targetILNS1_3genE0ELNS1_11target_archE4294967295ELNS1_3gpuE0ELNS1_3repE0EEENS1_30default_config_static_selectorELNS0_4arch9wavefront6targetE0EEEvSS_,"axG",@progbits,_ZN7rocprim17ROCPRIM_400000_NS6detail17trampoline_kernelINS0_14default_configENS1_27upper_bound_config_selectorIN6thrust23THRUST_200600_302600_NS5tupleIiiNS6_9null_typeES8_S8_S8_S8_S8_S8_S8_EEiEEZNS1_14transform_implILb0ES3_SA_NS6_6detail15normal_iteratorINS6_10device_ptrIS9_EEEENSD_INSE_IiEEEEZNS1_13binary_searchIS3_SA_SG_SG_SI_NS1_21upper_bound_search_opENSC_16wrapped_functionINS0_4lessIvEEbEEEE10hipError_tPvRmT1_T2_T3_mmT4_T5_P12ihipStream_tbEUlRKS9_E_EESP_ST_SU_mSV_SY_bEUlT_E_NS1_11comp_targetILNS1_3genE0ELNS1_11target_archE4294967295ELNS1_3gpuE0ELNS1_3repE0EEENS1_30default_config_static_selectorELNS0_4arch9wavefront6targetE0EEEvSS_,comdat
	.protected	_ZN7rocprim17ROCPRIM_400000_NS6detail17trampoline_kernelINS0_14default_configENS1_27upper_bound_config_selectorIN6thrust23THRUST_200600_302600_NS5tupleIiiNS6_9null_typeES8_S8_S8_S8_S8_S8_S8_EEiEEZNS1_14transform_implILb0ES3_SA_NS6_6detail15normal_iteratorINS6_10device_ptrIS9_EEEENSD_INSE_IiEEEEZNS1_13binary_searchIS3_SA_SG_SG_SI_NS1_21upper_bound_search_opENSC_16wrapped_functionINS0_4lessIvEEbEEEE10hipError_tPvRmT1_T2_T3_mmT4_T5_P12ihipStream_tbEUlRKS9_E_EESP_ST_SU_mSV_SY_bEUlT_E_NS1_11comp_targetILNS1_3genE0ELNS1_11target_archE4294967295ELNS1_3gpuE0ELNS1_3repE0EEENS1_30default_config_static_selectorELNS0_4arch9wavefront6targetE0EEEvSS_ ; -- Begin function _ZN7rocprim17ROCPRIM_400000_NS6detail17trampoline_kernelINS0_14default_configENS1_27upper_bound_config_selectorIN6thrust23THRUST_200600_302600_NS5tupleIiiNS6_9null_typeES8_S8_S8_S8_S8_S8_S8_EEiEEZNS1_14transform_implILb0ES3_SA_NS6_6detail15normal_iteratorINS6_10device_ptrIS9_EEEENSD_INSE_IiEEEEZNS1_13binary_searchIS3_SA_SG_SG_SI_NS1_21upper_bound_search_opENSC_16wrapped_functionINS0_4lessIvEEbEEEE10hipError_tPvRmT1_T2_T3_mmT4_T5_P12ihipStream_tbEUlRKS9_E_EESP_ST_SU_mSV_SY_bEUlT_E_NS1_11comp_targetILNS1_3genE0ELNS1_11target_archE4294967295ELNS1_3gpuE0ELNS1_3repE0EEENS1_30default_config_static_selectorELNS0_4arch9wavefront6targetE0EEEvSS_
	.globl	_ZN7rocprim17ROCPRIM_400000_NS6detail17trampoline_kernelINS0_14default_configENS1_27upper_bound_config_selectorIN6thrust23THRUST_200600_302600_NS5tupleIiiNS6_9null_typeES8_S8_S8_S8_S8_S8_S8_EEiEEZNS1_14transform_implILb0ES3_SA_NS6_6detail15normal_iteratorINS6_10device_ptrIS9_EEEENSD_INSE_IiEEEEZNS1_13binary_searchIS3_SA_SG_SG_SI_NS1_21upper_bound_search_opENSC_16wrapped_functionINS0_4lessIvEEbEEEE10hipError_tPvRmT1_T2_T3_mmT4_T5_P12ihipStream_tbEUlRKS9_E_EESP_ST_SU_mSV_SY_bEUlT_E_NS1_11comp_targetILNS1_3genE0ELNS1_11target_archE4294967295ELNS1_3gpuE0ELNS1_3repE0EEENS1_30default_config_static_selectorELNS0_4arch9wavefront6targetE0EEEvSS_
	.p2align	8
	.type	_ZN7rocprim17ROCPRIM_400000_NS6detail17trampoline_kernelINS0_14default_configENS1_27upper_bound_config_selectorIN6thrust23THRUST_200600_302600_NS5tupleIiiNS6_9null_typeES8_S8_S8_S8_S8_S8_S8_EEiEEZNS1_14transform_implILb0ES3_SA_NS6_6detail15normal_iteratorINS6_10device_ptrIS9_EEEENSD_INSE_IiEEEEZNS1_13binary_searchIS3_SA_SG_SG_SI_NS1_21upper_bound_search_opENSC_16wrapped_functionINS0_4lessIvEEbEEEE10hipError_tPvRmT1_T2_T3_mmT4_T5_P12ihipStream_tbEUlRKS9_E_EESP_ST_SU_mSV_SY_bEUlT_E_NS1_11comp_targetILNS1_3genE0ELNS1_11target_archE4294967295ELNS1_3gpuE0ELNS1_3repE0EEENS1_30default_config_static_selectorELNS0_4arch9wavefront6targetE0EEEvSS_,@function
_ZN7rocprim17ROCPRIM_400000_NS6detail17trampoline_kernelINS0_14default_configENS1_27upper_bound_config_selectorIN6thrust23THRUST_200600_302600_NS5tupleIiiNS6_9null_typeES8_S8_S8_S8_S8_S8_S8_EEiEEZNS1_14transform_implILb0ES3_SA_NS6_6detail15normal_iteratorINS6_10device_ptrIS9_EEEENSD_INSE_IiEEEEZNS1_13binary_searchIS3_SA_SG_SG_SI_NS1_21upper_bound_search_opENSC_16wrapped_functionINS0_4lessIvEEbEEEE10hipError_tPvRmT1_T2_T3_mmT4_T5_P12ihipStream_tbEUlRKS9_E_EESP_ST_SU_mSV_SY_bEUlT_E_NS1_11comp_targetILNS1_3genE0ELNS1_11target_archE4294967295ELNS1_3gpuE0ELNS1_3repE0EEENS1_30default_config_static_selectorELNS0_4arch9wavefront6targetE0EEEvSS_: ; @_ZN7rocprim17ROCPRIM_400000_NS6detail17trampoline_kernelINS0_14default_configENS1_27upper_bound_config_selectorIN6thrust23THRUST_200600_302600_NS5tupleIiiNS6_9null_typeES8_S8_S8_S8_S8_S8_S8_EEiEEZNS1_14transform_implILb0ES3_SA_NS6_6detail15normal_iteratorINS6_10device_ptrIS9_EEEENSD_INSE_IiEEEEZNS1_13binary_searchIS3_SA_SG_SG_SI_NS1_21upper_bound_search_opENSC_16wrapped_functionINS0_4lessIvEEbEEEE10hipError_tPvRmT1_T2_T3_mmT4_T5_P12ihipStream_tbEUlRKS9_E_EESP_ST_SU_mSV_SY_bEUlT_E_NS1_11comp_targetILNS1_3genE0ELNS1_11target_archE4294967295ELNS1_3gpuE0ELNS1_3repE0EEENS1_30default_config_static_selectorELNS0_4arch9wavefront6targetE0EEEvSS_
; %bb.0:
	.section	.rodata,"a",@progbits
	.p2align	6, 0x0
	.amdhsa_kernel _ZN7rocprim17ROCPRIM_400000_NS6detail17trampoline_kernelINS0_14default_configENS1_27upper_bound_config_selectorIN6thrust23THRUST_200600_302600_NS5tupleIiiNS6_9null_typeES8_S8_S8_S8_S8_S8_S8_EEiEEZNS1_14transform_implILb0ES3_SA_NS6_6detail15normal_iteratorINS6_10device_ptrIS9_EEEENSD_INSE_IiEEEEZNS1_13binary_searchIS3_SA_SG_SG_SI_NS1_21upper_bound_search_opENSC_16wrapped_functionINS0_4lessIvEEbEEEE10hipError_tPvRmT1_T2_T3_mmT4_T5_P12ihipStream_tbEUlRKS9_E_EESP_ST_SU_mSV_SY_bEUlT_E_NS1_11comp_targetILNS1_3genE0ELNS1_11target_archE4294967295ELNS1_3gpuE0ELNS1_3repE0EEENS1_30default_config_static_selectorELNS0_4arch9wavefront6targetE0EEEvSS_
		.amdhsa_group_segment_fixed_size 0
		.amdhsa_private_segment_fixed_size 0
		.amdhsa_kernarg_size 56
		.amdhsa_user_sgpr_count 6
		.amdhsa_user_sgpr_private_segment_buffer 1
		.amdhsa_user_sgpr_dispatch_ptr 0
		.amdhsa_user_sgpr_queue_ptr 0
		.amdhsa_user_sgpr_kernarg_segment_ptr 1
		.amdhsa_user_sgpr_dispatch_id 0
		.amdhsa_user_sgpr_flat_scratch_init 0
		.amdhsa_user_sgpr_private_segment_size 0
		.amdhsa_wavefront_size32 1
		.amdhsa_uses_dynamic_stack 0
		.amdhsa_system_sgpr_private_segment_wavefront_offset 0
		.amdhsa_system_sgpr_workgroup_id_x 1
		.amdhsa_system_sgpr_workgroup_id_y 0
		.amdhsa_system_sgpr_workgroup_id_z 0
		.amdhsa_system_sgpr_workgroup_info 0
		.amdhsa_system_vgpr_workitem_id 0
		.amdhsa_next_free_vgpr 1
		.amdhsa_next_free_sgpr 1
		.amdhsa_reserve_vcc 0
		.amdhsa_reserve_flat_scratch 0
		.amdhsa_float_round_mode_32 0
		.amdhsa_float_round_mode_16_64 0
		.amdhsa_float_denorm_mode_32 3
		.amdhsa_float_denorm_mode_16_64 3
		.amdhsa_dx10_clamp 1
		.amdhsa_ieee_mode 1
		.amdhsa_fp16_overflow 0
		.amdhsa_workgroup_processor_mode 1
		.amdhsa_memory_ordered 1
		.amdhsa_forward_progress 1
		.amdhsa_shared_vgpr_count 0
		.amdhsa_exception_fp_ieee_invalid_op 0
		.amdhsa_exception_fp_denorm_src 0
		.amdhsa_exception_fp_ieee_div_zero 0
		.amdhsa_exception_fp_ieee_overflow 0
		.amdhsa_exception_fp_ieee_underflow 0
		.amdhsa_exception_fp_ieee_inexact 0
		.amdhsa_exception_int_div_zero 0
	.end_amdhsa_kernel
	.section	.text._ZN7rocprim17ROCPRIM_400000_NS6detail17trampoline_kernelINS0_14default_configENS1_27upper_bound_config_selectorIN6thrust23THRUST_200600_302600_NS5tupleIiiNS6_9null_typeES8_S8_S8_S8_S8_S8_S8_EEiEEZNS1_14transform_implILb0ES3_SA_NS6_6detail15normal_iteratorINS6_10device_ptrIS9_EEEENSD_INSE_IiEEEEZNS1_13binary_searchIS3_SA_SG_SG_SI_NS1_21upper_bound_search_opENSC_16wrapped_functionINS0_4lessIvEEbEEEE10hipError_tPvRmT1_T2_T3_mmT4_T5_P12ihipStream_tbEUlRKS9_E_EESP_ST_SU_mSV_SY_bEUlT_E_NS1_11comp_targetILNS1_3genE0ELNS1_11target_archE4294967295ELNS1_3gpuE0ELNS1_3repE0EEENS1_30default_config_static_selectorELNS0_4arch9wavefront6targetE0EEEvSS_,"axG",@progbits,_ZN7rocprim17ROCPRIM_400000_NS6detail17trampoline_kernelINS0_14default_configENS1_27upper_bound_config_selectorIN6thrust23THRUST_200600_302600_NS5tupleIiiNS6_9null_typeES8_S8_S8_S8_S8_S8_S8_EEiEEZNS1_14transform_implILb0ES3_SA_NS6_6detail15normal_iteratorINS6_10device_ptrIS9_EEEENSD_INSE_IiEEEEZNS1_13binary_searchIS3_SA_SG_SG_SI_NS1_21upper_bound_search_opENSC_16wrapped_functionINS0_4lessIvEEbEEEE10hipError_tPvRmT1_T2_T3_mmT4_T5_P12ihipStream_tbEUlRKS9_E_EESP_ST_SU_mSV_SY_bEUlT_E_NS1_11comp_targetILNS1_3genE0ELNS1_11target_archE4294967295ELNS1_3gpuE0ELNS1_3repE0EEENS1_30default_config_static_selectorELNS0_4arch9wavefront6targetE0EEEvSS_,comdat
.Lfunc_end617:
	.size	_ZN7rocprim17ROCPRIM_400000_NS6detail17trampoline_kernelINS0_14default_configENS1_27upper_bound_config_selectorIN6thrust23THRUST_200600_302600_NS5tupleIiiNS6_9null_typeES8_S8_S8_S8_S8_S8_S8_EEiEEZNS1_14transform_implILb0ES3_SA_NS6_6detail15normal_iteratorINS6_10device_ptrIS9_EEEENSD_INSE_IiEEEEZNS1_13binary_searchIS3_SA_SG_SG_SI_NS1_21upper_bound_search_opENSC_16wrapped_functionINS0_4lessIvEEbEEEE10hipError_tPvRmT1_T2_T3_mmT4_T5_P12ihipStream_tbEUlRKS9_E_EESP_ST_SU_mSV_SY_bEUlT_E_NS1_11comp_targetILNS1_3genE0ELNS1_11target_archE4294967295ELNS1_3gpuE0ELNS1_3repE0EEENS1_30default_config_static_selectorELNS0_4arch9wavefront6targetE0EEEvSS_, .Lfunc_end617-_ZN7rocprim17ROCPRIM_400000_NS6detail17trampoline_kernelINS0_14default_configENS1_27upper_bound_config_selectorIN6thrust23THRUST_200600_302600_NS5tupleIiiNS6_9null_typeES8_S8_S8_S8_S8_S8_S8_EEiEEZNS1_14transform_implILb0ES3_SA_NS6_6detail15normal_iteratorINS6_10device_ptrIS9_EEEENSD_INSE_IiEEEEZNS1_13binary_searchIS3_SA_SG_SG_SI_NS1_21upper_bound_search_opENSC_16wrapped_functionINS0_4lessIvEEbEEEE10hipError_tPvRmT1_T2_T3_mmT4_T5_P12ihipStream_tbEUlRKS9_E_EESP_ST_SU_mSV_SY_bEUlT_E_NS1_11comp_targetILNS1_3genE0ELNS1_11target_archE4294967295ELNS1_3gpuE0ELNS1_3repE0EEENS1_30default_config_static_selectorELNS0_4arch9wavefront6targetE0EEEvSS_
                                        ; -- End function
	.set _ZN7rocprim17ROCPRIM_400000_NS6detail17trampoline_kernelINS0_14default_configENS1_27upper_bound_config_selectorIN6thrust23THRUST_200600_302600_NS5tupleIiiNS6_9null_typeES8_S8_S8_S8_S8_S8_S8_EEiEEZNS1_14transform_implILb0ES3_SA_NS6_6detail15normal_iteratorINS6_10device_ptrIS9_EEEENSD_INSE_IiEEEEZNS1_13binary_searchIS3_SA_SG_SG_SI_NS1_21upper_bound_search_opENSC_16wrapped_functionINS0_4lessIvEEbEEEE10hipError_tPvRmT1_T2_T3_mmT4_T5_P12ihipStream_tbEUlRKS9_E_EESP_ST_SU_mSV_SY_bEUlT_E_NS1_11comp_targetILNS1_3genE0ELNS1_11target_archE4294967295ELNS1_3gpuE0ELNS1_3repE0EEENS1_30default_config_static_selectorELNS0_4arch9wavefront6targetE0EEEvSS_.num_vgpr, 0
	.set _ZN7rocprim17ROCPRIM_400000_NS6detail17trampoline_kernelINS0_14default_configENS1_27upper_bound_config_selectorIN6thrust23THRUST_200600_302600_NS5tupleIiiNS6_9null_typeES8_S8_S8_S8_S8_S8_S8_EEiEEZNS1_14transform_implILb0ES3_SA_NS6_6detail15normal_iteratorINS6_10device_ptrIS9_EEEENSD_INSE_IiEEEEZNS1_13binary_searchIS3_SA_SG_SG_SI_NS1_21upper_bound_search_opENSC_16wrapped_functionINS0_4lessIvEEbEEEE10hipError_tPvRmT1_T2_T3_mmT4_T5_P12ihipStream_tbEUlRKS9_E_EESP_ST_SU_mSV_SY_bEUlT_E_NS1_11comp_targetILNS1_3genE0ELNS1_11target_archE4294967295ELNS1_3gpuE0ELNS1_3repE0EEENS1_30default_config_static_selectorELNS0_4arch9wavefront6targetE0EEEvSS_.num_agpr, 0
	.set _ZN7rocprim17ROCPRIM_400000_NS6detail17trampoline_kernelINS0_14default_configENS1_27upper_bound_config_selectorIN6thrust23THRUST_200600_302600_NS5tupleIiiNS6_9null_typeES8_S8_S8_S8_S8_S8_S8_EEiEEZNS1_14transform_implILb0ES3_SA_NS6_6detail15normal_iteratorINS6_10device_ptrIS9_EEEENSD_INSE_IiEEEEZNS1_13binary_searchIS3_SA_SG_SG_SI_NS1_21upper_bound_search_opENSC_16wrapped_functionINS0_4lessIvEEbEEEE10hipError_tPvRmT1_T2_T3_mmT4_T5_P12ihipStream_tbEUlRKS9_E_EESP_ST_SU_mSV_SY_bEUlT_E_NS1_11comp_targetILNS1_3genE0ELNS1_11target_archE4294967295ELNS1_3gpuE0ELNS1_3repE0EEENS1_30default_config_static_selectorELNS0_4arch9wavefront6targetE0EEEvSS_.numbered_sgpr, 0
	.set _ZN7rocprim17ROCPRIM_400000_NS6detail17trampoline_kernelINS0_14default_configENS1_27upper_bound_config_selectorIN6thrust23THRUST_200600_302600_NS5tupleIiiNS6_9null_typeES8_S8_S8_S8_S8_S8_S8_EEiEEZNS1_14transform_implILb0ES3_SA_NS6_6detail15normal_iteratorINS6_10device_ptrIS9_EEEENSD_INSE_IiEEEEZNS1_13binary_searchIS3_SA_SG_SG_SI_NS1_21upper_bound_search_opENSC_16wrapped_functionINS0_4lessIvEEbEEEE10hipError_tPvRmT1_T2_T3_mmT4_T5_P12ihipStream_tbEUlRKS9_E_EESP_ST_SU_mSV_SY_bEUlT_E_NS1_11comp_targetILNS1_3genE0ELNS1_11target_archE4294967295ELNS1_3gpuE0ELNS1_3repE0EEENS1_30default_config_static_selectorELNS0_4arch9wavefront6targetE0EEEvSS_.num_named_barrier, 0
	.set _ZN7rocprim17ROCPRIM_400000_NS6detail17trampoline_kernelINS0_14default_configENS1_27upper_bound_config_selectorIN6thrust23THRUST_200600_302600_NS5tupleIiiNS6_9null_typeES8_S8_S8_S8_S8_S8_S8_EEiEEZNS1_14transform_implILb0ES3_SA_NS6_6detail15normal_iteratorINS6_10device_ptrIS9_EEEENSD_INSE_IiEEEEZNS1_13binary_searchIS3_SA_SG_SG_SI_NS1_21upper_bound_search_opENSC_16wrapped_functionINS0_4lessIvEEbEEEE10hipError_tPvRmT1_T2_T3_mmT4_T5_P12ihipStream_tbEUlRKS9_E_EESP_ST_SU_mSV_SY_bEUlT_E_NS1_11comp_targetILNS1_3genE0ELNS1_11target_archE4294967295ELNS1_3gpuE0ELNS1_3repE0EEENS1_30default_config_static_selectorELNS0_4arch9wavefront6targetE0EEEvSS_.private_seg_size, 0
	.set _ZN7rocprim17ROCPRIM_400000_NS6detail17trampoline_kernelINS0_14default_configENS1_27upper_bound_config_selectorIN6thrust23THRUST_200600_302600_NS5tupleIiiNS6_9null_typeES8_S8_S8_S8_S8_S8_S8_EEiEEZNS1_14transform_implILb0ES3_SA_NS6_6detail15normal_iteratorINS6_10device_ptrIS9_EEEENSD_INSE_IiEEEEZNS1_13binary_searchIS3_SA_SG_SG_SI_NS1_21upper_bound_search_opENSC_16wrapped_functionINS0_4lessIvEEbEEEE10hipError_tPvRmT1_T2_T3_mmT4_T5_P12ihipStream_tbEUlRKS9_E_EESP_ST_SU_mSV_SY_bEUlT_E_NS1_11comp_targetILNS1_3genE0ELNS1_11target_archE4294967295ELNS1_3gpuE0ELNS1_3repE0EEENS1_30default_config_static_selectorELNS0_4arch9wavefront6targetE0EEEvSS_.uses_vcc, 0
	.set _ZN7rocprim17ROCPRIM_400000_NS6detail17trampoline_kernelINS0_14default_configENS1_27upper_bound_config_selectorIN6thrust23THRUST_200600_302600_NS5tupleIiiNS6_9null_typeES8_S8_S8_S8_S8_S8_S8_EEiEEZNS1_14transform_implILb0ES3_SA_NS6_6detail15normal_iteratorINS6_10device_ptrIS9_EEEENSD_INSE_IiEEEEZNS1_13binary_searchIS3_SA_SG_SG_SI_NS1_21upper_bound_search_opENSC_16wrapped_functionINS0_4lessIvEEbEEEE10hipError_tPvRmT1_T2_T3_mmT4_T5_P12ihipStream_tbEUlRKS9_E_EESP_ST_SU_mSV_SY_bEUlT_E_NS1_11comp_targetILNS1_3genE0ELNS1_11target_archE4294967295ELNS1_3gpuE0ELNS1_3repE0EEENS1_30default_config_static_selectorELNS0_4arch9wavefront6targetE0EEEvSS_.uses_flat_scratch, 0
	.set _ZN7rocprim17ROCPRIM_400000_NS6detail17trampoline_kernelINS0_14default_configENS1_27upper_bound_config_selectorIN6thrust23THRUST_200600_302600_NS5tupleIiiNS6_9null_typeES8_S8_S8_S8_S8_S8_S8_EEiEEZNS1_14transform_implILb0ES3_SA_NS6_6detail15normal_iteratorINS6_10device_ptrIS9_EEEENSD_INSE_IiEEEEZNS1_13binary_searchIS3_SA_SG_SG_SI_NS1_21upper_bound_search_opENSC_16wrapped_functionINS0_4lessIvEEbEEEE10hipError_tPvRmT1_T2_T3_mmT4_T5_P12ihipStream_tbEUlRKS9_E_EESP_ST_SU_mSV_SY_bEUlT_E_NS1_11comp_targetILNS1_3genE0ELNS1_11target_archE4294967295ELNS1_3gpuE0ELNS1_3repE0EEENS1_30default_config_static_selectorELNS0_4arch9wavefront6targetE0EEEvSS_.has_dyn_sized_stack, 0
	.set _ZN7rocprim17ROCPRIM_400000_NS6detail17trampoline_kernelINS0_14default_configENS1_27upper_bound_config_selectorIN6thrust23THRUST_200600_302600_NS5tupleIiiNS6_9null_typeES8_S8_S8_S8_S8_S8_S8_EEiEEZNS1_14transform_implILb0ES3_SA_NS6_6detail15normal_iteratorINS6_10device_ptrIS9_EEEENSD_INSE_IiEEEEZNS1_13binary_searchIS3_SA_SG_SG_SI_NS1_21upper_bound_search_opENSC_16wrapped_functionINS0_4lessIvEEbEEEE10hipError_tPvRmT1_T2_T3_mmT4_T5_P12ihipStream_tbEUlRKS9_E_EESP_ST_SU_mSV_SY_bEUlT_E_NS1_11comp_targetILNS1_3genE0ELNS1_11target_archE4294967295ELNS1_3gpuE0ELNS1_3repE0EEENS1_30default_config_static_selectorELNS0_4arch9wavefront6targetE0EEEvSS_.has_recursion, 0
	.set _ZN7rocprim17ROCPRIM_400000_NS6detail17trampoline_kernelINS0_14default_configENS1_27upper_bound_config_selectorIN6thrust23THRUST_200600_302600_NS5tupleIiiNS6_9null_typeES8_S8_S8_S8_S8_S8_S8_EEiEEZNS1_14transform_implILb0ES3_SA_NS6_6detail15normal_iteratorINS6_10device_ptrIS9_EEEENSD_INSE_IiEEEEZNS1_13binary_searchIS3_SA_SG_SG_SI_NS1_21upper_bound_search_opENSC_16wrapped_functionINS0_4lessIvEEbEEEE10hipError_tPvRmT1_T2_T3_mmT4_T5_P12ihipStream_tbEUlRKS9_E_EESP_ST_SU_mSV_SY_bEUlT_E_NS1_11comp_targetILNS1_3genE0ELNS1_11target_archE4294967295ELNS1_3gpuE0ELNS1_3repE0EEENS1_30default_config_static_selectorELNS0_4arch9wavefront6targetE0EEEvSS_.has_indirect_call, 0
	.section	.AMDGPU.csdata,"",@progbits
; Kernel info:
; codeLenInByte = 0
; TotalNumSgprs: 0
; NumVgprs: 0
; ScratchSize: 0
; MemoryBound: 0
; FloatMode: 240
; IeeeMode: 1
; LDSByteSize: 0 bytes/workgroup (compile time only)
; SGPRBlocks: 0
; VGPRBlocks: 0
; NumSGPRsForWavesPerEU: 1
; NumVGPRsForWavesPerEU: 1
; Occupancy: 16
; WaveLimiterHint : 0
; COMPUTE_PGM_RSRC2:SCRATCH_EN: 0
; COMPUTE_PGM_RSRC2:USER_SGPR: 6
; COMPUTE_PGM_RSRC2:TRAP_HANDLER: 0
; COMPUTE_PGM_RSRC2:TGID_X_EN: 1
; COMPUTE_PGM_RSRC2:TGID_Y_EN: 0
; COMPUTE_PGM_RSRC2:TGID_Z_EN: 0
; COMPUTE_PGM_RSRC2:TIDIG_COMP_CNT: 0
	.section	.text._ZN7rocprim17ROCPRIM_400000_NS6detail17trampoline_kernelINS0_14default_configENS1_27upper_bound_config_selectorIN6thrust23THRUST_200600_302600_NS5tupleIiiNS6_9null_typeES8_S8_S8_S8_S8_S8_S8_EEiEEZNS1_14transform_implILb0ES3_SA_NS6_6detail15normal_iteratorINS6_10device_ptrIS9_EEEENSD_INSE_IiEEEEZNS1_13binary_searchIS3_SA_SG_SG_SI_NS1_21upper_bound_search_opENSC_16wrapped_functionINS0_4lessIvEEbEEEE10hipError_tPvRmT1_T2_T3_mmT4_T5_P12ihipStream_tbEUlRKS9_E_EESP_ST_SU_mSV_SY_bEUlT_E_NS1_11comp_targetILNS1_3genE5ELNS1_11target_archE942ELNS1_3gpuE9ELNS1_3repE0EEENS1_30default_config_static_selectorELNS0_4arch9wavefront6targetE0EEEvSS_,"axG",@progbits,_ZN7rocprim17ROCPRIM_400000_NS6detail17trampoline_kernelINS0_14default_configENS1_27upper_bound_config_selectorIN6thrust23THRUST_200600_302600_NS5tupleIiiNS6_9null_typeES8_S8_S8_S8_S8_S8_S8_EEiEEZNS1_14transform_implILb0ES3_SA_NS6_6detail15normal_iteratorINS6_10device_ptrIS9_EEEENSD_INSE_IiEEEEZNS1_13binary_searchIS3_SA_SG_SG_SI_NS1_21upper_bound_search_opENSC_16wrapped_functionINS0_4lessIvEEbEEEE10hipError_tPvRmT1_T2_T3_mmT4_T5_P12ihipStream_tbEUlRKS9_E_EESP_ST_SU_mSV_SY_bEUlT_E_NS1_11comp_targetILNS1_3genE5ELNS1_11target_archE942ELNS1_3gpuE9ELNS1_3repE0EEENS1_30default_config_static_selectorELNS0_4arch9wavefront6targetE0EEEvSS_,comdat
	.protected	_ZN7rocprim17ROCPRIM_400000_NS6detail17trampoline_kernelINS0_14default_configENS1_27upper_bound_config_selectorIN6thrust23THRUST_200600_302600_NS5tupleIiiNS6_9null_typeES8_S8_S8_S8_S8_S8_S8_EEiEEZNS1_14transform_implILb0ES3_SA_NS6_6detail15normal_iteratorINS6_10device_ptrIS9_EEEENSD_INSE_IiEEEEZNS1_13binary_searchIS3_SA_SG_SG_SI_NS1_21upper_bound_search_opENSC_16wrapped_functionINS0_4lessIvEEbEEEE10hipError_tPvRmT1_T2_T3_mmT4_T5_P12ihipStream_tbEUlRKS9_E_EESP_ST_SU_mSV_SY_bEUlT_E_NS1_11comp_targetILNS1_3genE5ELNS1_11target_archE942ELNS1_3gpuE9ELNS1_3repE0EEENS1_30default_config_static_selectorELNS0_4arch9wavefront6targetE0EEEvSS_ ; -- Begin function _ZN7rocprim17ROCPRIM_400000_NS6detail17trampoline_kernelINS0_14default_configENS1_27upper_bound_config_selectorIN6thrust23THRUST_200600_302600_NS5tupleIiiNS6_9null_typeES8_S8_S8_S8_S8_S8_S8_EEiEEZNS1_14transform_implILb0ES3_SA_NS6_6detail15normal_iteratorINS6_10device_ptrIS9_EEEENSD_INSE_IiEEEEZNS1_13binary_searchIS3_SA_SG_SG_SI_NS1_21upper_bound_search_opENSC_16wrapped_functionINS0_4lessIvEEbEEEE10hipError_tPvRmT1_T2_T3_mmT4_T5_P12ihipStream_tbEUlRKS9_E_EESP_ST_SU_mSV_SY_bEUlT_E_NS1_11comp_targetILNS1_3genE5ELNS1_11target_archE942ELNS1_3gpuE9ELNS1_3repE0EEENS1_30default_config_static_selectorELNS0_4arch9wavefront6targetE0EEEvSS_
	.globl	_ZN7rocprim17ROCPRIM_400000_NS6detail17trampoline_kernelINS0_14default_configENS1_27upper_bound_config_selectorIN6thrust23THRUST_200600_302600_NS5tupleIiiNS6_9null_typeES8_S8_S8_S8_S8_S8_S8_EEiEEZNS1_14transform_implILb0ES3_SA_NS6_6detail15normal_iteratorINS6_10device_ptrIS9_EEEENSD_INSE_IiEEEEZNS1_13binary_searchIS3_SA_SG_SG_SI_NS1_21upper_bound_search_opENSC_16wrapped_functionINS0_4lessIvEEbEEEE10hipError_tPvRmT1_T2_T3_mmT4_T5_P12ihipStream_tbEUlRKS9_E_EESP_ST_SU_mSV_SY_bEUlT_E_NS1_11comp_targetILNS1_3genE5ELNS1_11target_archE942ELNS1_3gpuE9ELNS1_3repE0EEENS1_30default_config_static_selectorELNS0_4arch9wavefront6targetE0EEEvSS_
	.p2align	8
	.type	_ZN7rocprim17ROCPRIM_400000_NS6detail17trampoline_kernelINS0_14default_configENS1_27upper_bound_config_selectorIN6thrust23THRUST_200600_302600_NS5tupleIiiNS6_9null_typeES8_S8_S8_S8_S8_S8_S8_EEiEEZNS1_14transform_implILb0ES3_SA_NS6_6detail15normal_iteratorINS6_10device_ptrIS9_EEEENSD_INSE_IiEEEEZNS1_13binary_searchIS3_SA_SG_SG_SI_NS1_21upper_bound_search_opENSC_16wrapped_functionINS0_4lessIvEEbEEEE10hipError_tPvRmT1_T2_T3_mmT4_T5_P12ihipStream_tbEUlRKS9_E_EESP_ST_SU_mSV_SY_bEUlT_E_NS1_11comp_targetILNS1_3genE5ELNS1_11target_archE942ELNS1_3gpuE9ELNS1_3repE0EEENS1_30default_config_static_selectorELNS0_4arch9wavefront6targetE0EEEvSS_,@function
_ZN7rocprim17ROCPRIM_400000_NS6detail17trampoline_kernelINS0_14default_configENS1_27upper_bound_config_selectorIN6thrust23THRUST_200600_302600_NS5tupleIiiNS6_9null_typeES8_S8_S8_S8_S8_S8_S8_EEiEEZNS1_14transform_implILb0ES3_SA_NS6_6detail15normal_iteratorINS6_10device_ptrIS9_EEEENSD_INSE_IiEEEEZNS1_13binary_searchIS3_SA_SG_SG_SI_NS1_21upper_bound_search_opENSC_16wrapped_functionINS0_4lessIvEEbEEEE10hipError_tPvRmT1_T2_T3_mmT4_T5_P12ihipStream_tbEUlRKS9_E_EESP_ST_SU_mSV_SY_bEUlT_E_NS1_11comp_targetILNS1_3genE5ELNS1_11target_archE942ELNS1_3gpuE9ELNS1_3repE0EEENS1_30default_config_static_selectorELNS0_4arch9wavefront6targetE0EEEvSS_: ; @_ZN7rocprim17ROCPRIM_400000_NS6detail17trampoline_kernelINS0_14default_configENS1_27upper_bound_config_selectorIN6thrust23THRUST_200600_302600_NS5tupleIiiNS6_9null_typeES8_S8_S8_S8_S8_S8_S8_EEiEEZNS1_14transform_implILb0ES3_SA_NS6_6detail15normal_iteratorINS6_10device_ptrIS9_EEEENSD_INSE_IiEEEEZNS1_13binary_searchIS3_SA_SG_SG_SI_NS1_21upper_bound_search_opENSC_16wrapped_functionINS0_4lessIvEEbEEEE10hipError_tPvRmT1_T2_T3_mmT4_T5_P12ihipStream_tbEUlRKS9_E_EESP_ST_SU_mSV_SY_bEUlT_E_NS1_11comp_targetILNS1_3genE5ELNS1_11target_archE942ELNS1_3gpuE9ELNS1_3repE0EEENS1_30default_config_static_selectorELNS0_4arch9wavefront6targetE0EEEvSS_
; %bb.0:
	.section	.rodata,"a",@progbits
	.p2align	6, 0x0
	.amdhsa_kernel _ZN7rocprim17ROCPRIM_400000_NS6detail17trampoline_kernelINS0_14default_configENS1_27upper_bound_config_selectorIN6thrust23THRUST_200600_302600_NS5tupleIiiNS6_9null_typeES8_S8_S8_S8_S8_S8_S8_EEiEEZNS1_14transform_implILb0ES3_SA_NS6_6detail15normal_iteratorINS6_10device_ptrIS9_EEEENSD_INSE_IiEEEEZNS1_13binary_searchIS3_SA_SG_SG_SI_NS1_21upper_bound_search_opENSC_16wrapped_functionINS0_4lessIvEEbEEEE10hipError_tPvRmT1_T2_T3_mmT4_T5_P12ihipStream_tbEUlRKS9_E_EESP_ST_SU_mSV_SY_bEUlT_E_NS1_11comp_targetILNS1_3genE5ELNS1_11target_archE942ELNS1_3gpuE9ELNS1_3repE0EEENS1_30default_config_static_selectorELNS0_4arch9wavefront6targetE0EEEvSS_
		.amdhsa_group_segment_fixed_size 0
		.amdhsa_private_segment_fixed_size 0
		.amdhsa_kernarg_size 56
		.amdhsa_user_sgpr_count 6
		.amdhsa_user_sgpr_private_segment_buffer 1
		.amdhsa_user_sgpr_dispatch_ptr 0
		.amdhsa_user_sgpr_queue_ptr 0
		.amdhsa_user_sgpr_kernarg_segment_ptr 1
		.amdhsa_user_sgpr_dispatch_id 0
		.amdhsa_user_sgpr_flat_scratch_init 0
		.amdhsa_user_sgpr_private_segment_size 0
		.amdhsa_wavefront_size32 1
		.amdhsa_uses_dynamic_stack 0
		.amdhsa_system_sgpr_private_segment_wavefront_offset 0
		.amdhsa_system_sgpr_workgroup_id_x 1
		.amdhsa_system_sgpr_workgroup_id_y 0
		.amdhsa_system_sgpr_workgroup_id_z 0
		.amdhsa_system_sgpr_workgroup_info 0
		.amdhsa_system_vgpr_workitem_id 0
		.amdhsa_next_free_vgpr 1
		.amdhsa_next_free_sgpr 1
		.amdhsa_reserve_vcc 0
		.amdhsa_reserve_flat_scratch 0
		.amdhsa_float_round_mode_32 0
		.amdhsa_float_round_mode_16_64 0
		.amdhsa_float_denorm_mode_32 3
		.amdhsa_float_denorm_mode_16_64 3
		.amdhsa_dx10_clamp 1
		.amdhsa_ieee_mode 1
		.amdhsa_fp16_overflow 0
		.amdhsa_workgroup_processor_mode 1
		.amdhsa_memory_ordered 1
		.amdhsa_forward_progress 1
		.amdhsa_shared_vgpr_count 0
		.amdhsa_exception_fp_ieee_invalid_op 0
		.amdhsa_exception_fp_denorm_src 0
		.amdhsa_exception_fp_ieee_div_zero 0
		.amdhsa_exception_fp_ieee_overflow 0
		.amdhsa_exception_fp_ieee_underflow 0
		.amdhsa_exception_fp_ieee_inexact 0
		.amdhsa_exception_int_div_zero 0
	.end_amdhsa_kernel
	.section	.text._ZN7rocprim17ROCPRIM_400000_NS6detail17trampoline_kernelINS0_14default_configENS1_27upper_bound_config_selectorIN6thrust23THRUST_200600_302600_NS5tupleIiiNS6_9null_typeES8_S8_S8_S8_S8_S8_S8_EEiEEZNS1_14transform_implILb0ES3_SA_NS6_6detail15normal_iteratorINS6_10device_ptrIS9_EEEENSD_INSE_IiEEEEZNS1_13binary_searchIS3_SA_SG_SG_SI_NS1_21upper_bound_search_opENSC_16wrapped_functionINS0_4lessIvEEbEEEE10hipError_tPvRmT1_T2_T3_mmT4_T5_P12ihipStream_tbEUlRKS9_E_EESP_ST_SU_mSV_SY_bEUlT_E_NS1_11comp_targetILNS1_3genE5ELNS1_11target_archE942ELNS1_3gpuE9ELNS1_3repE0EEENS1_30default_config_static_selectorELNS0_4arch9wavefront6targetE0EEEvSS_,"axG",@progbits,_ZN7rocprim17ROCPRIM_400000_NS6detail17trampoline_kernelINS0_14default_configENS1_27upper_bound_config_selectorIN6thrust23THRUST_200600_302600_NS5tupleIiiNS6_9null_typeES8_S8_S8_S8_S8_S8_S8_EEiEEZNS1_14transform_implILb0ES3_SA_NS6_6detail15normal_iteratorINS6_10device_ptrIS9_EEEENSD_INSE_IiEEEEZNS1_13binary_searchIS3_SA_SG_SG_SI_NS1_21upper_bound_search_opENSC_16wrapped_functionINS0_4lessIvEEbEEEE10hipError_tPvRmT1_T2_T3_mmT4_T5_P12ihipStream_tbEUlRKS9_E_EESP_ST_SU_mSV_SY_bEUlT_E_NS1_11comp_targetILNS1_3genE5ELNS1_11target_archE942ELNS1_3gpuE9ELNS1_3repE0EEENS1_30default_config_static_selectorELNS0_4arch9wavefront6targetE0EEEvSS_,comdat
.Lfunc_end618:
	.size	_ZN7rocprim17ROCPRIM_400000_NS6detail17trampoline_kernelINS0_14default_configENS1_27upper_bound_config_selectorIN6thrust23THRUST_200600_302600_NS5tupleIiiNS6_9null_typeES8_S8_S8_S8_S8_S8_S8_EEiEEZNS1_14transform_implILb0ES3_SA_NS6_6detail15normal_iteratorINS6_10device_ptrIS9_EEEENSD_INSE_IiEEEEZNS1_13binary_searchIS3_SA_SG_SG_SI_NS1_21upper_bound_search_opENSC_16wrapped_functionINS0_4lessIvEEbEEEE10hipError_tPvRmT1_T2_T3_mmT4_T5_P12ihipStream_tbEUlRKS9_E_EESP_ST_SU_mSV_SY_bEUlT_E_NS1_11comp_targetILNS1_3genE5ELNS1_11target_archE942ELNS1_3gpuE9ELNS1_3repE0EEENS1_30default_config_static_selectorELNS0_4arch9wavefront6targetE0EEEvSS_, .Lfunc_end618-_ZN7rocprim17ROCPRIM_400000_NS6detail17trampoline_kernelINS0_14default_configENS1_27upper_bound_config_selectorIN6thrust23THRUST_200600_302600_NS5tupleIiiNS6_9null_typeES8_S8_S8_S8_S8_S8_S8_EEiEEZNS1_14transform_implILb0ES3_SA_NS6_6detail15normal_iteratorINS6_10device_ptrIS9_EEEENSD_INSE_IiEEEEZNS1_13binary_searchIS3_SA_SG_SG_SI_NS1_21upper_bound_search_opENSC_16wrapped_functionINS0_4lessIvEEbEEEE10hipError_tPvRmT1_T2_T3_mmT4_T5_P12ihipStream_tbEUlRKS9_E_EESP_ST_SU_mSV_SY_bEUlT_E_NS1_11comp_targetILNS1_3genE5ELNS1_11target_archE942ELNS1_3gpuE9ELNS1_3repE0EEENS1_30default_config_static_selectorELNS0_4arch9wavefront6targetE0EEEvSS_
                                        ; -- End function
	.set _ZN7rocprim17ROCPRIM_400000_NS6detail17trampoline_kernelINS0_14default_configENS1_27upper_bound_config_selectorIN6thrust23THRUST_200600_302600_NS5tupleIiiNS6_9null_typeES8_S8_S8_S8_S8_S8_S8_EEiEEZNS1_14transform_implILb0ES3_SA_NS6_6detail15normal_iteratorINS6_10device_ptrIS9_EEEENSD_INSE_IiEEEEZNS1_13binary_searchIS3_SA_SG_SG_SI_NS1_21upper_bound_search_opENSC_16wrapped_functionINS0_4lessIvEEbEEEE10hipError_tPvRmT1_T2_T3_mmT4_T5_P12ihipStream_tbEUlRKS9_E_EESP_ST_SU_mSV_SY_bEUlT_E_NS1_11comp_targetILNS1_3genE5ELNS1_11target_archE942ELNS1_3gpuE9ELNS1_3repE0EEENS1_30default_config_static_selectorELNS0_4arch9wavefront6targetE0EEEvSS_.num_vgpr, 0
	.set _ZN7rocprim17ROCPRIM_400000_NS6detail17trampoline_kernelINS0_14default_configENS1_27upper_bound_config_selectorIN6thrust23THRUST_200600_302600_NS5tupleIiiNS6_9null_typeES8_S8_S8_S8_S8_S8_S8_EEiEEZNS1_14transform_implILb0ES3_SA_NS6_6detail15normal_iteratorINS6_10device_ptrIS9_EEEENSD_INSE_IiEEEEZNS1_13binary_searchIS3_SA_SG_SG_SI_NS1_21upper_bound_search_opENSC_16wrapped_functionINS0_4lessIvEEbEEEE10hipError_tPvRmT1_T2_T3_mmT4_T5_P12ihipStream_tbEUlRKS9_E_EESP_ST_SU_mSV_SY_bEUlT_E_NS1_11comp_targetILNS1_3genE5ELNS1_11target_archE942ELNS1_3gpuE9ELNS1_3repE0EEENS1_30default_config_static_selectorELNS0_4arch9wavefront6targetE0EEEvSS_.num_agpr, 0
	.set _ZN7rocprim17ROCPRIM_400000_NS6detail17trampoline_kernelINS0_14default_configENS1_27upper_bound_config_selectorIN6thrust23THRUST_200600_302600_NS5tupleIiiNS6_9null_typeES8_S8_S8_S8_S8_S8_S8_EEiEEZNS1_14transform_implILb0ES3_SA_NS6_6detail15normal_iteratorINS6_10device_ptrIS9_EEEENSD_INSE_IiEEEEZNS1_13binary_searchIS3_SA_SG_SG_SI_NS1_21upper_bound_search_opENSC_16wrapped_functionINS0_4lessIvEEbEEEE10hipError_tPvRmT1_T2_T3_mmT4_T5_P12ihipStream_tbEUlRKS9_E_EESP_ST_SU_mSV_SY_bEUlT_E_NS1_11comp_targetILNS1_3genE5ELNS1_11target_archE942ELNS1_3gpuE9ELNS1_3repE0EEENS1_30default_config_static_selectorELNS0_4arch9wavefront6targetE0EEEvSS_.numbered_sgpr, 0
	.set _ZN7rocprim17ROCPRIM_400000_NS6detail17trampoline_kernelINS0_14default_configENS1_27upper_bound_config_selectorIN6thrust23THRUST_200600_302600_NS5tupleIiiNS6_9null_typeES8_S8_S8_S8_S8_S8_S8_EEiEEZNS1_14transform_implILb0ES3_SA_NS6_6detail15normal_iteratorINS6_10device_ptrIS9_EEEENSD_INSE_IiEEEEZNS1_13binary_searchIS3_SA_SG_SG_SI_NS1_21upper_bound_search_opENSC_16wrapped_functionINS0_4lessIvEEbEEEE10hipError_tPvRmT1_T2_T3_mmT4_T5_P12ihipStream_tbEUlRKS9_E_EESP_ST_SU_mSV_SY_bEUlT_E_NS1_11comp_targetILNS1_3genE5ELNS1_11target_archE942ELNS1_3gpuE9ELNS1_3repE0EEENS1_30default_config_static_selectorELNS0_4arch9wavefront6targetE0EEEvSS_.num_named_barrier, 0
	.set _ZN7rocprim17ROCPRIM_400000_NS6detail17trampoline_kernelINS0_14default_configENS1_27upper_bound_config_selectorIN6thrust23THRUST_200600_302600_NS5tupleIiiNS6_9null_typeES8_S8_S8_S8_S8_S8_S8_EEiEEZNS1_14transform_implILb0ES3_SA_NS6_6detail15normal_iteratorINS6_10device_ptrIS9_EEEENSD_INSE_IiEEEEZNS1_13binary_searchIS3_SA_SG_SG_SI_NS1_21upper_bound_search_opENSC_16wrapped_functionINS0_4lessIvEEbEEEE10hipError_tPvRmT1_T2_T3_mmT4_T5_P12ihipStream_tbEUlRKS9_E_EESP_ST_SU_mSV_SY_bEUlT_E_NS1_11comp_targetILNS1_3genE5ELNS1_11target_archE942ELNS1_3gpuE9ELNS1_3repE0EEENS1_30default_config_static_selectorELNS0_4arch9wavefront6targetE0EEEvSS_.private_seg_size, 0
	.set _ZN7rocprim17ROCPRIM_400000_NS6detail17trampoline_kernelINS0_14default_configENS1_27upper_bound_config_selectorIN6thrust23THRUST_200600_302600_NS5tupleIiiNS6_9null_typeES8_S8_S8_S8_S8_S8_S8_EEiEEZNS1_14transform_implILb0ES3_SA_NS6_6detail15normal_iteratorINS6_10device_ptrIS9_EEEENSD_INSE_IiEEEEZNS1_13binary_searchIS3_SA_SG_SG_SI_NS1_21upper_bound_search_opENSC_16wrapped_functionINS0_4lessIvEEbEEEE10hipError_tPvRmT1_T2_T3_mmT4_T5_P12ihipStream_tbEUlRKS9_E_EESP_ST_SU_mSV_SY_bEUlT_E_NS1_11comp_targetILNS1_3genE5ELNS1_11target_archE942ELNS1_3gpuE9ELNS1_3repE0EEENS1_30default_config_static_selectorELNS0_4arch9wavefront6targetE0EEEvSS_.uses_vcc, 0
	.set _ZN7rocprim17ROCPRIM_400000_NS6detail17trampoline_kernelINS0_14default_configENS1_27upper_bound_config_selectorIN6thrust23THRUST_200600_302600_NS5tupleIiiNS6_9null_typeES8_S8_S8_S8_S8_S8_S8_EEiEEZNS1_14transform_implILb0ES3_SA_NS6_6detail15normal_iteratorINS6_10device_ptrIS9_EEEENSD_INSE_IiEEEEZNS1_13binary_searchIS3_SA_SG_SG_SI_NS1_21upper_bound_search_opENSC_16wrapped_functionINS0_4lessIvEEbEEEE10hipError_tPvRmT1_T2_T3_mmT4_T5_P12ihipStream_tbEUlRKS9_E_EESP_ST_SU_mSV_SY_bEUlT_E_NS1_11comp_targetILNS1_3genE5ELNS1_11target_archE942ELNS1_3gpuE9ELNS1_3repE0EEENS1_30default_config_static_selectorELNS0_4arch9wavefront6targetE0EEEvSS_.uses_flat_scratch, 0
	.set _ZN7rocprim17ROCPRIM_400000_NS6detail17trampoline_kernelINS0_14default_configENS1_27upper_bound_config_selectorIN6thrust23THRUST_200600_302600_NS5tupleIiiNS6_9null_typeES8_S8_S8_S8_S8_S8_S8_EEiEEZNS1_14transform_implILb0ES3_SA_NS6_6detail15normal_iteratorINS6_10device_ptrIS9_EEEENSD_INSE_IiEEEEZNS1_13binary_searchIS3_SA_SG_SG_SI_NS1_21upper_bound_search_opENSC_16wrapped_functionINS0_4lessIvEEbEEEE10hipError_tPvRmT1_T2_T3_mmT4_T5_P12ihipStream_tbEUlRKS9_E_EESP_ST_SU_mSV_SY_bEUlT_E_NS1_11comp_targetILNS1_3genE5ELNS1_11target_archE942ELNS1_3gpuE9ELNS1_3repE0EEENS1_30default_config_static_selectorELNS0_4arch9wavefront6targetE0EEEvSS_.has_dyn_sized_stack, 0
	.set _ZN7rocprim17ROCPRIM_400000_NS6detail17trampoline_kernelINS0_14default_configENS1_27upper_bound_config_selectorIN6thrust23THRUST_200600_302600_NS5tupleIiiNS6_9null_typeES8_S8_S8_S8_S8_S8_S8_EEiEEZNS1_14transform_implILb0ES3_SA_NS6_6detail15normal_iteratorINS6_10device_ptrIS9_EEEENSD_INSE_IiEEEEZNS1_13binary_searchIS3_SA_SG_SG_SI_NS1_21upper_bound_search_opENSC_16wrapped_functionINS0_4lessIvEEbEEEE10hipError_tPvRmT1_T2_T3_mmT4_T5_P12ihipStream_tbEUlRKS9_E_EESP_ST_SU_mSV_SY_bEUlT_E_NS1_11comp_targetILNS1_3genE5ELNS1_11target_archE942ELNS1_3gpuE9ELNS1_3repE0EEENS1_30default_config_static_selectorELNS0_4arch9wavefront6targetE0EEEvSS_.has_recursion, 0
	.set _ZN7rocprim17ROCPRIM_400000_NS6detail17trampoline_kernelINS0_14default_configENS1_27upper_bound_config_selectorIN6thrust23THRUST_200600_302600_NS5tupleIiiNS6_9null_typeES8_S8_S8_S8_S8_S8_S8_EEiEEZNS1_14transform_implILb0ES3_SA_NS6_6detail15normal_iteratorINS6_10device_ptrIS9_EEEENSD_INSE_IiEEEEZNS1_13binary_searchIS3_SA_SG_SG_SI_NS1_21upper_bound_search_opENSC_16wrapped_functionINS0_4lessIvEEbEEEE10hipError_tPvRmT1_T2_T3_mmT4_T5_P12ihipStream_tbEUlRKS9_E_EESP_ST_SU_mSV_SY_bEUlT_E_NS1_11comp_targetILNS1_3genE5ELNS1_11target_archE942ELNS1_3gpuE9ELNS1_3repE0EEENS1_30default_config_static_selectorELNS0_4arch9wavefront6targetE0EEEvSS_.has_indirect_call, 0
	.section	.AMDGPU.csdata,"",@progbits
; Kernel info:
; codeLenInByte = 0
; TotalNumSgprs: 0
; NumVgprs: 0
; ScratchSize: 0
; MemoryBound: 0
; FloatMode: 240
; IeeeMode: 1
; LDSByteSize: 0 bytes/workgroup (compile time only)
; SGPRBlocks: 0
; VGPRBlocks: 0
; NumSGPRsForWavesPerEU: 1
; NumVGPRsForWavesPerEU: 1
; Occupancy: 16
; WaveLimiterHint : 0
; COMPUTE_PGM_RSRC2:SCRATCH_EN: 0
; COMPUTE_PGM_RSRC2:USER_SGPR: 6
; COMPUTE_PGM_RSRC2:TRAP_HANDLER: 0
; COMPUTE_PGM_RSRC2:TGID_X_EN: 1
; COMPUTE_PGM_RSRC2:TGID_Y_EN: 0
; COMPUTE_PGM_RSRC2:TGID_Z_EN: 0
; COMPUTE_PGM_RSRC2:TIDIG_COMP_CNT: 0
	.section	.text._ZN7rocprim17ROCPRIM_400000_NS6detail17trampoline_kernelINS0_14default_configENS1_27upper_bound_config_selectorIN6thrust23THRUST_200600_302600_NS5tupleIiiNS6_9null_typeES8_S8_S8_S8_S8_S8_S8_EEiEEZNS1_14transform_implILb0ES3_SA_NS6_6detail15normal_iteratorINS6_10device_ptrIS9_EEEENSD_INSE_IiEEEEZNS1_13binary_searchIS3_SA_SG_SG_SI_NS1_21upper_bound_search_opENSC_16wrapped_functionINS0_4lessIvEEbEEEE10hipError_tPvRmT1_T2_T3_mmT4_T5_P12ihipStream_tbEUlRKS9_E_EESP_ST_SU_mSV_SY_bEUlT_E_NS1_11comp_targetILNS1_3genE4ELNS1_11target_archE910ELNS1_3gpuE8ELNS1_3repE0EEENS1_30default_config_static_selectorELNS0_4arch9wavefront6targetE0EEEvSS_,"axG",@progbits,_ZN7rocprim17ROCPRIM_400000_NS6detail17trampoline_kernelINS0_14default_configENS1_27upper_bound_config_selectorIN6thrust23THRUST_200600_302600_NS5tupleIiiNS6_9null_typeES8_S8_S8_S8_S8_S8_S8_EEiEEZNS1_14transform_implILb0ES3_SA_NS6_6detail15normal_iteratorINS6_10device_ptrIS9_EEEENSD_INSE_IiEEEEZNS1_13binary_searchIS3_SA_SG_SG_SI_NS1_21upper_bound_search_opENSC_16wrapped_functionINS0_4lessIvEEbEEEE10hipError_tPvRmT1_T2_T3_mmT4_T5_P12ihipStream_tbEUlRKS9_E_EESP_ST_SU_mSV_SY_bEUlT_E_NS1_11comp_targetILNS1_3genE4ELNS1_11target_archE910ELNS1_3gpuE8ELNS1_3repE0EEENS1_30default_config_static_selectorELNS0_4arch9wavefront6targetE0EEEvSS_,comdat
	.protected	_ZN7rocprim17ROCPRIM_400000_NS6detail17trampoline_kernelINS0_14default_configENS1_27upper_bound_config_selectorIN6thrust23THRUST_200600_302600_NS5tupleIiiNS6_9null_typeES8_S8_S8_S8_S8_S8_S8_EEiEEZNS1_14transform_implILb0ES3_SA_NS6_6detail15normal_iteratorINS6_10device_ptrIS9_EEEENSD_INSE_IiEEEEZNS1_13binary_searchIS3_SA_SG_SG_SI_NS1_21upper_bound_search_opENSC_16wrapped_functionINS0_4lessIvEEbEEEE10hipError_tPvRmT1_T2_T3_mmT4_T5_P12ihipStream_tbEUlRKS9_E_EESP_ST_SU_mSV_SY_bEUlT_E_NS1_11comp_targetILNS1_3genE4ELNS1_11target_archE910ELNS1_3gpuE8ELNS1_3repE0EEENS1_30default_config_static_selectorELNS0_4arch9wavefront6targetE0EEEvSS_ ; -- Begin function _ZN7rocprim17ROCPRIM_400000_NS6detail17trampoline_kernelINS0_14default_configENS1_27upper_bound_config_selectorIN6thrust23THRUST_200600_302600_NS5tupleIiiNS6_9null_typeES8_S8_S8_S8_S8_S8_S8_EEiEEZNS1_14transform_implILb0ES3_SA_NS6_6detail15normal_iteratorINS6_10device_ptrIS9_EEEENSD_INSE_IiEEEEZNS1_13binary_searchIS3_SA_SG_SG_SI_NS1_21upper_bound_search_opENSC_16wrapped_functionINS0_4lessIvEEbEEEE10hipError_tPvRmT1_T2_T3_mmT4_T5_P12ihipStream_tbEUlRKS9_E_EESP_ST_SU_mSV_SY_bEUlT_E_NS1_11comp_targetILNS1_3genE4ELNS1_11target_archE910ELNS1_3gpuE8ELNS1_3repE0EEENS1_30default_config_static_selectorELNS0_4arch9wavefront6targetE0EEEvSS_
	.globl	_ZN7rocprim17ROCPRIM_400000_NS6detail17trampoline_kernelINS0_14default_configENS1_27upper_bound_config_selectorIN6thrust23THRUST_200600_302600_NS5tupleIiiNS6_9null_typeES8_S8_S8_S8_S8_S8_S8_EEiEEZNS1_14transform_implILb0ES3_SA_NS6_6detail15normal_iteratorINS6_10device_ptrIS9_EEEENSD_INSE_IiEEEEZNS1_13binary_searchIS3_SA_SG_SG_SI_NS1_21upper_bound_search_opENSC_16wrapped_functionINS0_4lessIvEEbEEEE10hipError_tPvRmT1_T2_T3_mmT4_T5_P12ihipStream_tbEUlRKS9_E_EESP_ST_SU_mSV_SY_bEUlT_E_NS1_11comp_targetILNS1_3genE4ELNS1_11target_archE910ELNS1_3gpuE8ELNS1_3repE0EEENS1_30default_config_static_selectorELNS0_4arch9wavefront6targetE0EEEvSS_
	.p2align	8
	.type	_ZN7rocprim17ROCPRIM_400000_NS6detail17trampoline_kernelINS0_14default_configENS1_27upper_bound_config_selectorIN6thrust23THRUST_200600_302600_NS5tupleIiiNS6_9null_typeES8_S8_S8_S8_S8_S8_S8_EEiEEZNS1_14transform_implILb0ES3_SA_NS6_6detail15normal_iteratorINS6_10device_ptrIS9_EEEENSD_INSE_IiEEEEZNS1_13binary_searchIS3_SA_SG_SG_SI_NS1_21upper_bound_search_opENSC_16wrapped_functionINS0_4lessIvEEbEEEE10hipError_tPvRmT1_T2_T3_mmT4_T5_P12ihipStream_tbEUlRKS9_E_EESP_ST_SU_mSV_SY_bEUlT_E_NS1_11comp_targetILNS1_3genE4ELNS1_11target_archE910ELNS1_3gpuE8ELNS1_3repE0EEENS1_30default_config_static_selectorELNS0_4arch9wavefront6targetE0EEEvSS_,@function
_ZN7rocprim17ROCPRIM_400000_NS6detail17trampoline_kernelINS0_14default_configENS1_27upper_bound_config_selectorIN6thrust23THRUST_200600_302600_NS5tupleIiiNS6_9null_typeES8_S8_S8_S8_S8_S8_S8_EEiEEZNS1_14transform_implILb0ES3_SA_NS6_6detail15normal_iteratorINS6_10device_ptrIS9_EEEENSD_INSE_IiEEEEZNS1_13binary_searchIS3_SA_SG_SG_SI_NS1_21upper_bound_search_opENSC_16wrapped_functionINS0_4lessIvEEbEEEE10hipError_tPvRmT1_T2_T3_mmT4_T5_P12ihipStream_tbEUlRKS9_E_EESP_ST_SU_mSV_SY_bEUlT_E_NS1_11comp_targetILNS1_3genE4ELNS1_11target_archE910ELNS1_3gpuE8ELNS1_3repE0EEENS1_30default_config_static_selectorELNS0_4arch9wavefront6targetE0EEEvSS_: ; @_ZN7rocprim17ROCPRIM_400000_NS6detail17trampoline_kernelINS0_14default_configENS1_27upper_bound_config_selectorIN6thrust23THRUST_200600_302600_NS5tupleIiiNS6_9null_typeES8_S8_S8_S8_S8_S8_S8_EEiEEZNS1_14transform_implILb0ES3_SA_NS6_6detail15normal_iteratorINS6_10device_ptrIS9_EEEENSD_INSE_IiEEEEZNS1_13binary_searchIS3_SA_SG_SG_SI_NS1_21upper_bound_search_opENSC_16wrapped_functionINS0_4lessIvEEbEEEE10hipError_tPvRmT1_T2_T3_mmT4_T5_P12ihipStream_tbEUlRKS9_E_EESP_ST_SU_mSV_SY_bEUlT_E_NS1_11comp_targetILNS1_3genE4ELNS1_11target_archE910ELNS1_3gpuE8ELNS1_3repE0EEENS1_30default_config_static_selectorELNS0_4arch9wavefront6targetE0EEEvSS_
; %bb.0:
	.section	.rodata,"a",@progbits
	.p2align	6, 0x0
	.amdhsa_kernel _ZN7rocprim17ROCPRIM_400000_NS6detail17trampoline_kernelINS0_14default_configENS1_27upper_bound_config_selectorIN6thrust23THRUST_200600_302600_NS5tupleIiiNS6_9null_typeES8_S8_S8_S8_S8_S8_S8_EEiEEZNS1_14transform_implILb0ES3_SA_NS6_6detail15normal_iteratorINS6_10device_ptrIS9_EEEENSD_INSE_IiEEEEZNS1_13binary_searchIS3_SA_SG_SG_SI_NS1_21upper_bound_search_opENSC_16wrapped_functionINS0_4lessIvEEbEEEE10hipError_tPvRmT1_T2_T3_mmT4_T5_P12ihipStream_tbEUlRKS9_E_EESP_ST_SU_mSV_SY_bEUlT_E_NS1_11comp_targetILNS1_3genE4ELNS1_11target_archE910ELNS1_3gpuE8ELNS1_3repE0EEENS1_30default_config_static_selectorELNS0_4arch9wavefront6targetE0EEEvSS_
		.amdhsa_group_segment_fixed_size 0
		.amdhsa_private_segment_fixed_size 0
		.amdhsa_kernarg_size 56
		.amdhsa_user_sgpr_count 6
		.amdhsa_user_sgpr_private_segment_buffer 1
		.amdhsa_user_sgpr_dispatch_ptr 0
		.amdhsa_user_sgpr_queue_ptr 0
		.amdhsa_user_sgpr_kernarg_segment_ptr 1
		.amdhsa_user_sgpr_dispatch_id 0
		.amdhsa_user_sgpr_flat_scratch_init 0
		.amdhsa_user_sgpr_private_segment_size 0
		.amdhsa_wavefront_size32 1
		.amdhsa_uses_dynamic_stack 0
		.amdhsa_system_sgpr_private_segment_wavefront_offset 0
		.amdhsa_system_sgpr_workgroup_id_x 1
		.amdhsa_system_sgpr_workgroup_id_y 0
		.amdhsa_system_sgpr_workgroup_id_z 0
		.amdhsa_system_sgpr_workgroup_info 0
		.amdhsa_system_vgpr_workitem_id 0
		.amdhsa_next_free_vgpr 1
		.amdhsa_next_free_sgpr 1
		.amdhsa_reserve_vcc 0
		.amdhsa_reserve_flat_scratch 0
		.amdhsa_float_round_mode_32 0
		.amdhsa_float_round_mode_16_64 0
		.amdhsa_float_denorm_mode_32 3
		.amdhsa_float_denorm_mode_16_64 3
		.amdhsa_dx10_clamp 1
		.amdhsa_ieee_mode 1
		.amdhsa_fp16_overflow 0
		.amdhsa_workgroup_processor_mode 1
		.amdhsa_memory_ordered 1
		.amdhsa_forward_progress 1
		.amdhsa_shared_vgpr_count 0
		.amdhsa_exception_fp_ieee_invalid_op 0
		.amdhsa_exception_fp_denorm_src 0
		.amdhsa_exception_fp_ieee_div_zero 0
		.amdhsa_exception_fp_ieee_overflow 0
		.amdhsa_exception_fp_ieee_underflow 0
		.amdhsa_exception_fp_ieee_inexact 0
		.amdhsa_exception_int_div_zero 0
	.end_amdhsa_kernel
	.section	.text._ZN7rocprim17ROCPRIM_400000_NS6detail17trampoline_kernelINS0_14default_configENS1_27upper_bound_config_selectorIN6thrust23THRUST_200600_302600_NS5tupleIiiNS6_9null_typeES8_S8_S8_S8_S8_S8_S8_EEiEEZNS1_14transform_implILb0ES3_SA_NS6_6detail15normal_iteratorINS6_10device_ptrIS9_EEEENSD_INSE_IiEEEEZNS1_13binary_searchIS3_SA_SG_SG_SI_NS1_21upper_bound_search_opENSC_16wrapped_functionINS0_4lessIvEEbEEEE10hipError_tPvRmT1_T2_T3_mmT4_T5_P12ihipStream_tbEUlRKS9_E_EESP_ST_SU_mSV_SY_bEUlT_E_NS1_11comp_targetILNS1_3genE4ELNS1_11target_archE910ELNS1_3gpuE8ELNS1_3repE0EEENS1_30default_config_static_selectorELNS0_4arch9wavefront6targetE0EEEvSS_,"axG",@progbits,_ZN7rocprim17ROCPRIM_400000_NS6detail17trampoline_kernelINS0_14default_configENS1_27upper_bound_config_selectorIN6thrust23THRUST_200600_302600_NS5tupleIiiNS6_9null_typeES8_S8_S8_S8_S8_S8_S8_EEiEEZNS1_14transform_implILb0ES3_SA_NS6_6detail15normal_iteratorINS6_10device_ptrIS9_EEEENSD_INSE_IiEEEEZNS1_13binary_searchIS3_SA_SG_SG_SI_NS1_21upper_bound_search_opENSC_16wrapped_functionINS0_4lessIvEEbEEEE10hipError_tPvRmT1_T2_T3_mmT4_T5_P12ihipStream_tbEUlRKS9_E_EESP_ST_SU_mSV_SY_bEUlT_E_NS1_11comp_targetILNS1_3genE4ELNS1_11target_archE910ELNS1_3gpuE8ELNS1_3repE0EEENS1_30default_config_static_selectorELNS0_4arch9wavefront6targetE0EEEvSS_,comdat
.Lfunc_end619:
	.size	_ZN7rocprim17ROCPRIM_400000_NS6detail17trampoline_kernelINS0_14default_configENS1_27upper_bound_config_selectorIN6thrust23THRUST_200600_302600_NS5tupleIiiNS6_9null_typeES8_S8_S8_S8_S8_S8_S8_EEiEEZNS1_14transform_implILb0ES3_SA_NS6_6detail15normal_iteratorINS6_10device_ptrIS9_EEEENSD_INSE_IiEEEEZNS1_13binary_searchIS3_SA_SG_SG_SI_NS1_21upper_bound_search_opENSC_16wrapped_functionINS0_4lessIvEEbEEEE10hipError_tPvRmT1_T2_T3_mmT4_T5_P12ihipStream_tbEUlRKS9_E_EESP_ST_SU_mSV_SY_bEUlT_E_NS1_11comp_targetILNS1_3genE4ELNS1_11target_archE910ELNS1_3gpuE8ELNS1_3repE0EEENS1_30default_config_static_selectorELNS0_4arch9wavefront6targetE0EEEvSS_, .Lfunc_end619-_ZN7rocprim17ROCPRIM_400000_NS6detail17trampoline_kernelINS0_14default_configENS1_27upper_bound_config_selectorIN6thrust23THRUST_200600_302600_NS5tupleIiiNS6_9null_typeES8_S8_S8_S8_S8_S8_S8_EEiEEZNS1_14transform_implILb0ES3_SA_NS6_6detail15normal_iteratorINS6_10device_ptrIS9_EEEENSD_INSE_IiEEEEZNS1_13binary_searchIS3_SA_SG_SG_SI_NS1_21upper_bound_search_opENSC_16wrapped_functionINS0_4lessIvEEbEEEE10hipError_tPvRmT1_T2_T3_mmT4_T5_P12ihipStream_tbEUlRKS9_E_EESP_ST_SU_mSV_SY_bEUlT_E_NS1_11comp_targetILNS1_3genE4ELNS1_11target_archE910ELNS1_3gpuE8ELNS1_3repE0EEENS1_30default_config_static_selectorELNS0_4arch9wavefront6targetE0EEEvSS_
                                        ; -- End function
	.set _ZN7rocprim17ROCPRIM_400000_NS6detail17trampoline_kernelINS0_14default_configENS1_27upper_bound_config_selectorIN6thrust23THRUST_200600_302600_NS5tupleIiiNS6_9null_typeES8_S8_S8_S8_S8_S8_S8_EEiEEZNS1_14transform_implILb0ES3_SA_NS6_6detail15normal_iteratorINS6_10device_ptrIS9_EEEENSD_INSE_IiEEEEZNS1_13binary_searchIS3_SA_SG_SG_SI_NS1_21upper_bound_search_opENSC_16wrapped_functionINS0_4lessIvEEbEEEE10hipError_tPvRmT1_T2_T3_mmT4_T5_P12ihipStream_tbEUlRKS9_E_EESP_ST_SU_mSV_SY_bEUlT_E_NS1_11comp_targetILNS1_3genE4ELNS1_11target_archE910ELNS1_3gpuE8ELNS1_3repE0EEENS1_30default_config_static_selectorELNS0_4arch9wavefront6targetE0EEEvSS_.num_vgpr, 0
	.set _ZN7rocprim17ROCPRIM_400000_NS6detail17trampoline_kernelINS0_14default_configENS1_27upper_bound_config_selectorIN6thrust23THRUST_200600_302600_NS5tupleIiiNS6_9null_typeES8_S8_S8_S8_S8_S8_S8_EEiEEZNS1_14transform_implILb0ES3_SA_NS6_6detail15normal_iteratorINS6_10device_ptrIS9_EEEENSD_INSE_IiEEEEZNS1_13binary_searchIS3_SA_SG_SG_SI_NS1_21upper_bound_search_opENSC_16wrapped_functionINS0_4lessIvEEbEEEE10hipError_tPvRmT1_T2_T3_mmT4_T5_P12ihipStream_tbEUlRKS9_E_EESP_ST_SU_mSV_SY_bEUlT_E_NS1_11comp_targetILNS1_3genE4ELNS1_11target_archE910ELNS1_3gpuE8ELNS1_3repE0EEENS1_30default_config_static_selectorELNS0_4arch9wavefront6targetE0EEEvSS_.num_agpr, 0
	.set _ZN7rocprim17ROCPRIM_400000_NS6detail17trampoline_kernelINS0_14default_configENS1_27upper_bound_config_selectorIN6thrust23THRUST_200600_302600_NS5tupleIiiNS6_9null_typeES8_S8_S8_S8_S8_S8_S8_EEiEEZNS1_14transform_implILb0ES3_SA_NS6_6detail15normal_iteratorINS6_10device_ptrIS9_EEEENSD_INSE_IiEEEEZNS1_13binary_searchIS3_SA_SG_SG_SI_NS1_21upper_bound_search_opENSC_16wrapped_functionINS0_4lessIvEEbEEEE10hipError_tPvRmT1_T2_T3_mmT4_T5_P12ihipStream_tbEUlRKS9_E_EESP_ST_SU_mSV_SY_bEUlT_E_NS1_11comp_targetILNS1_3genE4ELNS1_11target_archE910ELNS1_3gpuE8ELNS1_3repE0EEENS1_30default_config_static_selectorELNS0_4arch9wavefront6targetE0EEEvSS_.numbered_sgpr, 0
	.set _ZN7rocprim17ROCPRIM_400000_NS6detail17trampoline_kernelINS0_14default_configENS1_27upper_bound_config_selectorIN6thrust23THRUST_200600_302600_NS5tupleIiiNS6_9null_typeES8_S8_S8_S8_S8_S8_S8_EEiEEZNS1_14transform_implILb0ES3_SA_NS6_6detail15normal_iteratorINS6_10device_ptrIS9_EEEENSD_INSE_IiEEEEZNS1_13binary_searchIS3_SA_SG_SG_SI_NS1_21upper_bound_search_opENSC_16wrapped_functionINS0_4lessIvEEbEEEE10hipError_tPvRmT1_T2_T3_mmT4_T5_P12ihipStream_tbEUlRKS9_E_EESP_ST_SU_mSV_SY_bEUlT_E_NS1_11comp_targetILNS1_3genE4ELNS1_11target_archE910ELNS1_3gpuE8ELNS1_3repE0EEENS1_30default_config_static_selectorELNS0_4arch9wavefront6targetE0EEEvSS_.num_named_barrier, 0
	.set _ZN7rocprim17ROCPRIM_400000_NS6detail17trampoline_kernelINS0_14default_configENS1_27upper_bound_config_selectorIN6thrust23THRUST_200600_302600_NS5tupleIiiNS6_9null_typeES8_S8_S8_S8_S8_S8_S8_EEiEEZNS1_14transform_implILb0ES3_SA_NS6_6detail15normal_iteratorINS6_10device_ptrIS9_EEEENSD_INSE_IiEEEEZNS1_13binary_searchIS3_SA_SG_SG_SI_NS1_21upper_bound_search_opENSC_16wrapped_functionINS0_4lessIvEEbEEEE10hipError_tPvRmT1_T2_T3_mmT4_T5_P12ihipStream_tbEUlRKS9_E_EESP_ST_SU_mSV_SY_bEUlT_E_NS1_11comp_targetILNS1_3genE4ELNS1_11target_archE910ELNS1_3gpuE8ELNS1_3repE0EEENS1_30default_config_static_selectorELNS0_4arch9wavefront6targetE0EEEvSS_.private_seg_size, 0
	.set _ZN7rocprim17ROCPRIM_400000_NS6detail17trampoline_kernelINS0_14default_configENS1_27upper_bound_config_selectorIN6thrust23THRUST_200600_302600_NS5tupleIiiNS6_9null_typeES8_S8_S8_S8_S8_S8_S8_EEiEEZNS1_14transform_implILb0ES3_SA_NS6_6detail15normal_iteratorINS6_10device_ptrIS9_EEEENSD_INSE_IiEEEEZNS1_13binary_searchIS3_SA_SG_SG_SI_NS1_21upper_bound_search_opENSC_16wrapped_functionINS0_4lessIvEEbEEEE10hipError_tPvRmT1_T2_T3_mmT4_T5_P12ihipStream_tbEUlRKS9_E_EESP_ST_SU_mSV_SY_bEUlT_E_NS1_11comp_targetILNS1_3genE4ELNS1_11target_archE910ELNS1_3gpuE8ELNS1_3repE0EEENS1_30default_config_static_selectorELNS0_4arch9wavefront6targetE0EEEvSS_.uses_vcc, 0
	.set _ZN7rocprim17ROCPRIM_400000_NS6detail17trampoline_kernelINS0_14default_configENS1_27upper_bound_config_selectorIN6thrust23THRUST_200600_302600_NS5tupleIiiNS6_9null_typeES8_S8_S8_S8_S8_S8_S8_EEiEEZNS1_14transform_implILb0ES3_SA_NS6_6detail15normal_iteratorINS6_10device_ptrIS9_EEEENSD_INSE_IiEEEEZNS1_13binary_searchIS3_SA_SG_SG_SI_NS1_21upper_bound_search_opENSC_16wrapped_functionINS0_4lessIvEEbEEEE10hipError_tPvRmT1_T2_T3_mmT4_T5_P12ihipStream_tbEUlRKS9_E_EESP_ST_SU_mSV_SY_bEUlT_E_NS1_11comp_targetILNS1_3genE4ELNS1_11target_archE910ELNS1_3gpuE8ELNS1_3repE0EEENS1_30default_config_static_selectorELNS0_4arch9wavefront6targetE0EEEvSS_.uses_flat_scratch, 0
	.set _ZN7rocprim17ROCPRIM_400000_NS6detail17trampoline_kernelINS0_14default_configENS1_27upper_bound_config_selectorIN6thrust23THRUST_200600_302600_NS5tupleIiiNS6_9null_typeES8_S8_S8_S8_S8_S8_S8_EEiEEZNS1_14transform_implILb0ES3_SA_NS6_6detail15normal_iteratorINS6_10device_ptrIS9_EEEENSD_INSE_IiEEEEZNS1_13binary_searchIS3_SA_SG_SG_SI_NS1_21upper_bound_search_opENSC_16wrapped_functionINS0_4lessIvEEbEEEE10hipError_tPvRmT1_T2_T3_mmT4_T5_P12ihipStream_tbEUlRKS9_E_EESP_ST_SU_mSV_SY_bEUlT_E_NS1_11comp_targetILNS1_3genE4ELNS1_11target_archE910ELNS1_3gpuE8ELNS1_3repE0EEENS1_30default_config_static_selectorELNS0_4arch9wavefront6targetE0EEEvSS_.has_dyn_sized_stack, 0
	.set _ZN7rocprim17ROCPRIM_400000_NS6detail17trampoline_kernelINS0_14default_configENS1_27upper_bound_config_selectorIN6thrust23THRUST_200600_302600_NS5tupleIiiNS6_9null_typeES8_S8_S8_S8_S8_S8_S8_EEiEEZNS1_14transform_implILb0ES3_SA_NS6_6detail15normal_iteratorINS6_10device_ptrIS9_EEEENSD_INSE_IiEEEEZNS1_13binary_searchIS3_SA_SG_SG_SI_NS1_21upper_bound_search_opENSC_16wrapped_functionINS0_4lessIvEEbEEEE10hipError_tPvRmT1_T2_T3_mmT4_T5_P12ihipStream_tbEUlRKS9_E_EESP_ST_SU_mSV_SY_bEUlT_E_NS1_11comp_targetILNS1_3genE4ELNS1_11target_archE910ELNS1_3gpuE8ELNS1_3repE0EEENS1_30default_config_static_selectorELNS0_4arch9wavefront6targetE0EEEvSS_.has_recursion, 0
	.set _ZN7rocprim17ROCPRIM_400000_NS6detail17trampoline_kernelINS0_14default_configENS1_27upper_bound_config_selectorIN6thrust23THRUST_200600_302600_NS5tupleIiiNS6_9null_typeES8_S8_S8_S8_S8_S8_S8_EEiEEZNS1_14transform_implILb0ES3_SA_NS6_6detail15normal_iteratorINS6_10device_ptrIS9_EEEENSD_INSE_IiEEEEZNS1_13binary_searchIS3_SA_SG_SG_SI_NS1_21upper_bound_search_opENSC_16wrapped_functionINS0_4lessIvEEbEEEE10hipError_tPvRmT1_T2_T3_mmT4_T5_P12ihipStream_tbEUlRKS9_E_EESP_ST_SU_mSV_SY_bEUlT_E_NS1_11comp_targetILNS1_3genE4ELNS1_11target_archE910ELNS1_3gpuE8ELNS1_3repE0EEENS1_30default_config_static_selectorELNS0_4arch9wavefront6targetE0EEEvSS_.has_indirect_call, 0
	.section	.AMDGPU.csdata,"",@progbits
; Kernel info:
; codeLenInByte = 0
; TotalNumSgprs: 0
; NumVgprs: 0
; ScratchSize: 0
; MemoryBound: 0
; FloatMode: 240
; IeeeMode: 1
; LDSByteSize: 0 bytes/workgroup (compile time only)
; SGPRBlocks: 0
; VGPRBlocks: 0
; NumSGPRsForWavesPerEU: 1
; NumVGPRsForWavesPerEU: 1
; Occupancy: 16
; WaveLimiterHint : 0
; COMPUTE_PGM_RSRC2:SCRATCH_EN: 0
; COMPUTE_PGM_RSRC2:USER_SGPR: 6
; COMPUTE_PGM_RSRC2:TRAP_HANDLER: 0
; COMPUTE_PGM_RSRC2:TGID_X_EN: 1
; COMPUTE_PGM_RSRC2:TGID_Y_EN: 0
; COMPUTE_PGM_RSRC2:TGID_Z_EN: 0
; COMPUTE_PGM_RSRC2:TIDIG_COMP_CNT: 0
	.section	.text._ZN7rocprim17ROCPRIM_400000_NS6detail17trampoline_kernelINS0_14default_configENS1_27upper_bound_config_selectorIN6thrust23THRUST_200600_302600_NS5tupleIiiNS6_9null_typeES8_S8_S8_S8_S8_S8_S8_EEiEEZNS1_14transform_implILb0ES3_SA_NS6_6detail15normal_iteratorINS6_10device_ptrIS9_EEEENSD_INSE_IiEEEEZNS1_13binary_searchIS3_SA_SG_SG_SI_NS1_21upper_bound_search_opENSC_16wrapped_functionINS0_4lessIvEEbEEEE10hipError_tPvRmT1_T2_T3_mmT4_T5_P12ihipStream_tbEUlRKS9_E_EESP_ST_SU_mSV_SY_bEUlT_E_NS1_11comp_targetILNS1_3genE3ELNS1_11target_archE908ELNS1_3gpuE7ELNS1_3repE0EEENS1_30default_config_static_selectorELNS0_4arch9wavefront6targetE0EEEvSS_,"axG",@progbits,_ZN7rocprim17ROCPRIM_400000_NS6detail17trampoline_kernelINS0_14default_configENS1_27upper_bound_config_selectorIN6thrust23THRUST_200600_302600_NS5tupleIiiNS6_9null_typeES8_S8_S8_S8_S8_S8_S8_EEiEEZNS1_14transform_implILb0ES3_SA_NS6_6detail15normal_iteratorINS6_10device_ptrIS9_EEEENSD_INSE_IiEEEEZNS1_13binary_searchIS3_SA_SG_SG_SI_NS1_21upper_bound_search_opENSC_16wrapped_functionINS0_4lessIvEEbEEEE10hipError_tPvRmT1_T2_T3_mmT4_T5_P12ihipStream_tbEUlRKS9_E_EESP_ST_SU_mSV_SY_bEUlT_E_NS1_11comp_targetILNS1_3genE3ELNS1_11target_archE908ELNS1_3gpuE7ELNS1_3repE0EEENS1_30default_config_static_selectorELNS0_4arch9wavefront6targetE0EEEvSS_,comdat
	.protected	_ZN7rocprim17ROCPRIM_400000_NS6detail17trampoline_kernelINS0_14default_configENS1_27upper_bound_config_selectorIN6thrust23THRUST_200600_302600_NS5tupleIiiNS6_9null_typeES8_S8_S8_S8_S8_S8_S8_EEiEEZNS1_14transform_implILb0ES3_SA_NS6_6detail15normal_iteratorINS6_10device_ptrIS9_EEEENSD_INSE_IiEEEEZNS1_13binary_searchIS3_SA_SG_SG_SI_NS1_21upper_bound_search_opENSC_16wrapped_functionINS0_4lessIvEEbEEEE10hipError_tPvRmT1_T2_T3_mmT4_T5_P12ihipStream_tbEUlRKS9_E_EESP_ST_SU_mSV_SY_bEUlT_E_NS1_11comp_targetILNS1_3genE3ELNS1_11target_archE908ELNS1_3gpuE7ELNS1_3repE0EEENS1_30default_config_static_selectorELNS0_4arch9wavefront6targetE0EEEvSS_ ; -- Begin function _ZN7rocprim17ROCPRIM_400000_NS6detail17trampoline_kernelINS0_14default_configENS1_27upper_bound_config_selectorIN6thrust23THRUST_200600_302600_NS5tupleIiiNS6_9null_typeES8_S8_S8_S8_S8_S8_S8_EEiEEZNS1_14transform_implILb0ES3_SA_NS6_6detail15normal_iteratorINS6_10device_ptrIS9_EEEENSD_INSE_IiEEEEZNS1_13binary_searchIS3_SA_SG_SG_SI_NS1_21upper_bound_search_opENSC_16wrapped_functionINS0_4lessIvEEbEEEE10hipError_tPvRmT1_T2_T3_mmT4_T5_P12ihipStream_tbEUlRKS9_E_EESP_ST_SU_mSV_SY_bEUlT_E_NS1_11comp_targetILNS1_3genE3ELNS1_11target_archE908ELNS1_3gpuE7ELNS1_3repE0EEENS1_30default_config_static_selectorELNS0_4arch9wavefront6targetE0EEEvSS_
	.globl	_ZN7rocprim17ROCPRIM_400000_NS6detail17trampoline_kernelINS0_14default_configENS1_27upper_bound_config_selectorIN6thrust23THRUST_200600_302600_NS5tupleIiiNS6_9null_typeES8_S8_S8_S8_S8_S8_S8_EEiEEZNS1_14transform_implILb0ES3_SA_NS6_6detail15normal_iteratorINS6_10device_ptrIS9_EEEENSD_INSE_IiEEEEZNS1_13binary_searchIS3_SA_SG_SG_SI_NS1_21upper_bound_search_opENSC_16wrapped_functionINS0_4lessIvEEbEEEE10hipError_tPvRmT1_T2_T3_mmT4_T5_P12ihipStream_tbEUlRKS9_E_EESP_ST_SU_mSV_SY_bEUlT_E_NS1_11comp_targetILNS1_3genE3ELNS1_11target_archE908ELNS1_3gpuE7ELNS1_3repE0EEENS1_30default_config_static_selectorELNS0_4arch9wavefront6targetE0EEEvSS_
	.p2align	8
	.type	_ZN7rocprim17ROCPRIM_400000_NS6detail17trampoline_kernelINS0_14default_configENS1_27upper_bound_config_selectorIN6thrust23THRUST_200600_302600_NS5tupleIiiNS6_9null_typeES8_S8_S8_S8_S8_S8_S8_EEiEEZNS1_14transform_implILb0ES3_SA_NS6_6detail15normal_iteratorINS6_10device_ptrIS9_EEEENSD_INSE_IiEEEEZNS1_13binary_searchIS3_SA_SG_SG_SI_NS1_21upper_bound_search_opENSC_16wrapped_functionINS0_4lessIvEEbEEEE10hipError_tPvRmT1_T2_T3_mmT4_T5_P12ihipStream_tbEUlRKS9_E_EESP_ST_SU_mSV_SY_bEUlT_E_NS1_11comp_targetILNS1_3genE3ELNS1_11target_archE908ELNS1_3gpuE7ELNS1_3repE0EEENS1_30default_config_static_selectorELNS0_4arch9wavefront6targetE0EEEvSS_,@function
_ZN7rocprim17ROCPRIM_400000_NS6detail17trampoline_kernelINS0_14default_configENS1_27upper_bound_config_selectorIN6thrust23THRUST_200600_302600_NS5tupleIiiNS6_9null_typeES8_S8_S8_S8_S8_S8_S8_EEiEEZNS1_14transform_implILb0ES3_SA_NS6_6detail15normal_iteratorINS6_10device_ptrIS9_EEEENSD_INSE_IiEEEEZNS1_13binary_searchIS3_SA_SG_SG_SI_NS1_21upper_bound_search_opENSC_16wrapped_functionINS0_4lessIvEEbEEEE10hipError_tPvRmT1_T2_T3_mmT4_T5_P12ihipStream_tbEUlRKS9_E_EESP_ST_SU_mSV_SY_bEUlT_E_NS1_11comp_targetILNS1_3genE3ELNS1_11target_archE908ELNS1_3gpuE7ELNS1_3repE0EEENS1_30default_config_static_selectorELNS0_4arch9wavefront6targetE0EEEvSS_: ; @_ZN7rocprim17ROCPRIM_400000_NS6detail17trampoline_kernelINS0_14default_configENS1_27upper_bound_config_selectorIN6thrust23THRUST_200600_302600_NS5tupleIiiNS6_9null_typeES8_S8_S8_S8_S8_S8_S8_EEiEEZNS1_14transform_implILb0ES3_SA_NS6_6detail15normal_iteratorINS6_10device_ptrIS9_EEEENSD_INSE_IiEEEEZNS1_13binary_searchIS3_SA_SG_SG_SI_NS1_21upper_bound_search_opENSC_16wrapped_functionINS0_4lessIvEEbEEEE10hipError_tPvRmT1_T2_T3_mmT4_T5_P12ihipStream_tbEUlRKS9_E_EESP_ST_SU_mSV_SY_bEUlT_E_NS1_11comp_targetILNS1_3genE3ELNS1_11target_archE908ELNS1_3gpuE7ELNS1_3repE0EEENS1_30default_config_static_selectorELNS0_4arch9wavefront6targetE0EEEvSS_
; %bb.0:
	.section	.rodata,"a",@progbits
	.p2align	6, 0x0
	.amdhsa_kernel _ZN7rocprim17ROCPRIM_400000_NS6detail17trampoline_kernelINS0_14default_configENS1_27upper_bound_config_selectorIN6thrust23THRUST_200600_302600_NS5tupleIiiNS6_9null_typeES8_S8_S8_S8_S8_S8_S8_EEiEEZNS1_14transform_implILb0ES3_SA_NS6_6detail15normal_iteratorINS6_10device_ptrIS9_EEEENSD_INSE_IiEEEEZNS1_13binary_searchIS3_SA_SG_SG_SI_NS1_21upper_bound_search_opENSC_16wrapped_functionINS0_4lessIvEEbEEEE10hipError_tPvRmT1_T2_T3_mmT4_T5_P12ihipStream_tbEUlRKS9_E_EESP_ST_SU_mSV_SY_bEUlT_E_NS1_11comp_targetILNS1_3genE3ELNS1_11target_archE908ELNS1_3gpuE7ELNS1_3repE0EEENS1_30default_config_static_selectorELNS0_4arch9wavefront6targetE0EEEvSS_
		.amdhsa_group_segment_fixed_size 0
		.amdhsa_private_segment_fixed_size 0
		.amdhsa_kernarg_size 56
		.amdhsa_user_sgpr_count 6
		.amdhsa_user_sgpr_private_segment_buffer 1
		.amdhsa_user_sgpr_dispatch_ptr 0
		.amdhsa_user_sgpr_queue_ptr 0
		.amdhsa_user_sgpr_kernarg_segment_ptr 1
		.amdhsa_user_sgpr_dispatch_id 0
		.amdhsa_user_sgpr_flat_scratch_init 0
		.amdhsa_user_sgpr_private_segment_size 0
		.amdhsa_wavefront_size32 1
		.amdhsa_uses_dynamic_stack 0
		.amdhsa_system_sgpr_private_segment_wavefront_offset 0
		.amdhsa_system_sgpr_workgroup_id_x 1
		.amdhsa_system_sgpr_workgroup_id_y 0
		.amdhsa_system_sgpr_workgroup_id_z 0
		.amdhsa_system_sgpr_workgroup_info 0
		.amdhsa_system_vgpr_workitem_id 0
		.amdhsa_next_free_vgpr 1
		.amdhsa_next_free_sgpr 1
		.amdhsa_reserve_vcc 0
		.amdhsa_reserve_flat_scratch 0
		.amdhsa_float_round_mode_32 0
		.amdhsa_float_round_mode_16_64 0
		.amdhsa_float_denorm_mode_32 3
		.amdhsa_float_denorm_mode_16_64 3
		.amdhsa_dx10_clamp 1
		.amdhsa_ieee_mode 1
		.amdhsa_fp16_overflow 0
		.amdhsa_workgroup_processor_mode 1
		.amdhsa_memory_ordered 1
		.amdhsa_forward_progress 1
		.amdhsa_shared_vgpr_count 0
		.amdhsa_exception_fp_ieee_invalid_op 0
		.amdhsa_exception_fp_denorm_src 0
		.amdhsa_exception_fp_ieee_div_zero 0
		.amdhsa_exception_fp_ieee_overflow 0
		.amdhsa_exception_fp_ieee_underflow 0
		.amdhsa_exception_fp_ieee_inexact 0
		.amdhsa_exception_int_div_zero 0
	.end_amdhsa_kernel
	.section	.text._ZN7rocprim17ROCPRIM_400000_NS6detail17trampoline_kernelINS0_14default_configENS1_27upper_bound_config_selectorIN6thrust23THRUST_200600_302600_NS5tupleIiiNS6_9null_typeES8_S8_S8_S8_S8_S8_S8_EEiEEZNS1_14transform_implILb0ES3_SA_NS6_6detail15normal_iteratorINS6_10device_ptrIS9_EEEENSD_INSE_IiEEEEZNS1_13binary_searchIS3_SA_SG_SG_SI_NS1_21upper_bound_search_opENSC_16wrapped_functionINS0_4lessIvEEbEEEE10hipError_tPvRmT1_T2_T3_mmT4_T5_P12ihipStream_tbEUlRKS9_E_EESP_ST_SU_mSV_SY_bEUlT_E_NS1_11comp_targetILNS1_3genE3ELNS1_11target_archE908ELNS1_3gpuE7ELNS1_3repE0EEENS1_30default_config_static_selectorELNS0_4arch9wavefront6targetE0EEEvSS_,"axG",@progbits,_ZN7rocprim17ROCPRIM_400000_NS6detail17trampoline_kernelINS0_14default_configENS1_27upper_bound_config_selectorIN6thrust23THRUST_200600_302600_NS5tupleIiiNS6_9null_typeES8_S8_S8_S8_S8_S8_S8_EEiEEZNS1_14transform_implILb0ES3_SA_NS6_6detail15normal_iteratorINS6_10device_ptrIS9_EEEENSD_INSE_IiEEEEZNS1_13binary_searchIS3_SA_SG_SG_SI_NS1_21upper_bound_search_opENSC_16wrapped_functionINS0_4lessIvEEbEEEE10hipError_tPvRmT1_T2_T3_mmT4_T5_P12ihipStream_tbEUlRKS9_E_EESP_ST_SU_mSV_SY_bEUlT_E_NS1_11comp_targetILNS1_3genE3ELNS1_11target_archE908ELNS1_3gpuE7ELNS1_3repE0EEENS1_30default_config_static_selectorELNS0_4arch9wavefront6targetE0EEEvSS_,comdat
.Lfunc_end620:
	.size	_ZN7rocprim17ROCPRIM_400000_NS6detail17trampoline_kernelINS0_14default_configENS1_27upper_bound_config_selectorIN6thrust23THRUST_200600_302600_NS5tupleIiiNS6_9null_typeES8_S8_S8_S8_S8_S8_S8_EEiEEZNS1_14transform_implILb0ES3_SA_NS6_6detail15normal_iteratorINS6_10device_ptrIS9_EEEENSD_INSE_IiEEEEZNS1_13binary_searchIS3_SA_SG_SG_SI_NS1_21upper_bound_search_opENSC_16wrapped_functionINS0_4lessIvEEbEEEE10hipError_tPvRmT1_T2_T3_mmT4_T5_P12ihipStream_tbEUlRKS9_E_EESP_ST_SU_mSV_SY_bEUlT_E_NS1_11comp_targetILNS1_3genE3ELNS1_11target_archE908ELNS1_3gpuE7ELNS1_3repE0EEENS1_30default_config_static_selectorELNS0_4arch9wavefront6targetE0EEEvSS_, .Lfunc_end620-_ZN7rocprim17ROCPRIM_400000_NS6detail17trampoline_kernelINS0_14default_configENS1_27upper_bound_config_selectorIN6thrust23THRUST_200600_302600_NS5tupleIiiNS6_9null_typeES8_S8_S8_S8_S8_S8_S8_EEiEEZNS1_14transform_implILb0ES3_SA_NS6_6detail15normal_iteratorINS6_10device_ptrIS9_EEEENSD_INSE_IiEEEEZNS1_13binary_searchIS3_SA_SG_SG_SI_NS1_21upper_bound_search_opENSC_16wrapped_functionINS0_4lessIvEEbEEEE10hipError_tPvRmT1_T2_T3_mmT4_T5_P12ihipStream_tbEUlRKS9_E_EESP_ST_SU_mSV_SY_bEUlT_E_NS1_11comp_targetILNS1_3genE3ELNS1_11target_archE908ELNS1_3gpuE7ELNS1_3repE0EEENS1_30default_config_static_selectorELNS0_4arch9wavefront6targetE0EEEvSS_
                                        ; -- End function
	.set _ZN7rocprim17ROCPRIM_400000_NS6detail17trampoline_kernelINS0_14default_configENS1_27upper_bound_config_selectorIN6thrust23THRUST_200600_302600_NS5tupleIiiNS6_9null_typeES8_S8_S8_S8_S8_S8_S8_EEiEEZNS1_14transform_implILb0ES3_SA_NS6_6detail15normal_iteratorINS6_10device_ptrIS9_EEEENSD_INSE_IiEEEEZNS1_13binary_searchIS3_SA_SG_SG_SI_NS1_21upper_bound_search_opENSC_16wrapped_functionINS0_4lessIvEEbEEEE10hipError_tPvRmT1_T2_T3_mmT4_T5_P12ihipStream_tbEUlRKS9_E_EESP_ST_SU_mSV_SY_bEUlT_E_NS1_11comp_targetILNS1_3genE3ELNS1_11target_archE908ELNS1_3gpuE7ELNS1_3repE0EEENS1_30default_config_static_selectorELNS0_4arch9wavefront6targetE0EEEvSS_.num_vgpr, 0
	.set _ZN7rocprim17ROCPRIM_400000_NS6detail17trampoline_kernelINS0_14default_configENS1_27upper_bound_config_selectorIN6thrust23THRUST_200600_302600_NS5tupleIiiNS6_9null_typeES8_S8_S8_S8_S8_S8_S8_EEiEEZNS1_14transform_implILb0ES3_SA_NS6_6detail15normal_iteratorINS6_10device_ptrIS9_EEEENSD_INSE_IiEEEEZNS1_13binary_searchIS3_SA_SG_SG_SI_NS1_21upper_bound_search_opENSC_16wrapped_functionINS0_4lessIvEEbEEEE10hipError_tPvRmT1_T2_T3_mmT4_T5_P12ihipStream_tbEUlRKS9_E_EESP_ST_SU_mSV_SY_bEUlT_E_NS1_11comp_targetILNS1_3genE3ELNS1_11target_archE908ELNS1_3gpuE7ELNS1_3repE0EEENS1_30default_config_static_selectorELNS0_4arch9wavefront6targetE0EEEvSS_.num_agpr, 0
	.set _ZN7rocprim17ROCPRIM_400000_NS6detail17trampoline_kernelINS0_14default_configENS1_27upper_bound_config_selectorIN6thrust23THRUST_200600_302600_NS5tupleIiiNS6_9null_typeES8_S8_S8_S8_S8_S8_S8_EEiEEZNS1_14transform_implILb0ES3_SA_NS6_6detail15normal_iteratorINS6_10device_ptrIS9_EEEENSD_INSE_IiEEEEZNS1_13binary_searchIS3_SA_SG_SG_SI_NS1_21upper_bound_search_opENSC_16wrapped_functionINS0_4lessIvEEbEEEE10hipError_tPvRmT1_T2_T3_mmT4_T5_P12ihipStream_tbEUlRKS9_E_EESP_ST_SU_mSV_SY_bEUlT_E_NS1_11comp_targetILNS1_3genE3ELNS1_11target_archE908ELNS1_3gpuE7ELNS1_3repE0EEENS1_30default_config_static_selectorELNS0_4arch9wavefront6targetE0EEEvSS_.numbered_sgpr, 0
	.set _ZN7rocprim17ROCPRIM_400000_NS6detail17trampoline_kernelINS0_14default_configENS1_27upper_bound_config_selectorIN6thrust23THRUST_200600_302600_NS5tupleIiiNS6_9null_typeES8_S8_S8_S8_S8_S8_S8_EEiEEZNS1_14transform_implILb0ES3_SA_NS6_6detail15normal_iteratorINS6_10device_ptrIS9_EEEENSD_INSE_IiEEEEZNS1_13binary_searchIS3_SA_SG_SG_SI_NS1_21upper_bound_search_opENSC_16wrapped_functionINS0_4lessIvEEbEEEE10hipError_tPvRmT1_T2_T3_mmT4_T5_P12ihipStream_tbEUlRKS9_E_EESP_ST_SU_mSV_SY_bEUlT_E_NS1_11comp_targetILNS1_3genE3ELNS1_11target_archE908ELNS1_3gpuE7ELNS1_3repE0EEENS1_30default_config_static_selectorELNS0_4arch9wavefront6targetE0EEEvSS_.num_named_barrier, 0
	.set _ZN7rocprim17ROCPRIM_400000_NS6detail17trampoline_kernelINS0_14default_configENS1_27upper_bound_config_selectorIN6thrust23THRUST_200600_302600_NS5tupleIiiNS6_9null_typeES8_S8_S8_S8_S8_S8_S8_EEiEEZNS1_14transform_implILb0ES3_SA_NS6_6detail15normal_iteratorINS6_10device_ptrIS9_EEEENSD_INSE_IiEEEEZNS1_13binary_searchIS3_SA_SG_SG_SI_NS1_21upper_bound_search_opENSC_16wrapped_functionINS0_4lessIvEEbEEEE10hipError_tPvRmT1_T2_T3_mmT4_T5_P12ihipStream_tbEUlRKS9_E_EESP_ST_SU_mSV_SY_bEUlT_E_NS1_11comp_targetILNS1_3genE3ELNS1_11target_archE908ELNS1_3gpuE7ELNS1_3repE0EEENS1_30default_config_static_selectorELNS0_4arch9wavefront6targetE0EEEvSS_.private_seg_size, 0
	.set _ZN7rocprim17ROCPRIM_400000_NS6detail17trampoline_kernelINS0_14default_configENS1_27upper_bound_config_selectorIN6thrust23THRUST_200600_302600_NS5tupleIiiNS6_9null_typeES8_S8_S8_S8_S8_S8_S8_EEiEEZNS1_14transform_implILb0ES3_SA_NS6_6detail15normal_iteratorINS6_10device_ptrIS9_EEEENSD_INSE_IiEEEEZNS1_13binary_searchIS3_SA_SG_SG_SI_NS1_21upper_bound_search_opENSC_16wrapped_functionINS0_4lessIvEEbEEEE10hipError_tPvRmT1_T2_T3_mmT4_T5_P12ihipStream_tbEUlRKS9_E_EESP_ST_SU_mSV_SY_bEUlT_E_NS1_11comp_targetILNS1_3genE3ELNS1_11target_archE908ELNS1_3gpuE7ELNS1_3repE0EEENS1_30default_config_static_selectorELNS0_4arch9wavefront6targetE0EEEvSS_.uses_vcc, 0
	.set _ZN7rocprim17ROCPRIM_400000_NS6detail17trampoline_kernelINS0_14default_configENS1_27upper_bound_config_selectorIN6thrust23THRUST_200600_302600_NS5tupleIiiNS6_9null_typeES8_S8_S8_S8_S8_S8_S8_EEiEEZNS1_14transform_implILb0ES3_SA_NS6_6detail15normal_iteratorINS6_10device_ptrIS9_EEEENSD_INSE_IiEEEEZNS1_13binary_searchIS3_SA_SG_SG_SI_NS1_21upper_bound_search_opENSC_16wrapped_functionINS0_4lessIvEEbEEEE10hipError_tPvRmT1_T2_T3_mmT4_T5_P12ihipStream_tbEUlRKS9_E_EESP_ST_SU_mSV_SY_bEUlT_E_NS1_11comp_targetILNS1_3genE3ELNS1_11target_archE908ELNS1_3gpuE7ELNS1_3repE0EEENS1_30default_config_static_selectorELNS0_4arch9wavefront6targetE0EEEvSS_.uses_flat_scratch, 0
	.set _ZN7rocprim17ROCPRIM_400000_NS6detail17trampoline_kernelINS0_14default_configENS1_27upper_bound_config_selectorIN6thrust23THRUST_200600_302600_NS5tupleIiiNS6_9null_typeES8_S8_S8_S8_S8_S8_S8_EEiEEZNS1_14transform_implILb0ES3_SA_NS6_6detail15normal_iteratorINS6_10device_ptrIS9_EEEENSD_INSE_IiEEEEZNS1_13binary_searchIS3_SA_SG_SG_SI_NS1_21upper_bound_search_opENSC_16wrapped_functionINS0_4lessIvEEbEEEE10hipError_tPvRmT1_T2_T3_mmT4_T5_P12ihipStream_tbEUlRKS9_E_EESP_ST_SU_mSV_SY_bEUlT_E_NS1_11comp_targetILNS1_3genE3ELNS1_11target_archE908ELNS1_3gpuE7ELNS1_3repE0EEENS1_30default_config_static_selectorELNS0_4arch9wavefront6targetE0EEEvSS_.has_dyn_sized_stack, 0
	.set _ZN7rocprim17ROCPRIM_400000_NS6detail17trampoline_kernelINS0_14default_configENS1_27upper_bound_config_selectorIN6thrust23THRUST_200600_302600_NS5tupleIiiNS6_9null_typeES8_S8_S8_S8_S8_S8_S8_EEiEEZNS1_14transform_implILb0ES3_SA_NS6_6detail15normal_iteratorINS6_10device_ptrIS9_EEEENSD_INSE_IiEEEEZNS1_13binary_searchIS3_SA_SG_SG_SI_NS1_21upper_bound_search_opENSC_16wrapped_functionINS0_4lessIvEEbEEEE10hipError_tPvRmT1_T2_T3_mmT4_T5_P12ihipStream_tbEUlRKS9_E_EESP_ST_SU_mSV_SY_bEUlT_E_NS1_11comp_targetILNS1_3genE3ELNS1_11target_archE908ELNS1_3gpuE7ELNS1_3repE0EEENS1_30default_config_static_selectorELNS0_4arch9wavefront6targetE0EEEvSS_.has_recursion, 0
	.set _ZN7rocprim17ROCPRIM_400000_NS6detail17trampoline_kernelINS0_14default_configENS1_27upper_bound_config_selectorIN6thrust23THRUST_200600_302600_NS5tupleIiiNS6_9null_typeES8_S8_S8_S8_S8_S8_S8_EEiEEZNS1_14transform_implILb0ES3_SA_NS6_6detail15normal_iteratorINS6_10device_ptrIS9_EEEENSD_INSE_IiEEEEZNS1_13binary_searchIS3_SA_SG_SG_SI_NS1_21upper_bound_search_opENSC_16wrapped_functionINS0_4lessIvEEbEEEE10hipError_tPvRmT1_T2_T3_mmT4_T5_P12ihipStream_tbEUlRKS9_E_EESP_ST_SU_mSV_SY_bEUlT_E_NS1_11comp_targetILNS1_3genE3ELNS1_11target_archE908ELNS1_3gpuE7ELNS1_3repE0EEENS1_30default_config_static_selectorELNS0_4arch9wavefront6targetE0EEEvSS_.has_indirect_call, 0
	.section	.AMDGPU.csdata,"",@progbits
; Kernel info:
; codeLenInByte = 0
; TotalNumSgprs: 0
; NumVgprs: 0
; ScratchSize: 0
; MemoryBound: 0
; FloatMode: 240
; IeeeMode: 1
; LDSByteSize: 0 bytes/workgroup (compile time only)
; SGPRBlocks: 0
; VGPRBlocks: 0
; NumSGPRsForWavesPerEU: 1
; NumVGPRsForWavesPerEU: 1
; Occupancy: 16
; WaveLimiterHint : 0
; COMPUTE_PGM_RSRC2:SCRATCH_EN: 0
; COMPUTE_PGM_RSRC2:USER_SGPR: 6
; COMPUTE_PGM_RSRC2:TRAP_HANDLER: 0
; COMPUTE_PGM_RSRC2:TGID_X_EN: 1
; COMPUTE_PGM_RSRC2:TGID_Y_EN: 0
; COMPUTE_PGM_RSRC2:TGID_Z_EN: 0
; COMPUTE_PGM_RSRC2:TIDIG_COMP_CNT: 0
	.section	.text._ZN7rocprim17ROCPRIM_400000_NS6detail17trampoline_kernelINS0_14default_configENS1_27upper_bound_config_selectorIN6thrust23THRUST_200600_302600_NS5tupleIiiNS6_9null_typeES8_S8_S8_S8_S8_S8_S8_EEiEEZNS1_14transform_implILb0ES3_SA_NS6_6detail15normal_iteratorINS6_10device_ptrIS9_EEEENSD_INSE_IiEEEEZNS1_13binary_searchIS3_SA_SG_SG_SI_NS1_21upper_bound_search_opENSC_16wrapped_functionINS0_4lessIvEEbEEEE10hipError_tPvRmT1_T2_T3_mmT4_T5_P12ihipStream_tbEUlRKS9_E_EESP_ST_SU_mSV_SY_bEUlT_E_NS1_11comp_targetILNS1_3genE2ELNS1_11target_archE906ELNS1_3gpuE6ELNS1_3repE0EEENS1_30default_config_static_selectorELNS0_4arch9wavefront6targetE0EEEvSS_,"axG",@progbits,_ZN7rocprim17ROCPRIM_400000_NS6detail17trampoline_kernelINS0_14default_configENS1_27upper_bound_config_selectorIN6thrust23THRUST_200600_302600_NS5tupleIiiNS6_9null_typeES8_S8_S8_S8_S8_S8_S8_EEiEEZNS1_14transform_implILb0ES3_SA_NS6_6detail15normal_iteratorINS6_10device_ptrIS9_EEEENSD_INSE_IiEEEEZNS1_13binary_searchIS3_SA_SG_SG_SI_NS1_21upper_bound_search_opENSC_16wrapped_functionINS0_4lessIvEEbEEEE10hipError_tPvRmT1_T2_T3_mmT4_T5_P12ihipStream_tbEUlRKS9_E_EESP_ST_SU_mSV_SY_bEUlT_E_NS1_11comp_targetILNS1_3genE2ELNS1_11target_archE906ELNS1_3gpuE6ELNS1_3repE0EEENS1_30default_config_static_selectorELNS0_4arch9wavefront6targetE0EEEvSS_,comdat
	.protected	_ZN7rocprim17ROCPRIM_400000_NS6detail17trampoline_kernelINS0_14default_configENS1_27upper_bound_config_selectorIN6thrust23THRUST_200600_302600_NS5tupleIiiNS6_9null_typeES8_S8_S8_S8_S8_S8_S8_EEiEEZNS1_14transform_implILb0ES3_SA_NS6_6detail15normal_iteratorINS6_10device_ptrIS9_EEEENSD_INSE_IiEEEEZNS1_13binary_searchIS3_SA_SG_SG_SI_NS1_21upper_bound_search_opENSC_16wrapped_functionINS0_4lessIvEEbEEEE10hipError_tPvRmT1_T2_T3_mmT4_T5_P12ihipStream_tbEUlRKS9_E_EESP_ST_SU_mSV_SY_bEUlT_E_NS1_11comp_targetILNS1_3genE2ELNS1_11target_archE906ELNS1_3gpuE6ELNS1_3repE0EEENS1_30default_config_static_selectorELNS0_4arch9wavefront6targetE0EEEvSS_ ; -- Begin function _ZN7rocprim17ROCPRIM_400000_NS6detail17trampoline_kernelINS0_14default_configENS1_27upper_bound_config_selectorIN6thrust23THRUST_200600_302600_NS5tupleIiiNS6_9null_typeES8_S8_S8_S8_S8_S8_S8_EEiEEZNS1_14transform_implILb0ES3_SA_NS6_6detail15normal_iteratorINS6_10device_ptrIS9_EEEENSD_INSE_IiEEEEZNS1_13binary_searchIS3_SA_SG_SG_SI_NS1_21upper_bound_search_opENSC_16wrapped_functionINS0_4lessIvEEbEEEE10hipError_tPvRmT1_T2_T3_mmT4_T5_P12ihipStream_tbEUlRKS9_E_EESP_ST_SU_mSV_SY_bEUlT_E_NS1_11comp_targetILNS1_3genE2ELNS1_11target_archE906ELNS1_3gpuE6ELNS1_3repE0EEENS1_30default_config_static_selectorELNS0_4arch9wavefront6targetE0EEEvSS_
	.globl	_ZN7rocprim17ROCPRIM_400000_NS6detail17trampoline_kernelINS0_14default_configENS1_27upper_bound_config_selectorIN6thrust23THRUST_200600_302600_NS5tupleIiiNS6_9null_typeES8_S8_S8_S8_S8_S8_S8_EEiEEZNS1_14transform_implILb0ES3_SA_NS6_6detail15normal_iteratorINS6_10device_ptrIS9_EEEENSD_INSE_IiEEEEZNS1_13binary_searchIS3_SA_SG_SG_SI_NS1_21upper_bound_search_opENSC_16wrapped_functionINS0_4lessIvEEbEEEE10hipError_tPvRmT1_T2_T3_mmT4_T5_P12ihipStream_tbEUlRKS9_E_EESP_ST_SU_mSV_SY_bEUlT_E_NS1_11comp_targetILNS1_3genE2ELNS1_11target_archE906ELNS1_3gpuE6ELNS1_3repE0EEENS1_30default_config_static_selectorELNS0_4arch9wavefront6targetE0EEEvSS_
	.p2align	8
	.type	_ZN7rocprim17ROCPRIM_400000_NS6detail17trampoline_kernelINS0_14default_configENS1_27upper_bound_config_selectorIN6thrust23THRUST_200600_302600_NS5tupleIiiNS6_9null_typeES8_S8_S8_S8_S8_S8_S8_EEiEEZNS1_14transform_implILb0ES3_SA_NS6_6detail15normal_iteratorINS6_10device_ptrIS9_EEEENSD_INSE_IiEEEEZNS1_13binary_searchIS3_SA_SG_SG_SI_NS1_21upper_bound_search_opENSC_16wrapped_functionINS0_4lessIvEEbEEEE10hipError_tPvRmT1_T2_T3_mmT4_T5_P12ihipStream_tbEUlRKS9_E_EESP_ST_SU_mSV_SY_bEUlT_E_NS1_11comp_targetILNS1_3genE2ELNS1_11target_archE906ELNS1_3gpuE6ELNS1_3repE0EEENS1_30default_config_static_selectorELNS0_4arch9wavefront6targetE0EEEvSS_,@function
_ZN7rocprim17ROCPRIM_400000_NS6detail17trampoline_kernelINS0_14default_configENS1_27upper_bound_config_selectorIN6thrust23THRUST_200600_302600_NS5tupleIiiNS6_9null_typeES8_S8_S8_S8_S8_S8_S8_EEiEEZNS1_14transform_implILb0ES3_SA_NS6_6detail15normal_iteratorINS6_10device_ptrIS9_EEEENSD_INSE_IiEEEEZNS1_13binary_searchIS3_SA_SG_SG_SI_NS1_21upper_bound_search_opENSC_16wrapped_functionINS0_4lessIvEEbEEEE10hipError_tPvRmT1_T2_T3_mmT4_T5_P12ihipStream_tbEUlRKS9_E_EESP_ST_SU_mSV_SY_bEUlT_E_NS1_11comp_targetILNS1_3genE2ELNS1_11target_archE906ELNS1_3gpuE6ELNS1_3repE0EEENS1_30default_config_static_selectorELNS0_4arch9wavefront6targetE0EEEvSS_: ; @_ZN7rocprim17ROCPRIM_400000_NS6detail17trampoline_kernelINS0_14default_configENS1_27upper_bound_config_selectorIN6thrust23THRUST_200600_302600_NS5tupleIiiNS6_9null_typeES8_S8_S8_S8_S8_S8_S8_EEiEEZNS1_14transform_implILb0ES3_SA_NS6_6detail15normal_iteratorINS6_10device_ptrIS9_EEEENSD_INSE_IiEEEEZNS1_13binary_searchIS3_SA_SG_SG_SI_NS1_21upper_bound_search_opENSC_16wrapped_functionINS0_4lessIvEEbEEEE10hipError_tPvRmT1_T2_T3_mmT4_T5_P12ihipStream_tbEUlRKS9_E_EESP_ST_SU_mSV_SY_bEUlT_E_NS1_11comp_targetILNS1_3genE2ELNS1_11target_archE906ELNS1_3gpuE6ELNS1_3repE0EEENS1_30default_config_static_selectorELNS0_4arch9wavefront6targetE0EEEvSS_
; %bb.0:
	.section	.rodata,"a",@progbits
	.p2align	6, 0x0
	.amdhsa_kernel _ZN7rocprim17ROCPRIM_400000_NS6detail17trampoline_kernelINS0_14default_configENS1_27upper_bound_config_selectorIN6thrust23THRUST_200600_302600_NS5tupleIiiNS6_9null_typeES8_S8_S8_S8_S8_S8_S8_EEiEEZNS1_14transform_implILb0ES3_SA_NS6_6detail15normal_iteratorINS6_10device_ptrIS9_EEEENSD_INSE_IiEEEEZNS1_13binary_searchIS3_SA_SG_SG_SI_NS1_21upper_bound_search_opENSC_16wrapped_functionINS0_4lessIvEEbEEEE10hipError_tPvRmT1_T2_T3_mmT4_T5_P12ihipStream_tbEUlRKS9_E_EESP_ST_SU_mSV_SY_bEUlT_E_NS1_11comp_targetILNS1_3genE2ELNS1_11target_archE906ELNS1_3gpuE6ELNS1_3repE0EEENS1_30default_config_static_selectorELNS0_4arch9wavefront6targetE0EEEvSS_
		.amdhsa_group_segment_fixed_size 0
		.amdhsa_private_segment_fixed_size 0
		.amdhsa_kernarg_size 56
		.amdhsa_user_sgpr_count 6
		.amdhsa_user_sgpr_private_segment_buffer 1
		.amdhsa_user_sgpr_dispatch_ptr 0
		.amdhsa_user_sgpr_queue_ptr 0
		.amdhsa_user_sgpr_kernarg_segment_ptr 1
		.amdhsa_user_sgpr_dispatch_id 0
		.amdhsa_user_sgpr_flat_scratch_init 0
		.amdhsa_user_sgpr_private_segment_size 0
		.amdhsa_wavefront_size32 1
		.amdhsa_uses_dynamic_stack 0
		.amdhsa_system_sgpr_private_segment_wavefront_offset 0
		.amdhsa_system_sgpr_workgroup_id_x 1
		.amdhsa_system_sgpr_workgroup_id_y 0
		.amdhsa_system_sgpr_workgroup_id_z 0
		.amdhsa_system_sgpr_workgroup_info 0
		.amdhsa_system_vgpr_workitem_id 0
		.amdhsa_next_free_vgpr 1
		.amdhsa_next_free_sgpr 1
		.amdhsa_reserve_vcc 0
		.amdhsa_reserve_flat_scratch 0
		.amdhsa_float_round_mode_32 0
		.amdhsa_float_round_mode_16_64 0
		.amdhsa_float_denorm_mode_32 3
		.amdhsa_float_denorm_mode_16_64 3
		.amdhsa_dx10_clamp 1
		.amdhsa_ieee_mode 1
		.amdhsa_fp16_overflow 0
		.amdhsa_workgroup_processor_mode 1
		.amdhsa_memory_ordered 1
		.amdhsa_forward_progress 1
		.amdhsa_shared_vgpr_count 0
		.amdhsa_exception_fp_ieee_invalid_op 0
		.amdhsa_exception_fp_denorm_src 0
		.amdhsa_exception_fp_ieee_div_zero 0
		.amdhsa_exception_fp_ieee_overflow 0
		.amdhsa_exception_fp_ieee_underflow 0
		.amdhsa_exception_fp_ieee_inexact 0
		.amdhsa_exception_int_div_zero 0
	.end_amdhsa_kernel
	.section	.text._ZN7rocprim17ROCPRIM_400000_NS6detail17trampoline_kernelINS0_14default_configENS1_27upper_bound_config_selectorIN6thrust23THRUST_200600_302600_NS5tupleIiiNS6_9null_typeES8_S8_S8_S8_S8_S8_S8_EEiEEZNS1_14transform_implILb0ES3_SA_NS6_6detail15normal_iteratorINS6_10device_ptrIS9_EEEENSD_INSE_IiEEEEZNS1_13binary_searchIS3_SA_SG_SG_SI_NS1_21upper_bound_search_opENSC_16wrapped_functionINS0_4lessIvEEbEEEE10hipError_tPvRmT1_T2_T3_mmT4_T5_P12ihipStream_tbEUlRKS9_E_EESP_ST_SU_mSV_SY_bEUlT_E_NS1_11comp_targetILNS1_3genE2ELNS1_11target_archE906ELNS1_3gpuE6ELNS1_3repE0EEENS1_30default_config_static_selectorELNS0_4arch9wavefront6targetE0EEEvSS_,"axG",@progbits,_ZN7rocprim17ROCPRIM_400000_NS6detail17trampoline_kernelINS0_14default_configENS1_27upper_bound_config_selectorIN6thrust23THRUST_200600_302600_NS5tupleIiiNS6_9null_typeES8_S8_S8_S8_S8_S8_S8_EEiEEZNS1_14transform_implILb0ES3_SA_NS6_6detail15normal_iteratorINS6_10device_ptrIS9_EEEENSD_INSE_IiEEEEZNS1_13binary_searchIS3_SA_SG_SG_SI_NS1_21upper_bound_search_opENSC_16wrapped_functionINS0_4lessIvEEbEEEE10hipError_tPvRmT1_T2_T3_mmT4_T5_P12ihipStream_tbEUlRKS9_E_EESP_ST_SU_mSV_SY_bEUlT_E_NS1_11comp_targetILNS1_3genE2ELNS1_11target_archE906ELNS1_3gpuE6ELNS1_3repE0EEENS1_30default_config_static_selectorELNS0_4arch9wavefront6targetE0EEEvSS_,comdat
.Lfunc_end621:
	.size	_ZN7rocprim17ROCPRIM_400000_NS6detail17trampoline_kernelINS0_14default_configENS1_27upper_bound_config_selectorIN6thrust23THRUST_200600_302600_NS5tupleIiiNS6_9null_typeES8_S8_S8_S8_S8_S8_S8_EEiEEZNS1_14transform_implILb0ES3_SA_NS6_6detail15normal_iteratorINS6_10device_ptrIS9_EEEENSD_INSE_IiEEEEZNS1_13binary_searchIS3_SA_SG_SG_SI_NS1_21upper_bound_search_opENSC_16wrapped_functionINS0_4lessIvEEbEEEE10hipError_tPvRmT1_T2_T3_mmT4_T5_P12ihipStream_tbEUlRKS9_E_EESP_ST_SU_mSV_SY_bEUlT_E_NS1_11comp_targetILNS1_3genE2ELNS1_11target_archE906ELNS1_3gpuE6ELNS1_3repE0EEENS1_30default_config_static_selectorELNS0_4arch9wavefront6targetE0EEEvSS_, .Lfunc_end621-_ZN7rocprim17ROCPRIM_400000_NS6detail17trampoline_kernelINS0_14default_configENS1_27upper_bound_config_selectorIN6thrust23THRUST_200600_302600_NS5tupleIiiNS6_9null_typeES8_S8_S8_S8_S8_S8_S8_EEiEEZNS1_14transform_implILb0ES3_SA_NS6_6detail15normal_iteratorINS6_10device_ptrIS9_EEEENSD_INSE_IiEEEEZNS1_13binary_searchIS3_SA_SG_SG_SI_NS1_21upper_bound_search_opENSC_16wrapped_functionINS0_4lessIvEEbEEEE10hipError_tPvRmT1_T2_T3_mmT4_T5_P12ihipStream_tbEUlRKS9_E_EESP_ST_SU_mSV_SY_bEUlT_E_NS1_11comp_targetILNS1_3genE2ELNS1_11target_archE906ELNS1_3gpuE6ELNS1_3repE0EEENS1_30default_config_static_selectorELNS0_4arch9wavefront6targetE0EEEvSS_
                                        ; -- End function
	.set _ZN7rocprim17ROCPRIM_400000_NS6detail17trampoline_kernelINS0_14default_configENS1_27upper_bound_config_selectorIN6thrust23THRUST_200600_302600_NS5tupleIiiNS6_9null_typeES8_S8_S8_S8_S8_S8_S8_EEiEEZNS1_14transform_implILb0ES3_SA_NS6_6detail15normal_iteratorINS6_10device_ptrIS9_EEEENSD_INSE_IiEEEEZNS1_13binary_searchIS3_SA_SG_SG_SI_NS1_21upper_bound_search_opENSC_16wrapped_functionINS0_4lessIvEEbEEEE10hipError_tPvRmT1_T2_T3_mmT4_T5_P12ihipStream_tbEUlRKS9_E_EESP_ST_SU_mSV_SY_bEUlT_E_NS1_11comp_targetILNS1_3genE2ELNS1_11target_archE906ELNS1_3gpuE6ELNS1_3repE0EEENS1_30default_config_static_selectorELNS0_4arch9wavefront6targetE0EEEvSS_.num_vgpr, 0
	.set _ZN7rocprim17ROCPRIM_400000_NS6detail17trampoline_kernelINS0_14default_configENS1_27upper_bound_config_selectorIN6thrust23THRUST_200600_302600_NS5tupleIiiNS6_9null_typeES8_S8_S8_S8_S8_S8_S8_EEiEEZNS1_14transform_implILb0ES3_SA_NS6_6detail15normal_iteratorINS6_10device_ptrIS9_EEEENSD_INSE_IiEEEEZNS1_13binary_searchIS3_SA_SG_SG_SI_NS1_21upper_bound_search_opENSC_16wrapped_functionINS0_4lessIvEEbEEEE10hipError_tPvRmT1_T2_T3_mmT4_T5_P12ihipStream_tbEUlRKS9_E_EESP_ST_SU_mSV_SY_bEUlT_E_NS1_11comp_targetILNS1_3genE2ELNS1_11target_archE906ELNS1_3gpuE6ELNS1_3repE0EEENS1_30default_config_static_selectorELNS0_4arch9wavefront6targetE0EEEvSS_.num_agpr, 0
	.set _ZN7rocprim17ROCPRIM_400000_NS6detail17trampoline_kernelINS0_14default_configENS1_27upper_bound_config_selectorIN6thrust23THRUST_200600_302600_NS5tupleIiiNS6_9null_typeES8_S8_S8_S8_S8_S8_S8_EEiEEZNS1_14transform_implILb0ES3_SA_NS6_6detail15normal_iteratorINS6_10device_ptrIS9_EEEENSD_INSE_IiEEEEZNS1_13binary_searchIS3_SA_SG_SG_SI_NS1_21upper_bound_search_opENSC_16wrapped_functionINS0_4lessIvEEbEEEE10hipError_tPvRmT1_T2_T3_mmT4_T5_P12ihipStream_tbEUlRKS9_E_EESP_ST_SU_mSV_SY_bEUlT_E_NS1_11comp_targetILNS1_3genE2ELNS1_11target_archE906ELNS1_3gpuE6ELNS1_3repE0EEENS1_30default_config_static_selectorELNS0_4arch9wavefront6targetE0EEEvSS_.numbered_sgpr, 0
	.set _ZN7rocprim17ROCPRIM_400000_NS6detail17trampoline_kernelINS0_14default_configENS1_27upper_bound_config_selectorIN6thrust23THRUST_200600_302600_NS5tupleIiiNS6_9null_typeES8_S8_S8_S8_S8_S8_S8_EEiEEZNS1_14transform_implILb0ES3_SA_NS6_6detail15normal_iteratorINS6_10device_ptrIS9_EEEENSD_INSE_IiEEEEZNS1_13binary_searchIS3_SA_SG_SG_SI_NS1_21upper_bound_search_opENSC_16wrapped_functionINS0_4lessIvEEbEEEE10hipError_tPvRmT1_T2_T3_mmT4_T5_P12ihipStream_tbEUlRKS9_E_EESP_ST_SU_mSV_SY_bEUlT_E_NS1_11comp_targetILNS1_3genE2ELNS1_11target_archE906ELNS1_3gpuE6ELNS1_3repE0EEENS1_30default_config_static_selectorELNS0_4arch9wavefront6targetE0EEEvSS_.num_named_barrier, 0
	.set _ZN7rocprim17ROCPRIM_400000_NS6detail17trampoline_kernelINS0_14default_configENS1_27upper_bound_config_selectorIN6thrust23THRUST_200600_302600_NS5tupleIiiNS6_9null_typeES8_S8_S8_S8_S8_S8_S8_EEiEEZNS1_14transform_implILb0ES3_SA_NS6_6detail15normal_iteratorINS6_10device_ptrIS9_EEEENSD_INSE_IiEEEEZNS1_13binary_searchIS3_SA_SG_SG_SI_NS1_21upper_bound_search_opENSC_16wrapped_functionINS0_4lessIvEEbEEEE10hipError_tPvRmT1_T2_T3_mmT4_T5_P12ihipStream_tbEUlRKS9_E_EESP_ST_SU_mSV_SY_bEUlT_E_NS1_11comp_targetILNS1_3genE2ELNS1_11target_archE906ELNS1_3gpuE6ELNS1_3repE0EEENS1_30default_config_static_selectorELNS0_4arch9wavefront6targetE0EEEvSS_.private_seg_size, 0
	.set _ZN7rocprim17ROCPRIM_400000_NS6detail17trampoline_kernelINS0_14default_configENS1_27upper_bound_config_selectorIN6thrust23THRUST_200600_302600_NS5tupleIiiNS6_9null_typeES8_S8_S8_S8_S8_S8_S8_EEiEEZNS1_14transform_implILb0ES3_SA_NS6_6detail15normal_iteratorINS6_10device_ptrIS9_EEEENSD_INSE_IiEEEEZNS1_13binary_searchIS3_SA_SG_SG_SI_NS1_21upper_bound_search_opENSC_16wrapped_functionINS0_4lessIvEEbEEEE10hipError_tPvRmT1_T2_T3_mmT4_T5_P12ihipStream_tbEUlRKS9_E_EESP_ST_SU_mSV_SY_bEUlT_E_NS1_11comp_targetILNS1_3genE2ELNS1_11target_archE906ELNS1_3gpuE6ELNS1_3repE0EEENS1_30default_config_static_selectorELNS0_4arch9wavefront6targetE0EEEvSS_.uses_vcc, 0
	.set _ZN7rocprim17ROCPRIM_400000_NS6detail17trampoline_kernelINS0_14default_configENS1_27upper_bound_config_selectorIN6thrust23THRUST_200600_302600_NS5tupleIiiNS6_9null_typeES8_S8_S8_S8_S8_S8_S8_EEiEEZNS1_14transform_implILb0ES3_SA_NS6_6detail15normal_iteratorINS6_10device_ptrIS9_EEEENSD_INSE_IiEEEEZNS1_13binary_searchIS3_SA_SG_SG_SI_NS1_21upper_bound_search_opENSC_16wrapped_functionINS0_4lessIvEEbEEEE10hipError_tPvRmT1_T2_T3_mmT4_T5_P12ihipStream_tbEUlRKS9_E_EESP_ST_SU_mSV_SY_bEUlT_E_NS1_11comp_targetILNS1_3genE2ELNS1_11target_archE906ELNS1_3gpuE6ELNS1_3repE0EEENS1_30default_config_static_selectorELNS0_4arch9wavefront6targetE0EEEvSS_.uses_flat_scratch, 0
	.set _ZN7rocprim17ROCPRIM_400000_NS6detail17trampoline_kernelINS0_14default_configENS1_27upper_bound_config_selectorIN6thrust23THRUST_200600_302600_NS5tupleIiiNS6_9null_typeES8_S8_S8_S8_S8_S8_S8_EEiEEZNS1_14transform_implILb0ES3_SA_NS6_6detail15normal_iteratorINS6_10device_ptrIS9_EEEENSD_INSE_IiEEEEZNS1_13binary_searchIS3_SA_SG_SG_SI_NS1_21upper_bound_search_opENSC_16wrapped_functionINS0_4lessIvEEbEEEE10hipError_tPvRmT1_T2_T3_mmT4_T5_P12ihipStream_tbEUlRKS9_E_EESP_ST_SU_mSV_SY_bEUlT_E_NS1_11comp_targetILNS1_3genE2ELNS1_11target_archE906ELNS1_3gpuE6ELNS1_3repE0EEENS1_30default_config_static_selectorELNS0_4arch9wavefront6targetE0EEEvSS_.has_dyn_sized_stack, 0
	.set _ZN7rocprim17ROCPRIM_400000_NS6detail17trampoline_kernelINS0_14default_configENS1_27upper_bound_config_selectorIN6thrust23THRUST_200600_302600_NS5tupleIiiNS6_9null_typeES8_S8_S8_S8_S8_S8_S8_EEiEEZNS1_14transform_implILb0ES3_SA_NS6_6detail15normal_iteratorINS6_10device_ptrIS9_EEEENSD_INSE_IiEEEEZNS1_13binary_searchIS3_SA_SG_SG_SI_NS1_21upper_bound_search_opENSC_16wrapped_functionINS0_4lessIvEEbEEEE10hipError_tPvRmT1_T2_T3_mmT4_T5_P12ihipStream_tbEUlRKS9_E_EESP_ST_SU_mSV_SY_bEUlT_E_NS1_11comp_targetILNS1_3genE2ELNS1_11target_archE906ELNS1_3gpuE6ELNS1_3repE0EEENS1_30default_config_static_selectorELNS0_4arch9wavefront6targetE0EEEvSS_.has_recursion, 0
	.set _ZN7rocprim17ROCPRIM_400000_NS6detail17trampoline_kernelINS0_14default_configENS1_27upper_bound_config_selectorIN6thrust23THRUST_200600_302600_NS5tupleIiiNS6_9null_typeES8_S8_S8_S8_S8_S8_S8_EEiEEZNS1_14transform_implILb0ES3_SA_NS6_6detail15normal_iteratorINS6_10device_ptrIS9_EEEENSD_INSE_IiEEEEZNS1_13binary_searchIS3_SA_SG_SG_SI_NS1_21upper_bound_search_opENSC_16wrapped_functionINS0_4lessIvEEbEEEE10hipError_tPvRmT1_T2_T3_mmT4_T5_P12ihipStream_tbEUlRKS9_E_EESP_ST_SU_mSV_SY_bEUlT_E_NS1_11comp_targetILNS1_3genE2ELNS1_11target_archE906ELNS1_3gpuE6ELNS1_3repE0EEENS1_30default_config_static_selectorELNS0_4arch9wavefront6targetE0EEEvSS_.has_indirect_call, 0
	.section	.AMDGPU.csdata,"",@progbits
; Kernel info:
; codeLenInByte = 0
; TotalNumSgprs: 0
; NumVgprs: 0
; ScratchSize: 0
; MemoryBound: 0
; FloatMode: 240
; IeeeMode: 1
; LDSByteSize: 0 bytes/workgroup (compile time only)
; SGPRBlocks: 0
; VGPRBlocks: 0
; NumSGPRsForWavesPerEU: 1
; NumVGPRsForWavesPerEU: 1
; Occupancy: 16
; WaveLimiterHint : 0
; COMPUTE_PGM_RSRC2:SCRATCH_EN: 0
; COMPUTE_PGM_RSRC2:USER_SGPR: 6
; COMPUTE_PGM_RSRC2:TRAP_HANDLER: 0
; COMPUTE_PGM_RSRC2:TGID_X_EN: 1
; COMPUTE_PGM_RSRC2:TGID_Y_EN: 0
; COMPUTE_PGM_RSRC2:TGID_Z_EN: 0
; COMPUTE_PGM_RSRC2:TIDIG_COMP_CNT: 0
	.section	.text._ZN7rocprim17ROCPRIM_400000_NS6detail17trampoline_kernelINS0_14default_configENS1_27upper_bound_config_selectorIN6thrust23THRUST_200600_302600_NS5tupleIiiNS6_9null_typeES8_S8_S8_S8_S8_S8_S8_EEiEEZNS1_14transform_implILb0ES3_SA_NS6_6detail15normal_iteratorINS6_10device_ptrIS9_EEEENSD_INSE_IiEEEEZNS1_13binary_searchIS3_SA_SG_SG_SI_NS1_21upper_bound_search_opENSC_16wrapped_functionINS0_4lessIvEEbEEEE10hipError_tPvRmT1_T2_T3_mmT4_T5_P12ihipStream_tbEUlRKS9_E_EESP_ST_SU_mSV_SY_bEUlT_E_NS1_11comp_targetILNS1_3genE10ELNS1_11target_archE1201ELNS1_3gpuE5ELNS1_3repE0EEENS1_30default_config_static_selectorELNS0_4arch9wavefront6targetE0EEEvSS_,"axG",@progbits,_ZN7rocprim17ROCPRIM_400000_NS6detail17trampoline_kernelINS0_14default_configENS1_27upper_bound_config_selectorIN6thrust23THRUST_200600_302600_NS5tupleIiiNS6_9null_typeES8_S8_S8_S8_S8_S8_S8_EEiEEZNS1_14transform_implILb0ES3_SA_NS6_6detail15normal_iteratorINS6_10device_ptrIS9_EEEENSD_INSE_IiEEEEZNS1_13binary_searchIS3_SA_SG_SG_SI_NS1_21upper_bound_search_opENSC_16wrapped_functionINS0_4lessIvEEbEEEE10hipError_tPvRmT1_T2_T3_mmT4_T5_P12ihipStream_tbEUlRKS9_E_EESP_ST_SU_mSV_SY_bEUlT_E_NS1_11comp_targetILNS1_3genE10ELNS1_11target_archE1201ELNS1_3gpuE5ELNS1_3repE0EEENS1_30default_config_static_selectorELNS0_4arch9wavefront6targetE0EEEvSS_,comdat
	.protected	_ZN7rocprim17ROCPRIM_400000_NS6detail17trampoline_kernelINS0_14default_configENS1_27upper_bound_config_selectorIN6thrust23THRUST_200600_302600_NS5tupleIiiNS6_9null_typeES8_S8_S8_S8_S8_S8_S8_EEiEEZNS1_14transform_implILb0ES3_SA_NS6_6detail15normal_iteratorINS6_10device_ptrIS9_EEEENSD_INSE_IiEEEEZNS1_13binary_searchIS3_SA_SG_SG_SI_NS1_21upper_bound_search_opENSC_16wrapped_functionINS0_4lessIvEEbEEEE10hipError_tPvRmT1_T2_T3_mmT4_T5_P12ihipStream_tbEUlRKS9_E_EESP_ST_SU_mSV_SY_bEUlT_E_NS1_11comp_targetILNS1_3genE10ELNS1_11target_archE1201ELNS1_3gpuE5ELNS1_3repE0EEENS1_30default_config_static_selectorELNS0_4arch9wavefront6targetE0EEEvSS_ ; -- Begin function _ZN7rocprim17ROCPRIM_400000_NS6detail17trampoline_kernelINS0_14default_configENS1_27upper_bound_config_selectorIN6thrust23THRUST_200600_302600_NS5tupleIiiNS6_9null_typeES8_S8_S8_S8_S8_S8_S8_EEiEEZNS1_14transform_implILb0ES3_SA_NS6_6detail15normal_iteratorINS6_10device_ptrIS9_EEEENSD_INSE_IiEEEEZNS1_13binary_searchIS3_SA_SG_SG_SI_NS1_21upper_bound_search_opENSC_16wrapped_functionINS0_4lessIvEEbEEEE10hipError_tPvRmT1_T2_T3_mmT4_T5_P12ihipStream_tbEUlRKS9_E_EESP_ST_SU_mSV_SY_bEUlT_E_NS1_11comp_targetILNS1_3genE10ELNS1_11target_archE1201ELNS1_3gpuE5ELNS1_3repE0EEENS1_30default_config_static_selectorELNS0_4arch9wavefront6targetE0EEEvSS_
	.globl	_ZN7rocprim17ROCPRIM_400000_NS6detail17trampoline_kernelINS0_14default_configENS1_27upper_bound_config_selectorIN6thrust23THRUST_200600_302600_NS5tupleIiiNS6_9null_typeES8_S8_S8_S8_S8_S8_S8_EEiEEZNS1_14transform_implILb0ES3_SA_NS6_6detail15normal_iteratorINS6_10device_ptrIS9_EEEENSD_INSE_IiEEEEZNS1_13binary_searchIS3_SA_SG_SG_SI_NS1_21upper_bound_search_opENSC_16wrapped_functionINS0_4lessIvEEbEEEE10hipError_tPvRmT1_T2_T3_mmT4_T5_P12ihipStream_tbEUlRKS9_E_EESP_ST_SU_mSV_SY_bEUlT_E_NS1_11comp_targetILNS1_3genE10ELNS1_11target_archE1201ELNS1_3gpuE5ELNS1_3repE0EEENS1_30default_config_static_selectorELNS0_4arch9wavefront6targetE0EEEvSS_
	.p2align	8
	.type	_ZN7rocprim17ROCPRIM_400000_NS6detail17trampoline_kernelINS0_14default_configENS1_27upper_bound_config_selectorIN6thrust23THRUST_200600_302600_NS5tupleIiiNS6_9null_typeES8_S8_S8_S8_S8_S8_S8_EEiEEZNS1_14transform_implILb0ES3_SA_NS6_6detail15normal_iteratorINS6_10device_ptrIS9_EEEENSD_INSE_IiEEEEZNS1_13binary_searchIS3_SA_SG_SG_SI_NS1_21upper_bound_search_opENSC_16wrapped_functionINS0_4lessIvEEbEEEE10hipError_tPvRmT1_T2_T3_mmT4_T5_P12ihipStream_tbEUlRKS9_E_EESP_ST_SU_mSV_SY_bEUlT_E_NS1_11comp_targetILNS1_3genE10ELNS1_11target_archE1201ELNS1_3gpuE5ELNS1_3repE0EEENS1_30default_config_static_selectorELNS0_4arch9wavefront6targetE0EEEvSS_,@function
_ZN7rocprim17ROCPRIM_400000_NS6detail17trampoline_kernelINS0_14default_configENS1_27upper_bound_config_selectorIN6thrust23THRUST_200600_302600_NS5tupleIiiNS6_9null_typeES8_S8_S8_S8_S8_S8_S8_EEiEEZNS1_14transform_implILb0ES3_SA_NS6_6detail15normal_iteratorINS6_10device_ptrIS9_EEEENSD_INSE_IiEEEEZNS1_13binary_searchIS3_SA_SG_SG_SI_NS1_21upper_bound_search_opENSC_16wrapped_functionINS0_4lessIvEEbEEEE10hipError_tPvRmT1_T2_T3_mmT4_T5_P12ihipStream_tbEUlRKS9_E_EESP_ST_SU_mSV_SY_bEUlT_E_NS1_11comp_targetILNS1_3genE10ELNS1_11target_archE1201ELNS1_3gpuE5ELNS1_3repE0EEENS1_30default_config_static_selectorELNS0_4arch9wavefront6targetE0EEEvSS_: ; @_ZN7rocprim17ROCPRIM_400000_NS6detail17trampoline_kernelINS0_14default_configENS1_27upper_bound_config_selectorIN6thrust23THRUST_200600_302600_NS5tupleIiiNS6_9null_typeES8_S8_S8_S8_S8_S8_S8_EEiEEZNS1_14transform_implILb0ES3_SA_NS6_6detail15normal_iteratorINS6_10device_ptrIS9_EEEENSD_INSE_IiEEEEZNS1_13binary_searchIS3_SA_SG_SG_SI_NS1_21upper_bound_search_opENSC_16wrapped_functionINS0_4lessIvEEbEEEE10hipError_tPvRmT1_T2_T3_mmT4_T5_P12ihipStream_tbEUlRKS9_E_EESP_ST_SU_mSV_SY_bEUlT_E_NS1_11comp_targetILNS1_3genE10ELNS1_11target_archE1201ELNS1_3gpuE5ELNS1_3repE0EEENS1_30default_config_static_selectorELNS0_4arch9wavefront6targetE0EEEvSS_
; %bb.0:
	.section	.rodata,"a",@progbits
	.p2align	6, 0x0
	.amdhsa_kernel _ZN7rocprim17ROCPRIM_400000_NS6detail17trampoline_kernelINS0_14default_configENS1_27upper_bound_config_selectorIN6thrust23THRUST_200600_302600_NS5tupleIiiNS6_9null_typeES8_S8_S8_S8_S8_S8_S8_EEiEEZNS1_14transform_implILb0ES3_SA_NS6_6detail15normal_iteratorINS6_10device_ptrIS9_EEEENSD_INSE_IiEEEEZNS1_13binary_searchIS3_SA_SG_SG_SI_NS1_21upper_bound_search_opENSC_16wrapped_functionINS0_4lessIvEEbEEEE10hipError_tPvRmT1_T2_T3_mmT4_T5_P12ihipStream_tbEUlRKS9_E_EESP_ST_SU_mSV_SY_bEUlT_E_NS1_11comp_targetILNS1_3genE10ELNS1_11target_archE1201ELNS1_3gpuE5ELNS1_3repE0EEENS1_30default_config_static_selectorELNS0_4arch9wavefront6targetE0EEEvSS_
		.amdhsa_group_segment_fixed_size 0
		.amdhsa_private_segment_fixed_size 0
		.amdhsa_kernarg_size 56
		.amdhsa_user_sgpr_count 6
		.amdhsa_user_sgpr_private_segment_buffer 1
		.amdhsa_user_sgpr_dispatch_ptr 0
		.amdhsa_user_sgpr_queue_ptr 0
		.amdhsa_user_sgpr_kernarg_segment_ptr 1
		.amdhsa_user_sgpr_dispatch_id 0
		.amdhsa_user_sgpr_flat_scratch_init 0
		.amdhsa_user_sgpr_private_segment_size 0
		.amdhsa_wavefront_size32 1
		.amdhsa_uses_dynamic_stack 0
		.amdhsa_system_sgpr_private_segment_wavefront_offset 0
		.amdhsa_system_sgpr_workgroup_id_x 1
		.amdhsa_system_sgpr_workgroup_id_y 0
		.amdhsa_system_sgpr_workgroup_id_z 0
		.amdhsa_system_sgpr_workgroup_info 0
		.amdhsa_system_vgpr_workitem_id 0
		.amdhsa_next_free_vgpr 1
		.amdhsa_next_free_sgpr 1
		.amdhsa_reserve_vcc 0
		.amdhsa_reserve_flat_scratch 0
		.amdhsa_float_round_mode_32 0
		.amdhsa_float_round_mode_16_64 0
		.amdhsa_float_denorm_mode_32 3
		.amdhsa_float_denorm_mode_16_64 3
		.amdhsa_dx10_clamp 1
		.amdhsa_ieee_mode 1
		.amdhsa_fp16_overflow 0
		.amdhsa_workgroup_processor_mode 1
		.amdhsa_memory_ordered 1
		.amdhsa_forward_progress 1
		.amdhsa_shared_vgpr_count 0
		.amdhsa_exception_fp_ieee_invalid_op 0
		.amdhsa_exception_fp_denorm_src 0
		.amdhsa_exception_fp_ieee_div_zero 0
		.amdhsa_exception_fp_ieee_overflow 0
		.amdhsa_exception_fp_ieee_underflow 0
		.amdhsa_exception_fp_ieee_inexact 0
		.amdhsa_exception_int_div_zero 0
	.end_amdhsa_kernel
	.section	.text._ZN7rocprim17ROCPRIM_400000_NS6detail17trampoline_kernelINS0_14default_configENS1_27upper_bound_config_selectorIN6thrust23THRUST_200600_302600_NS5tupleIiiNS6_9null_typeES8_S8_S8_S8_S8_S8_S8_EEiEEZNS1_14transform_implILb0ES3_SA_NS6_6detail15normal_iteratorINS6_10device_ptrIS9_EEEENSD_INSE_IiEEEEZNS1_13binary_searchIS3_SA_SG_SG_SI_NS1_21upper_bound_search_opENSC_16wrapped_functionINS0_4lessIvEEbEEEE10hipError_tPvRmT1_T2_T3_mmT4_T5_P12ihipStream_tbEUlRKS9_E_EESP_ST_SU_mSV_SY_bEUlT_E_NS1_11comp_targetILNS1_3genE10ELNS1_11target_archE1201ELNS1_3gpuE5ELNS1_3repE0EEENS1_30default_config_static_selectorELNS0_4arch9wavefront6targetE0EEEvSS_,"axG",@progbits,_ZN7rocprim17ROCPRIM_400000_NS6detail17trampoline_kernelINS0_14default_configENS1_27upper_bound_config_selectorIN6thrust23THRUST_200600_302600_NS5tupleIiiNS6_9null_typeES8_S8_S8_S8_S8_S8_S8_EEiEEZNS1_14transform_implILb0ES3_SA_NS6_6detail15normal_iteratorINS6_10device_ptrIS9_EEEENSD_INSE_IiEEEEZNS1_13binary_searchIS3_SA_SG_SG_SI_NS1_21upper_bound_search_opENSC_16wrapped_functionINS0_4lessIvEEbEEEE10hipError_tPvRmT1_T2_T3_mmT4_T5_P12ihipStream_tbEUlRKS9_E_EESP_ST_SU_mSV_SY_bEUlT_E_NS1_11comp_targetILNS1_3genE10ELNS1_11target_archE1201ELNS1_3gpuE5ELNS1_3repE0EEENS1_30default_config_static_selectorELNS0_4arch9wavefront6targetE0EEEvSS_,comdat
.Lfunc_end622:
	.size	_ZN7rocprim17ROCPRIM_400000_NS6detail17trampoline_kernelINS0_14default_configENS1_27upper_bound_config_selectorIN6thrust23THRUST_200600_302600_NS5tupleIiiNS6_9null_typeES8_S8_S8_S8_S8_S8_S8_EEiEEZNS1_14transform_implILb0ES3_SA_NS6_6detail15normal_iteratorINS6_10device_ptrIS9_EEEENSD_INSE_IiEEEEZNS1_13binary_searchIS3_SA_SG_SG_SI_NS1_21upper_bound_search_opENSC_16wrapped_functionINS0_4lessIvEEbEEEE10hipError_tPvRmT1_T2_T3_mmT4_T5_P12ihipStream_tbEUlRKS9_E_EESP_ST_SU_mSV_SY_bEUlT_E_NS1_11comp_targetILNS1_3genE10ELNS1_11target_archE1201ELNS1_3gpuE5ELNS1_3repE0EEENS1_30default_config_static_selectorELNS0_4arch9wavefront6targetE0EEEvSS_, .Lfunc_end622-_ZN7rocprim17ROCPRIM_400000_NS6detail17trampoline_kernelINS0_14default_configENS1_27upper_bound_config_selectorIN6thrust23THRUST_200600_302600_NS5tupleIiiNS6_9null_typeES8_S8_S8_S8_S8_S8_S8_EEiEEZNS1_14transform_implILb0ES3_SA_NS6_6detail15normal_iteratorINS6_10device_ptrIS9_EEEENSD_INSE_IiEEEEZNS1_13binary_searchIS3_SA_SG_SG_SI_NS1_21upper_bound_search_opENSC_16wrapped_functionINS0_4lessIvEEbEEEE10hipError_tPvRmT1_T2_T3_mmT4_T5_P12ihipStream_tbEUlRKS9_E_EESP_ST_SU_mSV_SY_bEUlT_E_NS1_11comp_targetILNS1_3genE10ELNS1_11target_archE1201ELNS1_3gpuE5ELNS1_3repE0EEENS1_30default_config_static_selectorELNS0_4arch9wavefront6targetE0EEEvSS_
                                        ; -- End function
	.set _ZN7rocprim17ROCPRIM_400000_NS6detail17trampoline_kernelINS0_14default_configENS1_27upper_bound_config_selectorIN6thrust23THRUST_200600_302600_NS5tupleIiiNS6_9null_typeES8_S8_S8_S8_S8_S8_S8_EEiEEZNS1_14transform_implILb0ES3_SA_NS6_6detail15normal_iteratorINS6_10device_ptrIS9_EEEENSD_INSE_IiEEEEZNS1_13binary_searchIS3_SA_SG_SG_SI_NS1_21upper_bound_search_opENSC_16wrapped_functionINS0_4lessIvEEbEEEE10hipError_tPvRmT1_T2_T3_mmT4_T5_P12ihipStream_tbEUlRKS9_E_EESP_ST_SU_mSV_SY_bEUlT_E_NS1_11comp_targetILNS1_3genE10ELNS1_11target_archE1201ELNS1_3gpuE5ELNS1_3repE0EEENS1_30default_config_static_selectorELNS0_4arch9wavefront6targetE0EEEvSS_.num_vgpr, 0
	.set _ZN7rocprim17ROCPRIM_400000_NS6detail17trampoline_kernelINS0_14default_configENS1_27upper_bound_config_selectorIN6thrust23THRUST_200600_302600_NS5tupleIiiNS6_9null_typeES8_S8_S8_S8_S8_S8_S8_EEiEEZNS1_14transform_implILb0ES3_SA_NS6_6detail15normal_iteratorINS6_10device_ptrIS9_EEEENSD_INSE_IiEEEEZNS1_13binary_searchIS3_SA_SG_SG_SI_NS1_21upper_bound_search_opENSC_16wrapped_functionINS0_4lessIvEEbEEEE10hipError_tPvRmT1_T2_T3_mmT4_T5_P12ihipStream_tbEUlRKS9_E_EESP_ST_SU_mSV_SY_bEUlT_E_NS1_11comp_targetILNS1_3genE10ELNS1_11target_archE1201ELNS1_3gpuE5ELNS1_3repE0EEENS1_30default_config_static_selectorELNS0_4arch9wavefront6targetE0EEEvSS_.num_agpr, 0
	.set _ZN7rocprim17ROCPRIM_400000_NS6detail17trampoline_kernelINS0_14default_configENS1_27upper_bound_config_selectorIN6thrust23THRUST_200600_302600_NS5tupleIiiNS6_9null_typeES8_S8_S8_S8_S8_S8_S8_EEiEEZNS1_14transform_implILb0ES3_SA_NS6_6detail15normal_iteratorINS6_10device_ptrIS9_EEEENSD_INSE_IiEEEEZNS1_13binary_searchIS3_SA_SG_SG_SI_NS1_21upper_bound_search_opENSC_16wrapped_functionINS0_4lessIvEEbEEEE10hipError_tPvRmT1_T2_T3_mmT4_T5_P12ihipStream_tbEUlRKS9_E_EESP_ST_SU_mSV_SY_bEUlT_E_NS1_11comp_targetILNS1_3genE10ELNS1_11target_archE1201ELNS1_3gpuE5ELNS1_3repE0EEENS1_30default_config_static_selectorELNS0_4arch9wavefront6targetE0EEEvSS_.numbered_sgpr, 0
	.set _ZN7rocprim17ROCPRIM_400000_NS6detail17trampoline_kernelINS0_14default_configENS1_27upper_bound_config_selectorIN6thrust23THRUST_200600_302600_NS5tupleIiiNS6_9null_typeES8_S8_S8_S8_S8_S8_S8_EEiEEZNS1_14transform_implILb0ES3_SA_NS6_6detail15normal_iteratorINS6_10device_ptrIS9_EEEENSD_INSE_IiEEEEZNS1_13binary_searchIS3_SA_SG_SG_SI_NS1_21upper_bound_search_opENSC_16wrapped_functionINS0_4lessIvEEbEEEE10hipError_tPvRmT1_T2_T3_mmT4_T5_P12ihipStream_tbEUlRKS9_E_EESP_ST_SU_mSV_SY_bEUlT_E_NS1_11comp_targetILNS1_3genE10ELNS1_11target_archE1201ELNS1_3gpuE5ELNS1_3repE0EEENS1_30default_config_static_selectorELNS0_4arch9wavefront6targetE0EEEvSS_.num_named_barrier, 0
	.set _ZN7rocprim17ROCPRIM_400000_NS6detail17trampoline_kernelINS0_14default_configENS1_27upper_bound_config_selectorIN6thrust23THRUST_200600_302600_NS5tupleIiiNS6_9null_typeES8_S8_S8_S8_S8_S8_S8_EEiEEZNS1_14transform_implILb0ES3_SA_NS6_6detail15normal_iteratorINS6_10device_ptrIS9_EEEENSD_INSE_IiEEEEZNS1_13binary_searchIS3_SA_SG_SG_SI_NS1_21upper_bound_search_opENSC_16wrapped_functionINS0_4lessIvEEbEEEE10hipError_tPvRmT1_T2_T3_mmT4_T5_P12ihipStream_tbEUlRKS9_E_EESP_ST_SU_mSV_SY_bEUlT_E_NS1_11comp_targetILNS1_3genE10ELNS1_11target_archE1201ELNS1_3gpuE5ELNS1_3repE0EEENS1_30default_config_static_selectorELNS0_4arch9wavefront6targetE0EEEvSS_.private_seg_size, 0
	.set _ZN7rocprim17ROCPRIM_400000_NS6detail17trampoline_kernelINS0_14default_configENS1_27upper_bound_config_selectorIN6thrust23THRUST_200600_302600_NS5tupleIiiNS6_9null_typeES8_S8_S8_S8_S8_S8_S8_EEiEEZNS1_14transform_implILb0ES3_SA_NS6_6detail15normal_iteratorINS6_10device_ptrIS9_EEEENSD_INSE_IiEEEEZNS1_13binary_searchIS3_SA_SG_SG_SI_NS1_21upper_bound_search_opENSC_16wrapped_functionINS0_4lessIvEEbEEEE10hipError_tPvRmT1_T2_T3_mmT4_T5_P12ihipStream_tbEUlRKS9_E_EESP_ST_SU_mSV_SY_bEUlT_E_NS1_11comp_targetILNS1_3genE10ELNS1_11target_archE1201ELNS1_3gpuE5ELNS1_3repE0EEENS1_30default_config_static_selectorELNS0_4arch9wavefront6targetE0EEEvSS_.uses_vcc, 0
	.set _ZN7rocprim17ROCPRIM_400000_NS6detail17trampoline_kernelINS0_14default_configENS1_27upper_bound_config_selectorIN6thrust23THRUST_200600_302600_NS5tupleIiiNS6_9null_typeES8_S8_S8_S8_S8_S8_S8_EEiEEZNS1_14transform_implILb0ES3_SA_NS6_6detail15normal_iteratorINS6_10device_ptrIS9_EEEENSD_INSE_IiEEEEZNS1_13binary_searchIS3_SA_SG_SG_SI_NS1_21upper_bound_search_opENSC_16wrapped_functionINS0_4lessIvEEbEEEE10hipError_tPvRmT1_T2_T3_mmT4_T5_P12ihipStream_tbEUlRKS9_E_EESP_ST_SU_mSV_SY_bEUlT_E_NS1_11comp_targetILNS1_3genE10ELNS1_11target_archE1201ELNS1_3gpuE5ELNS1_3repE0EEENS1_30default_config_static_selectorELNS0_4arch9wavefront6targetE0EEEvSS_.uses_flat_scratch, 0
	.set _ZN7rocprim17ROCPRIM_400000_NS6detail17trampoline_kernelINS0_14default_configENS1_27upper_bound_config_selectorIN6thrust23THRUST_200600_302600_NS5tupleIiiNS6_9null_typeES8_S8_S8_S8_S8_S8_S8_EEiEEZNS1_14transform_implILb0ES3_SA_NS6_6detail15normal_iteratorINS6_10device_ptrIS9_EEEENSD_INSE_IiEEEEZNS1_13binary_searchIS3_SA_SG_SG_SI_NS1_21upper_bound_search_opENSC_16wrapped_functionINS0_4lessIvEEbEEEE10hipError_tPvRmT1_T2_T3_mmT4_T5_P12ihipStream_tbEUlRKS9_E_EESP_ST_SU_mSV_SY_bEUlT_E_NS1_11comp_targetILNS1_3genE10ELNS1_11target_archE1201ELNS1_3gpuE5ELNS1_3repE0EEENS1_30default_config_static_selectorELNS0_4arch9wavefront6targetE0EEEvSS_.has_dyn_sized_stack, 0
	.set _ZN7rocprim17ROCPRIM_400000_NS6detail17trampoline_kernelINS0_14default_configENS1_27upper_bound_config_selectorIN6thrust23THRUST_200600_302600_NS5tupleIiiNS6_9null_typeES8_S8_S8_S8_S8_S8_S8_EEiEEZNS1_14transform_implILb0ES3_SA_NS6_6detail15normal_iteratorINS6_10device_ptrIS9_EEEENSD_INSE_IiEEEEZNS1_13binary_searchIS3_SA_SG_SG_SI_NS1_21upper_bound_search_opENSC_16wrapped_functionINS0_4lessIvEEbEEEE10hipError_tPvRmT1_T2_T3_mmT4_T5_P12ihipStream_tbEUlRKS9_E_EESP_ST_SU_mSV_SY_bEUlT_E_NS1_11comp_targetILNS1_3genE10ELNS1_11target_archE1201ELNS1_3gpuE5ELNS1_3repE0EEENS1_30default_config_static_selectorELNS0_4arch9wavefront6targetE0EEEvSS_.has_recursion, 0
	.set _ZN7rocprim17ROCPRIM_400000_NS6detail17trampoline_kernelINS0_14default_configENS1_27upper_bound_config_selectorIN6thrust23THRUST_200600_302600_NS5tupleIiiNS6_9null_typeES8_S8_S8_S8_S8_S8_S8_EEiEEZNS1_14transform_implILb0ES3_SA_NS6_6detail15normal_iteratorINS6_10device_ptrIS9_EEEENSD_INSE_IiEEEEZNS1_13binary_searchIS3_SA_SG_SG_SI_NS1_21upper_bound_search_opENSC_16wrapped_functionINS0_4lessIvEEbEEEE10hipError_tPvRmT1_T2_T3_mmT4_T5_P12ihipStream_tbEUlRKS9_E_EESP_ST_SU_mSV_SY_bEUlT_E_NS1_11comp_targetILNS1_3genE10ELNS1_11target_archE1201ELNS1_3gpuE5ELNS1_3repE0EEENS1_30default_config_static_selectorELNS0_4arch9wavefront6targetE0EEEvSS_.has_indirect_call, 0
	.section	.AMDGPU.csdata,"",@progbits
; Kernel info:
; codeLenInByte = 0
; TotalNumSgprs: 0
; NumVgprs: 0
; ScratchSize: 0
; MemoryBound: 0
; FloatMode: 240
; IeeeMode: 1
; LDSByteSize: 0 bytes/workgroup (compile time only)
; SGPRBlocks: 0
; VGPRBlocks: 0
; NumSGPRsForWavesPerEU: 1
; NumVGPRsForWavesPerEU: 1
; Occupancy: 16
; WaveLimiterHint : 0
; COMPUTE_PGM_RSRC2:SCRATCH_EN: 0
; COMPUTE_PGM_RSRC2:USER_SGPR: 6
; COMPUTE_PGM_RSRC2:TRAP_HANDLER: 0
; COMPUTE_PGM_RSRC2:TGID_X_EN: 1
; COMPUTE_PGM_RSRC2:TGID_Y_EN: 0
; COMPUTE_PGM_RSRC2:TGID_Z_EN: 0
; COMPUTE_PGM_RSRC2:TIDIG_COMP_CNT: 0
	.section	.text._ZN7rocprim17ROCPRIM_400000_NS6detail17trampoline_kernelINS0_14default_configENS1_27upper_bound_config_selectorIN6thrust23THRUST_200600_302600_NS5tupleIiiNS6_9null_typeES8_S8_S8_S8_S8_S8_S8_EEiEEZNS1_14transform_implILb0ES3_SA_NS6_6detail15normal_iteratorINS6_10device_ptrIS9_EEEENSD_INSE_IiEEEEZNS1_13binary_searchIS3_SA_SG_SG_SI_NS1_21upper_bound_search_opENSC_16wrapped_functionINS0_4lessIvEEbEEEE10hipError_tPvRmT1_T2_T3_mmT4_T5_P12ihipStream_tbEUlRKS9_E_EESP_ST_SU_mSV_SY_bEUlT_E_NS1_11comp_targetILNS1_3genE10ELNS1_11target_archE1200ELNS1_3gpuE4ELNS1_3repE0EEENS1_30default_config_static_selectorELNS0_4arch9wavefront6targetE0EEEvSS_,"axG",@progbits,_ZN7rocprim17ROCPRIM_400000_NS6detail17trampoline_kernelINS0_14default_configENS1_27upper_bound_config_selectorIN6thrust23THRUST_200600_302600_NS5tupleIiiNS6_9null_typeES8_S8_S8_S8_S8_S8_S8_EEiEEZNS1_14transform_implILb0ES3_SA_NS6_6detail15normal_iteratorINS6_10device_ptrIS9_EEEENSD_INSE_IiEEEEZNS1_13binary_searchIS3_SA_SG_SG_SI_NS1_21upper_bound_search_opENSC_16wrapped_functionINS0_4lessIvEEbEEEE10hipError_tPvRmT1_T2_T3_mmT4_T5_P12ihipStream_tbEUlRKS9_E_EESP_ST_SU_mSV_SY_bEUlT_E_NS1_11comp_targetILNS1_3genE10ELNS1_11target_archE1200ELNS1_3gpuE4ELNS1_3repE0EEENS1_30default_config_static_selectorELNS0_4arch9wavefront6targetE0EEEvSS_,comdat
	.protected	_ZN7rocprim17ROCPRIM_400000_NS6detail17trampoline_kernelINS0_14default_configENS1_27upper_bound_config_selectorIN6thrust23THRUST_200600_302600_NS5tupleIiiNS6_9null_typeES8_S8_S8_S8_S8_S8_S8_EEiEEZNS1_14transform_implILb0ES3_SA_NS6_6detail15normal_iteratorINS6_10device_ptrIS9_EEEENSD_INSE_IiEEEEZNS1_13binary_searchIS3_SA_SG_SG_SI_NS1_21upper_bound_search_opENSC_16wrapped_functionINS0_4lessIvEEbEEEE10hipError_tPvRmT1_T2_T3_mmT4_T5_P12ihipStream_tbEUlRKS9_E_EESP_ST_SU_mSV_SY_bEUlT_E_NS1_11comp_targetILNS1_3genE10ELNS1_11target_archE1200ELNS1_3gpuE4ELNS1_3repE0EEENS1_30default_config_static_selectorELNS0_4arch9wavefront6targetE0EEEvSS_ ; -- Begin function _ZN7rocprim17ROCPRIM_400000_NS6detail17trampoline_kernelINS0_14default_configENS1_27upper_bound_config_selectorIN6thrust23THRUST_200600_302600_NS5tupleIiiNS6_9null_typeES8_S8_S8_S8_S8_S8_S8_EEiEEZNS1_14transform_implILb0ES3_SA_NS6_6detail15normal_iteratorINS6_10device_ptrIS9_EEEENSD_INSE_IiEEEEZNS1_13binary_searchIS3_SA_SG_SG_SI_NS1_21upper_bound_search_opENSC_16wrapped_functionINS0_4lessIvEEbEEEE10hipError_tPvRmT1_T2_T3_mmT4_T5_P12ihipStream_tbEUlRKS9_E_EESP_ST_SU_mSV_SY_bEUlT_E_NS1_11comp_targetILNS1_3genE10ELNS1_11target_archE1200ELNS1_3gpuE4ELNS1_3repE0EEENS1_30default_config_static_selectorELNS0_4arch9wavefront6targetE0EEEvSS_
	.globl	_ZN7rocprim17ROCPRIM_400000_NS6detail17trampoline_kernelINS0_14default_configENS1_27upper_bound_config_selectorIN6thrust23THRUST_200600_302600_NS5tupleIiiNS6_9null_typeES8_S8_S8_S8_S8_S8_S8_EEiEEZNS1_14transform_implILb0ES3_SA_NS6_6detail15normal_iteratorINS6_10device_ptrIS9_EEEENSD_INSE_IiEEEEZNS1_13binary_searchIS3_SA_SG_SG_SI_NS1_21upper_bound_search_opENSC_16wrapped_functionINS0_4lessIvEEbEEEE10hipError_tPvRmT1_T2_T3_mmT4_T5_P12ihipStream_tbEUlRKS9_E_EESP_ST_SU_mSV_SY_bEUlT_E_NS1_11comp_targetILNS1_3genE10ELNS1_11target_archE1200ELNS1_3gpuE4ELNS1_3repE0EEENS1_30default_config_static_selectorELNS0_4arch9wavefront6targetE0EEEvSS_
	.p2align	8
	.type	_ZN7rocprim17ROCPRIM_400000_NS6detail17trampoline_kernelINS0_14default_configENS1_27upper_bound_config_selectorIN6thrust23THRUST_200600_302600_NS5tupleIiiNS6_9null_typeES8_S8_S8_S8_S8_S8_S8_EEiEEZNS1_14transform_implILb0ES3_SA_NS6_6detail15normal_iteratorINS6_10device_ptrIS9_EEEENSD_INSE_IiEEEEZNS1_13binary_searchIS3_SA_SG_SG_SI_NS1_21upper_bound_search_opENSC_16wrapped_functionINS0_4lessIvEEbEEEE10hipError_tPvRmT1_T2_T3_mmT4_T5_P12ihipStream_tbEUlRKS9_E_EESP_ST_SU_mSV_SY_bEUlT_E_NS1_11comp_targetILNS1_3genE10ELNS1_11target_archE1200ELNS1_3gpuE4ELNS1_3repE0EEENS1_30default_config_static_selectorELNS0_4arch9wavefront6targetE0EEEvSS_,@function
_ZN7rocprim17ROCPRIM_400000_NS6detail17trampoline_kernelINS0_14default_configENS1_27upper_bound_config_selectorIN6thrust23THRUST_200600_302600_NS5tupleIiiNS6_9null_typeES8_S8_S8_S8_S8_S8_S8_EEiEEZNS1_14transform_implILb0ES3_SA_NS6_6detail15normal_iteratorINS6_10device_ptrIS9_EEEENSD_INSE_IiEEEEZNS1_13binary_searchIS3_SA_SG_SG_SI_NS1_21upper_bound_search_opENSC_16wrapped_functionINS0_4lessIvEEbEEEE10hipError_tPvRmT1_T2_T3_mmT4_T5_P12ihipStream_tbEUlRKS9_E_EESP_ST_SU_mSV_SY_bEUlT_E_NS1_11comp_targetILNS1_3genE10ELNS1_11target_archE1200ELNS1_3gpuE4ELNS1_3repE0EEENS1_30default_config_static_selectorELNS0_4arch9wavefront6targetE0EEEvSS_: ; @_ZN7rocprim17ROCPRIM_400000_NS6detail17trampoline_kernelINS0_14default_configENS1_27upper_bound_config_selectorIN6thrust23THRUST_200600_302600_NS5tupleIiiNS6_9null_typeES8_S8_S8_S8_S8_S8_S8_EEiEEZNS1_14transform_implILb0ES3_SA_NS6_6detail15normal_iteratorINS6_10device_ptrIS9_EEEENSD_INSE_IiEEEEZNS1_13binary_searchIS3_SA_SG_SG_SI_NS1_21upper_bound_search_opENSC_16wrapped_functionINS0_4lessIvEEbEEEE10hipError_tPvRmT1_T2_T3_mmT4_T5_P12ihipStream_tbEUlRKS9_E_EESP_ST_SU_mSV_SY_bEUlT_E_NS1_11comp_targetILNS1_3genE10ELNS1_11target_archE1200ELNS1_3gpuE4ELNS1_3repE0EEENS1_30default_config_static_selectorELNS0_4arch9wavefront6targetE0EEEvSS_
; %bb.0:
	.section	.rodata,"a",@progbits
	.p2align	6, 0x0
	.amdhsa_kernel _ZN7rocprim17ROCPRIM_400000_NS6detail17trampoline_kernelINS0_14default_configENS1_27upper_bound_config_selectorIN6thrust23THRUST_200600_302600_NS5tupleIiiNS6_9null_typeES8_S8_S8_S8_S8_S8_S8_EEiEEZNS1_14transform_implILb0ES3_SA_NS6_6detail15normal_iteratorINS6_10device_ptrIS9_EEEENSD_INSE_IiEEEEZNS1_13binary_searchIS3_SA_SG_SG_SI_NS1_21upper_bound_search_opENSC_16wrapped_functionINS0_4lessIvEEbEEEE10hipError_tPvRmT1_T2_T3_mmT4_T5_P12ihipStream_tbEUlRKS9_E_EESP_ST_SU_mSV_SY_bEUlT_E_NS1_11comp_targetILNS1_3genE10ELNS1_11target_archE1200ELNS1_3gpuE4ELNS1_3repE0EEENS1_30default_config_static_selectorELNS0_4arch9wavefront6targetE0EEEvSS_
		.amdhsa_group_segment_fixed_size 0
		.amdhsa_private_segment_fixed_size 0
		.amdhsa_kernarg_size 56
		.amdhsa_user_sgpr_count 6
		.amdhsa_user_sgpr_private_segment_buffer 1
		.amdhsa_user_sgpr_dispatch_ptr 0
		.amdhsa_user_sgpr_queue_ptr 0
		.amdhsa_user_sgpr_kernarg_segment_ptr 1
		.amdhsa_user_sgpr_dispatch_id 0
		.amdhsa_user_sgpr_flat_scratch_init 0
		.amdhsa_user_sgpr_private_segment_size 0
		.amdhsa_wavefront_size32 1
		.amdhsa_uses_dynamic_stack 0
		.amdhsa_system_sgpr_private_segment_wavefront_offset 0
		.amdhsa_system_sgpr_workgroup_id_x 1
		.amdhsa_system_sgpr_workgroup_id_y 0
		.amdhsa_system_sgpr_workgroup_id_z 0
		.amdhsa_system_sgpr_workgroup_info 0
		.amdhsa_system_vgpr_workitem_id 0
		.amdhsa_next_free_vgpr 1
		.amdhsa_next_free_sgpr 1
		.amdhsa_reserve_vcc 0
		.amdhsa_reserve_flat_scratch 0
		.amdhsa_float_round_mode_32 0
		.amdhsa_float_round_mode_16_64 0
		.amdhsa_float_denorm_mode_32 3
		.amdhsa_float_denorm_mode_16_64 3
		.amdhsa_dx10_clamp 1
		.amdhsa_ieee_mode 1
		.amdhsa_fp16_overflow 0
		.amdhsa_workgroup_processor_mode 1
		.amdhsa_memory_ordered 1
		.amdhsa_forward_progress 1
		.amdhsa_shared_vgpr_count 0
		.amdhsa_exception_fp_ieee_invalid_op 0
		.amdhsa_exception_fp_denorm_src 0
		.amdhsa_exception_fp_ieee_div_zero 0
		.amdhsa_exception_fp_ieee_overflow 0
		.amdhsa_exception_fp_ieee_underflow 0
		.amdhsa_exception_fp_ieee_inexact 0
		.amdhsa_exception_int_div_zero 0
	.end_amdhsa_kernel
	.section	.text._ZN7rocprim17ROCPRIM_400000_NS6detail17trampoline_kernelINS0_14default_configENS1_27upper_bound_config_selectorIN6thrust23THRUST_200600_302600_NS5tupleIiiNS6_9null_typeES8_S8_S8_S8_S8_S8_S8_EEiEEZNS1_14transform_implILb0ES3_SA_NS6_6detail15normal_iteratorINS6_10device_ptrIS9_EEEENSD_INSE_IiEEEEZNS1_13binary_searchIS3_SA_SG_SG_SI_NS1_21upper_bound_search_opENSC_16wrapped_functionINS0_4lessIvEEbEEEE10hipError_tPvRmT1_T2_T3_mmT4_T5_P12ihipStream_tbEUlRKS9_E_EESP_ST_SU_mSV_SY_bEUlT_E_NS1_11comp_targetILNS1_3genE10ELNS1_11target_archE1200ELNS1_3gpuE4ELNS1_3repE0EEENS1_30default_config_static_selectorELNS0_4arch9wavefront6targetE0EEEvSS_,"axG",@progbits,_ZN7rocprim17ROCPRIM_400000_NS6detail17trampoline_kernelINS0_14default_configENS1_27upper_bound_config_selectorIN6thrust23THRUST_200600_302600_NS5tupleIiiNS6_9null_typeES8_S8_S8_S8_S8_S8_S8_EEiEEZNS1_14transform_implILb0ES3_SA_NS6_6detail15normal_iteratorINS6_10device_ptrIS9_EEEENSD_INSE_IiEEEEZNS1_13binary_searchIS3_SA_SG_SG_SI_NS1_21upper_bound_search_opENSC_16wrapped_functionINS0_4lessIvEEbEEEE10hipError_tPvRmT1_T2_T3_mmT4_T5_P12ihipStream_tbEUlRKS9_E_EESP_ST_SU_mSV_SY_bEUlT_E_NS1_11comp_targetILNS1_3genE10ELNS1_11target_archE1200ELNS1_3gpuE4ELNS1_3repE0EEENS1_30default_config_static_selectorELNS0_4arch9wavefront6targetE0EEEvSS_,comdat
.Lfunc_end623:
	.size	_ZN7rocprim17ROCPRIM_400000_NS6detail17trampoline_kernelINS0_14default_configENS1_27upper_bound_config_selectorIN6thrust23THRUST_200600_302600_NS5tupleIiiNS6_9null_typeES8_S8_S8_S8_S8_S8_S8_EEiEEZNS1_14transform_implILb0ES3_SA_NS6_6detail15normal_iteratorINS6_10device_ptrIS9_EEEENSD_INSE_IiEEEEZNS1_13binary_searchIS3_SA_SG_SG_SI_NS1_21upper_bound_search_opENSC_16wrapped_functionINS0_4lessIvEEbEEEE10hipError_tPvRmT1_T2_T3_mmT4_T5_P12ihipStream_tbEUlRKS9_E_EESP_ST_SU_mSV_SY_bEUlT_E_NS1_11comp_targetILNS1_3genE10ELNS1_11target_archE1200ELNS1_3gpuE4ELNS1_3repE0EEENS1_30default_config_static_selectorELNS0_4arch9wavefront6targetE0EEEvSS_, .Lfunc_end623-_ZN7rocprim17ROCPRIM_400000_NS6detail17trampoline_kernelINS0_14default_configENS1_27upper_bound_config_selectorIN6thrust23THRUST_200600_302600_NS5tupleIiiNS6_9null_typeES8_S8_S8_S8_S8_S8_S8_EEiEEZNS1_14transform_implILb0ES3_SA_NS6_6detail15normal_iteratorINS6_10device_ptrIS9_EEEENSD_INSE_IiEEEEZNS1_13binary_searchIS3_SA_SG_SG_SI_NS1_21upper_bound_search_opENSC_16wrapped_functionINS0_4lessIvEEbEEEE10hipError_tPvRmT1_T2_T3_mmT4_T5_P12ihipStream_tbEUlRKS9_E_EESP_ST_SU_mSV_SY_bEUlT_E_NS1_11comp_targetILNS1_3genE10ELNS1_11target_archE1200ELNS1_3gpuE4ELNS1_3repE0EEENS1_30default_config_static_selectorELNS0_4arch9wavefront6targetE0EEEvSS_
                                        ; -- End function
	.set _ZN7rocprim17ROCPRIM_400000_NS6detail17trampoline_kernelINS0_14default_configENS1_27upper_bound_config_selectorIN6thrust23THRUST_200600_302600_NS5tupleIiiNS6_9null_typeES8_S8_S8_S8_S8_S8_S8_EEiEEZNS1_14transform_implILb0ES3_SA_NS6_6detail15normal_iteratorINS6_10device_ptrIS9_EEEENSD_INSE_IiEEEEZNS1_13binary_searchIS3_SA_SG_SG_SI_NS1_21upper_bound_search_opENSC_16wrapped_functionINS0_4lessIvEEbEEEE10hipError_tPvRmT1_T2_T3_mmT4_T5_P12ihipStream_tbEUlRKS9_E_EESP_ST_SU_mSV_SY_bEUlT_E_NS1_11comp_targetILNS1_3genE10ELNS1_11target_archE1200ELNS1_3gpuE4ELNS1_3repE0EEENS1_30default_config_static_selectorELNS0_4arch9wavefront6targetE0EEEvSS_.num_vgpr, 0
	.set _ZN7rocprim17ROCPRIM_400000_NS6detail17trampoline_kernelINS0_14default_configENS1_27upper_bound_config_selectorIN6thrust23THRUST_200600_302600_NS5tupleIiiNS6_9null_typeES8_S8_S8_S8_S8_S8_S8_EEiEEZNS1_14transform_implILb0ES3_SA_NS6_6detail15normal_iteratorINS6_10device_ptrIS9_EEEENSD_INSE_IiEEEEZNS1_13binary_searchIS3_SA_SG_SG_SI_NS1_21upper_bound_search_opENSC_16wrapped_functionINS0_4lessIvEEbEEEE10hipError_tPvRmT1_T2_T3_mmT4_T5_P12ihipStream_tbEUlRKS9_E_EESP_ST_SU_mSV_SY_bEUlT_E_NS1_11comp_targetILNS1_3genE10ELNS1_11target_archE1200ELNS1_3gpuE4ELNS1_3repE0EEENS1_30default_config_static_selectorELNS0_4arch9wavefront6targetE0EEEvSS_.num_agpr, 0
	.set _ZN7rocprim17ROCPRIM_400000_NS6detail17trampoline_kernelINS0_14default_configENS1_27upper_bound_config_selectorIN6thrust23THRUST_200600_302600_NS5tupleIiiNS6_9null_typeES8_S8_S8_S8_S8_S8_S8_EEiEEZNS1_14transform_implILb0ES3_SA_NS6_6detail15normal_iteratorINS6_10device_ptrIS9_EEEENSD_INSE_IiEEEEZNS1_13binary_searchIS3_SA_SG_SG_SI_NS1_21upper_bound_search_opENSC_16wrapped_functionINS0_4lessIvEEbEEEE10hipError_tPvRmT1_T2_T3_mmT4_T5_P12ihipStream_tbEUlRKS9_E_EESP_ST_SU_mSV_SY_bEUlT_E_NS1_11comp_targetILNS1_3genE10ELNS1_11target_archE1200ELNS1_3gpuE4ELNS1_3repE0EEENS1_30default_config_static_selectorELNS0_4arch9wavefront6targetE0EEEvSS_.numbered_sgpr, 0
	.set _ZN7rocprim17ROCPRIM_400000_NS6detail17trampoline_kernelINS0_14default_configENS1_27upper_bound_config_selectorIN6thrust23THRUST_200600_302600_NS5tupleIiiNS6_9null_typeES8_S8_S8_S8_S8_S8_S8_EEiEEZNS1_14transform_implILb0ES3_SA_NS6_6detail15normal_iteratorINS6_10device_ptrIS9_EEEENSD_INSE_IiEEEEZNS1_13binary_searchIS3_SA_SG_SG_SI_NS1_21upper_bound_search_opENSC_16wrapped_functionINS0_4lessIvEEbEEEE10hipError_tPvRmT1_T2_T3_mmT4_T5_P12ihipStream_tbEUlRKS9_E_EESP_ST_SU_mSV_SY_bEUlT_E_NS1_11comp_targetILNS1_3genE10ELNS1_11target_archE1200ELNS1_3gpuE4ELNS1_3repE0EEENS1_30default_config_static_selectorELNS0_4arch9wavefront6targetE0EEEvSS_.num_named_barrier, 0
	.set _ZN7rocprim17ROCPRIM_400000_NS6detail17trampoline_kernelINS0_14default_configENS1_27upper_bound_config_selectorIN6thrust23THRUST_200600_302600_NS5tupleIiiNS6_9null_typeES8_S8_S8_S8_S8_S8_S8_EEiEEZNS1_14transform_implILb0ES3_SA_NS6_6detail15normal_iteratorINS6_10device_ptrIS9_EEEENSD_INSE_IiEEEEZNS1_13binary_searchIS3_SA_SG_SG_SI_NS1_21upper_bound_search_opENSC_16wrapped_functionINS0_4lessIvEEbEEEE10hipError_tPvRmT1_T2_T3_mmT4_T5_P12ihipStream_tbEUlRKS9_E_EESP_ST_SU_mSV_SY_bEUlT_E_NS1_11comp_targetILNS1_3genE10ELNS1_11target_archE1200ELNS1_3gpuE4ELNS1_3repE0EEENS1_30default_config_static_selectorELNS0_4arch9wavefront6targetE0EEEvSS_.private_seg_size, 0
	.set _ZN7rocprim17ROCPRIM_400000_NS6detail17trampoline_kernelINS0_14default_configENS1_27upper_bound_config_selectorIN6thrust23THRUST_200600_302600_NS5tupleIiiNS6_9null_typeES8_S8_S8_S8_S8_S8_S8_EEiEEZNS1_14transform_implILb0ES3_SA_NS6_6detail15normal_iteratorINS6_10device_ptrIS9_EEEENSD_INSE_IiEEEEZNS1_13binary_searchIS3_SA_SG_SG_SI_NS1_21upper_bound_search_opENSC_16wrapped_functionINS0_4lessIvEEbEEEE10hipError_tPvRmT1_T2_T3_mmT4_T5_P12ihipStream_tbEUlRKS9_E_EESP_ST_SU_mSV_SY_bEUlT_E_NS1_11comp_targetILNS1_3genE10ELNS1_11target_archE1200ELNS1_3gpuE4ELNS1_3repE0EEENS1_30default_config_static_selectorELNS0_4arch9wavefront6targetE0EEEvSS_.uses_vcc, 0
	.set _ZN7rocprim17ROCPRIM_400000_NS6detail17trampoline_kernelINS0_14default_configENS1_27upper_bound_config_selectorIN6thrust23THRUST_200600_302600_NS5tupleIiiNS6_9null_typeES8_S8_S8_S8_S8_S8_S8_EEiEEZNS1_14transform_implILb0ES3_SA_NS6_6detail15normal_iteratorINS6_10device_ptrIS9_EEEENSD_INSE_IiEEEEZNS1_13binary_searchIS3_SA_SG_SG_SI_NS1_21upper_bound_search_opENSC_16wrapped_functionINS0_4lessIvEEbEEEE10hipError_tPvRmT1_T2_T3_mmT4_T5_P12ihipStream_tbEUlRKS9_E_EESP_ST_SU_mSV_SY_bEUlT_E_NS1_11comp_targetILNS1_3genE10ELNS1_11target_archE1200ELNS1_3gpuE4ELNS1_3repE0EEENS1_30default_config_static_selectorELNS0_4arch9wavefront6targetE0EEEvSS_.uses_flat_scratch, 0
	.set _ZN7rocprim17ROCPRIM_400000_NS6detail17trampoline_kernelINS0_14default_configENS1_27upper_bound_config_selectorIN6thrust23THRUST_200600_302600_NS5tupleIiiNS6_9null_typeES8_S8_S8_S8_S8_S8_S8_EEiEEZNS1_14transform_implILb0ES3_SA_NS6_6detail15normal_iteratorINS6_10device_ptrIS9_EEEENSD_INSE_IiEEEEZNS1_13binary_searchIS3_SA_SG_SG_SI_NS1_21upper_bound_search_opENSC_16wrapped_functionINS0_4lessIvEEbEEEE10hipError_tPvRmT1_T2_T3_mmT4_T5_P12ihipStream_tbEUlRKS9_E_EESP_ST_SU_mSV_SY_bEUlT_E_NS1_11comp_targetILNS1_3genE10ELNS1_11target_archE1200ELNS1_3gpuE4ELNS1_3repE0EEENS1_30default_config_static_selectorELNS0_4arch9wavefront6targetE0EEEvSS_.has_dyn_sized_stack, 0
	.set _ZN7rocprim17ROCPRIM_400000_NS6detail17trampoline_kernelINS0_14default_configENS1_27upper_bound_config_selectorIN6thrust23THRUST_200600_302600_NS5tupleIiiNS6_9null_typeES8_S8_S8_S8_S8_S8_S8_EEiEEZNS1_14transform_implILb0ES3_SA_NS6_6detail15normal_iteratorINS6_10device_ptrIS9_EEEENSD_INSE_IiEEEEZNS1_13binary_searchIS3_SA_SG_SG_SI_NS1_21upper_bound_search_opENSC_16wrapped_functionINS0_4lessIvEEbEEEE10hipError_tPvRmT1_T2_T3_mmT4_T5_P12ihipStream_tbEUlRKS9_E_EESP_ST_SU_mSV_SY_bEUlT_E_NS1_11comp_targetILNS1_3genE10ELNS1_11target_archE1200ELNS1_3gpuE4ELNS1_3repE0EEENS1_30default_config_static_selectorELNS0_4arch9wavefront6targetE0EEEvSS_.has_recursion, 0
	.set _ZN7rocprim17ROCPRIM_400000_NS6detail17trampoline_kernelINS0_14default_configENS1_27upper_bound_config_selectorIN6thrust23THRUST_200600_302600_NS5tupleIiiNS6_9null_typeES8_S8_S8_S8_S8_S8_S8_EEiEEZNS1_14transform_implILb0ES3_SA_NS6_6detail15normal_iteratorINS6_10device_ptrIS9_EEEENSD_INSE_IiEEEEZNS1_13binary_searchIS3_SA_SG_SG_SI_NS1_21upper_bound_search_opENSC_16wrapped_functionINS0_4lessIvEEbEEEE10hipError_tPvRmT1_T2_T3_mmT4_T5_P12ihipStream_tbEUlRKS9_E_EESP_ST_SU_mSV_SY_bEUlT_E_NS1_11comp_targetILNS1_3genE10ELNS1_11target_archE1200ELNS1_3gpuE4ELNS1_3repE0EEENS1_30default_config_static_selectorELNS0_4arch9wavefront6targetE0EEEvSS_.has_indirect_call, 0
	.section	.AMDGPU.csdata,"",@progbits
; Kernel info:
; codeLenInByte = 0
; TotalNumSgprs: 0
; NumVgprs: 0
; ScratchSize: 0
; MemoryBound: 0
; FloatMode: 240
; IeeeMode: 1
; LDSByteSize: 0 bytes/workgroup (compile time only)
; SGPRBlocks: 0
; VGPRBlocks: 0
; NumSGPRsForWavesPerEU: 1
; NumVGPRsForWavesPerEU: 1
; Occupancy: 16
; WaveLimiterHint : 0
; COMPUTE_PGM_RSRC2:SCRATCH_EN: 0
; COMPUTE_PGM_RSRC2:USER_SGPR: 6
; COMPUTE_PGM_RSRC2:TRAP_HANDLER: 0
; COMPUTE_PGM_RSRC2:TGID_X_EN: 1
; COMPUTE_PGM_RSRC2:TGID_Y_EN: 0
; COMPUTE_PGM_RSRC2:TGID_Z_EN: 0
; COMPUTE_PGM_RSRC2:TIDIG_COMP_CNT: 0
	.section	.text._ZN7rocprim17ROCPRIM_400000_NS6detail17trampoline_kernelINS0_14default_configENS1_27upper_bound_config_selectorIN6thrust23THRUST_200600_302600_NS5tupleIiiNS6_9null_typeES8_S8_S8_S8_S8_S8_S8_EEiEEZNS1_14transform_implILb0ES3_SA_NS6_6detail15normal_iteratorINS6_10device_ptrIS9_EEEENSD_INSE_IiEEEEZNS1_13binary_searchIS3_SA_SG_SG_SI_NS1_21upper_bound_search_opENSC_16wrapped_functionINS0_4lessIvEEbEEEE10hipError_tPvRmT1_T2_T3_mmT4_T5_P12ihipStream_tbEUlRKS9_E_EESP_ST_SU_mSV_SY_bEUlT_E_NS1_11comp_targetILNS1_3genE9ELNS1_11target_archE1100ELNS1_3gpuE3ELNS1_3repE0EEENS1_30default_config_static_selectorELNS0_4arch9wavefront6targetE0EEEvSS_,"axG",@progbits,_ZN7rocprim17ROCPRIM_400000_NS6detail17trampoline_kernelINS0_14default_configENS1_27upper_bound_config_selectorIN6thrust23THRUST_200600_302600_NS5tupleIiiNS6_9null_typeES8_S8_S8_S8_S8_S8_S8_EEiEEZNS1_14transform_implILb0ES3_SA_NS6_6detail15normal_iteratorINS6_10device_ptrIS9_EEEENSD_INSE_IiEEEEZNS1_13binary_searchIS3_SA_SG_SG_SI_NS1_21upper_bound_search_opENSC_16wrapped_functionINS0_4lessIvEEbEEEE10hipError_tPvRmT1_T2_T3_mmT4_T5_P12ihipStream_tbEUlRKS9_E_EESP_ST_SU_mSV_SY_bEUlT_E_NS1_11comp_targetILNS1_3genE9ELNS1_11target_archE1100ELNS1_3gpuE3ELNS1_3repE0EEENS1_30default_config_static_selectorELNS0_4arch9wavefront6targetE0EEEvSS_,comdat
	.protected	_ZN7rocprim17ROCPRIM_400000_NS6detail17trampoline_kernelINS0_14default_configENS1_27upper_bound_config_selectorIN6thrust23THRUST_200600_302600_NS5tupleIiiNS6_9null_typeES8_S8_S8_S8_S8_S8_S8_EEiEEZNS1_14transform_implILb0ES3_SA_NS6_6detail15normal_iteratorINS6_10device_ptrIS9_EEEENSD_INSE_IiEEEEZNS1_13binary_searchIS3_SA_SG_SG_SI_NS1_21upper_bound_search_opENSC_16wrapped_functionINS0_4lessIvEEbEEEE10hipError_tPvRmT1_T2_T3_mmT4_T5_P12ihipStream_tbEUlRKS9_E_EESP_ST_SU_mSV_SY_bEUlT_E_NS1_11comp_targetILNS1_3genE9ELNS1_11target_archE1100ELNS1_3gpuE3ELNS1_3repE0EEENS1_30default_config_static_selectorELNS0_4arch9wavefront6targetE0EEEvSS_ ; -- Begin function _ZN7rocprim17ROCPRIM_400000_NS6detail17trampoline_kernelINS0_14default_configENS1_27upper_bound_config_selectorIN6thrust23THRUST_200600_302600_NS5tupleIiiNS6_9null_typeES8_S8_S8_S8_S8_S8_S8_EEiEEZNS1_14transform_implILb0ES3_SA_NS6_6detail15normal_iteratorINS6_10device_ptrIS9_EEEENSD_INSE_IiEEEEZNS1_13binary_searchIS3_SA_SG_SG_SI_NS1_21upper_bound_search_opENSC_16wrapped_functionINS0_4lessIvEEbEEEE10hipError_tPvRmT1_T2_T3_mmT4_T5_P12ihipStream_tbEUlRKS9_E_EESP_ST_SU_mSV_SY_bEUlT_E_NS1_11comp_targetILNS1_3genE9ELNS1_11target_archE1100ELNS1_3gpuE3ELNS1_3repE0EEENS1_30default_config_static_selectorELNS0_4arch9wavefront6targetE0EEEvSS_
	.globl	_ZN7rocprim17ROCPRIM_400000_NS6detail17trampoline_kernelINS0_14default_configENS1_27upper_bound_config_selectorIN6thrust23THRUST_200600_302600_NS5tupleIiiNS6_9null_typeES8_S8_S8_S8_S8_S8_S8_EEiEEZNS1_14transform_implILb0ES3_SA_NS6_6detail15normal_iteratorINS6_10device_ptrIS9_EEEENSD_INSE_IiEEEEZNS1_13binary_searchIS3_SA_SG_SG_SI_NS1_21upper_bound_search_opENSC_16wrapped_functionINS0_4lessIvEEbEEEE10hipError_tPvRmT1_T2_T3_mmT4_T5_P12ihipStream_tbEUlRKS9_E_EESP_ST_SU_mSV_SY_bEUlT_E_NS1_11comp_targetILNS1_3genE9ELNS1_11target_archE1100ELNS1_3gpuE3ELNS1_3repE0EEENS1_30default_config_static_selectorELNS0_4arch9wavefront6targetE0EEEvSS_
	.p2align	8
	.type	_ZN7rocprim17ROCPRIM_400000_NS6detail17trampoline_kernelINS0_14default_configENS1_27upper_bound_config_selectorIN6thrust23THRUST_200600_302600_NS5tupleIiiNS6_9null_typeES8_S8_S8_S8_S8_S8_S8_EEiEEZNS1_14transform_implILb0ES3_SA_NS6_6detail15normal_iteratorINS6_10device_ptrIS9_EEEENSD_INSE_IiEEEEZNS1_13binary_searchIS3_SA_SG_SG_SI_NS1_21upper_bound_search_opENSC_16wrapped_functionINS0_4lessIvEEbEEEE10hipError_tPvRmT1_T2_T3_mmT4_T5_P12ihipStream_tbEUlRKS9_E_EESP_ST_SU_mSV_SY_bEUlT_E_NS1_11comp_targetILNS1_3genE9ELNS1_11target_archE1100ELNS1_3gpuE3ELNS1_3repE0EEENS1_30default_config_static_selectorELNS0_4arch9wavefront6targetE0EEEvSS_,@function
_ZN7rocprim17ROCPRIM_400000_NS6detail17trampoline_kernelINS0_14default_configENS1_27upper_bound_config_selectorIN6thrust23THRUST_200600_302600_NS5tupleIiiNS6_9null_typeES8_S8_S8_S8_S8_S8_S8_EEiEEZNS1_14transform_implILb0ES3_SA_NS6_6detail15normal_iteratorINS6_10device_ptrIS9_EEEENSD_INSE_IiEEEEZNS1_13binary_searchIS3_SA_SG_SG_SI_NS1_21upper_bound_search_opENSC_16wrapped_functionINS0_4lessIvEEbEEEE10hipError_tPvRmT1_T2_T3_mmT4_T5_P12ihipStream_tbEUlRKS9_E_EESP_ST_SU_mSV_SY_bEUlT_E_NS1_11comp_targetILNS1_3genE9ELNS1_11target_archE1100ELNS1_3gpuE3ELNS1_3repE0EEENS1_30default_config_static_selectorELNS0_4arch9wavefront6targetE0EEEvSS_: ; @_ZN7rocprim17ROCPRIM_400000_NS6detail17trampoline_kernelINS0_14default_configENS1_27upper_bound_config_selectorIN6thrust23THRUST_200600_302600_NS5tupleIiiNS6_9null_typeES8_S8_S8_S8_S8_S8_S8_EEiEEZNS1_14transform_implILb0ES3_SA_NS6_6detail15normal_iteratorINS6_10device_ptrIS9_EEEENSD_INSE_IiEEEEZNS1_13binary_searchIS3_SA_SG_SG_SI_NS1_21upper_bound_search_opENSC_16wrapped_functionINS0_4lessIvEEbEEEE10hipError_tPvRmT1_T2_T3_mmT4_T5_P12ihipStream_tbEUlRKS9_E_EESP_ST_SU_mSV_SY_bEUlT_E_NS1_11comp_targetILNS1_3genE9ELNS1_11target_archE1100ELNS1_3gpuE3ELNS1_3repE0EEENS1_30default_config_static_selectorELNS0_4arch9wavefront6targetE0EEEvSS_
; %bb.0:
	.section	.rodata,"a",@progbits
	.p2align	6, 0x0
	.amdhsa_kernel _ZN7rocprim17ROCPRIM_400000_NS6detail17trampoline_kernelINS0_14default_configENS1_27upper_bound_config_selectorIN6thrust23THRUST_200600_302600_NS5tupleIiiNS6_9null_typeES8_S8_S8_S8_S8_S8_S8_EEiEEZNS1_14transform_implILb0ES3_SA_NS6_6detail15normal_iteratorINS6_10device_ptrIS9_EEEENSD_INSE_IiEEEEZNS1_13binary_searchIS3_SA_SG_SG_SI_NS1_21upper_bound_search_opENSC_16wrapped_functionINS0_4lessIvEEbEEEE10hipError_tPvRmT1_T2_T3_mmT4_T5_P12ihipStream_tbEUlRKS9_E_EESP_ST_SU_mSV_SY_bEUlT_E_NS1_11comp_targetILNS1_3genE9ELNS1_11target_archE1100ELNS1_3gpuE3ELNS1_3repE0EEENS1_30default_config_static_selectorELNS0_4arch9wavefront6targetE0EEEvSS_
		.amdhsa_group_segment_fixed_size 0
		.amdhsa_private_segment_fixed_size 0
		.amdhsa_kernarg_size 56
		.amdhsa_user_sgpr_count 6
		.amdhsa_user_sgpr_private_segment_buffer 1
		.amdhsa_user_sgpr_dispatch_ptr 0
		.amdhsa_user_sgpr_queue_ptr 0
		.amdhsa_user_sgpr_kernarg_segment_ptr 1
		.amdhsa_user_sgpr_dispatch_id 0
		.amdhsa_user_sgpr_flat_scratch_init 0
		.amdhsa_user_sgpr_private_segment_size 0
		.amdhsa_wavefront_size32 1
		.amdhsa_uses_dynamic_stack 0
		.amdhsa_system_sgpr_private_segment_wavefront_offset 0
		.amdhsa_system_sgpr_workgroup_id_x 1
		.amdhsa_system_sgpr_workgroup_id_y 0
		.amdhsa_system_sgpr_workgroup_id_z 0
		.amdhsa_system_sgpr_workgroup_info 0
		.amdhsa_system_vgpr_workitem_id 0
		.amdhsa_next_free_vgpr 1
		.amdhsa_next_free_sgpr 1
		.amdhsa_reserve_vcc 0
		.amdhsa_reserve_flat_scratch 0
		.amdhsa_float_round_mode_32 0
		.amdhsa_float_round_mode_16_64 0
		.amdhsa_float_denorm_mode_32 3
		.amdhsa_float_denorm_mode_16_64 3
		.amdhsa_dx10_clamp 1
		.amdhsa_ieee_mode 1
		.amdhsa_fp16_overflow 0
		.amdhsa_workgroup_processor_mode 1
		.amdhsa_memory_ordered 1
		.amdhsa_forward_progress 1
		.amdhsa_shared_vgpr_count 0
		.amdhsa_exception_fp_ieee_invalid_op 0
		.amdhsa_exception_fp_denorm_src 0
		.amdhsa_exception_fp_ieee_div_zero 0
		.amdhsa_exception_fp_ieee_overflow 0
		.amdhsa_exception_fp_ieee_underflow 0
		.amdhsa_exception_fp_ieee_inexact 0
		.amdhsa_exception_int_div_zero 0
	.end_amdhsa_kernel
	.section	.text._ZN7rocprim17ROCPRIM_400000_NS6detail17trampoline_kernelINS0_14default_configENS1_27upper_bound_config_selectorIN6thrust23THRUST_200600_302600_NS5tupleIiiNS6_9null_typeES8_S8_S8_S8_S8_S8_S8_EEiEEZNS1_14transform_implILb0ES3_SA_NS6_6detail15normal_iteratorINS6_10device_ptrIS9_EEEENSD_INSE_IiEEEEZNS1_13binary_searchIS3_SA_SG_SG_SI_NS1_21upper_bound_search_opENSC_16wrapped_functionINS0_4lessIvEEbEEEE10hipError_tPvRmT1_T2_T3_mmT4_T5_P12ihipStream_tbEUlRKS9_E_EESP_ST_SU_mSV_SY_bEUlT_E_NS1_11comp_targetILNS1_3genE9ELNS1_11target_archE1100ELNS1_3gpuE3ELNS1_3repE0EEENS1_30default_config_static_selectorELNS0_4arch9wavefront6targetE0EEEvSS_,"axG",@progbits,_ZN7rocprim17ROCPRIM_400000_NS6detail17trampoline_kernelINS0_14default_configENS1_27upper_bound_config_selectorIN6thrust23THRUST_200600_302600_NS5tupleIiiNS6_9null_typeES8_S8_S8_S8_S8_S8_S8_EEiEEZNS1_14transform_implILb0ES3_SA_NS6_6detail15normal_iteratorINS6_10device_ptrIS9_EEEENSD_INSE_IiEEEEZNS1_13binary_searchIS3_SA_SG_SG_SI_NS1_21upper_bound_search_opENSC_16wrapped_functionINS0_4lessIvEEbEEEE10hipError_tPvRmT1_T2_T3_mmT4_T5_P12ihipStream_tbEUlRKS9_E_EESP_ST_SU_mSV_SY_bEUlT_E_NS1_11comp_targetILNS1_3genE9ELNS1_11target_archE1100ELNS1_3gpuE3ELNS1_3repE0EEENS1_30default_config_static_selectorELNS0_4arch9wavefront6targetE0EEEvSS_,comdat
.Lfunc_end624:
	.size	_ZN7rocprim17ROCPRIM_400000_NS6detail17trampoline_kernelINS0_14default_configENS1_27upper_bound_config_selectorIN6thrust23THRUST_200600_302600_NS5tupleIiiNS6_9null_typeES8_S8_S8_S8_S8_S8_S8_EEiEEZNS1_14transform_implILb0ES3_SA_NS6_6detail15normal_iteratorINS6_10device_ptrIS9_EEEENSD_INSE_IiEEEEZNS1_13binary_searchIS3_SA_SG_SG_SI_NS1_21upper_bound_search_opENSC_16wrapped_functionINS0_4lessIvEEbEEEE10hipError_tPvRmT1_T2_T3_mmT4_T5_P12ihipStream_tbEUlRKS9_E_EESP_ST_SU_mSV_SY_bEUlT_E_NS1_11comp_targetILNS1_3genE9ELNS1_11target_archE1100ELNS1_3gpuE3ELNS1_3repE0EEENS1_30default_config_static_selectorELNS0_4arch9wavefront6targetE0EEEvSS_, .Lfunc_end624-_ZN7rocprim17ROCPRIM_400000_NS6detail17trampoline_kernelINS0_14default_configENS1_27upper_bound_config_selectorIN6thrust23THRUST_200600_302600_NS5tupleIiiNS6_9null_typeES8_S8_S8_S8_S8_S8_S8_EEiEEZNS1_14transform_implILb0ES3_SA_NS6_6detail15normal_iteratorINS6_10device_ptrIS9_EEEENSD_INSE_IiEEEEZNS1_13binary_searchIS3_SA_SG_SG_SI_NS1_21upper_bound_search_opENSC_16wrapped_functionINS0_4lessIvEEbEEEE10hipError_tPvRmT1_T2_T3_mmT4_T5_P12ihipStream_tbEUlRKS9_E_EESP_ST_SU_mSV_SY_bEUlT_E_NS1_11comp_targetILNS1_3genE9ELNS1_11target_archE1100ELNS1_3gpuE3ELNS1_3repE0EEENS1_30default_config_static_selectorELNS0_4arch9wavefront6targetE0EEEvSS_
                                        ; -- End function
	.set _ZN7rocprim17ROCPRIM_400000_NS6detail17trampoline_kernelINS0_14default_configENS1_27upper_bound_config_selectorIN6thrust23THRUST_200600_302600_NS5tupleIiiNS6_9null_typeES8_S8_S8_S8_S8_S8_S8_EEiEEZNS1_14transform_implILb0ES3_SA_NS6_6detail15normal_iteratorINS6_10device_ptrIS9_EEEENSD_INSE_IiEEEEZNS1_13binary_searchIS3_SA_SG_SG_SI_NS1_21upper_bound_search_opENSC_16wrapped_functionINS0_4lessIvEEbEEEE10hipError_tPvRmT1_T2_T3_mmT4_T5_P12ihipStream_tbEUlRKS9_E_EESP_ST_SU_mSV_SY_bEUlT_E_NS1_11comp_targetILNS1_3genE9ELNS1_11target_archE1100ELNS1_3gpuE3ELNS1_3repE0EEENS1_30default_config_static_selectorELNS0_4arch9wavefront6targetE0EEEvSS_.num_vgpr, 0
	.set _ZN7rocprim17ROCPRIM_400000_NS6detail17trampoline_kernelINS0_14default_configENS1_27upper_bound_config_selectorIN6thrust23THRUST_200600_302600_NS5tupleIiiNS6_9null_typeES8_S8_S8_S8_S8_S8_S8_EEiEEZNS1_14transform_implILb0ES3_SA_NS6_6detail15normal_iteratorINS6_10device_ptrIS9_EEEENSD_INSE_IiEEEEZNS1_13binary_searchIS3_SA_SG_SG_SI_NS1_21upper_bound_search_opENSC_16wrapped_functionINS0_4lessIvEEbEEEE10hipError_tPvRmT1_T2_T3_mmT4_T5_P12ihipStream_tbEUlRKS9_E_EESP_ST_SU_mSV_SY_bEUlT_E_NS1_11comp_targetILNS1_3genE9ELNS1_11target_archE1100ELNS1_3gpuE3ELNS1_3repE0EEENS1_30default_config_static_selectorELNS0_4arch9wavefront6targetE0EEEvSS_.num_agpr, 0
	.set _ZN7rocprim17ROCPRIM_400000_NS6detail17trampoline_kernelINS0_14default_configENS1_27upper_bound_config_selectorIN6thrust23THRUST_200600_302600_NS5tupleIiiNS6_9null_typeES8_S8_S8_S8_S8_S8_S8_EEiEEZNS1_14transform_implILb0ES3_SA_NS6_6detail15normal_iteratorINS6_10device_ptrIS9_EEEENSD_INSE_IiEEEEZNS1_13binary_searchIS3_SA_SG_SG_SI_NS1_21upper_bound_search_opENSC_16wrapped_functionINS0_4lessIvEEbEEEE10hipError_tPvRmT1_T2_T3_mmT4_T5_P12ihipStream_tbEUlRKS9_E_EESP_ST_SU_mSV_SY_bEUlT_E_NS1_11comp_targetILNS1_3genE9ELNS1_11target_archE1100ELNS1_3gpuE3ELNS1_3repE0EEENS1_30default_config_static_selectorELNS0_4arch9wavefront6targetE0EEEvSS_.numbered_sgpr, 0
	.set _ZN7rocprim17ROCPRIM_400000_NS6detail17trampoline_kernelINS0_14default_configENS1_27upper_bound_config_selectorIN6thrust23THRUST_200600_302600_NS5tupleIiiNS6_9null_typeES8_S8_S8_S8_S8_S8_S8_EEiEEZNS1_14transform_implILb0ES3_SA_NS6_6detail15normal_iteratorINS6_10device_ptrIS9_EEEENSD_INSE_IiEEEEZNS1_13binary_searchIS3_SA_SG_SG_SI_NS1_21upper_bound_search_opENSC_16wrapped_functionINS0_4lessIvEEbEEEE10hipError_tPvRmT1_T2_T3_mmT4_T5_P12ihipStream_tbEUlRKS9_E_EESP_ST_SU_mSV_SY_bEUlT_E_NS1_11comp_targetILNS1_3genE9ELNS1_11target_archE1100ELNS1_3gpuE3ELNS1_3repE0EEENS1_30default_config_static_selectorELNS0_4arch9wavefront6targetE0EEEvSS_.num_named_barrier, 0
	.set _ZN7rocprim17ROCPRIM_400000_NS6detail17trampoline_kernelINS0_14default_configENS1_27upper_bound_config_selectorIN6thrust23THRUST_200600_302600_NS5tupleIiiNS6_9null_typeES8_S8_S8_S8_S8_S8_S8_EEiEEZNS1_14transform_implILb0ES3_SA_NS6_6detail15normal_iteratorINS6_10device_ptrIS9_EEEENSD_INSE_IiEEEEZNS1_13binary_searchIS3_SA_SG_SG_SI_NS1_21upper_bound_search_opENSC_16wrapped_functionINS0_4lessIvEEbEEEE10hipError_tPvRmT1_T2_T3_mmT4_T5_P12ihipStream_tbEUlRKS9_E_EESP_ST_SU_mSV_SY_bEUlT_E_NS1_11comp_targetILNS1_3genE9ELNS1_11target_archE1100ELNS1_3gpuE3ELNS1_3repE0EEENS1_30default_config_static_selectorELNS0_4arch9wavefront6targetE0EEEvSS_.private_seg_size, 0
	.set _ZN7rocprim17ROCPRIM_400000_NS6detail17trampoline_kernelINS0_14default_configENS1_27upper_bound_config_selectorIN6thrust23THRUST_200600_302600_NS5tupleIiiNS6_9null_typeES8_S8_S8_S8_S8_S8_S8_EEiEEZNS1_14transform_implILb0ES3_SA_NS6_6detail15normal_iteratorINS6_10device_ptrIS9_EEEENSD_INSE_IiEEEEZNS1_13binary_searchIS3_SA_SG_SG_SI_NS1_21upper_bound_search_opENSC_16wrapped_functionINS0_4lessIvEEbEEEE10hipError_tPvRmT1_T2_T3_mmT4_T5_P12ihipStream_tbEUlRKS9_E_EESP_ST_SU_mSV_SY_bEUlT_E_NS1_11comp_targetILNS1_3genE9ELNS1_11target_archE1100ELNS1_3gpuE3ELNS1_3repE0EEENS1_30default_config_static_selectorELNS0_4arch9wavefront6targetE0EEEvSS_.uses_vcc, 0
	.set _ZN7rocprim17ROCPRIM_400000_NS6detail17trampoline_kernelINS0_14default_configENS1_27upper_bound_config_selectorIN6thrust23THRUST_200600_302600_NS5tupleIiiNS6_9null_typeES8_S8_S8_S8_S8_S8_S8_EEiEEZNS1_14transform_implILb0ES3_SA_NS6_6detail15normal_iteratorINS6_10device_ptrIS9_EEEENSD_INSE_IiEEEEZNS1_13binary_searchIS3_SA_SG_SG_SI_NS1_21upper_bound_search_opENSC_16wrapped_functionINS0_4lessIvEEbEEEE10hipError_tPvRmT1_T2_T3_mmT4_T5_P12ihipStream_tbEUlRKS9_E_EESP_ST_SU_mSV_SY_bEUlT_E_NS1_11comp_targetILNS1_3genE9ELNS1_11target_archE1100ELNS1_3gpuE3ELNS1_3repE0EEENS1_30default_config_static_selectorELNS0_4arch9wavefront6targetE0EEEvSS_.uses_flat_scratch, 0
	.set _ZN7rocprim17ROCPRIM_400000_NS6detail17trampoline_kernelINS0_14default_configENS1_27upper_bound_config_selectorIN6thrust23THRUST_200600_302600_NS5tupleIiiNS6_9null_typeES8_S8_S8_S8_S8_S8_S8_EEiEEZNS1_14transform_implILb0ES3_SA_NS6_6detail15normal_iteratorINS6_10device_ptrIS9_EEEENSD_INSE_IiEEEEZNS1_13binary_searchIS3_SA_SG_SG_SI_NS1_21upper_bound_search_opENSC_16wrapped_functionINS0_4lessIvEEbEEEE10hipError_tPvRmT1_T2_T3_mmT4_T5_P12ihipStream_tbEUlRKS9_E_EESP_ST_SU_mSV_SY_bEUlT_E_NS1_11comp_targetILNS1_3genE9ELNS1_11target_archE1100ELNS1_3gpuE3ELNS1_3repE0EEENS1_30default_config_static_selectorELNS0_4arch9wavefront6targetE0EEEvSS_.has_dyn_sized_stack, 0
	.set _ZN7rocprim17ROCPRIM_400000_NS6detail17trampoline_kernelINS0_14default_configENS1_27upper_bound_config_selectorIN6thrust23THRUST_200600_302600_NS5tupleIiiNS6_9null_typeES8_S8_S8_S8_S8_S8_S8_EEiEEZNS1_14transform_implILb0ES3_SA_NS6_6detail15normal_iteratorINS6_10device_ptrIS9_EEEENSD_INSE_IiEEEEZNS1_13binary_searchIS3_SA_SG_SG_SI_NS1_21upper_bound_search_opENSC_16wrapped_functionINS0_4lessIvEEbEEEE10hipError_tPvRmT1_T2_T3_mmT4_T5_P12ihipStream_tbEUlRKS9_E_EESP_ST_SU_mSV_SY_bEUlT_E_NS1_11comp_targetILNS1_3genE9ELNS1_11target_archE1100ELNS1_3gpuE3ELNS1_3repE0EEENS1_30default_config_static_selectorELNS0_4arch9wavefront6targetE0EEEvSS_.has_recursion, 0
	.set _ZN7rocprim17ROCPRIM_400000_NS6detail17trampoline_kernelINS0_14default_configENS1_27upper_bound_config_selectorIN6thrust23THRUST_200600_302600_NS5tupleIiiNS6_9null_typeES8_S8_S8_S8_S8_S8_S8_EEiEEZNS1_14transform_implILb0ES3_SA_NS6_6detail15normal_iteratorINS6_10device_ptrIS9_EEEENSD_INSE_IiEEEEZNS1_13binary_searchIS3_SA_SG_SG_SI_NS1_21upper_bound_search_opENSC_16wrapped_functionINS0_4lessIvEEbEEEE10hipError_tPvRmT1_T2_T3_mmT4_T5_P12ihipStream_tbEUlRKS9_E_EESP_ST_SU_mSV_SY_bEUlT_E_NS1_11comp_targetILNS1_3genE9ELNS1_11target_archE1100ELNS1_3gpuE3ELNS1_3repE0EEENS1_30default_config_static_selectorELNS0_4arch9wavefront6targetE0EEEvSS_.has_indirect_call, 0
	.section	.AMDGPU.csdata,"",@progbits
; Kernel info:
; codeLenInByte = 0
; TotalNumSgprs: 0
; NumVgprs: 0
; ScratchSize: 0
; MemoryBound: 0
; FloatMode: 240
; IeeeMode: 1
; LDSByteSize: 0 bytes/workgroup (compile time only)
; SGPRBlocks: 0
; VGPRBlocks: 0
; NumSGPRsForWavesPerEU: 1
; NumVGPRsForWavesPerEU: 1
; Occupancy: 16
; WaveLimiterHint : 0
; COMPUTE_PGM_RSRC2:SCRATCH_EN: 0
; COMPUTE_PGM_RSRC2:USER_SGPR: 6
; COMPUTE_PGM_RSRC2:TRAP_HANDLER: 0
; COMPUTE_PGM_RSRC2:TGID_X_EN: 1
; COMPUTE_PGM_RSRC2:TGID_Y_EN: 0
; COMPUTE_PGM_RSRC2:TGID_Z_EN: 0
; COMPUTE_PGM_RSRC2:TIDIG_COMP_CNT: 0
	.section	.text._ZN7rocprim17ROCPRIM_400000_NS6detail17trampoline_kernelINS0_14default_configENS1_27upper_bound_config_selectorIN6thrust23THRUST_200600_302600_NS5tupleIiiNS6_9null_typeES8_S8_S8_S8_S8_S8_S8_EEiEEZNS1_14transform_implILb0ES3_SA_NS6_6detail15normal_iteratorINS6_10device_ptrIS9_EEEENSD_INSE_IiEEEEZNS1_13binary_searchIS3_SA_SG_SG_SI_NS1_21upper_bound_search_opENSC_16wrapped_functionINS0_4lessIvEEbEEEE10hipError_tPvRmT1_T2_T3_mmT4_T5_P12ihipStream_tbEUlRKS9_E_EESP_ST_SU_mSV_SY_bEUlT_E_NS1_11comp_targetILNS1_3genE8ELNS1_11target_archE1030ELNS1_3gpuE2ELNS1_3repE0EEENS1_30default_config_static_selectorELNS0_4arch9wavefront6targetE0EEEvSS_,"axG",@progbits,_ZN7rocprim17ROCPRIM_400000_NS6detail17trampoline_kernelINS0_14default_configENS1_27upper_bound_config_selectorIN6thrust23THRUST_200600_302600_NS5tupleIiiNS6_9null_typeES8_S8_S8_S8_S8_S8_S8_EEiEEZNS1_14transform_implILb0ES3_SA_NS6_6detail15normal_iteratorINS6_10device_ptrIS9_EEEENSD_INSE_IiEEEEZNS1_13binary_searchIS3_SA_SG_SG_SI_NS1_21upper_bound_search_opENSC_16wrapped_functionINS0_4lessIvEEbEEEE10hipError_tPvRmT1_T2_T3_mmT4_T5_P12ihipStream_tbEUlRKS9_E_EESP_ST_SU_mSV_SY_bEUlT_E_NS1_11comp_targetILNS1_3genE8ELNS1_11target_archE1030ELNS1_3gpuE2ELNS1_3repE0EEENS1_30default_config_static_selectorELNS0_4arch9wavefront6targetE0EEEvSS_,comdat
	.protected	_ZN7rocprim17ROCPRIM_400000_NS6detail17trampoline_kernelINS0_14default_configENS1_27upper_bound_config_selectorIN6thrust23THRUST_200600_302600_NS5tupleIiiNS6_9null_typeES8_S8_S8_S8_S8_S8_S8_EEiEEZNS1_14transform_implILb0ES3_SA_NS6_6detail15normal_iteratorINS6_10device_ptrIS9_EEEENSD_INSE_IiEEEEZNS1_13binary_searchIS3_SA_SG_SG_SI_NS1_21upper_bound_search_opENSC_16wrapped_functionINS0_4lessIvEEbEEEE10hipError_tPvRmT1_T2_T3_mmT4_T5_P12ihipStream_tbEUlRKS9_E_EESP_ST_SU_mSV_SY_bEUlT_E_NS1_11comp_targetILNS1_3genE8ELNS1_11target_archE1030ELNS1_3gpuE2ELNS1_3repE0EEENS1_30default_config_static_selectorELNS0_4arch9wavefront6targetE0EEEvSS_ ; -- Begin function _ZN7rocprim17ROCPRIM_400000_NS6detail17trampoline_kernelINS0_14default_configENS1_27upper_bound_config_selectorIN6thrust23THRUST_200600_302600_NS5tupleIiiNS6_9null_typeES8_S8_S8_S8_S8_S8_S8_EEiEEZNS1_14transform_implILb0ES3_SA_NS6_6detail15normal_iteratorINS6_10device_ptrIS9_EEEENSD_INSE_IiEEEEZNS1_13binary_searchIS3_SA_SG_SG_SI_NS1_21upper_bound_search_opENSC_16wrapped_functionINS0_4lessIvEEbEEEE10hipError_tPvRmT1_T2_T3_mmT4_T5_P12ihipStream_tbEUlRKS9_E_EESP_ST_SU_mSV_SY_bEUlT_E_NS1_11comp_targetILNS1_3genE8ELNS1_11target_archE1030ELNS1_3gpuE2ELNS1_3repE0EEENS1_30default_config_static_selectorELNS0_4arch9wavefront6targetE0EEEvSS_
	.globl	_ZN7rocprim17ROCPRIM_400000_NS6detail17trampoline_kernelINS0_14default_configENS1_27upper_bound_config_selectorIN6thrust23THRUST_200600_302600_NS5tupleIiiNS6_9null_typeES8_S8_S8_S8_S8_S8_S8_EEiEEZNS1_14transform_implILb0ES3_SA_NS6_6detail15normal_iteratorINS6_10device_ptrIS9_EEEENSD_INSE_IiEEEEZNS1_13binary_searchIS3_SA_SG_SG_SI_NS1_21upper_bound_search_opENSC_16wrapped_functionINS0_4lessIvEEbEEEE10hipError_tPvRmT1_T2_T3_mmT4_T5_P12ihipStream_tbEUlRKS9_E_EESP_ST_SU_mSV_SY_bEUlT_E_NS1_11comp_targetILNS1_3genE8ELNS1_11target_archE1030ELNS1_3gpuE2ELNS1_3repE0EEENS1_30default_config_static_selectorELNS0_4arch9wavefront6targetE0EEEvSS_
	.p2align	8
	.type	_ZN7rocprim17ROCPRIM_400000_NS6detail17trampoline_kernelINS0_14default_configENS1_27upper_bound_config_selectorIN6thrust23THRUST_200600_302600_NS5tupleIiiNS6_9null_typeES8_S8_S8_S8_S8_S8_S8_EEiEEZNS1_14transform_implILb0ES3_SA_NS6_6detail15normal_iteratorINS6_10device_ptrIS9_EEEENSD_INSE_IiEEEEZNS1_13binary_searchIS3_SA_SG_SG_SI_NS1_21upper_bound_search_opENSC_16wrapped_functionINS0_4lessIvEEbEEEE10hipError_tPvRmT1_T2_T3_mmT4_T5_P12ihipStream_tbEUlRKS9_E_EESP_ST_SU_mSV_SY_bEUlT_E_NS1_11comp_targetILNS1_3genE8ELNS1_11target_archE1030ELNS1_3gpuE2ELNS1_3repE0EEENS1_30default_config_static_selectorELNS0_4arch9wavefront6targetE0EEEvSS_,@function
_ZN7rocprim17ROCPRIM_400000_NS6detail17trampoline_kernelINS0_14default_configENS1_27upper_bound_config_selectorIN6thrust23THRUST_200600_302600_NS5tupleIiiNS6_9null_typeES8_S8_S8_S8_S8_S8_S8_EEiEEZNS1_14transform_implILb0ES3_SA_NS6_6detail15normal_iteratorINS6_10device_ptrIS9_EEEENSD_INSE_IiEEEEZNS1_13binary_searchIS3_SA_SG_SG_SI_NS1_21upper_bound_search_opENSC_16wrapped_functionINS0_4lessIvEEbEEEE10hipError_tPvRmT1_T2_T3_mmT4_T5_P12ihipStream_tbEUlRKS9_E_EESP_ST_SU_mSV_SY_bEUlT_E_NS1_11comp_targetILNS1_3genE8ELNS1_11target_archE1030ELNS1_3gpuE2ELNS1_3repE0EEENS1_30default_config_static_selectorELNS0_4arch9wavefront6targetE0EEEvSS_: ; @_ZN7rocprim17ROCPRIM_400000_NS6detail17trampoline_kernelINS0_14default_configENS1_27upper_bound_config_selectorIN6thrust23THRUST_200600_302600_NS5tupleIiiNS6_9null_typeES8_S8_S8_S8_S8_S8_S8_EEiEEZNS1_14transform_implILb0ES3_SA_NS6_6detail15normal_iteratorINS6_10device_ptrIS9_EEEENSD_INSE_IiEEEEZNS1_13binary_searchIS3_SA_SG_SG_SI_NS1_21upper_bound_search_opENSC_16wrapped_functionINS0_4lessIvEEbEEEE10hipError_tPvRmT1_T2_T3_mmT4_T5_P12ihipStream_tbEUlRKS9_E_EESP_ST_SU_mSV_SY_bEUlT_E_NS1_11comp_targetILNS1_3genE8ELNS1_11target_archE1030ELNS1_3gpuE2ELNS1_3repE0EEENS1_30default_config_static_selectorELNS0_4arch9wavefront6targetE0EEEvSS_
; %bb.0:
	s_clause 0x3
	s_load_dwordx4 s[0:3], s[4:5], 0x0
	s_load_dword s17, s[4:5], 0x38
	s_load_dwordx2 s[14:15], s[4:5], 0x28
	s_load_dwordx4 s[8:11], s[4:5], 0x18
	s_waitcnt lgkmcnt(0)
	s_lshl_b64 s[12:13], s[2:3], 3
	s_add_u32 s7, s0, s12
	s_addc_u32 s16, s1, s13
	s_add_i32 s17, s17, -1
	s_lshl_b32 s12, s6, 8
	s_mov_b32 s13, 0
	s_cmp_lg_u32 s6, s17
	s_mov_b32 s0, -1
	s_cbranch_scc0 .LBB625_6
; %bb.1:
	v_mov_b32_e32 v1, 0
	s_cmp_eq_u64 s[14:15], 0
	v_mov_b32_e32 v2, v1
	s_cbranch_scc1 .LBB625_5
; %bb.2:
	v_lshlrev_b32_e32 v2, 3, v0
	s_lshl_b64 s[0:1], s[12:13], 3
	v_mov_b32_e32 v6, s14
	s_add_u32 s0, s7, s0
	s_addc_u32 s1, s16, s1
	v_add_co_u32 v2, s0, s0, v2
	v_add_co_ci_u32_e64 v3, null, s1, 0, s0
	v_mov_b32_e32 v7, s15
	s_mov_b32 s6, 0
	flat_load_dwordx2 v[4:5], v[2:3]
	v_mov_b32_e32 v2, 0
	v_mov_b32_e32 v3, 0
	s_inst_prefetch 0x1
	.p2align	6
.LBB625_3:                              ; =>This Inner Loop Header: Depth=1
	v_sub_co_u32 v8, vcc_lo, v6, v2
	v_sub_co_ci_u32_e64 v9, null, v7, v3, vcc_lo
	v_lshrrev_b64 v[10:11], 1, v[8:9]
	v_lshrrev_b64 v[8:9], 6, v[8:9]
	v_add_co_u32 v10, vcc_lo, v10, v2
	v_add_co_ci_u32_e64 v11, null, v11, v3, vcc_lo
	v_add_co_u32 v8, vcc_lo, v10, v8
	v_add_co_ci_u32_e64 v9, null, v11, v9, vcc_lo
	v_lshlrev_b64 v[10:11], 3, v[8:9]
	v_add_co_u32 v10, vcc_lo, s10, v10
	v_add_co_ci_u32_e64 v11, null, s11, v11, vcc_lo
	v_add_co_u32 v12, vcc_lo, v8, 1
	v_add_co_ci_u32_e64 v13, null, 0, v9, vcc_lo
	global_load_dwordx2 v[10:11], v[10:11], off
	s_waitcnt vmcnt(0) lgkmcnt(0)
	v_cmp_ge_i32_e32 vcc_lo, v10, v4
	v_cmp_lt_i32_e64 s0, v5, v11
	v_cmp_lt_i32_e64 s1, v4, v10
	s_and_b32 s0, vcc_lo, s0
	s_or_b32 vcc_lo, s1, s0
	v_cndmask_b32_e32 v7, v7, v9, vcc_lo
	v_cndmask_b32_e32 v6, v6, v8, vcc_lo
	;; [unrolled: 1-line block ×4, first 2 shown]
	v_cmp_ge_u64_e32 vcc_lo, v[2:3], v[6:7]
	s_or_b32 s6, vcc_lo, s6
	s_andn2_b32 exec_lo, exec_lo, s6
	s_cbranch_execnz .LBB625_3
; %bb.4:
	s_inst_prefetch 0x2
	s_or_b32 exec_lo, exec_lo, s6
.LBB625_5:
	s_mov_b32 s6, -1
	s_cbranch_execz .LBB625_7
	s_branch .LBB625_14
.LBB625_6:
	s_mov_b32 s6, s13
                                        ; implicit-def: $vgpr2
	s_andn2_b32 vcc_lo, exec_lo, s0
	s_cbranch_vccnz .LBB625_14
.LBB625_7:
	s_load_dword s0, s[4:5], 0x10
	s_mov_b32 s4, exec_lo
                                        ; implicit-def: $vgpr2
	s_waitcnt lgkmcnt(0)
	s_sub_i32 s0, s0, s12
	v_cmpx_gt_u32_e64 s0, v0
	s_cbranch_execz .LBB625_13
; %bb.8:
	v_mov_b32_e32 v1, 0
	s_cmp_eq_u64 s[14:15], 0
	v_mov_b32_e32 v2, v1
	s_cbranch_scc1 .LBB625_12
; %bb.9:
	v_lshlrev_b32_e32 v2, 3, v0
	s_lshl_b64 s[0:1], s[12:13], 3
	v_mov_b32_e32 v6, s14
	s_add_u32 s0, s7, s0
	s_addc_u32 s1, s16, s1
	v_add_co_u32 v2, s0, s0, v2
	v_add_co_ci_u32_e64 v3, null, s1, 0, s0
	v_mov_b32_e32 v7, s15
	s_mov_b32 s5, 0
	flat_load_dwordx2 v[4:5], v[2:3]
	v_mov_b32_e32 v2, 0
	v_mov_b32_e32 v3, 0
	s_inst_prefetch 0x1
	.p2align	6
.LBB625_10:                             ; =>This Inner Loop Header: Depth=1
	v_sub_co_u32 v8, vcc_lo, v6, v2
	v_sub_co_ci_u32_e64 v9, null, v7, v3, vcc_lo
	v_lshrrev_b64 v[10:11], 1, v[8:9]
	v_lshrrev_b64 v[8:9], 6, v[8:9]
	v_add_co_u32 v10, vcc_lo, v10, v2
	v_add_co_ci_u32_e64 v11, null, v11, v3, vcc_lo
	v_add_co_u32 v8, vcc_lo, v10, v8
	v_add_co_ci_u32_e64 v9, null, v11, v9, vcc_lo
	v_lshlrev_b64 v[10:11], 3, v[8:9]
	v_add_co_u32 v10, vcc_lo, s10, v10
	v_add_co_ci_u32_e64 v11, null, s11, v11, vcc_lo
	v_add_co_u32 v12, vcc_lo, v8, 1
	v_add_co_ci_u32_e64 v13, null, 0, v9, vcc_lo
	global_load_dwordx2 v[10:11], v[10:11], off
	s_waitcnt vmcnt(0) lgkmcnt(0)
	v_cmp_ge_i32_e32 vcc_lo, v10, v4
	v_cmp_lt_i32_e64 s0, v5, v11
	v_cmp_lt_i32_e64 s1, v4, v10
	s_and_b32 s0, vcc_lo, s0
	s_or_b32 vcc_lo, s1, s0
	v_cndmask_b32_e32 v7, v7, v9, vcc_lo
	v_cndmask_b32_e32 v6, v6, v8, vcc_lo
	;; [unrolled: 1-line block ×4, first 2 shown]
	v_cmp_ge_u64_e32 vcc_lo, v[2:3], v[6:7]
	s_or_b32 s5, vcc_lo, s5
	s_andn2_b32 exec_lo, exec_lo, s5
	s_cbranch_execnz .LBB625_10
; %bb.11:
	s_inst_prefetch 0x2
	s_or_b32 exec_lo, exec_lo, s5
.LBB625_12:
	s_or_b32 s6, s6, exec_lo
.LBB625_13:
	s_or_b32 exec_lo, exec_lo, s4
.LBB625_14:
	s_and_saveexec_b32 s0, s6
	s_cbranch_execnz .LBB625_16
; %bb.15:
	s_endpgm
.LBB625_16:
	s_lshl_b64 s[0:1], s[2:3], 2
	v_lshlrev_b64 v[0:1], 2, v[0:1]
	s_add_u32 s2, s8, s0
	s_addc_u32 s3, s9, s1
	s_lshl_b64 s[0:1], s[12:13], 2
	s_add_u32 s0, s2, s0
	s_addc_u32 s1, s3, s1
	v_add_co_u32 v0, vcc_lo, s0, v0
	v_add_co_ci_u32_e64 v1, null, s1, v1, vcc_lo
	flat_store_dword v[0:1], v2
	s_endpgm
	.section	.rodata,"a",@progbits
	.p2align	6, 0x0
	.amdhsa_kernel _ZN7rocprim17ROCPRIM_400000_NS6detail17trampoline_kernelINS0_14default_configENS1_27upper_bound_config_selectorIN6thrust23THRUST_200600_302600_NS5tupleIiiNS6_9null_typeES8_S8_S8_S8_S8_S8_S8_EEiEEZNS1_14transform_implILb0ES3_SA_NS6_6detail15normal_iteratorINS6_10device_ptrIS9_EEEENSD_INSE_IiEEEEZNS1_13binary_searchIS3_SA_SG_SG_SI_NS1_21upper_bound_search_opENSC_16wrapped_functionINS0_4lessIvEEbEEEE10hipError_tPvRmT1_T2_T3_mmT4_T5_P12ihipStream_tbEUlRKS9_E_EESP_ST_SU_mSV_SY_bEUlT_E_NS1_11comp_targetILNS1_3genE8ELNS1_11target_archE1030ELNS1_3gpuE2ELNS1_3repE0EEENS1_30default_config_static_selectorELNS0_4arch9wavefront6targetE0EEEvSS_
		.amdhsa_group_segment_fixed_size 0
		.amdhsa_private_segment_fixed_size 0
		.amdhsa_kernarg_size 312
		.amdhsa_user_sgpr_count 6
		.amdhsa_user_sgpr_private_segment_buffer 1
		.amdhsa_user_sgpr_dispatch_ptr 0
		.amdhsa_user_sgpr_queue_ptr 0
		.amdhsa_user_sgpr_kernarg_segment_ptr 1
		.amdhsa_user_sgpr_dispatch_id 0
		.amdhsa_user_sgpr_flat_scratch_init 0
		.amdhsa_user_sgpr_private_segment_size 0
		.amdhsa_wavefront_size32 1
		.amdhsa_uses_dynamic_stack 0
		.amdhsa_system_sgpr_private_segment_wavefront_offset 0
		.amdhsa_system_sgpr_workgroup_id_x 1
		.amdhsa_system_sgpr_workgroup_id_y 0
		.amdhsa_system_sgpr_workgroup_id_z 0
		.amdhsa_system_sgpr_workgroup_info 0
		.amdhsa_system_vgpr_workitem_id 0
		.amdhsa_next_free_vgpr 14
		.amdhsa_next_free_sgpr 18
		.amdhsa_reserve_vcc 1
		.amdhsa_reserve_flat_scratch 0
		.amdhsa_float_round_mode_32 0
		.amdhsa_float_round_mode_16_64 0
		.amdhsa_float_denorm_mode_32 3
		.amdhsa_float_denorm_mode_16_64 3
		.amdhsa_dx10_clamp 1
		.amdhsa_ieee_mode 1
		.amdhsa_fp16_overflow 0
		.amdhsa_workgroup_processor_mode 1
		.amdhsa_memory_ordered 1
		.amdhsa_forward_progress 1
		.amdhsa_shared_vgpr_count 0
		.amdhsa_exception_fp_ieee_invalid_op 0
		.amdhsa_exception_fp_denorm_src 0
		.amdhsa_exception_fp_ieee_div_zero 0
		.amdhsa_exception_fp_ieee_overflow 0
		.amdhsa_exception_fp_ieee_underflow 0
		.amdhsa_exception_fp_ieee_inexact 0
		.amdhsa_exception_int_div_zero 0
	.end_amdhsa_kernel
	.section	.text._ZN7rocprim17ROCPRIM_400000_NS6detail17trampoline_kernelINS0_14default_configENS1_27upper_bound_config_selectorIN6thrust23THRUST_200600_302600_NS5tupleIiiNS6_9null_typeES8_S8_S8_S8_S8_S8_S8_EEiEEZNS1_14transform_implILb0ES3_SA_NS6_6detail15normal_iteratorINS6_10device_ptrIS9_EEEENSD_INSE_IiEEEEZNS1_13binary_searchIS3_SA_SG_SG_SI_NS1_21upper_bound_search_opENSC_16wrapped_functionINS0_4lessIvEEbEEEE10hipError_tPvRmT1_T2_T3_mmT4_T5_P12ihipStream_tbEUlRKS9_E_EESP_ST_SU_mSV_SY_bEUlT_E_NS1_11comp_targetILNS1_3genE8ELNS1_11target_archE1030ELNS1_3gpuE2ELNS1_3repE0EEENS1_30default_config_static_selectorELNS0_4arch9wavefront6targetE0EEEvSS_,"axG",@progbits,_ZN7rocprim17ROCPRIM_400000_NS6detail17trampoline_kernelINS0_14default_configENS1_27upper_bound_config_selectorIN6thrust23THRUST_200600_302600_NS5tupleIiiNS6_9null_typeES8_S8_S8_S8_S8_S8_S8_EEiEEZNS1_14transform_implILb0ES3_SA_NS6_6detail15normal_iteratorINS6_10device_ptrIS9_EEEENSD_INSE_IiEEEEZNS1_13binary_searchIS3_SA_SG_SG_SI_NS1_21upper_bound_search_opENSC_16wrapped_functionINS0_4lessIvEEbEEEE10hipError_tPvRmT1_T2_T3_mmT4_T5_P12ihipStream_tbEUlRKS9_E_EESP_ST_SU_mSV_SY_bEUlT_E_NS1_11comp_targetILNS1_3genE8ELNS1_11target_archE1030ELNS1_3gpuE2ELNS1_3repE0EEENS1_30default_config_static_selectorELNS0_4arch9wavefront6targetE0EEEvSS_,comdat
.Lfunc_end625:
	.size	_ZN7rocprim17ROCPRIM_400000_NS6detail17trampoline_kernelINS0_14default_configENS1_27upper_bound_config_selectorIN6thrust23THRUST_200600_302600_NS5tupleIiiNS6_9null_typeES8_S8_S8_S8_S8_S8_S8_EEiEEZNS1_14transform_implILb0ES3_SA_NS6_6detail15normal_iteratorINS6_10device_ptrIS9_EEEENSD_INSE_IiEEEEZNS1_13binary_searchIS3_SA_SG_SG_SI_NS1_21upper_bound_search_opENSC_16wrapped_functionINS0_4lessIvEEbEEEE10hipError_tPvRmT1_T2_T3_mmT4_T5_P12ihipStream_tbEUlRKS9_E_EESP_ST_SU_mSV_SY_bEUlT_E_NS1_11comp_targetILNS1_3genE8ELNS1_11target_archE1030ELNS1_3gpuE2ELNS1_3repE0EEENS1_30default_config_static_selectorELNS0_4arch9wavefront6targetE0EEEvSS_, .Lfunc_end625-_ZN7rocprim17ROCPRIM_400000_NS6detail17trampoline_kernelINS0_14default_configENS1_27upper_bound_config_selectorIN6thrust23THRUST_200600_302600_NS5tupleIiiNS6_9null_typeES8_S8_S8_S8_S8_S8_S8_EEiEEZNS1_14transform_implILb0ES3_SA_NS6_6detail15normal_iteratorINS6_10device_ptrIS9_EEEENSD_INSE_IiEEEEZNS1_13binary_searchIS3_SA_SG_SG_SI_NS1_21upper_bound_search_opENSC_16wrapped_functionINS0_4lessIvEEbEEEE10hipError_tPvRmT1_T2_T3_mmT4_T5_P12ihipStream_tbEUlRKS9_E_EESP_ST_SU_mSV_SY_bEUlT_E_NS1_11comp_targetILNS1_3genE8ELNS1_11target_archE1030ELNS1_3gpuE2ELNS1_3repE0EEENS1_30default_config_static_selectorELNS0_4arch9wavefront6targetE0EEEvSS_
                                        ; -- End function
	.set _ZN7rocprim17ROCPRIM_400000_NS6detail17trampoline_kernelINS0_14default_configENS1_27upper_bound_config_selectorIN6thrust23THRUST_200600_302600_NS5tupleIiiNS6_9null_typeES8_S8_S8_S8_S8_S8_S8_EEiEEZNS1_14transform_implILb0ES3_SA_NS6_6detail15normal_iteratorINS6_10device_ptrIS9_EEEENSD_INSE_IiEEEEZNS1_13binary_searchIS3_SA_SG_SG_SI_NS1_21upper_bound_search_opENSC_16wrapped_functionINS0_4lessIvEEbEEEE10hipError_tPvRmT1_T2_T3_mmT4_T5_P12ihipStream_tbEUlRKS9_E_EESP_ST_SU_mSV_SY_bEUlT_E_NS1_11comp_targetILNS1_3genE8ELNS1_11target_archE1030ELNS1_3gpuE2ELNS1_3repE0EEENS1_30default_config_static_selectorELNS0_4arch9wavefront6targetE0EEEvSS_.num_vgpr, 14
	.set _ZN7rocprim17ROCPRIM_400000_NS6detail17trampoline_kernelINS0_14default_configENS1_27upper_bound_config_selectorIN6thrust23THRUST_200600_302600_NS5tupleIiiNS6_9null_typeES8_S8_S8_S8_S8_S8_S8_EEiEEZNS1_14transform_implILb0ES3_SA_NS6_6detail15normal_iteratorINS6_10device_ptrIS9_EEEENSD_INSE_IiEEEEZNS1_13binary_searchIS3_SA_SG_SG_SI_NS1_21upper_bound_search_opENSC_16wrapped_functionINS0_4lessIvEEbEEEE10hipError_tPvRmT1_T2_T3_mmT4_T5_P12ihipStream_tbEUlRKS9_E_EESP_ST_SU_mSV_SY_bEUlT_E_NS1_11comp_targetILNS1_3genE8ELNS1_11target_archE1030ELNS1_3gpuE2ELNS1_3repE0EEENS1_30default_config_static_selectorELNS0_4arch9wavefront6targetE0EEEvSS_.num_agpr, 0
	.set _ZN7rocprim17ROCPRIM_400000_NS6detail17trampoline_kernelINS0_14default_configENS1_27upper_bound_config_selectorIN6thrust23THRUST_200600_302600_NS5tupleIiiNS6_9null_typeES8_S8_S8_S8_S8_S8_S8_EEiEEZNS1_14transform_implILb0ES3_SA_NS6_6detail15normal_iteratorINS6_10device_ptrIS9_EEEENSD_INSE_IiEEEEZNS1_13binary_searchIS3_SA_SG_SG_SI_NS1_21upper_bound_search_opENSC_16wrapped_functionINS0_4lessIvEEbEEEE10hipError_tPvRmT1_T2_T3_mmT4_T5_P12ihipStream_tbEUlRKS9_E_EESP_ST_SU_mSV_SY_bEUlT_E_NS1_11comp_targetILNS1_3genE8ELNS1_11target_archE1030ELNS1_3gpuE2ELNS1_3repE0EEENS1_30default_config_static_selectorELNS0_4arch9wavefront6targetE0EEEvSS_.numbered_sgpr, 18
	.set _ZN7rocprim17ROCPRIM_400000_NS6detail17trampoline_kernelINS0_14default_configENS1_27upper_bound_config_selectorIN6thrust23THRUST_200600_302600_NS5tupleIiiNS6_9null_typeES8_S8_S8_S8_S8_S8_S8_EEiEEZNS1_14transform_implILb0ES3_SA_NS6_6detail15normal_iteratorINS6_10device_ptrIS9_EEEENSD_INSE_IiEEEEZNS1_13binary_searchIS3_SA_SG_SG_SI_NS1_21upper_bound_search_opENSC_16wrapped_functionINS0_4lessIvEEbEEEE10hipError_tPvRmT1_T2_T3_mmT4_T5_P12ihipStream_tbEUlRKS9_E_EESP_ST_SU_mSV_SY_bEUlT_E_NS1_11comp_targetILNS1_3genE8ELNS1_11target_archE1030ELNS1_3gpuE2ELNS1_3repE0EEENS1_30default_config_static_selectorELNS0_4arch9wavefront6targetE0EEEvSS_.num_named_barrier, 0
	.set _ZN7rocprim17ROCPRIM_400000_NS6detail17trampoline_kernelINS0_14default_configENS1_27upper_bound_config_selectorIN6thrust23THRUST_200600_302600_NS5tupleIiiNS6_9null_typeES8_S8_S8_S8_S8_S8_S8_EEiEEZNS1_14transform_implILb0ES3_SA_NS6_6detail15normal_iteratorINS6_10device_ptrIS9_EEEENSD_INSE_IiEEEEZNS1_13binary_searchIS3_SA_SG_SG_SI_NS1_21upper_bound_search_opENSC_16wrapped_functionINS0_4lessIvEEbEEEE10hipError_tPvRmT1_T2_T3_mmT4_T5_P12ihipStream_tbEUlRKS9_E_EESP_ST_SU_mSV_SY_bEUlT_E_NS1_11comp_targetILNS1_3genE8ELNS1_11target_archE1030ELNS1_3gpuE2ELNS1_3repE0EEENS1_30default_config_static_selectorELNS0_4arch9wavefront6targetE0EEEvSS_.private_seg_size, 0
	.set _ZN7rocprim17ROCPRIM_400000_NS6detail17trampoline_kernelINS0_14default_configENS1_27upper_bound_config_selectorIN6thrust23THRUST_200600_302600_NS5tupleIiiNS6_9null_typeES8_S8_S8_S8_S8_S8_S8_EEiEEZNS1_14transform_implILb0ES3_SA_NS6_6detail15normal_iteratorINS6_10device_ptrIS9_EEEENSD_INSE_IiEEEEZNS1_13binary_searchIS3_SA_SG_SG_SI_NS1_21upper_bound_search_opENSC_16wrapped_functionINS0_4lessIvEEbEEEE10hipError_tPvRmT1_T2_T3_mmT4_T5_P12ihipStream_tbEUlRKS9_E_EESP_ST_SU_mSV_SY_bEUlT_E_NS1_11comp_targetILNS1_3genE8ELNS1_11target_archE1030ELNS1_3gpuE2ELNS1_3repE0EEENS1_30default_config_static_selectorELNS0_4arch9wavefront6targetE0EEEvSS_.uses_vcc, 1
	.set _ZN7rocprim17ROCPRIM_400000_NS6detail17trampoline_kernelINS0_14default_configENS1_27upper_bound_config_selectorIN6thrust23THRUST_200600_302600_NS5tupleIiiNS6_9null_typeES8_S8_S8_S8_S8_S8_S8_EEiEEZNS1_14transform_implILb0ES3_SA_NS6_6detail15normal_iteratorINS6_10device_ptrIS9_EEEENSD_INSE_IiEEEEZNS1_13binary_searchIS3_SA_SG_SG_SI_NS1_21upper_bound_search_opENSC_16wrapped_functionINS0_4lessIvEEbEEEE10hipError_tPvRmT1_T2_T3_mmT4_T5_P12ihipStream_tbEUlRKS9_E_EESP_ST_SU_mSV_SY_bEUlT_E_NS1_11comp_targetILNS1_3genE8ELNS1_11target_archE1030ELNS1_3gpuE2ELNS1_3repE0EEENS1_30default_config_static_selectorELNS0_4arch9wavefront6targetE0EEEvSS_.uses_flat_scratch, 0
	.set _ZN7rocprim17ROCPRIM_400000_NS6detail17trampoline_kernelINS0_14default_configENS1_27upper_bound_config_selectorIN6thrust23THRUST_200600_302600_NS5tupleIiiNS6_9null_typeES8_S8_S8_S8_S8_S8_S8_EEiEEZNS1_14transform_implILb0ES3_SA_NS6_6detail15normal_iteratorINS6_10device_ptrIS9_EEEENSD_INSE_IiEEEEZNS1_13binary_searchIS3_SA_SG_SG_SI_NS1_21upper_bound_search_opENSC_16wrapped_functionINS0_4lessIvEEbEEEE10hipError_tPvRmT1_T2_T3_mmT4_T5_P12ihipStream_tbEUlRKS9_E_EESP_ST_SU_mSV_SY_bEUlT_E_NS1_11comp_targetILNS1_3genE8ELNS1_11target_archE1030ELNS1_3gpuE2ELNS1_3repE0EEENS1_30default_config_static_selectorELNS0_4arch9wavefront6targetE0EEEvSS_.has_dyn_sized_stack, 0
	.set _ZN7rocprim17ROCPRIM_400000_NS6detail17trampoline_kernelINS0_14default_configENS1_27upper_bound_config_selectorIN6thrust23THRUST_200600_302600_NS5tupleIiiNS6_9null_typeES8_S8_S8_S8_S8_S8_S8_EEiEEZNS1_14transform_implILb0ES3_SA_NS6_6detail15normal_iteratorINS6_10device_ptrIS9_EEEENSD_INSE_IiEEEEZNS1_13binary_searchIS3_SA_SG_SG_SI_NS1_21upper_bound_search_opENSC_16wrapped_functionINS0_4lessIvEEbEEEE10hipError_tPvRmT1_T2_T3_mmT4_T5_P12ihipStream_tbEUlRKS9_E_EESP_ST_SU_mSV_SY_bEUlT_E_NS1_11comp_targetILNS1_3genE8ELNS1_11target_archE1030ELNS1_3gpuE2ELNS1_3repE0EEENS1_30default_config_static_selectorELNS0_4arch9wavefront6targetE0EEEvSS_.has_recursion, 0
	.set _ZN7rocprim17ROCPRIM_400000_NS6detail17trampoline_kernelINS0_14default_configENS1_27upper_bound_config_selectorIN6thrust23THRUST_200600_302600_NS5tupleIiiNS6_9null_typeES8_S8_S8_S8_S8_S8_S8_EEiEEZNS1_14transform_implILb0ES3_SA_NS6_6detail15normal_iteratorINS6_10device_ptrIS9_EEEENSD_INSE_IiEEEEZNS1_13binary_searchIS3_SA_SG_SG_SI_NS1_21upper_bound_search_opENSC_16wrapped_functionINS0_4lessIvEEbEEEE10hipError_tPvRmT1_T2_T3_mmT4_T5_P12ihipStream_tbEUlRKS9_E_EESP_ST_SU_mSV_SY_bEUlT_E_NS1_11comp_targetILNS1_3genE8ELNS1_11target_archE1030ELNS1_3gpuE2ELNS1_3repE0EEENS1_30default_config_static_selectorELNS0_4arch9wavefront6targetE0EEEvSS_.has_indirect_call, 0
	.section	.AMDGPU.csdata,"",@progbits
; Kernel info:
; codeLenInByte = 776
; TotalNumSgprs: 20
; NumVgprs: 14
; ScratchSize: 0
; MemoryBound: 0
; FloatMode: 240
; IeeeMode: 1
; LDSByteSize: 0 bytes/workgroup (compile time only)
; SGPRBlocks: 0
; VGPRBlocks: 1
; NumSGPRsForWavesPerEU: 20
; NumVGPRsForWavesPerEU: 14
; Occupancy: 16
; WaveLimiterHint : 0
; COMPUTE_PGM_RSRC2:SCRATCH_EN: 0
; COMPUTE_PGM_RSRC2:USER_SGPR: 6
; COMPUTE_PGM_RSRC2:TRAP_HANDLER: 0
; COMPUTE_PGM_RSRC2:TGID_X_EN: 1
; COMPUTE_PGM_RSRC2:TGID_Y_EN: 0
; COMPUTE_PGM_RSRC2:TGID_Z_EN: 0
; COMPUTE_PGM_RSRC2:TIDIG_COMP_CNT: 0
	.section	.text._ZN7rocprim17ROCPRIM_400000_NS6detail17trampoline_kernelINS0_14default_configENS1_29binary_search_config_selectorIdiEEZNS1_14transform_implILb0ES3_S5_N6thrust23THRUST_200600_302600_NS6detail15normal_iteratorINS8_7pointerIdNS8_11hip_rocprim5par_tENS8_11use_defaultESE_EEEENSA_INSB_IiSD_SE_SE_EEEEZNS1_13binary_searchIS3_S5_NSA_INS8_10device_ptrIdEEEESG_SI_NS1_16binary_search_opENS9_16wrapped_functionINS8_6system6detail7generic6detail18binary_search_lessEbEEEE10hipError_tPvRmT1_T2_T3_mmT4_T5_P12ihipStream_tbEUlRKdE_EESV_SZ_S10_mS11_S14_bEUlT_E_NS1_11comp_targetILNS1_3genE0ELNS1_11target_archE4294967295ELNS1_3gpuE0ELNS1_3repE0EEENS1_30default_config_static_selectorELNS0_4arch9wavefront6targetE0EEEvSY_,"axG",@progbits,_ZN7rocprim17ROCPRIM_400000_NS6detail17trampoline_kernelINS0_14default_configENS1_29binary_search_config_selectorIdiEEZNS1_14transform_implILb0ES3_S5_N6thrust23THRUST_200600_302600_NS6detail15normal_iteratorINS8_7pointerIdNS8_11hip_rocprim5par_tENS8_11use_defaultESE_EEEENSA_INSB_IiSD_SE_SE_EEEEZNS1_13binary_searchIS3_S5_NSA_INS8_10device_ptrIdEEEESG_SI_NS1_16binary_search_opENS9_16wrapped_functionINS8_6system6detail7generic6detail18binary_search_lessEbEEEE10hipError_tPvRmT1_T2_T3_mmT4_T5_P12ihipStream_tbEUlRKdE_EESV_SZ_S10_mS11_S14_bEUlT_E_NS1_11comp_targetILNS1_3genE0ELNS1_11target_archE4294967295ELNS1_3gpuE0ELNS1_3repE0EEENS1_30default_config_static_selectorELNS0_4arch9wavefront6targetE0EEEvSY_,comdat
	.protected	_ZN7rocprim17ROCPRIM_400000_NS6detail17trampoline_kernelINS0_14default_configENS1_29binary_search_config_selectorIdiEEZNS1_14transform_implILb0ES3_S5_N6thrust23THRUST_200600_302600_NS6detail15normal_iteratorINS8_7pointerIdNS8_11hip_rocprim5par_tENS8_11use_defaultESE_EEEENSA_INSB_IiSD_SE_SE_EEEEZNS1_13binary_searchIS3_S5_NSA_INS8_10device_ptrIdEEEESG_SI_NS1_16binary_search_opENS9_16wrapped_functionINS8_6system6detail7generic6detail18binary_search_lessEbEEEE10hipError_tPvRmT1_T2_T3_mmT4_T5_P12ihipStream_tbEUlRKdE_EESV_SZ_S10_mS11_S14_bEUlT_E_NS1_11comp_targetILNS1_3genE0ELNS1_11target_archE4294967295ELNS1_3gpuE0ELNS1_3repE0EEENS1_30default_config_static_selectorELNS0_4arch9wavefront6targetE0EEEvSY_ ; -- Begin function _ZN7rocprim17ROCPRIM_400000_NS6detail17trampoline_kernelINS0_14default_configENS1_29binary_search_config_selectorIdiEEZNS1_14transform_implILb0ES3_S5_N6thrust23THRUST_200600_302600_NS6detail15normal_iteratorINS8_7pointerIdNS8_11hip_rocprim5par_tENS8_11use_defaultESE_EEEENSA_INSB_IiSD_SE_SE_EEEEZNS1_13binary_searchIS3_S5_NSA_INS8_10device_ptrIdEEEESG_SI_NS1_16binary_search_opENS9_16wrapped_functionINS8_6system6detail7generic6detail18binary_search_lessEbEEEE10hipError_tPvRmT1_T2_T3_mmT4_T5_P12ihipStream_tbEUlRKdE_EESV_SZ_S10_mS11_S14_bEUlT_E_NS1_11comp_targetILNS1_3genE0ELNS1_11target_archE4294967295ELNS1_3gpuE0ELNS1_3repE0EEENS1_30default_config_static_selectorELNS0_4arch9wavefront6targetE0EEEvSY_
	.globl	_ZN7rocprim17ROCPRIM_400000_NS6detail17trampoline_kernelINS0_14default_configENS1_29binary_search_config_selectorIdiEEZNS1_14transform_implILb0ES3_S5_N6thrust23THRUST_200600_302600_NS6detail15normal_iteratorINS8_7pointerIdNS8_11hip_rocprim5par_tENS8_11use_defaultESE_EEEENSA_INSB_IiSD_SE_SE_EEEEZNS1_13binary_searchIS3_S5_NSA_INS8_10device_ptrIdEEEESG_SI_NS1_16binary_search_opENS9_16wrapped_functionINS8_6system6detail7generic6detail18binary_search_lessEbEEEE10hipError_tPvRmT1_T2_T3_mmT4_T5_P12ihipStream_tbEUlRKdE_EESV_SZ_S10_mS11_S14_bEUlT_E_NS1_11comp_targetILNS1_3genE0ELNS1_11target_archE4294967295ELNS1_3gpuE0ELNS1_3repE0EEENS1_30default_config_static_selectorELNS0_4arch9wavefront6targetE0EEEvSY_
	.p2align	8
	.type	_ZN7rocprim17ROCPRIM_400000_NS6detail17trampoline_kernelINS0_14default_configENS1_29binary_search_config_selectorIdiEEZNS1_14transform_implILb0ES3_S5_N6thrust23THRUST_200600_302600_NS6detail15normal_iteratorINS8_7pointerIdNS8_11hip_rocprim5par_tENS8_11use_defaultESE_EEEENSA_INSB_IiSD_SE_SE_EEEEZNS1_13binary_searchIS3_S5_NSA_INS8_10device_ptrIdEEEESG_SI_NS1_16binary_search_opENS9_16wrapped_functionINS8_6system6detail7generic6detail18binary_search_lessEbEEEE10hipError_tPvRmT1_T2_T3_mmT4_T5_P12ihipStream_tbEUlRKdE_EESV_SZ_S10_mS11_S14_bEUlT_E_NS1_11comp_targetILNS1_3genE0ELNS1_11target_archE4294967295ELNS1_3gpuE0ELNS1_3repE0EEENS1_30default_config_static_selectorELNS0_4arch9wavefront6targetE0EEEvSY_,@function
_ZN7rocprim17ROCPRIM_400000_NS6detail17trampoline_kernelINS0_14default_configENS1_29binary_search_config_selectorIdiEEZNS1_14transform_implILb0ES3_S5_N6thrust23THRUST_200600_302600_NS6detail15normal_iteratorINS8_7pointerIdNS8_11hip_rocprim5par_tENS8_11use_defaultESE_EEEENSA_INSB_IiSD_SE_SE_EEEEZNS1_13binary_searchIS3_S5_NSA_INS8_10device_ptrIdEEEESG_SI_NS1_16binary_search_opENS9_16wrapped_functionINS8_6system6detail7generic6detail18binary_search_lessEbEEEE10hipError_tPvRmT1_T2_T3_mmT4_T5_P12ihipStream_tbEUlRKdE_EESV_SZ_S10_mS11_S14_bEUlT_E_NS1_11comp_targetILNS1_3genE0ELNS1_11target_archE4294967295ELNS1_3gpuE0ELNS1_3repE0EEENS1_30default_config_static_selectorELNS0_4arch9wavefront6targetE0EEEvSY_: ; @_ZN7rocprim17ROCPRIM_400000_NS6detail17trampoline_kernelINS0_14default_configENS1_29binary_search_config_selectorIdiEEZNS1_14transform_implILb0ES3_S5_N6thrust23THRUST_200600_302600_NS6detail15normal_iteratorINS8_7pointerIdNS8_11hip_rocprim5par_tENS8_11use_defaultESE_EEEENSA_INSB_IiSD_SE_SE_EEEEZNS1_13binary_searchIS3_S5_NSA_INS8_10device_ptrIdEEEESG_SI_NS1_16binary_search_opENS9_16wrapped_functionINS8_6system6detail7generic6detail18binary_search_lessEbEEEE10hipError_tPvRmT1_T2_T3_mmT4_T5_P12ihipStream_tbEUlRKdE_EESV_SZ_S10_mS11_S14_bEUlT_E_NS1_11comp_targetILNS1_3genE0ELNS1_11target_archE4294967295ELNS1_3gpuE0ELNS1_3repE0EEENS1_30default_config_static_selectorELNS0_4arch9wavefront6targetE0EEEvSY_
; %bb.0:
	.section	.rodata,"a",@progbits
	.p2align	6, 0x0
	.amdhsa_kernel _ZN7rocprim17ROCPRIM_400000_NS6detail17trampoline_kernelINS0_14default_configENS1_29binary_search_config_selectorIdiEEZNS1_14transform_implILb0ES3_S5_N6thrust23THRUST_200600_302600_NS6detail15normal_iteratorINS8_7pointerIdNS8_11hip_rocprim5par_tENS8_11use_defaultESE_EEEENSA_INSB_IiSD_SE_SE_EEEEZNS1_13binary_searchIS3_S5_NSA_INS8_10device_ptrIdEEEESG_SI_NS1_16binary_search_opENS9_16wrapped_functionINS8_6system6detail7generic6detail18binary_search_lessEbEEEE10hipError_tPvRmT1_T2_T3_mmT4_T5_P12ihipStream_tbEUlRKdE_EESV_SZ_S10_mS11_S14_bEUlT_E_NS1_11comp_targetILNS1_3genE0ELNS1_11target_archE4294967295ELNS1_3gpuE0ELNS1_3repE0EEENS1_30default_config_static_selectorELNS0_4arch9wavefront6targetE0EEEvSY_
		.amdhsa_group_segment_fixed_size 0
		.amdhsa_private_segment_fixed_size 0
		.amdhsa_kernarg_size 56
		.amdhsa_user_sgpr_count 6
		.amdhsa_user_sgpr_private_segment_buffer 1
		.amdhsa_user_sgpr_dispatch_ptr 0
		.amdhsa_user_sgpr_queue_ptr 0
		.amdhsa_user_sgpr_kernarg_segment_ptr 1
		.amdhsa_user_sgpr_dispatch_id 0
		.amdhsa_user_sgpr_flat_scratch_init 0
		.amdhsa_user_sgpr_private_segment_size 0
		.amdhsa_wavefront_size32 1
		.amdhsa_uses_dynamic_stack 0
		.amdhsa_system_sgpr_private_segment_wavefront_offset 0
		.amdhsa_system_sgpr_workgroup_id_x 1
		.amdhsa_system_sgpr_workgroup_id_y 0
		.amdhsa_system_sgpr_workgroup_id_z 0
		.amdhsa_system_sgpr_workgroup_info 0
		.amdhsa_system_vgpr_workitem_id 0
		.amdhsa_next_free_vgpr 1
		.amdhsa_next_free_sgpr 1
		.amdhsa_reserve_vcc 0
		.amdhsa_reserve_flat_scratch 0
		.amdhsa_float_round_mode_32 0
		.amdhsa_float_round_mode_16_64 0
		.amdhsa_float_denorm_mode_32 3
		.amdhsa_float_denorm_mode_16_64 3
		.amdhsa_dx10_clamp 1
		.amdhsa_ieee_mode 1
		.amdhsa_fp16_overflow 0
		.amdhsa_workgroup_processor_mode 1
		.amdhsa_memory_ordered 1
		.amdhsa_forward_progress 1
		.amdhsa_shared_vgpr_count 0
		.amdhsa_exception_fp_ieee_invalid_op 0
		.amdhsa_exception_fp_denorm_src 0
		.amdhsa_exception_fp_ieee_div_zero 0
		.amdhsa_exception_fp_ieee_overflow 0
		.amdhsa_exception_fp_ieee_underflow 0
		.amdhsa_exception_fp_ieee_inexact 0
		.amdhsa_exception_int_div_zero 0
	.end_amdhsa_kernel
	.section	.text._ZN7rocprim17ROCPRIM_400000_NS6detail17trampoline_kernelINS0_14default_configENS1_29binary_search_config_selectorIdiEEZNS1_14transform_implILb0ES3_S5_N6thrust23THRUST_200600_302600_NS6detail15normal_iteratorINS8_7pointerIdNS8_11hip_rocprim5par_tENS8_11use_defaultESE_EEEENSA_INSB_IiSD_SE_SE_EEEEZNS1_13binary_searchIS3_S5_NSA_INS8_10device_ptrIdEEEESG_SI_NS1_16binary_search_opENS9_16wrapped_functionINS8_6system6detail7generic6detail18binary_search_lessEbEEEE10hipError_tPvRmT1_T2_T3_mmT4_T5_P12ihipStream_tbEUlRKdE_EESV_SZ_S10_mS11_S14_bEUlT_E_NS1_11comp_targetILNS1_3genE0ELNS1_11target_archE4294967295ELNS1_3gpuE0ELNS1_3repE0EEENS1_30default_config_static_selectorELNS0_4arch9wavefront6targetE0EEEvSY_,"axG",@progbits,_ZN7rocprim17ROCPRIM_400000_NS6detail17trampoline_kernelINS0_14default_configENS1_29binary_search_config_selectorIdiEEZNS1_14transform_implILb0ES3_S5_N6thrust23THRUST_200600_302600_NS6detail15normal_iteratorINS8_7pointerIdNS8_11hip_rocprim5par_tENS8_11use_defaultESE_EEEENSA_INSB_IiSD_SE_SE_EEEEZNS1_13binary_searchIS3_S5_NSA_INS8_10device_ptrIdEEEESG_SI_NS1_16binary_search_opENS9_16wrapped_functionINS8_6system6detail7generic6detail18binary_search_lessEbEEEE10hipError_tPvRmT1_T2_T3_mmT4_T5_P12ihipStream_tbEUlRKdE_EESV_SZ_S10_mS11_S14_bEUlT_E_NS1_11comp_targetILNS1_3genE0ELNS1_11target_archE4294967295ELNS1_3gpuE0ELNS1_3repE0EEENS1_30default_config_static_selectorELNS0_4arch9wavefront6targetE0EEEvSY_,comdat
.Lfunc_end626:
	.size	_ZN7rocprim17ROCPRIM_400000_NS6detail17trampoline_kernelINS0_14default_configENS1_29binary_search_config_selectorIdiEEZNS1_14transform_implILb0ES3_S5_N6thrust23THRUST_200600_302600_NS6detail15normal_iteratorINS8_7pointerIdNS8_11hip_rocprim5par_tENS8_11use_defaultESE_EEEENSA_INSB_IiSD_SE_SE_EEEEZNS1_13binary_searchIS3_S5_NSA_INS8_10device_ptrIdEEEESG_SI_NS1_16binary_search_opENS9_16wrapped_functionINS8_6system6detail7generic6detail18binary_search_lessEbEEEE10hipError_tPvRmT1_T2_T3_mmT4_T5_P12ihipStream_tbEUlRKdE_EESV_SZ_S10_mS11_S14_bEUlT_E_NS1_11comp_targetILNS1_3genE0ELNS1_11target_archE4294967295ELNS1_3gpuE0ELNS1_3repE0EEENS1_30default_config_static_selectorELNS0_4arch9wavefront6targetE0EEEvSY_, .Lfunc_end626-_ZN7rocprim17ROCPRIM_400000_NS6detail17trampoline_kernelINS0_14default_configENS1_29binary_search_config_selectorIdiEEZNS1_14transform_implILb0ES3_S5_N6thrust23THRUST_200600_302600_NS6detail15normal_iteratorINS8_7pointerIdNS8_11hip_rocprim5par_tENS8_11use_defaultESE_EEEENSA_INSB_IiSD_SE_SE_EEEEZNS1_13binary_searchIS3_S5_NSA_INS8_10device_ptrIdEEEESG_SI_NS1_16binary_search_opENS9_16wrapped_functionINS8_6system6detail7generic6detail18binary_search_lessEbEEEE10hipError_tPvRmT1_T2_T3_mmT4_T5_P12ihipStream_tbEUlRKdE_EESV_SZ_S10_mS11_S14_bEUlT_E_NS1_11comp_targetILNS1_3genE0ELNS1_11target_archE4294967295ELNS1_3gpuE0ELNS1_3repE0EEENS1_30default_config_static_selectorELNS0_4arch9wavefront6targetE0EEEvSY_
                                        ; -- End function
	.set _ZN7rocprim17ROCPRIM_400000_NS6detail17trampoline_kernelINS0_14default_configENS1_29binary_search_config_selectorIdiEEZNS1_14transform_implILb0ES3_S5_N6thrust23THRUST_200600_302600_NS6detail15normal_iteratorINS8_7pointerIdNS8_11hip_rocprim5par_tENS8_11use_defaultESE_EEEENSA_INSB_IiSD_SE_SE_EEEEZNS1_13binary_searchIS3_S5_NSA_INS8_10device_ptrIdEEEESG_SI_NS1_16binary_search_opENS9_16wrapped_functionINS8_6system6detail7generic6detail18binary_search_lessEbEEEE10hipError_tPvRmT1_T2_T3_mmT4_T5_P12ihipStream_tbEUlRKdE_EESV_SZ_S10_mS11_S14_bEUlT_E_NS1_11comp_targetILNS1_3genE0ELNS1_11target_archE4294967295ELNS1_3gpuE0ELNS1_3repE0EEENS1_30default_config_static_selectorELNS0_4arch9wavefront6targetE0EEEvSY_.num_vgpr, 0
	.set _ZN7rocprim17ROCPRIM_400000_NS6detail17trampoline_kernelINS0_14default_configENS1_29binary_search_config_selectorIdiEEZNS1_14transform_implILb0ES3_S5_N6thrust23THRUST_200600_302600_NS6detail15normal_iteratorINS8_7pointerIdNS8_11hip_rocprim5par_tENS8_11use_defaultESE_EEEENSA_INSB_IiSD_SE_SE_EEEEZNS1_13binary_searchIS3_S5_NSA_INS8_10device_ptrIdEEEESG_SI_NS1_16binary_search_opENS9_16wrapped_functionINS8_6system6detail7generic6detail18binary_search_lessEbEEEE10hipError_tPvRmT1_T2_T3_mmT4_T5_P12ihipStream_tbEUlRKdE_EESV_SZ_S10_mS11_S14_bEUlT_E_NS1_11comp_targetILNS1_3genE0ELNS1_11target_archE4294967295ELNS1_3gpuE0ELNS1_3repE0EEENS1_30default_config_static_selectorELNS0_4arch9wavefront6targetE0EEEvSY_.num_agpr, 0
	.set _ZN7rocprim17ROCPRIM_400000_NS6detail17trampoline_kernelINS0_14default_configENS1_29binary_search_config_selectorIdiEEZNS1_14transform_implILb0ES3_S5_N6thrust23THRUST_200600_302600_NS6detail15normal_iteratorINS8_7pointerIdNS8_11hip_rocprim5par_tENS8_11use_defaultESE_EEEENSA_INSB_IiSD_SE_SE_EEEEZNS1_13binary_searchIS3_S5_NSA_INS8_10device_ptrIdEEEESG_SI_NS1_16binary_search_opENS9_16wrapped_functionINS8_6system6detail7generic6detail18binary_search_lessEbEEEE10hipError_tPvRmT1_T2_T3_mmT4_T5_P12ihipStream_tbEUlRKdE_EESV_SZ_S10_mS11_S14_bEUlT_E_NS1_11comp_targetILNS1_3genE0ELNS1_11target_archE4294967295ELNS1_3gpuE0ELNS1_3repE0EEENS1_30default_config_static_selectorELNS0_4arch9wavefront6targetE0EEEvSY_.numbered_sgpr, 0
	.set _ZN7rocprim17ROCPRIM_400000_NS6detail17trampoline_kernelINS0_14default_configENS1_29binary_search_config_selectorIdiEEZNS1_14transform_implILb0ES3_S5_N6thrust23THRUST_200600_302600_NS6detail15normal_iteratorINS8_7pointerIdNS8_11hip_rocprim5par_tENS8_11use_defaultESE_EEEENSA_INSB_IiSD_SE_SE_EEEEZNS1_13binary_searchIS3_S5_NSA_INS8_10device_ptrIdEEEESG_SI_NS1_16binary_search_opENS9_16wrapped_functionINS8_6system6detail7generic6detail18binary_search_lessEbEEEE10hipError_tPvRmT1_T2_T3_mmT4_T5_P12ihipStream_tbEUlRKdE_EESV_SZ_S10_mS11_S14_bEUlT_E_NS1_11comp_targetILNS1_3genE0ELNS1_11target_archE4294967295ELNS1_3gpuE0ELNS1_3repE0EEENS1_30default_config_static_selectorELNS0_4arch9wavefront6targetE0EEEvSY_.num_named_barrier, 0
	.set _ZN7rocprim17ROCPRIM_400000_NS6detail17trampoline_kernelINS0_14default_configENS1_29binary_search_config_selectorIdiEEZNS1_14transform_implILb0ES3_S5_N6thrust23THRUST_200600_302600_NS6detail15normal_iteratorINS8_7pointerIdNS8_11hip_rocprim5par_tENS8_11use_defaultESE_EEEENSA_INSB_IiSD_SE_SE_EEEEZNS1_13binary_searchIS3_S5_NSA_INS8_10device_ptrIdEEEESG_SI_NS1_16binary_search_opENS9_16wrapped_functionINS8_6system6detail7generic6detail18binary_search_lessEbEEEE10hipError_tPvRmT1_T2_T3_mmT4_T5_P12ihipStream_tbEUlRKdE_EESV_SZ_S10_mS11_S14_bEUlT_E_NS1_11comp_targetILNS1_3genE0ELNS1_11target_archE4294967295ELNS1_3gpuE0ELNS1_3repE0EEENS1_30default_config_static_selectorELNS0_4arch9wavefront6targetE0EEEvSY_.private_seg_size, 0
	.set _ZN7rocprim17ROCPRIM_400000_NS6detail17trampoline_kernelINS0_14default_configENS1_29binary_search_config_selectorIdiEEZNS1_14transform_implILb0ES3_S5_N6thrust23THRUST_200600_302600_NS6detail15normal_iteratorINS8_7pointerIdNS8_11hip_rocprim5par_tENS8_11use_defaultESE_EEEENSA_INSB_IiSD_SE_SE_EEEEZNS1_13binary_searchIS3_S5_NSA_INS8_10device_ptrIdEEEESG_SI_NS1_16binary_search_opENS9_16wrapped_functionINS8_6system6detail7generic6detail18binary_search_lessEbEEEE10hipError_tPvRmT1_T2_T3_mmT4_T5_P12ihipStream_tbEUlRKdE_EESV_SZ_S10_mS11_S14_bEUlT_E_NS1_11comp_targetILNS1_3genE0ELNS1_11target_archE4294967295ELNS1_3gpuE0ELNS1_3repE0EEENS1_30default_config_static_selectorELNS0_4arch9wavefront6targetE0EEEvSY_.uses_vcc, 0
	.set _ZN7rocprim17ROCPRIM_400000_NS6detail17trampoline_kernelINS0_14default_configENS1_29binary_search_config_selectorIdiEEZNS1_14transform_implILb0ES3_S5_N6thrust23THRUST_200600_302600_NS6detail15normal_iteratorINS8_7pointerIdNS8_11hip_rocprim5par_tENS8_11use_defaultESE_EEEENSA_INSB_IiSD_SE_SE_EEEEZNS1_13binary_searchIS3_S5_NSA_INS8_10device_ptrIdEEEESG_SI_NS1_16binary_search_opENS9_16wrapped_functionINS8_6system6detail7generic6detail18binary_search_lessEbEEEE10hipError_tPvRmT1_T2_T3_mmT4_T5_P12ihipStream_tbEUlRKdE_EESV_SZ_S10_mS11_S14_bEUlT_E_NS1_11comp_targetILNS1_3genE0ELNS1_11target_archE4294967295ELNS1_3gpuE0ELNS1_3repE0EEENS1_30default_config_static_selectorELNS0_4arch9wavefront6targetE0EEEvSY_.uses_flat_scratch, 0
	.set _ZN7rocprim17ROCPRIM_400000_NS6detail17trampoline_kernelINS0_14default_configENS1_29binary_search_config_selectorIdiEEZNS1_14transform_implILb0ES3_S5_N6thrust23THRUST_200600_302600_NS6detail15normal_iteratorINS8_7pointerIdNS8_11hip_rocprim5par_tENS8_11use_defaultESE_EEEENSA_INSB_IiSD_SE_SE_EEEEZNS1_13binary_searchIS3_S5_NSA_INS8_10device_ptrIdEEEESG_SI_NS1_16binary_search_opENS9_16wrapped_functionINS8_6system6detail7generic6detail18binary_search_lessEbEEEE10hipError_tPvRmT1_T2_T3_mmT4_T5_P12ihipStream_tbEUlRKdE_EESV_SZ_S10_mS11_S14_bEUlT_E_NS1_11comp_targetILNS1_3genE0ELNS1_11target_archE4294967295ELNS1_3gpuE0ELNS1_3repE0EEENS1_30default_config_static_selectorELNS0_4arch9wavefront6targetE0EEEvSY_.has_dyn_sized_stack, 0
	.set _ZN7rocprim17ROCPRIM_400000_NS6detail17trampoline_kernelINS0_14default_configENS1_29binary_search_config_selectorIdiEEZNS1_14transform_implILb0ES3_S5_N6thrust23THRUST_200600_302600_NS6detail15normal_iteratorINS8_7pointerIdNS8_11hip_rocprim5par_tENS8_11use_defaultESE_EEEENSA_INSB_IiSD_SE_SE_EEEEZNS1_13binary_searchIS3_S5_NSA_INS8_10device_ptrIdEEEESG_SI_NS1_16binary_search_opENS9_16wrapped_functionINS8_6system6detail7generic6detail18binary_search_lessEbEEEE10hipError_tPvRmT1_T2_T3_mmT4_T5_P12ihipStream_tbEUlRKdE_EESV_SZ_S10_mS11_S14_bEUlT_E_NS1_11comp_targetILNS1_3genE0ELNS1_11target_archE4294967295ELNS1_3gpuE0ELNS1_3repE0EEENS1_30default_config_static_selectorELNS0_4arch9wavefront6targetE0EEEvSY_.has_recursion, 0
	.set _ZN7rocprim17ROCPRIM_400000_NS6detail17trampoline_kernelINS0_14default_configENS1_29binary_search_config_selectorIdiEEZNS1_14transform_implILb0ES3_S5_N6thrust23THRUST_200600_302600_NS6detail15normal_iteratorINS8_7pointerIdNS8_11hip_rocprim5par_tENS8_11use_defaultESE_EEEENSA_INSB_IiSD_SE_SE_EEEEZNS1_13binary_searchIS3_S5_NSA_INS8_10device_ptrIdEEEESG_SI_NS1_16binary_search_opENS9_16wrapped_functionINS8_6system6detail7generic6detail18binary_search_lessEbEEEE10hipError_tPvRmT1_T2_T3_mmT4_T5_P12ihipStream_tbEUlRKdE_EESV_SZ_S10_mS11_S14_bEUlT_E_NS1_11comp_targetILNS1_3genE0ELNS1_11target_archE4294967295ELNS1_3gpuE0ELNS1_3repE0EEENS1_30default_config_static_selectorELNS0_4arch9wavefront6targetE0EEEvSY_.has_indirect_call, 0
	.section	.AMDGPU.csdata,"",@progbits
; Kernel info:
; codeLenInByte = 0
; TotalNumSgprs: 0
; NumVgprs: 0
; ScratchSize: 0
; MemoryBound: 0
; FloatMode: 240
; IeeeMode: 1
; LDSByteSize: 0 bytes/workgroup (compile time only)
; SGPRBlocks: 0
; VGPRBlocks: 0
; NumSGPRsForWavesPerEU: 1
; NumVGPRsForWavesPerEU: 1
; Occupancy: 16
; WaveLimiterHint : 0
; COMPUTE_PGM_RSRC2:SCRATCH_EN: 0
; COMPUTE_PGM_RSRC2:USER_SGPR: 6
; COMPUTE_PGM_RSRC2:TRAP_HANDLER: 0
; COMPUTE_PGM_RSRC2:TGID_X_EN: 1
; COMPUTE_PGM_RSRC2:TGID_Y_EN: 0
; COMPUTE_PGM_RSRC2:TGID_Z_EN: 0
; COMPUTE_PGM_RSRC2:TIDIG_COMP_CNT: 0
	.section	.text._ZN7rocprim17ROCPRIM_400000_NS6detail17trampoline_kernelINS0_14default_configENS1_29binary_search_config_selectorIdiEEZNS1_14transform_implILb0ES3_S5_N6thrust23THRUST_200600_302600_NS6detail15normal_iteratorINS8_7pointerIdNS8_11hip_rocprim5par_tENS8_11use_defaultESE_EEEENSA_INSB_IiSD_SE_SE_EEEEZNS1_13binary_searchIS3_S5_NSA_INS8_10device_ptrIdEEEESG_SI_NS1_16binary_search_opENS9_16wrapped_functionINS8_6system6detail7generic6detail18binary_search_lessEbEEEE10hipError_tPvRmT1_T2_T3_mmT4_T5_P12ihipStream_tbEUlRKdE_EESV_SZ_S10_mS11_S14_bEUlT_E_NS1_11comp_targetILNS1_3genE5ELNS1_11target_archE942ELNS1_3gpuE9ELNS1_3repE0EEENS1_30default_config_static_selectorELNS0_4arch9wavefront6targetE0EEEvSY_,"axG",@progbits,_ZN7rocprim17ROCPRIM_400000_NS6detail17trampoline_kernelINS0_14default_configENS1_29binary_search_config_selectorIdiEEZNS1_14transform_implILb0ES3_S5_N6thrust23THRUST_200600_302600_NS6detail15normal_iteratorINS8_7pointerIdNS8_11hip_rocprim5par_tENS8_11use_defaultESE_EEEENSA_INSB_IiSD_SE_SE_EEEEZNS1_13binary_searchIS3_S5_NSA_INS8_10device_ptrIdEEEESG_SI_NS1_16binary_search_opENS9_16wrapped_functionINS8_6system6detail7generic6detail18binary_search_lessEbEEEE10hipError_tPvRmT1_T2_T3_mmT4_T5_P12ihipStream_tbEUlRKdE_EESV_SZ_S10_mS11_S14_bEUlT_E_NS1_11comp_targetILNS1_3genE5ELNS1_11target_archE942ELNS1_3gpuE9ELNS1_3repE0EEENS1_30default_config_static_selectorELNS0_4arch9wavefront6targetE0EEEvSY_,comdat
	.protected	_ZN7rocprim17ROCPRIM_400000_NS6detail17trampoline_kernelINS0_14default_configENS1_29binary_search_config_selectorIdiEEZNS1_14transform_implILb0ES3_S5_N6thrust23THRUST_200600_302600_NS6detail15normal_iteratorINS8_7pointerIdNS8_11hip_rocprim5par_tENS8_11use_defaultESE_EEEENSA_INSB_IiSD_SE_SE_EEEEZNS1_13binary_searchIS3_S5_NSA_INS8_10device_ptrIdEEEESG_SI_NS1_16binary_search_opENS9_16wrapped_functionINS8_6system6detail7generic6detail18binary_search_lessEbEEEE10hipError_tPvRmT1_T2_T3_mmT4_T5_P12ihipStream_tbEUlRKdE_EESV_SZ_S10_mS11_S14_bEUlT_E_NS1_11comp_targetILNS1_3genE5ELNS1_11target_archE942ELNS1_3gpuE9ELNS1_3repE0EEENS1_30default_config_static_selectorELNS0_4arch9wavefront6targetE0EEEvSY_ ; -- Begin function _ZN7rocprim17ROCPRIM_400000_NS6detail17trampoline_kernelINS0_14default_configENS1_29binary_search_config_selectorIdiEEZNS1_14transform_implILb0ES3_S5_N6thrust23THRUST_200600_302600_NS6detail15normal_iteratorINS8_7pointerIdNS8_11hip_rocprim5par_tENS8_11use_defaultESE_EEEENSA_INSB_IiSD_SE_SE_EEEEZNS1_13binary_searchIS3_S5_NSA_INS8_10device_ptrIdEEEESG_SI_NS1_16binary_search_opENS9_16wrapped_functionINS8_6system6detail7generic6detail18binary_search_lessEbEEEE10hipError_tPvRmT1_T2_T3_mmT4_T5_P12ihipStream_tbEUlRKdE_EESV_SZ_S10_mS11_S14_bEUlT_E_NS1_11comp_targetILNS1_3genE5ELNS1_11target_archE942ELNS1_3gpuE9ELNS1_3repE0EEENS1_30default_config_static_selectorELNS0_4arch9wavefront6targetE0EEEvSY_
	.globl	_ZN7rocprim17ROCPRIM_400000_NS6detail17trampoline_kernelINS0_14default_configENS1_29binary_search_config_selectorIdiEEZNS1_14transform_implILb0ES3_S5_N6thrust23THRUST_200600_302600_NS6detail15normal_iteratorINS8_7pointerIdNS8_11hip_rocprim5par_tENS8_11use_defaultESE_EEEENSA_INSB_IiSD_SE_SE_EEEEZNS1_13binary_searchIS3_S5_NSA_INS8_10device_ptrIdEEEESG_SI_NS1_16binary_search_opENS9_16wrapped_functionINS8_6system6detail7generic6detail18binary_search_lessEbEEEE10hipError_tPvRmT1_T2_T3_mmT4_T5_P12ihipStream_tbEUlRKdE_EESV_SZ_S10_mS11_S14_bEUlT_E_NS1_11comp_targetILNS1_3genE5ELNS1_11target_archE942ELNS1_3gpuE9ELNS1_3repE0EEENS1_30default_config_static_selectorELNS0_4arch9wavefront6targetE0EEEvSY_
	.p2align	8
	.type	_ZN7rocprim17ROCPRIM_400000_NS6detail17trampoline_kernelINS0_14default_configENS1_29binary_search_config_selectorIdiEEZNS1_14transform_implILb0ES3_S5_N6thrust23THRUST_200600_302600_NS6detail15normal_iteratorINS8_7pointerIdNS8_11hip_rocprim5par_tENS8_11use_defaultESE_EEEENSA_INSB_IiSD_SE_SE_EEEEZNS1_13binary_searchIS3_S5_NSA_INS8_10device_ptrIdEEEESG_SI_NS1_16binary_search_opENS9_16wrapped_functionINS8_6system6detail7generic6detail18binary_search_lessEbEEEE10hipError_tPvRmT1_T2_T3_mmT4_T5_P12ihipStream_tbEUlRKdE_EESV_SZ_S10_mS11_S14_bEUlT_E_NS1_11comp_targetILNS1_3genE5ELNS1_11target_archE942ELNS1_3gpuE9ELNS1_3repE0EEENS1_30default_config_static_selectorELNS0_4arch9wavefront6targetE0EEEvSY_,@function
_ZN7rocprim17ROCPRIM_400000_NS6detail17trampoline_kernelINS0_14default_configENS1_29binary_search_config_selectorIdiEEZNS1_14transform_implILb0ES3_S5_N6thrust23THRUST_200600_302600_NS6detail15normal_iteratorINS8_7pointerIdNS8_11hip_rocprim5par_tENS8_11use_defaultESE_EEEENSA_INSB_IiSD_SE_SE_EEEEZNS1_13binary_searchIS3_S5_NSA_INS8_10device_ptrIdEEEESG_SI_NS1_16binary_search_opENS9_16wrapped_functionINS8_6system6detail7generic6detail18binary_search_lessEbEEEE10hipError_tPvRmT1_T2_T3_mmT4_T5_P12ihipStream_tbEUlRKdE_EESV_SZ_S10_mS11_S14_bEUlT_E_NS1_11comp_targetILNS1_3genE5ELNS1_11target_archE942ELNS1_3gpuE9ELNS1_3repE0EEENS1_30default_config_static_selectorELNS0_4arch9wavefront6targetE0EEEvSY_: ; @_ZN7rocprim17ROCPRIM_400000_NS6detail17trampoline_kernelINS0_14default_configENS1_29binary_search_config_selectorIdiEEZNS1_14transform_implILb0ES3_S5_N6thrust23THRUST_200600_302600_NS6detail15normal_iteratorINS8_7pointerIdNS8_11hip_rocprim5par_tENS8_11use_defaultESE_EEEENSA_INSB_IiSD_SE_SE_EEEEZNS1_13binary_searchIS3_S5_NSA_INS8_10device_ptrIdEEEESG_SI_NS1_16binary_search_opENS9_16wrapped_functionINS8_6system6detail7generic6detail18binary_search_lessEbEEEE10hipError_tPvRmT1_T2_T3_mmT4_T5_P12ihipStream_tbEUlRKdE_EESV_SZ_S10_mS11_S14_bEUlT_E_NS1_11comp_targetILNS1_3genE5ELNS1_11target_archE942ELNS1_3gpuE9ELNS1_3repE0EEENS1_30default_config_static_selectorELNS0_4arch9wavefront6targetE0EEEvSY_
; %bb.0:
	.section	.rodata,"a",@progbits
	.p2align	6, 0x0
	.amdhsa_kernel _ZN7rocprim17ROCPRIM_400000_NS6detail17trampoline_kernelINS0_14default_configENS1_29binary_search_config_selectorIdiEEZNS1_14transform_implILb0ES3_S5_N6thrust23THRUST_200600_302600_NS6detail15normal_iteratorINS8_7pointerIdNS8_11hip_rocprim5par_tENS8_11use_defaultESE_EEEENSA_INSB_IiSD_SE_SE_EEEEZNS1_13binary_searchIS3_S5_NSA_INS8_10device_ptrIdEEEESG_SI_NS1_16binary_search_opENS9_16wrapped_functionINS8_6system6detail7generic6detail18binary_search_lessEbEEEE10hipError_tPvRmT1_T2_T3_mmT4_T5_P12ihipStream_tbEUlRKdE_EESV_SZ_S10_mS11_S14_bEUlT_E_NS1_11comp_targetILNS1_3genE5ELNS1_11target_archE942ELNS1_3gpuE9ELNS1_3repE0EEENS1_30default_config_static_selectorELNS0_4arch9wavefront6targetE0EEEvSY_
		.amdhsa_group_segment_fixed_size 0
		.amdhsa_private_segment_fixed_size 0
		.amdhsa_kernarg_size 56
		.amdhsa_user_sgpr_count 6
		.amdhsa_user_sgpr_private_segment_buffer 1
		.amdhsa_user_sgpr_dispatch_ptr 0
		.amdhsa_user_sgpr_queue_ptr 0
		.amdhsa_user_sgpr_kernarg_segment_ptr 1
		.amdhsa_user_sgpr_dispatch_id 0
		.amdhsa_user_sgpr_flat_scratch_init 0
		.amdhsa_user_sgpr_private_segment_size 0
		.amdhsa_wavefront_size32 1
		.amdhsa_uses_dynamic_stack 0
		.amdhsa_system_sgpr_private_segment_wavefront_offset 0
		.amdhsa_system_sgpr_workgroup_id_x 1
		.amdhsa_system_sgpr_workgroup_id_y 0
		.amdhsa_system_sgpr_workgroup_id_z 0
		.amdhsa_system_sgpr_workgroup_info 0
		.amdhsa_system_vgpr_workitem_id 0
		.amdhsa_next_free_vgpr 1
		.amdhsa_next_free_sgpr 1
		.amdhsa_reserve_vcc 0
		.amdhsa_reserve_flat_scratch 0
		.amdhsa_float_round_mode_32 0
		.amdhsa_float_round_mode_16_64 0
		.amdhsa_float_denorm_mode_32 3
		.amdhsa_float_denorm_mode_16_64 3
		.amdhsa_dx10_clamp 1
		.amdhsa_ieee_mode 1
		.amdhsa_fp16_overflow 0
		.amdhsa_workgroup_processor_mode 1
		.amdhsa_memory_ordered 1
		.amdhsa_forward_progress 1
		.amdhsa_shared_vgpr_count 0
		.amdhsa_exception_fp_ieee_invalid_op 0
		.amdhsa_exception_fp_denorm_src 0
		.amdhsa_exception_fp_ieee_div_zero 0
		.amdhsa_exception_fp_ieee_overflow 0
		.amdhsa_exception_fp_ieee_underflow 0
		.amdhsa_exception_fp_ieee_inexact 0
		.amdhsa_exception_int_div_zero 0
	.end_amdhsa_kernel
	.section	.text._ZN7rocprim17ROCPRIM_400000_NS6detail17trampoline_kernelINS0_14default_configENS1_29binary_search_config_selectorIdiEEZNS1_14transform_implILb0ES3_S5_N6thrust23THRUST_200600_302600_NS6detail15normal_iteratorINS8_7pointerIdNS8_11hip_rocprim5par_tENS8_11use_defaultESE_EEEENSA_INSB_IiSD_SE_SE_EEEEZNS1_13binary_searchIS3_S5_NSA_INS8_10device_ptrIdEEEESG_SI_NS1_16binary_search_opENS9_16wrapped_functionINS8_6system6detail7generic6detail18binary_search_lessEbEEEE10hipError_tPvRmT1_T2_T3_mmT4_T5_P12ihipStream_tbEUlRKdE_EESV_SZ_S10_mS11_S14_bEUlT_E_NS1_11comp_targetILNS1_3genE5ELNS1_11target_archE942ELNS1_3gpuE9ELNS1_3repE0EEENS1_30default_config_static_selectorELNS0_4arch9wavefront6targetE0EEEvSY_,"axG",@progbits,_ZN7rocprim17ROCPRIM_400000_NS6detail17trampoline_kernelINS0_14default_configENS1_29binary_search_config_selectorIdiEEZNS1_14transform_implILb0ES3_S5_N6thrust23THRUST_200600_302600_NS6detail15normal_iteratorINS8_7pointerIdNS8_11hip_rocprim5par_tENS8_11use_defaultESE_EEEENSA_INSB_IiSD_SE_SE_EEEEZNS1_13binary_searchIS3_S5_NSA_INS8_10device_ptrIdEEEESG_SI_NS1_16binary_search_opENS9_16wrapped_functionINS8_6system6detail7generic6detail18binary_search_lessEbEEEE10hipError_tPvRmT1_T2_T3_mmT4_T5_P12ihipStream_tbEUlRKdE_EESV_SZ_S10_mS11_S14_bEUlT_E_NS1_11comp_targetILNS1_3genE5ELNS1_11target_archE942ELNS1_3gpuE9ELNS1_3repE0EEENS1_30default_config_static_selectorELNS0_4arch9wavefront6targetE0EEEvSY_,comdat
.Lfunc_end627:
	.size	_ZN7rocprim17ROCPRIM_400000_NS6detail17trampoline_kernelINS0_14default_configENS1_29binary_search_config_selectorIdiEEZNS1_14transform_implILb0ES3_S5_N6thrust23THRUST_200600_302600_NS6detail15normal_iteratorINS8_7pointerIdNS8_11hip_rocprim5par_tENS8_11use_defaultESE_EEEENSA_INSB_IiSD_SE_SE_EEEEZNS1_13binary_searchIS3_S5_NSA_INS8_10device_ptrIdEEEESG_SI_NS1_16binary_search_opENS9_16wrapped_functionINS8_6system6detail7generic6detail18binary_search_lessEbEEEE10hipError_tPvRmT1_T2_T3_mmT4_T5_P12ihipStream_tbEUlRKdE_EESV_SZ_S10_mS11_S14_bEUlT_E_NS1_11comp_targetILNS1_3genE5ELNS1_11target_archE942ELNS1_3gpuE9ELNS1_3repE0EEENS1_30default_config_static_selectorELNS0_4arch9wavefront6targetE0EEEvSY_, .Lfunc_end627-_ZN7rocprim17ROCPRIM_400000_NS6detail17trampoline_kernelINS0_14default_configENS1_29binary_search_config_selectorIdiEEZNS1_14transform_implILb0ES3_S5_N6thrust23THRUST_200600_302600_NS6detail15normal_iteratorINS8_7pointerIdNS8_11hip_rocprim5par_tENS8_11use_defaultESE_EEEENSA_INSB_IiSD_SE_SE_EEEEZNS1_13binary_searchIS3_S5_NSA_INS8_10device_ptrIdEEEESG_SI_NS1_16binary_search_opENS9_16wrapped_functionINS8_6system6detail7generic6detail18binary_search_lessEbEEEE10hipError_tPvRmT1_T2_T3_mmT4_T5_P12ihipStream_tbEUlRKdE_EESV_SZ_S10_mS11_S14_bEUlT_E_NS1_11comp_targetILNS1_3genE5ELNS1_11target_archE942ELNS1_3gpuE9ELNS1_3repE0EEENS1_30default_config_static_selectorELNS0_4arch9wavefront6targetE0EEEvSY_
                                        ; -- End function
	.set _ZN7rocprim17ROCPRIM_400000_NS6detail17trampoline_kernelINS0_14default_configENS1_29binary_search_config_selectorIdiEEZNS1_14transform_implILb0ES3_S5_N6thrust23THRUST_200600_302600_NS6detail15normal_iteratorINS8_7pointerIdNS8_11hip_rocprim5par_tENS8_11use_defaultESE_EEEENSA_INSB_IiSD_SE_SE_EEEEZNS1_13binary_searchIS3_S5_NSA_INS8_10device_ptrIdEEEESG_SI_NS1_16binary_search_opENS9_16wrapped_functionINS8_6system6detail7generic6detail18binary_search_lessEbEEEE10hipError_tPvRmT1_T2_T3_mmT4_T5_P12ihipStream_tbEUlRKdE_EESV_SZ_S10_mS11_S14_bEUlT_E_NS1_11comp_targetILNS1_3genE5ELNS1_11target_archE942ELNS1_3gpuE9ELNS1_3repE0EEENS1_30default_config_static_selectorELNS0_4arch9wavefront6targetE0EEEvSY_.num_vgpr, 0
	.set _ZN7rocprim17ROCPRIM_400000_NS6detail17trampoline_kernelINS0_14default_configENS1_29binary_search_config_selectorIdiEEZNS1_14transform_implILb0ES3_S5_N6thrust23THRUST_200600_302600_NS6detail15normal_iteratorINS8_7pointerIdNS8_11hip_rocprim5par_tENS8_11use_defaultESE_EEEENSA_INSB_IiSD_SE_SE_EEEEZNS1_13binary_searchIS3_S5_NSA_INS8_10device_ptrIdEEEESG_SI_NS1_16binary_search_opENS9_16wrapped_functionINS8_6system6detail7generic6detail18binary_search_lessEbEEEE10hipError_tPvRmT1_T2_T3_mmT4_T5_P12ihipStream_tbEUlRKdE_EESV_SZ_S10_mS11_S14_bEUlT_E_NS1_11comp_targetILNS1_3genE5ELNS1_11target_archE942ELNS1_3gpuE9ELNS1_3repE0EEENS1_30default_config_static_selectorELNS0_4arch9wavefront6targetE0EEEvSY_.num_agpr, 0
	.set _ZN7rocprim17ROCPRIM_400000_NS6detail17trampoline_kernelINS0_14default_configENS1_29binary_search_config_selectorIdiEEZNS1_14transform_implILb0ES3_S5_N6thrust23THRUST_200600_302600_NS6detail15normal_iteratorINS8_7pointerIdNS8_11hip_rocprim5par_tENS8_11use_defaultESE_EEEENSA_INSB_IiSD_SE_SE_EEEEZNS1_13binary_searchIS3_S5_NSA_INS8_10device_ptrIdEEEESG_SI_NS1_16binary_search_opENS9_16wrapped_functionINS8_6system6detail7generic6detail18binary_search_lessEbEEEE10hipError_tPvRmT1_T2_T3_mmT4_T5_P12ihipStream_tbEUlRKdE_EESV_SZ_S10_mS11_S14_bEUlT_E_NS1_11comp_targetILNS1_3genE5ELNS1_11target_archE942ELNS1_3gpuE9ELNS1_3repE0EEENS1_30default_config_static_selectorELNS0_4arch9wavefront6targetE0EEEvSY_.numbered_sgpr, 0
	.set _ZN7rocprim17ROCPRIM_400000_NS6detail17trampoline_kernelINS0_14default_configENS1_29binary_search_config_selectorIdiEEZNS1_14transform_implILb0ES3_S5_N6thrust23THRUST_200600_302600_NS6detail15normal_iteratorINS8_7pointerIdNS8_11hip_rocprim5par_tENS8_11use_defaultESE_EEEENSA_INSB_IiSD_SE_SE_EEEEZNS1_13binary_searchIS3_S5_NSA_INS8_10device_ptrIdEEEESG_SI_NS1_16binary_search_opENS9_16wrapped_functionINS8_6system6detail7generic6detail18binary_search_lessEbEEEE10hipError_tPvRmT1_T2_T3_mmT4_T5_P12ihipStream_tbEUlRKdE_EESV_SZ_S10_mS11_S14_bEUlT_E_NS1_11comp_targetILNS1_3genE5ELNS1_11target_archE942ELNS1_3gpuE9ELNS1_3repE0EEENS1_30default_config_static_selectorELNS0_4arch9wavefront6targetE0EEEvSY_.num_named_barrier, 0
	.set _ZN7rocprim17ROCPRIM_400000_NS6detail17trampoline_kernelINS0_14default_configENS1_29binary_search_config_selectorIdiEEZNS1_14transform_implILb0ES3_S5_N6thrust23THRUST_200600_302600_NS6detail15normal_iteratorINS8_7pointerIdNS8_11hip_rocprim5par_tENS8_11use_defaultESE_EEEENSA_INSB_IiSD_SE_SE_EEEEZNS1_13binary_searchIS3_S5_NSA_INS8_10device_ptrIdEEEESG_SI_NS1_16binary_search_opENS9_16wrapped_functionINS8_6system6detail7generic6detail18binary_search_lessEbEEEE10hipError_tPvRmT1_T2_T3_mmT4_T5_P12ihipStream_tbEUlRKdE_EESV_SZ_S10_mS11_S14_bEUlT_E_NS1_11comp_targetILNS1_3genE5ELNS1_11target_archE942ELNS1_3gpuE9ELNS1_3repE0EEENS1_30default_config_static_selectorELNS0_4arch9wavefront6targetE0EEEvSY_.private_seg_size, 0
	.set _ZN7rocprim17ROCPRIM_400000_NS6detail17trampoline_kernelINS0_14default_configENS1_29binary_search_config_selectorIdiEEZNS1_14transform_implILb0ES3_S5_N6thrust23THRUST_200600_302600_NS6detail15normal_iteratorINS8_7pointerIdNS8_11hip_rocprim5par_tENS8_11use_defaultESE_EEEENSA_INSB_IiSD_SE_SE_EEEEZNS1_13binary_searchIS3_S5_NSA_INS8_10device_ptrIdEEEESG_SI_NS1_16binary_search_opENS9_16wrapped_functionINS8_6system6detail7generic6detail18binary_search_lessEbEEEE10hipError_tPvRmT1_T2_T3_mmT4_T5_P12ihipStream_tbEUlRKdE_EESV_SZ_S10_mS11_S14_bEUlT_E_NS1_11comp_targetILNS1_3genE5ELNS1_11target_archE942ELNS1_3gpuE9ELNS1_3repE0EEENS1_30default_config_static_selectorELNS0_4arch9wavefront6targetE0EEEvSY_.uses_vcc, 0
	.set _ZN7rocprim17ROCPRIM_400000_NS6detail17trampoline_kernelINS0_14default_configENS1_29binary_search_config_selectorIdiEEZNS1_14transform_implILb0ES3_S5_N6thrust23THRUST_200600_302600_NS6detail15normal_iteratorINS8_7pointerIdNS8_11hip_rocprim5par_tENS8_11use_defaultESE_EEEENSA_INSB_IiSD_SE_SE_EEEEZNS1_13binary_searchIS3_S5_NSA_INS8_10device_ptrIdEEEESG_SI_NS1_16binary_search_opENS9_16wrapped_functionINS8_6system6detail7generic6detail18binary_search_lessEbEEEE10hipError_tPvRmT1_T2_T3_mmT4_T5_P12ihipStream_tbEUlRKdE_EESV_SZ_S10_mS11_S14_bEUlT_E_NS1_11comp_targetILNS1_3genE5ELNS1_11target_archE942ELNS1_3gpuE9ELNS1_3repE0EEENS1_30default_config_static_selectorELNS0_4arch9wavefront6targetE0EEEvSY_.uses_flat_scratch, 0
	.set _ZN7rocprim17ROCPRIM_400000_NS6detail17trampoline_kernelINS0_14default_configENS1_29binary_search_config_selectorIdiEEZNS1_14transform_implILb0ES3_S5_N6thrust23THRUST_200600_302600_NS6detail15normal_iteratorINS8_7pointerIdNS8_11hip_rocprim5par_tENS8_11use_defaultESE_EEEENSA_INSB_IiSD_SE_SE_EEEEZNS1_13binary_searchIS3_S5_NSA_INS8_10device_ptrIdEEEESG_SI_NS1_16binary_search_opENS9_16wrapped_functionINS8_6system6detail7generic6detail18binary_search_lessEbEEEE10hipError_tPvRmT1_T2_T3_mmT4_T5_P12ihipStream_tbEUlRKdE_EESV_SZ_S10_mS11_S14_bEUlT_E_NS1_11comp_targetILNS1_3genE5ELNS1_11target_archE942ELNS1_3gpuE9ELNS1_3repE0EEENS1_30default_config_static_selectorELNS0_4arch9wavefront6targetE0EEEvSY_.has_dyn_sized_stack, 0
	.set _ZN7rocprim17ROCPRIM_400000_NS6detail17trampoline_kernelINS0_14default_configENS1_29binary_search_config_selectorIdiEEZNS1_14transform_implILb0ES3_S5_N6thrust23THRUST_200600_302600_NS6detail15normal_iteratorINS8_7pointerIdNS8_11hip_rocprim5par_tENS8_11use_defaultESE_EEEENSA_INSB_IiSD_SE_SE_EEEEZNS1_13binary_searchIS3_S5_NSA_INS8_10device_ptrIdEEEESG_SI_NS1_16binary_search_opENS9_16wrapped_functionINS8_6system6detail7generic6detail18binary_search_lessEbEEEE10hipError_tPvRmT1_T2_T3_mmT4_T5_P12ihipStream_tbEUlRKdE_EESV_SZ_S10_mS11_S14_bEUlT_E_NS1_11comp_targetILNS1_3genE5ELNS1_11target_archE942ELNS1_3gpuE9ELNS1_3repE0EEENS1_30default_config_static_selectorELNS0_4arch9wavefront6targetE0EEEvSY_.has_recursion, 0
	.set _ZN7rocprim17ROCPRIM_400000_NS6detail17trampoline_kernelINS0_14default_configENS1_29binary_search_config_selectorIdiEEZNS1_14transform_implILb0ES3_S5_N6thrust23THRUST_200600_302600_NS6detail15normal_iteratorINS8_7pointerIdNS8_11hip_rocprim5par_tENS8_11use_defaultESE_EEEENSA_INSB_IiSD_SE_SE_EEEEZNS1_13binary_searchIS3_S5_NSA_INS8_10device_ptrIdEEEESG_SI_NS1_16binary_search_opENS9_16wrapped_functionINS8_6system6detail7generic6detail18binary_search_lessEbEEEE10hipError_tPvRmT1_T2_T3_mmT4_T5_P12ihipStream_tbEUlRKdE_EESV_SZ_S10_mS11_S14_bEUlT_E_NS1_11comp_targetILNS1_3genE5ELNS1_11target_archE942ELNS1_3gpuE9ELNS1_3repE0EEENS1_30default_config_static_selectorELNS0_4arch9wavefront6targetE0EEEvSY_.has_indirect_call, 0
	.section	.AMDGPU.csdata,"",@progbits
; Kernel info:
; codeLenInByte = 0
; TotalNumSgprs: 0
; NumVgprs: 0
; ScratchSize: 0
; MemoryBound: 0
; FloatMode: 240
; IeeeMode: 1
; LDSByteSize: 0 bytes/workgroup (compile time only)
; SGPRBlocks: 0
; VGPRBlocks: 0
; NumSGPRsForWavesPerEU: 1
; NumVGPRsForWavesPerEU: 1
; Occupancy: 16
; WaveLimiterHint : 0
; COMPUTE_PGM_RSRC2:SCRATCH_EN: 0
; COMPUTE_PGM_RSRC2:USER_SGPR: 6
; COMPUTE_PGM_RSRC2:TRAP_HANDLER: 0
; COMPUTE_PGM_RSRC2:TGID_X_EN: 1
; COMPUTE_PGM_RSRC2:TGID_Y_EN: 0
; COMPUTE_PGM_RSRC2:TGID_Z_EN: 0
; COMPUTE_PGM_RSRC2:TIDIG_COMP_CNT: 0
	.section	.text._ZN7rocprim17ROCPRIM_400000_NS6detail17trampoline_kernelINS0_14default_configENS1_29binary_search_config_selectorIdiEEZNS1_14transform_implILb0ES3_S5_N6thrust23THRUST_200600_302600_NS6detail15normal_iteratorINS8_7pointerIdNS8_11hip_rocprim5par_tENS8_11use_defaultESE_EEEENSA_INSB_IiSD_SE_SE_EEEEZNS1_13binary_searchIS3_S5_NSA_INS8_10device_ptrIdEEEESG_SI_NS1_16binary_search_opENS9_16wrapped_functionINS8_6system6detail7generic6detail18binary_search_lessEbEEEE10hipError_tPvRmT1_T2_T3_mmT4_T5_P12ihipStream_tbEUlRKdE_EESV_SZ_S10_mS11_S14_bEUlT_E_NS1_11comp_targetILNS1_3genE4ELNS1_11target_archE910ELNS1_3gpuE8ELNS1_3repE0EEENS1_30default_config_static_selectorELNS0_4arch9wavefront6targetE0EEEvSY_,"axG",@progbits,_ZN7rocprim17ROCPRIM_400000_NS6detail17trampoline_kernelINS0_14default_configENS1_29binary_search_config_selectorIdiEEZNS1_14transform_implILb0ES3_S5_N6thrust23THRUST_200600_302600_NS6detail15normal_iteratorINS8_7pointerIdNS8_11hip_rocprim5par_tENS8_11use_defaultESE_EEEENSA_INSB_IiSD_SE_SE_EEEEZNS1_13binary_searchIS3_S5_NSA_INS8_10device_ptrIdEEEESG_SI_NS1_16binary_search_opENS9_16wrapped_functionINS8_6system6detail7generic6detail18binary_search_lessEbEEEE10hipError_tPvRmT1_T2_T3_mmT4_T5_P12ihipStream_tbEUlRKdE_EESV_SZ_S10_mS11_S14_bEUlT_E_NS1_11comp_targetILNS1_3genE4ELNS1_11target_archE910ELNS1_3gpuE8ELNS1_3repE0EEENS1_30default_config_static_selectorELNS0_4arch9wavefront6targetE0EEEvSY_,comdat
	.protected	_ZN7rocprim17ROCPRIM_400000_NS6detail17trampoline_kernelINS0_14default_configENS1_29binary_search_config_selectorIdiEEZNS1_14transform_implILb0ES3_S5_N6thrust23THRUST_200600_302600_NS6detail15normal_iteratorINS8_7pointerIdNS8_11hip_rocprim5par_tENS8_11use_defaultESE_EEEENSA_INSB_IiSD_SE_SE_EEEEZNS1_13binary_searchIS3_S5_NSA_INS8_10device_ptrIdEEEESG_SI_NS1_16binary_search_opENS9_16wrapped_functionINS8_6system6detail7generic6detail18binary_search_lessEbEEEE10hipError_tPvRmT1_T2_T3_mmT4_T5_P12ihipStream_tbEUlRKdE_EESV_SZ_S10_mS11_S14_bEUlT_E_NS1_11comp_targetILNS1_3genE4ELNS1_11target_archE910ELNS1_3gpuE8ELNS1_3repE0EEENS1_30default_config_static_selectorELNS0_4arch9wavefront6targetE0EEEvSY_ ; -- Begin function _ZN7rocprim17ROCPRIM_400000_NS6detail17trampoline_kernelINS0_14default_configENS1_29binary_search_config_selectorIdiEEZNS1_14transform_implILb0ES3_S5_N6thrust23THRUST_200600_302600_NS6detail15normal_iteratorINS8_7pointerIdNS8_11hip_rocprim5par_tENS8_11use_defaultESE_EEEENSA_INSB_IiSD_SE_SE_EEEEZNS1_13binary_searchIS3_S5_NSA_INS8_10device_ptrIdEEEESG_SI_NS1_16binary_search_opENS9_16wrapped_functionINS8_6system6detail7generic6detail18binary_search_lessEbEEEE10hipError_tPvRmT1_T2_T3_mmT4_T5_P12ihipStream_tbEUlRKdE_EESV_SZ_S10_mS11_S14_bEUlT_E_NS1_11comp_targetILNS1_3genE4ELNS1_11target_archE910ELNS1_3gpuE8ELNS1_3repE0EEENS1_30default_config_static_selectorELNS0_4arch9wavefront6targetE0EEEvSY_
	.globl	_ZN7rocprim17ROCPRIM_400000_NS6detail17trampoline_kernelINS0_14default_configENS1_29binary_search_config_selectorIdiEEZNS1_14transform_implILb0ES3_S5_N6thrust23THRUST_200600_302600_NS6detail15normal_iteratorINS8_7pointerIdNS8_11hip_rocprim5par_tENS8_11use_defaultESE_EEEENSA_INSB_IiSD_SE_SE_EEEEZNS1_13binary_searchIS3_S5_NSA_INS8_10device_ptrIdEEEESG_SI_NS1_16binary_search_opENS9_16wrapped_functionINS8_6system6detail7generic6detail18binary_search_lessEbEEEE10hipError_tPvRmT1_T2_T3_mmT4_T5_P12ihipStream_tbEUlRKdE_EESV_SZ_S10_mS11_S14_bEUlT_E_NS1_11comp_targetILNS1_3genE4ELNS1_11target_archE910ELNS1_3gpuE8ELNS1_3repE0EEENS1_30default_config_static_selectorELNS0_4arch9wavefront6targetE0EEEvSY_
	.p2align	8
	.type	_ZN7rocprim17ROCPRIM_400000_NS6detail17trampoline_kernelINS0_14default_configENS1_29binary_search_config_selectorIdiEEZNS1_14transform_implILb0ES3_S5_N6thrust23THRUST_200600_302600_NS6detail15normal_iteratorINS8_7pointerIdNS8_11hip_rocprim5par_tENS8_11use_defaultESE_EEEENSA_INSB_IiSD_SE_SE_EEEEZNS1_13binary_searchIS3_S5_NSA_INS8_10device_ptrIdEEEESG_SI_NS1_16binary_search_opENS9_16wrapped_functionINS8_6system6detail7generic6detail18binary_search_lessEbEEEE10hipError_tPvRmT1_T2_T3_mmT4_T5_P12ihipStream_tbEUlRKdE_EESV_SZ_S10_mS11_S14_bEUlT_E_NS1_11comp_targetILNS1_3genE4ELNS1_11target_archE910ELNS1_3gpuE8ELNS1_3repE0EEENS1_30default_config_static_selectorELNS0_4arch9wavefront6targetE0EEEvSY_,@function
_ZN7rocprim17ROCPRIM_400000_NS6detail17trampoline_kernelINS0_14default_configENS1_29binary_search_config_selectorIdiEEZNS1_14transform_implILb0ES3_S5_N6thrust23THRUST_200600_302600_NS6detail15normal_iteratorINS8_7pointerIdNS8_11hip_rocprim5par_tENS8_11use_defaultESE_EEEENSA_INSB_IiSD_SE_SE_EEEEZNS1_13binary_searchIS3_S5_NSA_INS8_10device_ptrIdEEEESG_SI_NS1_16binary_search_opENS9_16wrapped_functionINS8_6system6detail7generic6detail18binary_search_lessEbEEEE10hipError_tPvRmT1_T2_T3_mmT4_T5_P12ihipStream_tbEUlRKdE_EESV_SZ_S10_mS11_S14_bEUlT_E_NS1_11comp_targetILNS1_3genE4ELNS1_11target_archE910ELNS1_3gpuE8ELNS1_3repE0EEENS1_30default_config_static_selectorELNS0_4arch9wavefront6targetE0EEEvSY_: ; @_ZN7rocprim17ROCPRIM_400000_NS6detail17trampoline_kernelINS0_14default_configENS1_29binary_search_config_selectorIdiEEZNS1_14transform_implILb0ES3_S5_N6thrust23THRUST_200600_302600_NS6detail15normal_iteratorINS8_7pointerIdNS8_11hip_rocprim5par_tENS8_11use_defaultESE_EEEENSA_INSB_IiSD_SE_SE_EEEEZNS1_13binary_searchIS3_S5_NSA_INS8_10device_ptrIdEEEESG_SI_NS1_16binary_search_opENS9_16wrapped_functionINS8_6system6detail7generic6detail18binary_search_lessEbEEEE10hipError_tPvRmT1_T2_T3_mmT4_T5_P12ihipStream_tbEUlRKdE_EESV_SZ_S10_mS11_S14_bEUlT_E_NS1_11comp_targetILNS1_3genE4ELNS1_11target_archE910ELNS1_3gpuE8ELNS1_3repE0EEENS1_30default_config_static_selectorELNS0_4arch9wavefront6targetE0EEEvSY_
; %bb.0:
	.section	.rodata,"a",@progbits
	.p2align	6, 0x0
	.amdhsa_kernel _ZN7rocprim17ROCPRIM_400000_NS6detail17trampoline_kernelINS0_14default_configENS1_29binary_search_config_selectorIdiEEZNS1_14transform_implILb0ES3_S5_N6thrust23THRUST_200600_302600_NS6detail15normal_iteratorINS8_7pointerIdNS8_11hip_rocprim5par_tENS8_11use_defaultESE_EEEENSA_INSB_IiSD_SE_SE_EEEEZNS1_13binary_searchIS3_S5_NSA_INS8_10device_ptrIdEEEESG_SI_NS1_16binary_search_opENS9_16wrapped_functionINS8_6system6detail7generic6detail18binary_search_lessEbEEEE10hipError_tPvRmT1_T2_T3_mmT4_T5_P12ihipStream_tbEUlRKdE_EESV_SZ_S10_mS11_S14_bEUlT_E_NS1_11comp_targetILNS1_3genE4ELNS1_11target_archE910ELNS1_3gpuE8ELNS1_3repE0EEENS1_30default_config_static_selectorELNS0_4arch9wavefront6targetE0EEEvSY_
		.amdhsa_group_segment_fixed_size 0
		.amdhsa_private_segment_fixed_size 0
		.amdhsa_kernarg_size 56
		.amdhsa_user_sgpr_count 6
		.amdhsa_user_sgpr_private_segment_buffer 1
		.amdhsa_user_sgpr_dispatch_ptr 0
		.amdhsa_user_sgpr_queue_ptr 0
		.amdhsa_user_sgpr_kernarg_segment_ptr 1
		.amdhsa_user_sgpr_dispatch_id 0
		.amdhsa_user_sgpr_flat_scratch_init 0
		.amdhsa_user_sgpr_private_segment_size 0
		.amdhsa_wavefront_size32 1
		.amdhsa_uses_dynamic_stack 0
		.amdhsa_system_sgpr_private_segment_wavefront_offset 0
		.amdhsa_system_sgpr_workgroup_id_x 1
		.amdhsa_system_sgpr_workgroup_id_y 0
		.amdhsa_system_sgpr_workgroup_id_z 0
		.amdhsa_system_sgpr_workgroup_info 0
		.amdhsa_system_vgpr_workitem_id 0
		.amdhsa_next_free_vgpr 1
		.amdhsa_next_free_sgpr 1
		.amdhsa_reserve_vcc 0
		.amdhsa_reserve_flat_scratch 0
		.amdhsa_float_round_mode_32 0
		.amdhsa_float_round_mode_16_64 0
		.amdhsa_float_denorm_mode_32 3
		.amdhsa_float_denorm_mode_16_64 3
		.amdhsa_dx10_clamp 1
		.amdhsa_ieee_mode 1
		.amdhsa_fp16_overflow 0
		.amdhsa_workgroup_processor_mode 1
		.amdhsa_memory_ordered 1
		.amdhsa_forward_progress 1
		.amdhsa_shared_vgpr_count 0
		.amdhsa_exception_fp_ieee_invalid_op 0
		.amdhsa_exception_fp_denorm_src 0
		.amdhsa_exception_fp_ieee_div_zero 0
		.amdhsa_exception_fp_ieee_overflow 0
		.amdhsa_exception_fp_ieee_underflow 0
		.amdhsa_exception_fp_ieee_inexact 0
		.amdhsa_exception_int_div_zero 0
	.end_amdhsa_kernel
	.section	.text._ZN7rocprim17ROCPRIM_400000_NS6detail17trampoline_kernelINS0_14default_configENS1_29binary_search_config_selectorIdiEEZNS1_14transform_implILb0ES3_S5_N6thrust23THRUST_200600_302600_NS6detail15normal_iteratorINS8_7pointerIdNS8_11hip_rocprim5par_tENS8_11use_defaultESE_EEEENSA_INSB_IiSD_SE_SE_EEEEZNS1_13binary_searchIS3_S5_NSA_INS8_10device_ptrIdEEEESG_SI_NS1_16binary_search_opENS9_16wrapped_functionINS8_6system6detail7generic6detail18binary_search_lessEbEEEE10hipError_tPvRmT1_T2_T3_mmT4_T5_P12ihipStream_tbEUlRKdE_EESV_SZ_S10_mS11_S14_bEUlT_E_NS1_11comp_targetILNS1_3genE4ELNS1_11target_archE910ELNS1_3gpuE8ELNS1_3repE0EEENS1_30default_config_static_selectorELNS0_4arch9wavefront6targetE0EEEvSY_,"axG",@progbits,_ZN7rocprim17ROCPRIM_400000_NS6detail17trampoline_kernelINS0_14default_configENS1_29binary_search_config_selectorIdiEEZNS1_14transform_implILb0ES3_S5_N6thrust23THRUST_200600_302600_NS6detail15normal_iteratorINS8_7pointerIdNS8_11hip_rocprim5par_tENS8_11use_defaultESE_EEEENSA_INSB_IiSD_SE_SE_EEEEZNS1_13binary_searchIS3_S5_NSA_INS8_10device_ptrIdEEEESG_SI_NS1_16binary_search_opENS9_16wrapped_functionINS8_6system6detail7generic6detail18binary_search_lessEbEEEE10hipError_tPvRmT1_T2_T3_mmT4_T5_P12ihipStream_tbEUlRKdE_EESV_SZ_S10_mS11_S14_bEUlT_E_NS1_11comp_targetILNS1_3genE4ELNS1_11target_archE910ELNS1_3gpuE8ELNS1_3repE0EEENS1_30default_config_static_selectorELNS0_4arch9wavefront6targetE0EEEvSY_,comdat
.Lfunc_end628:
	.size	_ZN7rocprim17ROCPRIM_400000_NS6detail17trampoline_kernelINS0_14default_configENS1_29binary_search_config_selectorIdiEEZNS1_14transform_implILb0ES3_S5_N6thrust23THRUST_200600_302600_NS6detail15normal_iteratorINS8_7pointerIdNS8_11hip_rocprim5par_tENS8_11use_defaultESE_EEEENSA_INSB_IiSD_SE_SE_EEEEZNS1_13binary_searchIS3_S5_NSA_INS8_10device_ptrIdEEEESG_SI_NS1_16binary_search_opENS9_16wrapped_functionINS8_6system6detail7generic6detail18binary_search_lessEbEEEE10hipError_tPvRmT1_T2_T3_mmT4_T5_P12ihipStream_tbEUlRKdE_EESV_SZ_S10_mS11_S14_bEUlT_E_NS1_11comp_targetILNS1_3genE4ELNS1_11target_archE910ELNS1_3gpuE8ELNS1_3repE0EEENS1_30default_config_static_selectorELNS0_4arch9wavefront6targetE0EEEvSY_, .Lfunc_end628-_ZN7rocprim17ROCPRIM_400000_NS6detail17trampoline_kernelINS0_14default_configENS1_29binary_search_config_selectorIdiEEZNS1_14transform_implILb0ES3_S5_N6thrust23THRUST_200600_302600_NS6detail15normal_iteratorINS8_7pointerIdNS8_11hip_rocprim5par_tENS8_11use_defaultESE_EEEENSA_INSB_IiSD_SE_SE_EEEEZNS1_13binary_searchIS3_S5_NSA_INS8_10device_ptrIdEEEESG_SI_NS1_16binary_search_opENS9_16wrapped_functionINS8_6system6detail7generic6detail18binary_search_lessEbEEEE10hipError_tPvRmT1_T2_T3_mmT4_T5_P12ihipStream_tbEUlRKdE_EESV_SZ_S10_mS11_S14_bEUlT_E_NS1_11comp_targetILNS1_3genE4ELNS1_11target_archE910ELNS1_3gpuE8ELNS1_3repE0EEENS1_30default_config_static_selectorELNS0_4arch9wavefront6targetE0EEEvSY_
                                        ; -- End function
	.set _ZN7rocprim17ROCPRIM_400000_NS6detail17trampoline_kernelINS0_14default_configENS1_29binary_search_config_selectorIdiEEZNS1_14transform_implILb0ES3_S5_N6thrust23THRUST_200600_302600_NS6detail15normal_iteratorINS8_7pointerIdNS8_11hip_rocprim5par_tENS8_11use_defaultESE_EEEENSA_INSB_IiSD_SE_SE_EEEEZNS1_13binary_searchIS3_S5_NSA_INS8_10device_ptrIdEEEESG_SI_NS1_16binary_search_opENS9_16wrapped_functionINS8_6system6detail7generic6detail18binary_search_lessEbEEEE10hipError_tPvRmT1_T2_T3_mmT4_T5_P12ihipStream_tbEUlRKdE_EESV_SZ_S10_mS11_S14_bEUlT_E_NS1_11comp_targetILNS1_3genE4ELNS1_11target_archE910ELNS1_3gpuE8ELNS1_3repE0EEENS1_30default_config_static_selectorELNS0_4arch9wavefront6targetE0EEEvSY_.num_vgpr, 0
	.set _ZN7rocprim17ROCPRIM_400000_NS6detail17trampoline_kernelINS0_14default_configENS1_29binary_search_config_selectorIdiEEZNS1_14transform_implILb0ES3_S5_N6thrust23THRUST_200600_302600_NS6detail15normal_iteratorINS8_7pointerIdNS8_11hip_rocprim5par_tENS8_11use_defaultESE_EEEENSA_INSB_IiSD_SE_SE_EEEEZNS1_13binary_searchIS3_S5_NSA_INS8_10device_ptrIdEEEESG_SI_NS1_16binary_search_opENS9_16wrapped_functionINS8_6system6detail7generic6detail18binary_search_lessEbEEEE10hipError_tPvRmT1_T2_T3_mmT4_T5_P12ihipStream_tbEUlRKdE_EESV_SZ_S10_mS11_S14_bEUlT_E_NS1_11comp_targetILNS1_3genE4ELNS1_11target_archE910ELNS1_3gpuE8ELNS1_3repE0EEENS1_30default_config_static_selectorELNS0_4arch9wavefront6targetE0EEEvSY_.num_agpr, 0
	.set _ZN7rocprim17ROCPRIM_400000_NS6detail17trampoline_kernelINS0_14default_configENS1_29binary_search_config_selectorIdiEEZNS1_14transform_implILb0ES3_S5_N6thrust23THRUST_200600_302600_NS6detail15normal_iteratorINS8_7pointerIdNS8_11hip_rocprim5par_tENS8_11use_defaultESE_EEEENSA_INSB_IiSD_SE_SE_EEEEZNS1_13binary_searchIS3_S5_NSA_INS8_10device_ptrIdEEEESG_SI_NS1_16binary_search_opENS9_16wrapped_functionINS8_6system6detail7generic6detail18binary_search_lessEbEEEE10hipError_tPvRmT1_T2_T3_mmT4_T5_P12ihipStream_tbEUlRKdE_EESV_SZ_S10_mS11_S14_bEUlT_E_NS1_11comp_targetILNS1_3genE4ELNS1_11target_archE910ELNS1_3gpuE8ELNS1_3repE0EEENS1_30default_config_static_selectorELNS0_4arch9wavefront6targetE0EEEvSY_.numbered_sgpr, 0
	.set _ZN7rocprim17ROCPRIM_400000_NS6detail17trampoline_kernelINS0_14default_configENS1_29binary_search_config_selectorIdiEEZNS1_14transform_implILb0ES3_S5_N6thrust23THRUST_200600_302600_NS6detail15normal_iteratorINS8_7pointerIdNS8_11hip_rocprim5par_tENS8_11use_defaultESE_EEEENSA_INSB_IiSD_SE_SE_EEEEZNS1_13binary_searchIS3_S5_NSA_INS8_10device_ptrIdEEEESG_SI_NS1_16binary_search_opENS9_16wrapped_functionINS8_6system6detail7generic6detail18binary_search_lessEbEEEE10hipError_tPvRmT1_T2_T3_mmT4_T5_P12ihipStream_tbEUlRKdE_EESV_SZ_S10_mS11_S14_bEUlT_E_NS1_11comp_targetILNS1_3genE4ELNS1_11target_archE910ELNS1_3gpuE8ELNS1_3repE0EEENS1_30default_config_static_selectorELNS0_4arch9wavefront6targetE0EEEvSY_.num_named_barrier, 0
	.set _ZN7rocprim17ROCPRIM_400000_NS6detail17trampoline_kernelINS0_14default_configENS1_29binary_search_config_selectorIdiEEZNS1_14transform_implILb0ES3_S5_N6thrust23THRUST_200600_302600_NS6detail15normal_iteratorINS8_7pointerIdNS8_11hip_rocprim5par_tENS8_11use_defaultESE_EEEENSA_INSB_IiSD_SE_SE_EEEEZNS1_13binary_searchIS3_S5_NSA_INS8_10device_ptrIdEEEESG_SI_NS1_16binary_search_opENS9_16wrapped_functionINS8_6system6detail7generic6detail18binary_search_lessEbEEEE10hipError_tPvRmT1_T2_T3_mmT4_T5_P12ihipStream_tbEUlRKdE_EESV_SZ_S10_mS11_S14_bEUlT_E_NS1_11comp_targetILNS1_3genE4ELNS1_11target_archE910ELNS1_3gpuE8ELNS1_3repE0EEENS1_30default_config_static_selectorELNS0_4arch9wavefront6targetE0EEEvSY_.private_seg_size, 0
	.set _ZN7rocprim17ROCPRIM_400000_NS6detail17trampoline_kernelINS0_14default_configENS1_29binary_search_config_selectorIdiEEZNS1_14transform_implILb0ES3_S5_N6thrust23THRUST_200600_302600_NS6detail15normal_iteratorINS8_7pointerIdNS8_11hip_rocprim5par_tENS8_11use_defaultESE_EEEENSA_INSB_IiSD_SE_SE_EEEEZNS1_13binary_searchIS3_S5_NSA_INS8_10device_ptrIdEEEESG_SI_NS1_16binary_search_opENS9_16wrapped_functionINS8_6system6detail7generic6detail18binary_search_lessEbEEEE10hipError_tPvRmT1_T2_T3_mmT4_T5_P12ihipStream_tbEUlRKdE_EESV_SZ_S10_mS11_S14_bEUlT_E_NS1_11comp_targetILNS1_3genE4ELNS1_11target_archE910ELNS1_3gpuE8ELNS1_3repE0EEENS1_30default_config_static_selectorELNS0_4arch9wavefront6targetE0EEEvSY_.uses_vcc, 0
	.set _ZN7rocprim17ROCPRIM_400000_NS6detail17trampoline_kernelINS0_14default_configENS1_29binary_search_config_selectorIdiEEZNS1_14transform_implILb0ES3_S5_N6thrust23THRUST_200600_302600_NS6detail15normal_iteratorINS8_7pointerIdNS8_11hip_rocprim5par_tENS8_11use_defaultESE_EEEENSA_INSB_IiSD_SE_SE_EEEEZNS1_13binary_searchIS3_S5_NSA_INS8_10device_ptrIdEEEESG_SI_NS1_16binary_search_opENS9_16wrapped_functionINS8_6system6detail7generic6detail18binary_search_lessEbEEEE10hipError_tPvRmT1_T2_T3_mmT4_T5_P12ihipStream_tbEUlRKdE_EESV_SZ_S10_mS11_S14_bEUlT_E_NS1_11comp_targetILNS1_3genE4ELNS1_11target_archE910ELNS1_3gpuE8ELNS1_3repE0EEENS1_30default_config_static_selectorELNS0_4arch9wavefront6targetE0EEEvSY_.uses_flat_scratch, 0
	.set _ZN7rocprim17ROCPRIM_400000_NS6detail17trampoline_kernelINS0_14default_configENS1_29binary_search_config_selectorIdiEEZNS1_14transform_implILb0ES3_S5_N6thrust23THRUST_200600_302600_NS6detail15normal_iteratorINS8_7pointerIdNS8_11hip_rocprim5par_tENS8_11use_defaultESE_EEEENSA_INSB_IiSD_SE_SE_EEEEZNS1_13binary_searchIS3_S5_NSA_INS8_10device_ptrIdEEEESG_SI_NS1_16binary_search_opENS9_16wrapped_functionINS8_6system6detail7generic6detail18binary_search_lessEbEEEE10hipError_tPvRmT1_T2_T3_mmT4_T5_P12ihipStream_tbEUlRKdE_EESV_SZ_S10_mS11_S14_bEUlT_E_NS1_11comp_targetILNS1_3genE4ELNS1_11target_archE910ELNS1_3gpuE8ELNS1_3repE0EEENS1_30default_config_static_selectorELNS0_4arch9wavefront6targetE0EEEvSY_.has_dyn_sized_stack, 0
	.set _ZN7rocprim17ROCPRIM_400000_NS6detail17trampoline_kernelINS0_14default_configENS1_29binary_search_config_selectorIdiEEZNS1_14transform_implILb0ES3_S5_N6thrust23THRUST_200600_302600_NS6detail15normal_iteratorINS8_7pointerIdNS8_11hip_rocprim5par_tENS8_11use_defaultESE_EEEENSA_INSB_IiSD_SE_SE_EEEEZNS1_13binary_searchIS3_S5_NSA_INS8_10device_ptrIdEEEESG_SI_NS1_16binary_search_opENS9_16wrapped_functionINS8_6system6detail7generic6detail18binary_search_lessEbEEEE10hipError_tPvRmT1_T2_T3_mmT4_T5_P12ihipStream_tbEUlRKdE_EESV_SZ_S10_mS11_S14_bEUlT_E_NS1_11comp_targetILNS1_3genE4ELNS1_11target_archE910ELNS1_3gpuE8ELNS1_3repE0EEENS1_30default_config_static_selectorELNS0_4arch9wavefront6targetE0EEEvSY_.has_recursion, 0
	.set _ZN7rocprim17ROCPRIM_400000_NS6detail17trampoline_kernelINS0_14default_configENS1_29binary_search_config_selectorIdiEEZNS1_14transform_implILb0ES3_S5_N6thrust23THRUST_200600_302600_NS6detail15normal_iteratorINS8_7pointerIdNS8_11hip_rocprim5par_tENS8_11use_defaultESE_EEEENSA_INSB_IiSD_SE_SE_EEEEZNS1_13binary_searchIS3_S5_NSA_INS8_10device_ptrIdEEEESG_SI_NS1_16binary_search_opENS9_16wrapped_functionINS8_6system6detail7generic6detail18binary_search_lessEbEEEE10hipError_tPvRmT1_T2_T3_mmT4_T5_P12ihipStream_tbEUlRKdE_EESV_SZ_S10_mS11_S14_bEUlT_E_NS1_11comp_targetILNS1_3genE4ELNS1_11target_archE910ELNS1_3gpuE8ELNS1_3repE0EEENS1_30default_config_static_selectorELNS0_4arch9wavefront6targetE0EEEvSY_.has_indirect_call, 0
	.section	.AMDGPU.csdata,"",@progbits
; Kernel info:
; codeLenInByte = 0
; TotalNumSgprs: 0
; NumVgprs: 0
; ScratchSize: 0
; MemoryBound: 0
; FloatMode: 240
; IeeeMode: 1
; LDSByteSize: 0 bytes/workgroup (compile time only)
; SGPRBlocks: 0
; VGPRBlocks: 0
; NumSGPRsForWavesPerEU: 1
; NumVGPRsForWavesPerEU: 1
; Occupancy: 16
; WaveLimiterHint : 0
; COMPUTE_PGM_RSRC2:SCRATCH_EN: 0
; COMPUTE_PGM_RSRC2:USER_SGPR: 6
; COMPUTE_PGM_RSRC2:TRAP_HANDLER: 0
; COMPUTE_PGM_RSRC2:TGID_X_EN: 1
; COMPUTE_PGM_RSRC2:TGID_Y_EN: 0
; COMPUTE_PGM_RSRC2:TGID_Z_EN: 0
; COMPUTE_PGM_RSRC2:TIDIG_COMP_CNT: 0
	.section	.text._ZN7rocprim17ROCPRIM_400000_NS6detail17trampoline_kernelINS0_14default_configENS1_29binary_search_config_selectorIdiEEZNS1_14transform_implILb0ES3_S5_N6thrust23THRUST_200600_302600_NS6detail15normal_iteratorINS8_7pointerIdNS8_11hip_rocprim5par_tENS8_11use_defaultESE_EEEENSA_INSB_IiSD_SE_SE_EEEEZNS1_13binary_searchIS3_S5_NSA_INS8_10device_ptrIdEEEESG_SI_NS1_16binary_search_opENS9_16wrapped_functionINS8_6system6detail7generic6detail18binary_search_lessEbEEEE10hipError_tPvRmT1_T2_T3_mmT4_T5_P12ihipStream_tbEUlRKdE_EESV_SZ_S10_mS11_S14_bEUlT_E_NS1_11comp_targetILNS1_3genE3ELNS1_11target_archE908ELNS1_3gpuE7ELNS1_3repE0EEENS1_30default_config_static_selectorELNS0_4arch9wavefront6targetE0EEEvSY_,"axG",@progbits,_ZN7rocprim17ROCPRIM_400000_NS6detail17trampoline_kernelINS0_14default_configENS1_29binary_search_config_selectorIdiEEZNS1_14transform_implILb0ES3_S5_N6thrust23THRUST_200600_302600_NS6detail15normal_iteratorINS8_7pointerIdNS8_11hip_rocprim5par_tENS8_11use_defaultESE_EEEENSA_INSB_IiSD_SE_SE_EEEEZNS1_13binary_searchIS3_S5_NSA_INS8_10device_ptrIdEEEESG_SI_NS1_16binary_search_opENS9_16wrapped_functionINS8_6system6detail7generic6detail18binary_search_lessEbEEEE10hipError_tPvRmT1_T2_T3_mmT4_T5_P12ihipStream_tbEUlRKdE_EESV_SZ_S10_mS11_S14_bEUlT_E_NS1_11comp_targetILNS1_3genE3ELNS1_11target_archE908ELNS1_3gpuE7ELNS1_3repE0EEENS1_30default_config_static_selectorELNS0_4arch9wavefront6targetE0EEEvSY_,comdat
	.protected	_ZN7rocprim17ROCPRIM_400000_NS6detail17trampoline_kernelINS0_14default_configENS1_29binary_search_config_selectorIdiEEZNS1_14transform_implILb0ES3_S5_N6thrust23THRUST_200600_302600_NS6detail15normal_iteratorINS8_7pointerIdNS8_11hip_rocprim5par_tENS8_11use_defaultESE_EEEENSA_INSB_IiSD_SE_SE_EEEEZNS1_13binary_searchIS3_S5_NSA_INS8_10device_ptrIdEEEESG_SI_NS1_16binary_search_opENS9_16wrapped_functionINS8_6system6detail7generic6detail18binary_search_lessEbEEEE10hipError_tPvRmT1_T2_T3_mmT4_T5_P12ihipStream_tbEUlRKdE_EESV_SZ_S10_mS11_S14_bEUlT_E_NS1_11comp_targetILNS1_3genE3ELNS1_11target_archE908ELNS1_3gpuE7ELNS1_3repE0EEENS1_30default_config_static_selectorELNS0_4arch9wavefront6targetE0EEEvSY_ ; -- Begin function _ZN7rocprim17ROCPRIM_400000_NS6detail17trampoline_kernelINS0_14default_configENS1_29binary_search_config_selectorIdiEEZNS1_14transform_implILb0ES3_S5_N6thrust23THRUST_200600_302600_NS6detail15normal_iteratorINS8_7pointerIdNS8_11hip_rocprim5par_tENS8_11use_defaultESE_EEEENSA_INSB_IiSD_SE_SE_EEEEZNS1_13binary_searchIS3_S5_NSA_INS8_10device_ptrIdEEEESG_SI_NS1_16binary_search_opENS9_16wrapped_functionINS8_6system6detail7generic6detail18binary_search_lessEbEEEE10hipError_tPvRmT1_T2_T3_mmT4_T5_P12ihipStream_tbEUlRKdE_EESV_SZ_S10_mS11_S14_bEUlT_E_NS1_11comp_targetILNS1_3genE3ELNS1_11target_archE908ELNS1_3gpuE7ELNS1_3repE0EEENS1_30default_config_static_selectorELNS0_4arch9wavefront6targetE0EEEvSY_
	.globl	_ZN7rocprim17ROCPRIM_400000_NS6detail17trampoline_kernelINS0_14default_configENS1_29binary_search_config_selectorIdiEEZNS1_14transform_implILb0ES3_S5_N6thrust23THRUST_200600_302600_NS6detail15normal_iteratorINS8_7pointerIdNS8_11hip_rocprim5par_tENS8_11use_defaultESE_EEEENSA_INSB_IiSD_SE_SE_EEEEZNS1_13binary_searchIS3_S5_NSA_INS8_10device_ptrIdEEEESG_SI_NS1_16binary_search_opENS9_16wrapped_functionINS8_6system6detail7generic6detail18binary_search_lessEbEEEE10hipError_tPvRmT1_T2_T3_mmT4_T5_P12ihipStream_tbEUlRKdE_EESV_SZ_S10_mS11_S14_bEUlT_E_NS1_11comp_targetILNS1_3genE3ELNS1_11target_archE908ELNS1_3gpuE7ELNS1_3repE0EEENS1_30default_config_static_selectorELNS0_4arch9wavefront6targetE0EEEvSY_
	.p2align	8
	.type	_ZN7rocprim17ROCPRIM_400000_NS6detail17trampoline_kernelINS0_14default_configENS1_29binary_search_config_selectorIdiEEZNS1_14transform_implILb0ES3_S5_N6thrust23THRUST_200600_302600_NS6detail15normal_iteratorINS8_7pointerIdNS8_11hip_rocprim5par_tENS8_11use_defaultESE_EEEENSA_INSB_IiSD_SE_SE_EEEEZNS1_13binary_searchIS3_S5_NSA_INS8_10device_ptrIdEEEESG_SI_NS1_16binary_search_opENS9_16wrapped_functionINS8_6system6detail7generic6detail18binary_search_lessEbEEEE10hipError_tPvRmT1_T2_T3_mmT4_T5_P12ihipStream_tbEUlRKdE_EESV_SZ_S10_mS11_S14_bEUlT_E_NS1_11comp_targetILNS1_3genE3ELNS1_11target_archE908ELNS1_3gpuE7ELNS1_3repE0EEENS1_30default_config_static_selectorELNS0_4arch9wavefront6targetE0EEEvSY_,@function
_ZN7rocprim17ROCPRIM_400000_NS6detail17trampoline_kernelINS0_14default_configENS1_29binary_search_config_selectorIdiEEZNS1_14transform_implILb0ES3_S5_N6thrust23THRUST_200600_302600_NS6detail15normal_iteratorINS8_7pointerIdNS8_11hip_rocprim5par_tENS8_11use_defaultESE_EEEENSA_INSB_IiSD_SE_SE_EEEEZNS1_13binary_searchIS3_S5_NSA_INS8_10device_ptrIdEEEESG_SI_NS1_16binary_search_opENS9_16wrapped_functionINS8_6system6detail7generic6detail18binary_search_lessEbEEEE10hipError_tPvRmT1_T2_T3_mmT4_T5_P12ihipStream_tbEUlRKdE_EESV_SZ_S10_mS11_S14_bEUlT_E_NS1_11comp_targetILNS1_3genE3ELNS1_11target_archE908ELNS1_3gpuE7ELNS1_3repE0EEENS1_30default_config_static_selectorELNS0_4arch9wavefront6targetE0EEEvSY_: ; @_ZN7rocprim17ROCPRIM_400000_NS6detail17trampoline_kernelINS0_14default_configENS1_29binary_search_config_selectorIdiEEZNS1_14transform_implILb0ES3_S5_N6thrust23THRUST_200600_302600_NS6detail15normal_iteratorINS8_7pointerIdNS8_11hip_rocprim5par_tENS8_11use_defaultESE_EEEENSA_INSB_IiSD_SE_SE_EEEEZNS1_13binary_searchIS3_S5_NSA_INS8_10device_ptrIdEEEESG_SI_NS1_16binary_search_opENS9_16wrapped_functionINS8_6system6detail7generic6detail18binary_search_lessEbEEEE10hipError_tPvRmT1_T2_T3_mmT4_T5_P12ihipStream_tbEUlRKdE_EESV_SZ_S10_mS11_S14_bEUlT_E_NS1_11comp_targetILNS1_3genE3ELNS1_11target_archE908ELNS1_3gpuE7ELNS1_3repE0EEENS1_30default_config_static_selectorELNS0_4arch9wavefront6targetE0EEEvSY_
; %bb.0:
	.section	.rodata,"a",@progbits
	.p2align	6, 0x0
	.amdhsa_kernel _ZN7rocprim17ROCPRIM_400000_NS6detail17trampoline_kernelINS0_14default_configENS1_29binary_search_config_selectorIdiEEZNS1_14transform_implILb0ES3_S5_N6thrust23THRUST_200600_302600_NS6detail15normal_iteratorINS8_7pointerIdNS8_11hip_rocprim5par_tENS8_11use_defaultESE_EEEENSA_INSB_IiSD_SE_SE_EEEEZNS1_13binary_searchIS3_S5_NSA_INS8_10device_ptrIdEEEESG_SI_NS1_16binary_search_opENS9_16wrapped_functionINS8_6system6detail7generic6detail18binary_search_lessEbEEEE10hipError_tPvRmT1_T2_T3_mmT4_T5_P12ihipStream_tbEUlRKdE_EESV_SZ_S10_mS11_S14_bEUlT_E_NS1_11comp_targetILNS1_3genE3ELNS1_11target_archE908ELNS1_3gpuE7ELNS1_3repE0EEENS1_30default_config_static_selectorELNS0_4arch9wavefront6targetE0EEEvSY_
		.amdhsa_group_segment_fixed_size 0
		.amdhsa_private_segment_fixed_size 0
		.amdhsa_kernarg_size 56
		.amdhsa_user_sgpr_count 6
		.amdhsa_user_sgpr_private_segment_buffer 1
		.amdhsa_user_sgpr_dispatch_ptr 0
		.amdhsa_user_sgpr_queue_ptr 0
		.amdhsa_user_sgpr_kernarg_segment_ptr 1
		.amdhsa_user_sgpr_dispatch_id 0
		.amdhsa_user_sgpr_flat_scratch_init 0
		.amdhsa_user_sgpr_private_segment_size 0
		.amdhsa_wavefront_size32 1
		.amdhsa_uses_dynamic_stack 0
		.amdhsa_system_sgpr_private_segment_wavefront_offset 0
		.amdhsa_system_sgpr_workgroup_id_x 1
		.amdhsa_system_sgpr_workgroup_id_y 0
		.amdhsa_system_sgpr_workgroup_id_z 0
		.amdhsa_system_sgpr_workgroup_info 0
		.amdhsa_system_vgpr_workitem_id 0
		.amdhsa_next_free_vgpr 1
		.amdhsa_next_free_sgpr 1
		.amdhsa_reserve_vcc 0
		.amdhsa_reserve_flat_scratch 0
		.amdhsa_float_round_mode_32 0
		.amdhsa_float_round_mode_16_64 0
		.amdhsa_float_denorm_mode_32 3
		.amdhsa_float_denorm_mode_16_64 3
		.amdhsa_dx10_clamp 1
		.amdhsa_ieee_mode 1
		.amdhsa_fp16_overflow 0
		.amdhsa_workgroup_processor_mode 1
		.amdhsa_memory_ordered 1
		.amdhsa_forward_progress 1
		.amdhsa_shared_vgpr_count 0
		.amdhsa_exception_fp_ieee_invalid_op 0
		.amdhsa_exception_fp_denorm_src 0
		.amdhsa_exception_fp_ieee_div_zero 0
		.amdhsa_exception_fp_ieee_overflow 0
		.amdhsa_exception_fp_ieee_underflow 0
		.amdhsa_exception_fp_ieee_inexact 0
		.amdhsa_exception_int_div_zero 0
	.end_amdhsa_kernel
	.section	.text._ZN7rocprim17ROCPRIM_400000_NS6detail17trampoline_kernelINS0_14default_configENS1_29binary_search_config_selectorIdiEEZNS1_14transform_implILb0ES3_S5_N6thrust23THRUST_200600_302600_NS6detail15normal_iteratorINS8_7pointerIdNS8_11hip_rocprim5par_tENS8_11use_defaultESE_EEEENSA_INSB_IiSD_SE_SE_EEEEZNS1_13binary_searchIS3_S5_NSA_INS8_10device_ptrIdEEEESG_SI_NS1_16binary_search_opENS9_16wrapped_functionINS8_6system6detail7generic6detail18binary_search_lessEbEEEE10hipError_tPvRmT1_T2_T3_mmT4_T5_P12ihipStream_tbEUlRKdE_EESV_SZ_S10_mS11_S14_bEUlT_E_NS1_11comp_targetILNS1_3genE3ELNS1_11target_archE908ELNS1_3gpuE7ELNS1_3repE0EEENS1_30default_config_static_selectorELNS0_4arch9wavefront6targetE0EEEvSY_,"axG",@progbits,_ZN7rocprim17ROCPRIM_400000_NS6detail17trampoline_kernelINS0_14default_configENS1_29binary_search_config_selectorIdiEEZNS1_14transform_implILb0ES3_S5_N6thrust23THRUST_200600_302600_NS6detail15normal_iteratorINS8_7pointerIdNS8_11hip_rocprim5par_tENS8_11use_defaultESE_EEEENSA_INSB_IiSD_SE_SE_EEEEZNS1_13binary_searchIS3_S5_NSA_INS8_10device_ptrIdEEEESG_SI_NS1_16binary_search_opENS9_16wrapped_functionINS8_6system6detail7generic6detail18binary_search_lessEbEEEE10hipError_tPvRmT1_T2_T3_mmT4_T5_P12ihipStream_tbEUlRKdE_EESV_SZ_S10_mS11_S14_bEUlT_E_NS1_11comp_targetILNS1_3genE3ELNS1_11target_archE908ELNS1_3gpuE7ELNS1_3repE0EEENS1_30default_config_static_selectorELNS0_4arch9wavefront6targetE0EEEvSY_,comdat
.Lfunc_end629:
	.size	_ZN7rocprim17ROCPRIM_400000_NS6detail17trampoline_kernelINS0_14default_configENS1_29binary_search_config_selectorIdiEEZNS1_14transform_implILb0ES3_S5_N6thrust23THRUST_200600_302600_NS6detail15normal_iteratorINS8_7pointerIdNS8_11hip_rocprim5par_tENS8_11use_defaultESE_EEEENSA_INSB_IiSD_SE_SE_EEEEZNS1_13binary_searchIS3_S5_NSA_INS8_10device_ptrIdEEEESG_SI_NS1_16binary_search_opENS9_16wrapped_functionINS8_6system6detail7generic6detail18binary_search_lessEbEEEE10hipError_tPvRmT1_T2_T3_mmT4_T5_P12ihipStream_tbEUlRKdE_EESV_SZ_S10_mS11_S14_bEUlT_E_NS1_11comp_targetILNS1_3genE3ELNS1_11target_archE908ELNS1_3gpuE7ELNS1_3repE0EEENS1_30default_config_static_selectorELNS0_4arch9wavefront6targetE0EEEvSY_, .Lfunc_end629-_ZN7rocprim17ROCPRIM_400000_NS6detail17trampoline_kernelINS0_14default_configENS1_29binary_search_config_selectorIdiEEZNS1_14transform_implILb0ES3_S5_N6thrust23THRUST_200600_302600_NS6detail15normal_iteratorINS8_7pointerIdNS8_11hip_rocprim5par_tENS8_11use_defaultESE_EEEENSA_INSB_IiSD_SE_SE_EEEEZNS1_13binary_searchIS3_S5_NSA_INS8_10device_ptrIdEEEESG_SI_NS1_16binary_search_opENS9_16wrapped_functionINS8_6system6detail7generic6detail18binary_search_lessEbEEEE10hipError_tPvRmT1_T2_T3_mmT4_T5_P12ihipStream_tbEUlRKdE_EESV_SZ_S10_mS11_S14_bEUlT_E_NS1_11comp_targetILNS1_3genE3ELNS1_11target_archE908ELNS1_3gpuE7ELNS1_3repE0EEENS1_30default_config_static_selectorELNS0_4arch9wavefront6targetE0EEEvSY_
                                        ; -- End function
	.set _ZN7rocprim17ROCPRIM_400000_NS6detail17trampoline_kernelINS0_14default_configENS1_29binary_search_config_selectorIdiEEZNS1_14transform_implILb0ES3_S5_N6thrust23THRUST_200600_302600_NS6detail15normal_iteratorINS8_7pointerIdNS8_11hip_rocprim5par_tENS8_11use_defaultESE_EEEENSA_INSB_IiSD_SE_SE_EEEEZNS1_13binary_searchIS3_S5_NSA_INS8_10device_ptrIdEEEESG_SI_NS1_16binary_search_opENS9_16wrapped_functionINS8_6system6detail7generic6detail18binary_search_lessEbEEEE10hipError_tPvRmT1_T2_T3_mmT4_T5_P12ihipStream_tbEUlRKdE_EESV_SZ_S10_mS11_S14_bEUlT_E_NS1_11comp_targetILNS1_3genE3ELNS1_11target_archE908ELNS1_3gpuE7ELNS1_3repE0EEENS1_30default_config_static_selectorELNS0_4arch9wavefront6targetE0EEEvSY_.num_vgpr, 0
	.set _ZN7rocprim17ROCPRIM_400000_NS6detail17trampoline_kernelINS0_14default_configENS1_29binary_search_config_selectorIdiEEZNS1_14transform_implILb0ES3_S5_N6thrust23THRUST_200600_302600_NS6detail15normal_iteratorINS8_7pointerIdNS8_11hip_rocprim5par_tENS8_11use_defaultESE_EEEENSA_INSB_IiSD_SE_SE_EEEEZNS1_13binary_searchIS3_S5_NSA_INS8_10device_ptrIdEEEESG_SI_NS1_16binary_search_opENS9_16wrapped_functionINS8_6system6detail7generic6detail18binary_search_lessEbEEEE10hipError_tPvRmT1_T2_T3_mmT4_T5_P12ihipStream_tbEUlRKdE_EESV_SZ_S10_mS11_S14_bEUlT_E_NS1_11comp_targetILNS1_3genE3ELNS1_11target_archE908ELNS1_3gpuE7ELNS1_3repE0EEENS1_30default_config_static_selectorELNS0_4arch9wavefront6targetE0EEEvSY_.num_agpr, 0
	.set _ZN7rocprim17ROCPRIM_400000_NS6detail17trampoline_kernelINS0_14default_configENS1_29binary_search_config_selectorIdiEEZNS1_14transform_implILb0ES3_S5_N6thrust23THRUST_200600_302600_NS6detail15normal_iteratorINS8_7pointerIdNS8_11hip_rocprim5par_tENS8_11use_defaultESE_EEEENSA_INSB_IiSD_SE_SE_EEEEZNS1_13binary_searchIS3_S5_NSA_INS8_10device_ptrIdEEEESG_SI_NS1_16binary_search_opENS9_16wrapped_functionINS8_6system6detail7generic6detail18binary_search_lessEbEEEE10hipError_tPvRmT1_T2_T3_mmT4_T5_P12ihipStream_tbEUlRKdE_EESV_SZ_S10_mS11_S14_bEUlT_E_NS1_11comp_targetILNS1_3genE3ELNS1_11target_archE908ELNS1_3gpuE7ELNS1_3repE0EEENS1_30default_config_static_selectorELNS0_4arch9wavefront6targetE0EEEvSY_.numbered_sgpr, 0
	.set _ZN7rocprim17ROCPRIM_400000_NS6detail17trampoline_kernelINS0_14default_configENS1_29binary_search_config_selectorIdiEEZNS1_14transform_implILb0ES3_S5_N6thrust23THRUST_200600_302600_NS6detail15normal_iteratorINS8_7pointerIdNS8_11hip_rocprim5par_tENS8_11use_defaultESE_EEEENSA_INSB_IiSD_SE_SE_EEEEZNS1_13binary_searchIS3_S5_NSA_INS8_10device_ptrIdEEEESG_SI_NS1_16binary_search_opENS9_16wrapped_functionINS8_6system6detail7generic6detail18binary_search_lessEbEEEE10hipError_tPvRmT1_T2_T3_mmT4_T5_P12ihipStream_tbEUlRKdE_EESV_SZ_S10_mS11_S14_bEUlT_E_NS1_11comp_targetILNS1_3genE3ELNS1_11target_archE908ELNS1_3gpuE7ELNS1_3repE0EEENS1_30default_config_static_selectorELNS0_4arch9wavefront6targetE0EEEvSY_.num_named_barrier, 0
	.set _ZN7rocprim17ROCPRIM_400000_NS6detail17trampoline_kernelINS0_14default_configENS1_29binary_search_config_selectorIdiEEZNS1_14transform_implILb0ES3_S5_N6thrust23THRUST_200600_302600_NS6detail15normal_iteratorINS8_7pointerIdNS8_11hip_rocprim5par_tENS8_11use_defaultESE_EEEENSA_INSB_IiSD_SE_SE_EEEEZNS1_13binary_searchIS3_S5_NSA_INS8_10device_ptrIdEEEESG_SI_NS1_16binary_search_opENS9_16wrapped_functionINS8_6system6detail7generic6detail18binary_search_lessEbEEEE10hipError_tPvRmT1_T2_T3_mmT4_T5_P12ihipStream_tbEUlRKdE_EESV_SZ_S10_mS11_S14_bEUlT_E_NS1_11comp_targetILNS1_3genE3ELNS1_11target_archE908ELNS1_3gpuE7ELNS1_3repE0EEENS1_30default_config_static_selectorELNS0_4arch9wavefront6targetE0EEEvSY_.private_seg_size, 0
	.set _ZN7rocprim17ROCPRIM_400000_NS6detail17trampoline_kernelINS0_14default_configENS1_29binary_search_config_selectorIdiEEZNS1_14transform_implILb0ES3_S5_N6thrust23THRUST_200600_302600_NS6detail15normal_iteratorINS8_7pointerIdNS8_11hip_rocprim5par_tENS8_11use_defaultESE_EEEENSA_INSB_IiSD_SE_SE_EEEEZNS1_13binary_searchIS3_S5_NSA_INS8_10device_ptrIdEEEESG_SI_NS1_16binary_search_opENS9_16wrapped_functionINS8_6system6detail7generic6detail18binary_search_lessEbEEEE10hipError_tPvRmT1_T2_T3_mmT4_T5_P12ihipStream_tbEUlRKdE_EESV_SZ_S10_mS11_S14_bEUlT_E_NS1_11comp_targetILNS1_3genE3ELNS1_11target_archE908ELNS1_3gpuE7ELNS1_3repE0EEENS1_30default_config_static_selectorELNS0_4arch9wavefront6targetE0EEEvSY_.uses_vcc, 0
	.set _ZN7rocprim17ROCPRIM_400000_NS6detail17trampoline_kernelINS0_14default_configENS1_29binary_search_config_selectorIdiEEZNS1_14transform_implILb0ES3_S5_N6thrust23THRUST_200600_302600_NS6detail15normal_iteratorINS8_7pointerIdNS8_11hip_rocprim5par_tENS8_11use_defaultESE_EEEENSA_INSB_IiSD_SE_SE_EEEEZNS1_13binary_searchIS3_S5_NSA_INS8_10device_ptrIdEEEESG_SI_NS1_16binary_search_opENS9_16wrapped_functionINS8_6system6detail7generic6detail18binary_search_lessEbEEEE10hipError_tPvRmT1_T2_T3_mmT4_T5_P12ihipStream_tbEUlRKdE_EESV_SZ_S10_mS11_S14_bEUlT_E_NS1_11comp_targetILNS1_3genE3ELNS1_11target_archE908ELNS1_3gpuE7ELNS1_3repE0EEENS1_30default_config_static_selectorELNS0_4arch9wavefront6targetE0EEEvSY_.uses_flat_scratch, 0
	.set _ZN7rocprim17ROCPRIM_400000_NS6detail17trampoline_kernelINS0_14default_configENS1_29binary_search_config_selectorIdiEEZNS1_14transform_implILb0ES3_S5_N6thrust23THRUST_200600_302600_NS6detail15normal_iteratorINS8_7pointerIdNS8_11hip_rocprim5par_tENS8_11use_defaultESE_EEEENSA_INSB_IiSD_SE_SE_EEEEZNS1_13binary_searchIS3_S5_NSA_INS8_10device_ptrIdEEEESG_SI_NS1_16binary_search_opENS9_16wrapped_functionINS8_6system6detail7generic6detail18binary_search_lessEbEEEE10hipError_tPvRmT1_T2_T3_mmT4_T5_P12ihipStream_tbEUlRKdE_EESV_SZ_S10_mS11_S14_bEUlT_E_NS1_11comp_targetILNS1_3genE3ELNS1_11target_archE908ELNS1_3gpuE7ELNS1_3repE0EEENS1_30default_config_static_selectorELNS0_4arch9wavefront6targetE0EEEvSY_.has_dyn_sized_stack, 0
	.set _ZN7rocprim17ROCPRIM_400000_NS6detail17trampoline_kernelINS0_14default_configENS1_29binary_search_config_selectorIdiEEZNS1_14transform_implILb0ES3_S5_N6thrust23THRUST_200600_302600_NS6detail15normal_iteratorINS8_7pointerIdNS8_11hip_rocprim5par_tENS8_11use_defaultESE_EEEENSA_INSB_IiSD_SE_SE_EEEEZNS1_13binary_searchIS3_S5_NSA_INS8_10device_ptrIdEEEESG_SI_NS1_16binary_search_opENS9_16wrapped_functionINS8_6system6detail7generic6detail18binary_search_lessEbEEEE10hipError_tPvRmT1_T2_T3_mmT4_T5_P12ihipStream_tbEUlRKdE_EESV_SZ_S10_mS11_S14_bEUlT_E_NS1_11comp_targetILNS1_3genE3ELNS1_11target_archE908ELNS1_3gpuE7ELNS1_3repE0EEENS1_30default_config_static_selectorELNS0_4arch9wavefront6targetE0EEEvSY_.has_recursion, 0
	.set _ZN7rocprim17ROCPRIM_400000_NS6detail17trampoline_kernelINS0_14default_configENS1_29binary_search_config_selectorIdiEEZNS1_14transform_implILb0ES3_S5_N6thrust23THRUST_200600_302600_NS6detail15normal_iteratorINS8_7pointerIdNS8_11hip_rocprim5par_tENS8_11use_defaultESE_EEEENSA_INSB_IiSD_SE_SE_EEEEZNS1_13binary_searchIS3_S5_NSA_INS8_10device_ptrIdEEEESG_SI_NS1_16binary_search_opENS9_16wrapped_functionINS8_6system6detail7generic6detail18binary_search_lessEbEEEE10hipError_tPvRmT1_T2_T3_mmT4_T5_P12ihipStream_tbEUlRKdE_EESV_SZ_S10_mS11_S14_bEUlT_E_NS1_11comp_targetILNS1_3genE3ELNS1_11target_archE908ELNS1_3gpuE7ELNS1_3repE0EEENS1_30default_config_static_selectorELNS0_4arch9wavefront6targetE0EEEvSY_.has_indirect_call, 0
	.section	.AMDGPU.csdata,"",@progbits
; Kernel info:
; codeLenInByte = 0
; TotalNumSgprs: 0
; NumVgprs: 0
; ScratchSize: 0
; MemoryBound: 0
; FloatMode: 240
; IeeeMode: 1
; LDSByteSize: 0 bytes/workgroup (compile time only)
; SGPRBlocks: 0
; VGPRBlocks: 0
; NumSGPRsForWavesPerEU: 1
; NumVGPRsForWavesPerEU: 1
; Occupancy: 16
; WaveLimiterHint : 0
; COMPUTE_PGM_RSRC2:SCRATCH_EN: 0
; COMPUTE_PGM_RSRC2:USER_SGPR: 6
; COMPUTE_PGM_RSRC2:TRAP_HANDLER: 0
; COMPUTE_PGM_RSRC2:TGID_X_EN: 1
; COMPUTE_PGM_RSRC2:TGID_Y_EN: 0
; COMPUTE_PGM_RSRC2:TGID_Z_EN: 0
; COMPUTE_PGM_RSRC2:TIDIG_COMP_CNT: 0
	.section	.text._ZN7rocprim17ROCPRIM_400000_NS6detail17trampoline_kernelINS0_14default_configENS1_29binary_search_config_selectorIdiEEZNS1_14transform_implILb0ES3_S5_N6thrust23THRUST_200600_302600_NS6detail15normal_iteratorINS8_7pointerIdNS8_11hip_rocprim5par_tENS8_11use_defaultESE_EEEENSA_INSB_IiSD_SE_SE_EEEEZNS1_13binary_searchIS3_S5_NSA_INS8_10device_ptrIdEEEESG_SI_NS1_16binary_search_opENS9_16wrapped_functionINS8_6system6detail7generic6detail18binary_search_lessEbEEEE10hipError_tPvRmT1_T2_T3_mmT4_T5_P12ihipStream_tbEUlRKdE_EESV_SZ_S10_mS11_S14_bEUlT_E_NS1_11comp_targetILNS1_3genE2ELNS1_11target_archE906ELNS1_3gpuE6ELNS1_3repE0EEENS1_30default_config_static_selectorELNS0_4arch9wavefront6targetE0EEEvSY_,"axG",@progbits,_ZN7rocprim17ROCPRIM_400000_NS6detail17trampoline_kernelINS0_14default_configENS1_29binary_search_config_selectorIdiEEZNS1_14transform_implILb0ES3_S5_N6thrust23THRUST_200600_302600_NS6detail15normal_iteratorINS8_7pointerIdNS8_11hip_rocprim5par_tENS8_11use_defaultESE_EEEENSA_INSB_IiSD_SE_SE_EEEEZNS1_13binary_searchIS3_S5_NSA_INS8_10device_ptrIdEEEESG_SI_NS1_16binary_search_opENS9_16wrapped_functionINS8_6system6detail7generic6detail18binary_search_lessEbEEEE10hipError_tPvRmT1_T2_T3_mmT4_T5_P12ihipStream_tbEUlRKdE_EESV_SZ_S10_mS11_S14_bEUlT_E_NS1_11comp_targetILNS1_3genE2ELNS1_11target_archE906ELNS1_3gpuE6ELNS1_3repE0EEENS1_30default_config_static_selectorELNS0_4arch9wavefront6targetE0EEEvSY_,comdat
	.protected	_ZN7rocprim17ROCPRIM_400000_NS6detail17trampoline_kernelINS0_14default_configENS1_29binary_search_config_selectorIdiEEZNS1_14transform_implILb0ES3_S5_N6thrust23THRUST_200600_302600_NS6detail15normal_iteratorINS8_7pointerIdNS8_11hip_rocprim5par_tENS8_11use_defaultESE_EEEENSA_INSB_IiSD_SE_SE_EEEEZNS1_13binary_searchIS3_S5_NSA_INS8_10device_ptrIdEEEESG_SI_NS1_16binary_search_opENS9_16wrapped_functionINS8_6system6detail7generic6detail18binary_search_lessEbEEEE10hipError_tPvRmT1_T2_T3_mmT4_T5_P12ihipStream_tbEUlRKdE_EESV_SZ_S10_mS11_S14_bEUlT_E_NS1_11comp_targetILNS1_3genE2ELNS1_11target_archE906ELNS1_3gpuE6ELNS1_3repE0EEENS1_30default_config_static_selectorELNS0_4arch9wavefront6targetE0EEEvSY_ ; -- Begin function _ZN7rocprim17ROCPRIM_400000_NS6detail17trampoline_kernelINS0_14default_configENS1_29binary_search_config_selectorIdiEEZNS1_14transform_implILb0ES3_S5_N6thrust23THRUST_200600_302600_NS6detail15normal_iteratorINS8_7pointerIdNS8_11hip_rocprim5par_tENS8_11use_defaultESE_EEEENSA_INSB_IiSD_SE_SE_EEEEZNS1_13binary_searchIS3_S5_NSA_INS8_10device_ptrIdEEEESG_SI_NS1_16binary_search_opENS9_16wrapped_functionINS8_6system6detail7generic6detail18binary_search_lessEbEEEE10hipError_tPvRmT1_T2_T3_mmT4_T5_P12ihipStream_tbEUlRKdE_EESV_SZ_S10_mS11_S14_bEUlT_E_NS1_11comp_targetILNS1_3genE2ELNS1_11target_archE906ELNS1_3gpuE6ELNS1_3repE0EEENS1_30default_config_static_selectorELNS0_4arch9wavefront6targetE0EEEvSY_
	.globl	_ZN7rocprim17ROCPRIM_400000_NS6detail17trampoline_kernelINS0_14default_configENS1_29binary_search_config_selectorIdiEEZNS1_14transform_implILb0ES3_S5_N6thrust23THRUST_200600_302600_NS6detail15normal_iteratorINS8_7pointerIdNS8_11hip_rocprim5par_tENS8_11use_defaultESE_EEEENSA_INSB_IiSD_SE_SE_EEEEZNS1_13binary_searchIS3_S5_NSA_INS8_10device_ptrIdEEEESG_SI_NS1_16binary_search_opENS9_16wrapped_functionINS8_6system6detail7generic6detail18binary_search_lessEbEEEE10hipError_tPvRmT1_T2_T3_mmT4_T5_P12ihipStream_tbEUlRKdE_EESV_SZ_S10_mS11_S14_bEUlT_E_NS1_11comp_targetILNS1_3genE2ELNS1_11target_archE906ELNS1_3gpuE6ELNS1_3repE0EEENS1_30default_config_static_selectorELNS0_4arch9wavefront6targetE0EEEvSY_
	.p2align	8
	.type	_ZN7rocprim17ROCPRIM_400000_NS6detail17trampoline_kernelINS0_14default_configENS1_29binary_search_config_selectorIdiEEZNS1_14transform_implILb0ES3_S5_N6thrust23THRUST_200600_302600_NS6detail15normal_iteratorINS8_7pointerIdNS8_11hip_rocprim5par_tENS8_11use_defaultESE_EEEENSA_INSB_IiSD_SE_SE_EEEEZNS1_13binary_searchIS3_S5_NSA_INS8_10device_ptrIdEEEESG_SI_NS1_16binary_search_opENS9_16wrapped_functionINS8_6system6detail7generic6detail18binary_search_lessEbEEEE10hipError_tPvRmT1_T2_T3_mmT4_T5_P12ihipStream_tbEUlRKdE_EESV_SZ_S10_mS11_S14_bEUlT_E_NS1_11comp_targetILNS1_3genE2ELNS1_11target_archE906ELNS1_3gpuE6ELNS1_3repE0EEENS1_30default_config_static_selectorELNS0_4arch9wavefront6targetE0EEEvSY_,@function
_ZN7rocprim17ROCPRIM_400000_NS6detail17trampoline_kernelINS0_14default_configENS1_29binary_search_config_selectorIdiEEZNS1_14transform_implILb0ES3_S5_N6thrust23THRUST_200600_302600_NS6detail15normal_iteratorINS8_7pointerIdNS8_11hip_rocprim5par_tENS8_11use_defaultESE_EEEENSA_INSB_IiSD_SE_SE_EEEEZNS1_13binary_searchIS3_S5_NSA_INS8_10device_ptrIdEEEESG_SI_NS1_16binary_search_opENS9_16wrapped_functionINS8_6system6detail7generic6detail18binary_search_lessEbEEEE10hipError_tPvRmT1_T2_T3_mmT4_T5_P12ihipStream_tbEUlRKdE_EESV_SZ_S10_mS11_S14_bEUlT_E_NS1_11comp_targetILNS1_3genE2ELNS1_11target_archE906ELNS1_3gpuE6ELNS1_3repE0EEENS1_30default_config_static_selectorELNS0_4arch9wavefront6targetE0EEEvSY_: ; @_ZN7rocprim17ROCPRIM_400000_NS6detail17trampoline_kernelINS0_14default_configENS1_29binary_search_config_selectorIdiEEZNS1_14transform_implILb0ES3_S5_N6thrust23THRUST_200600_302600_NS6detail15normal_iteratorINS8_7pointerIdNS8_11hip_rocprim5par_tENS8_11use_defaultESE_EEEENSA_INSB_IiSD_SE_SE_EEEEZNS1_13binary_searchIS3_S5_NSA_INS8_10device_ptrIdEEEESG_SI_NS1_16binary_search_opENS9_16wrapped_functionINS8_6system6detail7generic6detail18binary_search_lessEbEEEE10hipError_tPvRmT1_T2_T3_mmT4_T5_P12ihipStream_tbEUlRKdE_EESV_SZ_S10_mS11_S14_bEUlT_E_NS1_11comp_targetILNS1_3genE2ELNS1_11target_archE906ELNS1_3gpuE6ELNS1_3repE0EEENS1_30default_config_static_selectorELNS0_4arch9wavefront6targetE0EEEvSY_
; %bb.0:
	.section	.rodata,"a",@progbits
	.p2align	6, 0x0
	.amdhsa_kernel _ZN7rocprim17ROCPRIM_400000_NS6detail17trampoline_kernelINS0_14default_configENS1_29binary_search_config_selectorIdiEEZNS1_14transform_implILb0ES3_S5_N6thrust23THRUST_200600_302600_NS6detail15normal_iteratorINS8_7pointerIdNS8_11hip_rocprim5par_tENS8_11use_defaultESE_EEEENSA_INSB_IiSD_SE_SE_EEEEZNS1_13binary_searchIS3_S5_NSA_INS8_10device_ptrIdEEEESG_SI_NS1_16binary_search_opENS9_16wrapped_functionINS8_6system6detail7generic6detail18binary_search_lessEbEEEE10hipError_tPvRmT1_T2_T3_mmT4_T5_P12ihipStream_tbEUlRKdE_EESV_SZ_S10_mS11_S14_bEUlT_E_NS1_11comp_targetILNS1_3genE2ELNS1_11target_archE906ELNS1_3gpuE6ELNS1_3repE0EEENS1_30default_config_static_selectorELNS0_4arch9wavefront6targetE0EEEvSY_
		.amdhsa_group_segment_fixed_size 0
		.amdhsa_private_segment_fixed_size 0
		.amdhsa_kernarg_size 56
		.amdhsa_user_sgpr_count 6
		.amdhsa_user_sgpr_private_segment_buffer 1
		.amdhsa_user_sgpr_dispatch_ptr 0
		.amdhsa_user_sgpr_queue_ptr 0
		.amdhsa_user_sgpr_kernarg_segment_ptr 1
		.amdhsa_user_sgpr_dispatch_id 0
		.amdhsa_user_sgpr_flat_scratch_init 0
		.amdhsa_user_sgpr_private_segment_size 0
		.amdhsa_wavefront_size32 1
		.amdhsa_uses_dynamic_stack 0
		.amdhsa_system_sgpr_private_segment_wavefront_offset 0
		.amdhsa_system_sgpr_workgroup_id_x 1
		.amdhsa_system_sgpr_workgroup_id_y 0
		.amdhsa_system_sgpr_workgroup_id_z 0
		.amdhsa_system_sgpr_workgroup_info 0
		.amdhsa_system_vgpr_workitem_id 0
		.amdhsa_next_free_vgpr 1
		.amdhsa_next_free_sgpr 1
		.amdhsa_reserve_vcc 0
		.amdhsa_reserve_flat_scratch 0
		.amdhsa_float_round_mode_32 0
		.amdhsa_float_round_mode_16_64 0
		.amdhsa_float_denorm_mode_32 3
		.amdhsa_float_denorm_mode_16_64 3
		.amdhsa_dx10_clamp 1
		.amdhsa_ieee_mode 1
		.amdhsa_fp16_overflow 0
		.amdhsa_workgroup_processor_mode 1
		.amdhsa_memory_ordered 1
		.amdhsa_forward_progress 1
		.amdhsa_shared_vgpr_count 0
		.amdhsa_exception_fp_ieee_invalid_op 0
		.amdhsa_exception_fp_denorm_src 0
		.amdhsa_exception_fp_ieee_div_zero 0
		.amdhsa_exception_fp_ieee_overflow 0
		.amdhsa_exception_fp_ieee_underflow 0
		.amdhsa_exception_fp_ieee_inexact 0
		.amdhsa_exception_int_div_zero 0
	.end_amdhsa_kernel
	.section	.text._ZN7rocprim17ROCPRIM_400000_NS6detail17trampoline_kernelINS0_14default_configENS1_29binary_search_config_selectorIdiEEZNS1_14transform_implILb0ES3_S5_N6thrust23THRUST_200600_302600_NS6detail15normal_iteratorINS8_7pointerIdNS8_11hip_rocprim5par_tENS8_11use_defaultESE_EEEENSA_INSB_IiSD_SE_SE_EEEEZNS1_13binary_searchIS3_S5_NSA_INS8_10device_ptrIdEEEESG_SI_NS1_16binary_search_opENS9_16wrapped_functionINS8_6system6detail7generic6detail18binary_search_lessEbEEEE10hipError_tPvRmT1_T2_T3_mmT4_T5_P12ihipStream_tbEUlRKdE_EESV_SZ_S10_mS11_S14_bEUlT_E_NS1_11comp_targetILNS1_3genE2ELNS1_11target_archE906ELNS1_3gpuE6ELNS1_3repE0EEENS1_30default_config_static_selectorELNS0_4arch9wavefront6targetE0EEEvSY_,"axG",@progbits,_ZN7rocprim17ROCPRIM_400000_NS6detail17trampoline_kernelINS0_14default_configENS1_29binary_search_config_selectorIdiEEZNS1_14transform_implILb0ES3_S5_N6thrust23THRUST_200600_302600_NS6detail15normal_iteratorINS8_7pointerIdNS8_11hip_rocprim5par_tENS8_11use_defaultESE_EEEENSA_INSB_IiSD_SE_SE_EEEEZNS1_13binary_searchIS3_S5_NSA_INS8_10device_ptrIdEEEESG_SI_NS1_16binary_search_opENS9_16wrapped_functionINS8_6system6detail7generic6detail18binary_search_lessEbEEEE10hipError_tPvRmT1_T2_T3_mmT4_T5_P12ihipStream_tbEUlRKdE_EESV_SZ_S10_mS11_S14_bEUlT_E_NS1_11comp_targetILNS1_3genE2ELNS1_11target_archE906ELNS1_3gpuE6ELNS1_3repE0EEENS1_30default_config_static_selectorELNS0_4arch9wavefront6targetE0EEEvSY_,comdat
.Lfunc_end630:
	.size	_ZN7rocprim17ROCPRIM_400000_NS6detail17trampoline_kernelINS0_14default_configENS1_29binary_search_config_selectorIdiEEZNS1_14transform_implILb0ES3_S5_N6thrust23THRUST_200600_302600_NS6detail15normal_iteratorINS8_7pointerIdNS8_11hip_rocprim5par_tENS8_11use_defaultESE_EEEENSA_INSB_IiSD_SE_SE_EEEEZNS1_13binary_searchIS3_S5_NSA_INS8_10device_ptrIdEEEESG_SI_NS1_16binary_search_opENS9_16wrapped_functionINS8_6system6detail7generic6detail18binary_search_lessEbEEEE10hipError_tPvRmT1_T2_T3_mmT4_T5_P12ihipStream_tbEUlRKdE_EESV_SZ_S10_mS11_S14_bEUlT_E_NS1_11comp_targetILNS1_3genE2ELNS1_11target_archE906ELNS1_3gpuE6ELNS1_3repE0EEENS1_30default_config_static_selectorELNS0_4arch9wavefront6targetE0EEEvSY_, .Lfunc_end630-_ZN7rocprim17ROCPRIM_400000_NS6detail17trampoline_kernelINS0_14default_configENS1_29binary_search_config_selectorIdiEEZNS1_14transform_implILb0ES3_S5_N6thrust23THRUST_200600_302600_NS6detail15normal_iteratorINS8_7pointerIdNS8_11hip_rocprim5par_tENS8_11use_defaultESE_EEEENSA_INSB_IiSD_SE_SE_EEEEZNS1_13binary_searchIS3_S5_NSA_INS8_10device_ptrIdEEEESG_SI_NS1_16binary_search_opENS9_16wrapped_functionINS8_6system6detail7generic6detail18binary_search_lessEbEEEE10hipError_tPvRmT1_T2_T3_mmT4_T5_P12ihipStream_tbEUlRKdE_EESV_SZ_S10_mS11_S14_bEUlT_E_NS1_11comp_targetILNS1_3genE2ELNS1_11target_archE906ELNS1_3gpuE6ELNS1_3repE0EEENS1_30default_config_static_selectorELNS0_4arch9wavefront6targetE0EEEvSY_
                                        ; -- End function
	.set _ZN7rocprim17ROCPRIM_400000_NS6detail17trampoline_kernelINS0_14default_configENS1_29binary_search_config_selectorIdiEEZNS1_14transform_implILb0ES3_S5_N6thrust23THRUST_200600_302600_NS6detail15normal_iteratorINS8_7pointerIdNS8_11hip_rocprim5par_tENS8_11use_defaultESE_EEEENSA_INSB_IiSD_SE_SE_EEEEZNS1_13binary_searchIS3_S5_NSA_INS8_10device_ptrIdEEEESG_SI_NS1_16binary_search_opENS9_16wrapped_functionINS8_6system6detail7generic6detail18binary_search_lessEbEEEE10hipError_tPvRmT1_T2_T3_mmT4_T5_P12ihipStream_tbEUlRKdE_EESV_SZ_S10_mS11_S14_bEUlT_E_NS1_11comp_targetILNS1_3genE2ELNS1_11target_archE906ELNS1_3gpuE6ELNS1_3repE0EEENS1_30default_config_static_selectorELNS0_4arch9wavefront6targetE0EEEvSY_.num_vgpr, 0
	.set _ZN7rocprim17ROCPRIM_400000_NS6detail17trampoline_kernelINS0_14default_configENS1_29binary_search_config_selectorIdiEEZNS1_14transform_implILb0ES3_S5_N6thrust23THRUST_200600_302600_NS6detail15normal_iteratorINS8_7pointerIdNS8_11hip_rocprim5par_tENS8_11use_defaultESE_EEEENSA_INSB_IiSD_SE_SE_EEEEZNS1_13binary_searchIS3_S5_NSA_INS8_10device_ptrIdEEEESG_SI_NS1_16binary_search_opENS9_16wrapped_functionINS8_6system6detail7generic6detail18binary_search_lessEbEEEE10hipError_tPvRmT1_T2_T3_mmT4_T5_P12ihipStream_tbEUlRKdE_EESV_SZ_S10_mS11_S14_bEUlT_E_NS1_11comp_targetILNS1_3genE2ELNS1_11target_archE906ELNS1_3gpuE6ELNS1_3repE0EEENS1_30default_config_static_selectorELNS0_4arch9wavefront6targetE0EEEvSY_.num_agpr, 0
	.set _ZN7rocprim17ROCPRIM_400000_NS6detail17trampoline_kernelINS0_14default_configENS1_29binary_search_config_selectorIdiEEZNS1_14transform_implILb0ES3_S5_N6thrust23THRUST_200600_302600_NS6detail15normal_iteratorINS8_7pointerIdNS8_11hip_rocprim5par_tENS8_11use_defaultESE_EEEENSA_INSB_IiSD_SE_SE_EEEEZNS1_13binary_searchIS3_S5_NSA_INS8_10device_ptrIdEEEESG_SI_NS1_16binary_search_opENS9_16wrapped_functionINS8_6system6detail7generic6detail18binary_search_lessEbEEEE10hipError_tPvRmT1_T2_T3_mmT4_T5_P12ihipStream_tbEUlRKdE_EESV_SZ_S10_mS11_S14_bEUlT_E_NS1_11comp_targetILNS1_3genE2ELNS1_11target_archE906ELNS1_3gpuE6ELNS1_3repE0EEENS1_30default_config_static_selectorELNS0_4arch9wavefront6targetE0EEEvSY_.numbered_sgpr, 0
	.set _ZN7rocprim17ROCPRIM_400000_NS6detail17trampoline_kernelINS0_14default_configENS1_29binary_search_config_selectorIdiEEZNS1_14transform_implILb0ES3_S5_N6thrust23THRUST_200600_302600_NS6detail15normal_iteratorINS8_7pointerIdNS8_11hip_rocprim5par_tENS8_11use_defaultESE_EEEENSA_INSB_IiSD_SE_SE_EEEEZNS1_13binary_searchIS3_S5_NSA_INS8_10device_ptrIdEEEESG_SI_NS1_16binary_search_opENS9_16wrapped_functionINS8_6system6detail7generic6detail18binary_search_lessEbEEEE10hipError_tPvRmT1_T2_T3_mmT4_T5_P12ihipStream_tbEUlRKdE_EESV_SZ_S10_mS11_S14_bEUlT_E_NS1_11comp_targetILNS1_3genE2ELNS1_11target_archE906ELNS1_3gpuE6ELNS1_3repE0EEENS1_30default_config_static_selectorELNS0_4arch9wavefront6targetE0EEEvSY_.num_named_barrier, 0
	.set _ZN7rocprim17ROCPRIM_400000_NS6detail17trampoline_kernelINS0_14default_configENS1_29binary_search_config_selectorIdiEEZNS1_14transform_implILb0ES3_S5_N6thrust23THRUST_200600_302600_NS6detail15normal_iteratorINS8_7pointerIdNS8_11hip_rocprim5par_tENS8_11use_defaultESE_EEEENSA_INSB_IiSD_SE_SE_EEEEZNS1_13binary_searchIS3_S5_NSA_INS8_10device_ptrIdEEEESG_SI_NS1_16binary_search_opENS9_16wrapped_functionINS8_6system6detail7generic6detail18binary_search_lessEbEEEE10hipError_tPvRmT1_T2_T3_mmT4_T5_P12ihipStream_tbEUlRKdE_EESV_SZ_S10_mS11_S14_bEUlT_E_NS1_11comp_targetILNS1_3genE2ELNS1_11target_archE906ELNS1_3gpuE6ELNS1_3repE0EEENS1_30default_config_static_selectorELNS0_4arch9wavefront6targetE0EEEvSY_.private_seg_size, 0
	.set _ZN7rocprim17ROCPRIM_400000_NS6detail17trampoline_kernelINS0_14default_configENS1_29binary_search_config_selectorIdiEEZNS1_14transform_implILb0ES3_S5_N6thrust23THRUST_200600_302600_NS6detail15normal_iteratorINS8_7pointerIdNS8_11hip_rocprim5par_tENS8_11use_defaultESE_EEEENSA_INSB_IiSD_SE_SE_EEEEZNS1_13binary_searchIS3_S5_NSA_INS8_10device_ptrIdEEEESG_SI_NS1_16binary_search_opENS9_16wrapped_functionINS8_6system6detail7generic6detail18binary_search_lessEbEEEE10hipError_tPvRmT1_T2_T3_mmT4_T5_P12ihipStream_tbEUlRKdE_EESV_SZ_S10_mS11_S14_bEUlT_E_NS1_11comp_targetILNS1_3genE2ELNS1_11target_archE906ELNS1_3gpuE6ELNS1_3repE0EEENS1_30default_config_static_selectorELNS0_4arch9wavefront6targetE0EEEvSY_.uses_vcc, 0
	.set _ZN7rocprim17ROCPRIM_400000_NS6detail17trampoline_kernelINS0_14default_configENS1_29binary_search_config_selectorIdiEEZNS1_14transform_implILb0ES3_S5_N6thrust23THRUST_200600_302600_NS6detail15normal_iteratorINS8_7pointerIdNS8_11hip_rocprim5par_tENS8_11use_defaultESE_EEEENSA_INSB_IiSD_SE_SE_EEEEZNS1_13binary_searchIS3_S5_NSA_INS8_10device_ptrIdEEEESG_SI_NS1_16binary_search_opENS9_16wrapped_functionINS8_6system6detail7generic6detail18binary_search_lessEbEEEE10hipError_tPvRmT1_T2_T3_mmT4_T5_P12ihipStream_tbEUlRKdE_EESV_SZ_S10_mS11_S14_bEUlT_E_NS1_11comp_targetILNS1_3genE2ELNS1_11target_archE906ELNS1_3gpuE6ELNS1_3repE0EEENS1_30default_config_static_selectorELNS0_4arch9wavefront6targetE0EEEvSY_.uses_flat_scratch, 0
	.set _ZN7rocprim17ROCPRIM_400000_NS6detail17trampoline_kernelINS0_14default_configENS1_29binary_search_config_selectorIdiEEZNS1_14transform_implILb0ES3_S5_N6thrust23THRUST_200600_302600_NS6detail15normal_iteratorINS8_7pointerIdNS8_11hip_rocprim5par_tENS8_11use_defaultESE_EEEENSA_INSB_IiSD_SE_SE_EEEEZNS1_13binary_searchIS3_S5_NSA_INS8_10device_ptrIdEEEESG_SI_NS1_16binary_search_opENS9_16wrapped_functionINS8_6system6detail7generic6detail18binary_search_lessEbEEEE10hipError_tPvRmT1_T2_T3_mmT4_T5_P12ihipStream_tbEUlRKdE_EESV_SZ_S10_mS11_S14_bEUlT_E_NS1_11comp_targetILNS1_3genE2ELNS1_11target_archE906ELNS1_3gpuE6ELNS1_3repE0EEENS1_30default_config_static_selectorELNS0_4arch9wavefront6targetE0EEEvSY_.has_dyn_sized_stack, 0
	.set _ZN7rocprim17ROCPRIM_400000_NS6detail17trampoline_kernelINS0_14default_configENS1_29binary_search_config_selectorIdiEEZNS1_14transform_implILb0ES3_S5_N6thrust23THRUST_200600_302600_NS6detail15normal_iteratorINS8_7pointerIdNS8_11hip_rocprim5par_tENS8_11use_defaultESE_EEEENSA_INSB_IiSD_SE_SE_EEEEZNS1_13binary_searchIS3_S5_NSA_INS8_10device_ptrIdEEEESG_SI_NS1_16binary_search_opENS9_16wrapped_functionINS8_6system6detail7generic6detail18binary_search_lessEbEEEE10hipError_tPvRmT1_T2_T3_mmT4_T5_P12ihipStream_tbEUlRKdE_EESV_SZ_S10_mS11_S14_bEUlT_E_NS1_11comp_targetILNS1_3genE2ELNS1_11target_archE906ELNS1_3gpuE6ELNS1_3repE0EEENS1_30default_config_static_selectorELNS0_4arch9wavefront6targetE0EEEvSY_.has_recursion, 0
	.set _ZN7rocprim17ROCPRIM_400000_NS6detail17trampoline_kernelINS0_14default_configENS1_29binary_search_config_selectorIdiEEZNS1_14transform_implILb0ES3_S5_N6thrust23THRUST_200600_302600_NS6detail15normal_iteratorINS8_7pointerIdNS8_11hip_rocprim5par_tENS8_11use_defaultESE_EEEENSA_INSB_IiSD_SE_SE_EEEEZNS1_13binary_searchIS3_S5_NSA_INS8_10device_ptrIdEEEESG_SI_NS1_16binary_search_opENS9_16wrapped_functionINS8_6system6detail7generic6detail18binary_search_lessEbEEEE10hipError_tPvRmT1_T2_T3_mmT4_T5_P12ihipStream_tbEUlRKdE_EESV_SZ_S10_mS11_S14_bEUlT_E_NS1_11comp_targetILNS1_3genE2ELNS1_11target_archE906ELNS1_3gpuE6ELNS1_3repE0EEENS1_30default_config_static_selectorELNS0_4arch9wavefront6targetE0EEEvSY_.has_indirect_call, 0
	.section	.AMDGPU.csdata,"",@progbits
; Kernel info:
; codeLenInByte = 0
; TotalNumSgprs: 0
; NumVgprs: 0
; ScratchSize: 0
; MemoryBound: 0
; FloatMode: 240
; IeeeMode: 1
; LDSByteSize: 0 bytes/workgroup (compile time only)
; SGPRBlocks: 0
; VGPRBlocks: 0
; NumSGPRsForWavesPerEU: 1
; NumVGPRsForWavesPerEU: 1
; Occupancy: 16
; WaveLimiterHint : 0
; COMPUTE_PGM_RSRC2:SCRATCH_EN: 0
; COMPUTE_PGM_RSRC2:USER_SGPR: 6
; COMPUTE_PGM_RSRC2:TRAP_HANDLER: 0
; COMPUTE_PGM_RSRC2:TGID_X_EN: 1
; COMPUTE_PGM_RSRC2:TGID_Y_EN: 0
; COMPUTE_PGM_RSRC2:TGID_Z_EN: 0
; COMPUTE_PGM_RSRC2:TIDIG_COMP_CNT: 0
	.section	.text._ZN7rocprim17ROCPRIM_400000_NS6detail17trampoline_kernelINS0_14default_configENS1_29binary_search_config_selectorIdiEEZNS1_14transform_implILb0ES3_S5_N6thrust23THRUST_200600_302600_NS6detail15normal_iteratorINS8_7pointerIdNS8_11hip_rocprim5par_tENS8_11use_defaultESE_EEEENSA_INSB_IiSD_SE_SE_EEEEZNS1_13binary_searchIS3_S5_NSA_INS8_10device_ptrIdEEEESG_SI_NS1_16binary_search_opENS9_16wrapped_functionINS8_6system6detail7generic6detail18binary_search_lessEbEEEE10hipError_tPvRmT1_T2_T3_mmT4_T5_P12ihipStream_tbEUlRKdE_EESV_SZ_S10_mS11_S14_bEUlT_E_NS1_11comp_targetILNS1_3genE10ELNS1_11target_archE1201ELNS1_3gpuE5ELNS1_3repE0EEENS1_30default_config_static_selectorELNS0_4arch9wavefront6targetE0EEEvSY_,"axG",@progbits,_ZN7rocprim17ROCPRIM_400000_NS6detail17trampoline_kernelINS0_14default_configENS1_29binary_search_config_selectorIdiEEZNS1_14transform_implILb0ES3_S5_N6thrust23THRUST_200600_302600_NS6detail15normal_iteratorINS8_7pointerIdNS8_11hip_rocprim5par_tENS8_11use_defaultESE_EEEENSA_INSB_IiSD_SE_SE_EEEEZNS1_13binary_searchIS3_S5_NSA_INS8_10device_ptrIdEEEESG_SI_NS1_16binary_search_opENS9_16wrapped_functionINS8_6system6detail7generic6detail18binary_search_lessEbEEEE10hipError_tPvRmT1_T2_T3_mmT4_T5_P12ihipStream_tbEUlRKdE_EESV_SZ_S10_mS11_S14_bEUlT_E_NS1_11comp_targetILNS1_3genE10ELNS1_11target_archE1201ELNS1_3gpuE5ELNS1_3repE0EEENS1_30default_config_static_selectorELNS0_4arch9wavefront6targetE0EEEvSY_,comdat
	.protected	_ZN7rocprim17ROCPRIM_400000_NS6detail17trampoline_kernelINS0_14default_configENS1_29binary_search_config_selectorIdiEEZNS1_14transform_implILb0ES3_S5_N6thrust23THRUST_200600_302600_NS6detail15normal_iteratorINS8_7pointerIdNS8_11hip_rocprim5par_tENS8_11use_defaultESE_EEEENSA_INSB_IiSD_SE_SE_EEEEZNS1_13binary_searchIS3_S5_NSA_INS8_10device_ptrIdEEEESG_SI_NS1_16binary_search_opENS9_16wrapped_functionINS8_6system6detail7generic6detail18binary_search_lessEbEEEE10hipError_tPvRmT1_T2_T3_mmT4_T5_P12ihipStream_tbEUlRKdE_EESV_SZ_S10_mS11_S14_bEUlT_E_NS1_11comp_targetILNS1_3genE10ELNS1_11target_archE1201ELNS1_3gpuE5ELNS1_3repE0EEENS1_30default_config_static_selectorELNS0_4arch9wavefront6targetE0EEEvSY_ ; -- Begin function _ZN7rocprim17ROCPRIM_400000_NS6detail17trampoline_kernelINS0_14default_configENS1_29binary_search_config_selectorIdiEEZNS1_14transform_implILb0ES3_S5_N6thrust23THRUST_200600_302600_NS6detail15normal_iteratorINS8_7pointerIdNS8_11hip_rocprim5par_tENS8_11use_defaultESE_EEEENSA_INSB_IiSD_SE_SE_EEEEZNS1_13binary_searchIS3_S5_NSA_INS8_10device_ptrIdEEEESG_SI_NS1_16binary_search_opENS9_16wrapped_functionINS8_6system6detail7generic6detail18binary_search_lessEbEEEE10hipError_tPvRmT1_T2_T3_mmT4_T5_P12ihipStream_tbEUlRKdE_EESV_SZ_S10_mS11_S14_bEUlT_E_NS1_11comp_targetILNS1_3genE10ELNS1_11target_archE1201ELNS1_3gpuE5ELNS1_3repE0EEENS1_30default_config_static_selectorELNS0_4arch9wavefront6targetE0EEEvSY_
	.globl	_ZN7rocprim17ROCPRIM_400000_NS6detail17trampoline_kernelINS0_14default_configENS1_29binary_search_config_selectorIdiEEZNS1_14transform_implILb0ES3_S5_N6thrust23THRUST_200600_302600_NS6detail15normal_iteratorINS8_7pointerIdNS8_11hip_rocprim5par_tENS8_11use_defaultESE_EEEENSA_INSB_IiSD_SE_SE_EEEEZNS1_13binary_searchIS3_S5_NSA_INS8_10device_ptrIdEEEESG_SI_NS1_16binary_search_opENS9_16wrapped_functionINS8_6system6detail7generic6detail18binary_search_lessEbEEEE10hipError_tPvRmT1_T2_T3_mmT4_T5_P12ihipStream_tbEUlRKdE_EESV_SZ_S10_mS11_S14_bEUlT_E_NS1_11comp_targetILNS1_3genE10ELNS1_11target_archE1201ELNS1_3gpuE5ELNS1_3repE0EEENS1_30default_config_static_selectorELNS0_4arch9wavefront6targetE0EEEvSY_
	.p2align	8
	.type	_ZN7rocprim17ROCPRIM_400000_NS6detail17trampoline_kernelINS0_14default_configENS1_29binary_search_config_selectorIdiEEZNS1_14transform_implILb0ES3_S5_N6thrust23THRUST_200600_302600_NS6detail15normal_iteratorINS8_7pointerIdNS8_11hip_rocprim5par_tENS8_11use_defaultESE_EEEENSA_INSB_IiSD_SE_SE_EEEEZNS1_13binary_searchIS3_S5_NSA_INS8_10device_ptrIdEEEESG_SI_NS1_16binary_search_opENS9_16wrapped_functionINS8_6system6detail7generic6detail18binary_search_lessEbEEEE10hipError_tPvRmT1_T2_T3_mmT4_T5_P12ihipStream_tbEUlRKdE_EESV_SZ_S10_mS11_S14_bEUlT_E_NS1_11comp_targetILNS1_3genE10ELNS1_11target_archE1201ELNS1_3gpuE5ELNS1_3repE0EEENS1_30default_config_static_selectorELNS0_4arch9wavefront6targetE0EEEvSY_,@function
_ZN7rocprim17ROCPRIM_400000_NS6detail17trampoline_kernelINS0_14default_configENS1_29binary_search_config_selectorIdiEEZNS1_14transform_implILb0ES3_S5_N6thrust23THRUST_200600_302600_NS6detail15normal_iteratorINS8_7pointerIdNS8_11hip_rocprim5par_tENS8_11use_defaultESE_EEEENSA_INSB_IiSD_SE_SE_EEEEZNS1_13binary_searchIS3_S5_NSA_INS8_10device_ptrIdEEEESG_SI_NS1_16binary_search_opENS9_16wrapped_functionINS8_6system6detail7generic6detail18binary_search_lessEbEEEE10hipError_tPvRmT1_T2_T3_mmT4_T5_P12ihipStream_tbEUlRKdE_EESV_SZ_S10_mS11_S14_bEUlT_E_NS1_11comp_targetILNS1_3genE10ELNS1_11target_archE1201ELNS1_3gpuE5ELNS1_3repE0EEENS1_30default_config_static_selectorELNS0_4arch9wavefront6targetE0EEEvSY_: ; @_ZN7rocprim17ROCPRIM_400000_NS6detail17trampoline_kernelINS0_14default_configENS1_29binary_search_config_selectorIdiEEZNS1_14transform_implILb0ES3_S5_N6thrust23THRUST_200600_302600_NS6detail15normal_iteratorINS8_7pointerIdNS8_11hip_rocprim5par_tENS8_11use_defaultESE_EEEENSA_INSB_IiSD_SE_SE_EEEEZNS1_13binary_searchIS3_S5_NSA_INS8_10device_ptrIdEEEESG_SI_NS1_16binary_search_opENS9_16wrapped_functionINS8_6system6detail7generic6detail18binary_search_lessEbEEEE10hipError_tPvRmT1_T2_T3_mmT4_T5_P12ihipStream_tbEUlRKdE_EESV_SZ_S10_mS11_S14_bEUlT_E_NS1_11comp_targetILNS1_3genE10ELNS1_11target_archE1201ELNS1_3gpuE5ELNS1_3repE0EEENS1_30default_config_static_selectorELNS0_4arch9wavefront6targetE0EEEvSY_
; %bb.0:
	.section	.rodata,"a",@progbits
	.p2align	6, 0x0
	.amdhsa_kernel _ZN7rocprim17ROCPRIM_400000_NS6detail17trampoline_kernelINS0_14default_configENS1_29binary_search_config_selectorIdiEEZNS1_14transform_implILb0ES3_S5_N6thrust23THRUST_200600_302600_NS6detail15normal_iteratorINS8_7pointerIdNS8_11hip_rocprim5par_tENS8_11use_defaultESE_EEEENSA_INSB_IiSD_SE_SE_EEEEZNS1_13binary_searchIS3_S5_NSA_INS8_10device_ptrIdEEEESG_SI_NS1_16binary_search_opENS9_16wrapped_functionINS8_6system6detail7generic6detail18binary_search_lessEbEEEE10hipError_tPvRmT1_T2_T3_mmT4_T5_P12ihipStream_tbEUlRKdE_EESV_SZ_S10_mS11_S14_bEUlT_E_NS1_11comp_targetILNS1_3genE10ELNS1_11target_archE1201ELNS1_3gpuE5ELNS1_3repE0EEENS1_30default_config_static_selectorELNS0_4arch9wavefront6targetE0EEEvSY_
		.amdhsa_group_segment_fixed_size 0
		.amdhsa_private_segment_fixed_size 0
		.amdhsa_kernarg_size 56
		.amdhsa_user_sgpr_count 6
		.amdhsa_user_sgpr_private_segment_buffer 1
		.amdhsa_user_sgpr_dispatch_ptr 0
		.amdhsa_user_sgpr_queue_ptr 0
		.amdhsa_user_sgpr_kernarg_segment_ptr 1
		.amdhsa_user_sgpr_dispatch_id 0
		.amdhsa_user_sgpr_flat_scratch_init 0
		.amdhsa_user_sgpr_private_segment_size 0
		.amdhsa_wavefront_size32 1
		.amdhsa_uses_dynamic_stack 0
		.amdhsa_system_sgpr_private_segment_wavefront_offset 0
		.amdhsa_system_sgpr_workgroup_id_x 1
		.amdhsa_system_sgpr_workgroup_id_y 0
		.amdhsa_system_sgpr_workgroup_id_z 0
		.amdhsa_system_sgpr_workgroup_info 0
		.amdhsa_system_vgpr_workitem_id 0
		.amdhsa_next_free_vgpr 1
		.amdhsa_next_free_sgpr 1
		.amdhsa_reserve_vcc 0
		.amdhsa_reserve_flat_scratch 0
		.amdhsa_float_round_mode_32 0
		.amdhsa_float_round_mode_16_64 0
		.amdhsa_float_denorm_mode_32 3
		.amdhsa_float_denorm_mode_16_64 3
		.amdhsa_dx10_clamp 1
		.amdhsa_ieee_mode 1
		.amdhsa_fp16_overflow 0
		.amdhsa_workgroup_processor_mode 1
		.amdhsa_memory_ordered 1
		.amdhsa_forward_progress 1
		.amdhsa_shared_vgpr_count 0
		.amdhsa_exception_fp_ieee_invalid_op 0
		.amdhsa_exception_fp_denorm_src 0
		.amdhsa_exception_fp_ieee_div_zero 0
		.amdhsa_exception_fp_ieee_overflow 0
		.amdhsa_exception_fp_ieee_underflow 0
		.amdhsa_exception_fp_ieee_inexact 0
		.amdhsa_exception_int_div_zero 0
	.end_amdhsa_kernel
	.section	.text._ZN7rocprim17ROCPRIM_400000_NS6detail17trampoline_kernelINS0_14default_configENS1_29binary_search_config_selectorIdiEEZNS1_14transform_implILb0ES3_S5_N6thrust23THRUST_200600_302600_NS6detail15normal_iteratorINS8_7pointerIdNS8_11hip_rocprim5par_tENS8_11use_defaultESE_EEEENSA_INSB_IiSD_SE_SE_EEEEZNS1_13binary_searchIS3_S5_NSA_INS8_10device_ptrIdEEEESG_SI_NS1_16binary_search_opENS9_16wrapped_functionINS8_6system6detail7generic6detail18binary_search_lessEbEEEE10hipError_tPvRmT1_T2_T3_mmT4_T5_P12ihipStream_tbEUlRKdE_EESV_SZ_S10_mS11_S14_bEUlT_E_NS1_11comp_targetILNS1_3genE10ELNS1_11target_archE1201ELNS1_3gpuE5ELNS1_3repE0EEENS1_30default_config_static_selectorELNS0_4arch9wavefront6targetE0EEEvSY_,"axG",@progbits,_ZN7rocprim17ROCPRIM_400000_NS6detail17trampoline_kernelINS0_14default_configENS1_29binary_search_config_selectorIdiEEZNS1_14transform_implILb0ES3_S5_N6thrust23THRUST_200600_302600_NS6detail15normal_iteratorINS8_7pointerIdNS8_11hip_rocprim5par_tENS8_11use_defaultESE_EEEENSA_INSB_IiSD_SE_SE_EEEEZNS1_13binary_searchIS3_S5_NSA_INS8_10device_ptrIdEEEESG_SI_NS1_16binary_search_opENS9_16wrapped_functionINS8_6system6detail7generic6detail18binary_search_lessEbEEEE10hipError_tPvRmT1_T2_T3_mmT4_T5_P12ihipStream_tbEUlRKdE_EESV_SZ_S10_mS11_S14_bEUlT_E_NS1_11comp_targetILNS1_3genE10ELNS1_11target_archE1201ELNS1_3gpuE5ELNS1_3repE0EEENS1_30default_config_static_selectorELNS0_4arch9wavefront6targetE0EEEvSY_,comdat
.Lfunc_end631:
	.size	_ZN7rocprim17ROCPRIM_400000_NS6detail17trampoline_kernelINS0_14default_configENS1_29binary_search_config_selectorIdiEEZNS1_14transform_implILb0ES3_S5_N6thrust23THRUST_200600_302600_NS6detail15normal_iteratorINS8_7pointerIdNS8_11hip_rocprim5par_tENS8_11use_defaultESE_EEEENSA_INSB_IiSD_SE_SE_EEEEZNS1_13binary_searchIS3_S5_NSA_INS8_10device_ptrIdEEEESG_SI_NS1_16binary_search_opENS9_16wrapped_functionINS8_6system6detail7generic6detail18binary_search_lessEbEEEE10hipError_tPvRmT1_T2_T3_mmT4_T5_P12ihipStream_tbEUlRKdE_EESV_SZ_S10_mS11_S14_bEUlT_E_NS1_11comp_targetILNS1_3genE10ELNS1_11target_archE1201ELNS1_3gpuE5ELNS1_3repE0EEENS1_30default_config_static_selectorELNS0_4arch9wavefront6targetE0EEEvSY_, .Lfunc_end631-_ZN7rocprim17ROCPRIM_400000_NS6detail17trampoline_kernelINS0_14default_configENS1_29binary_search_config_selectorIdiEEZNS1_14transform_implILb0ES3_S5_N6thrust23THRUST_200600_302600_NS6detail15normal_iteratorINS8_7pointerIdNS8_11hip_rocprim5par_tENS8_11use_defaultESE_EEEENSA_INSB_IiSD_SE_SE_EEEEZNS1_13binary_searchIS3_S5_NSA_INS8_10device_ptrIdEEEESG_SI_NS1_16binary_search_opENS9_16wrapped_functionINS8_6system6detail7generic6detail18binary_search_lessEbEEEE10hipError_tPvRmT1_T2_T3_mmT4_T5_P12ihipStream_tbEUlRKdE_EESV_SZ_S10_mS11_S14_bEUlT_E_NS1_11comp_targetILNS1_3genE10ELNS1_11target_archE1201ELNS1_3gpuE5ELNS1_3repE0EEENS1_30default_config_static_selectorELNS0_4arch9wavefront6targetE0EEEvSY_
                                        ; -- End function
	.set _ZN7rocprim17ROCPRIM_400000_NS6detail17trampoline_kernelINS0_14default_configENS1_29binary_search_config_selectorIdiEEZNS1_14transform_implILb0ES3_S5_N6thrust23THRUST_200600_302600_NS6detail15normal_iteratorINS8_7pointerIdNS8_11hip_rocprim5par_tENS8_11use_defaultESE_EEEENSA_INSB_IiSD_SE_SE_EEEEZNS1_13binary_searchIS3_S5_NSA_INS8_10device_ptrIdEEEESG_SI_NS1_16binary_search_opENS9_16wrapped_functionINS8_6system6detail7generic6detail18binary_search_lessEbEEEE10hipError_tPvRmT1_T2_T3_mmT4_T5_P12ihipStream_tbEUlRKdE_EESV_SZ_S10_mS11_S14_bEUlT_E_NS1_11comp_targetILNS1_3genE10ELNS1_11target_archE1201ELNS1_3gpuE5ELNS1_3repE0EEENS1_30default_config_static_selectorELNS0_4arch9wavefront6targetE0EEEvSY_.num_vgpr, 0
	.set _ZN7rocprim17ROCPRIM_400000_NS6detail17trampoline_kernelINS0_14default_configENS1_29binary_search_config_selectorIdiEEZNS1_14transform_implILb0ES3_S5_N6thrust23THRUST_200600_302600_NS6detail15normal_iteratorINS8_7pointerIdNS8_11hip_rocprim5par_tENS8_11use_defaultESE_EEEENSA_INSB_IiSD_SE_SE_EEEEZNS1_13binary_searchIS3_S5_NSA_INS8_10device_ptrIdEEEESG_SI_NS1_16binary_search_opENS9_16wrapped_functionINS8_6system6detail7generic6detail18binary_search_lessEbEEEE10hipError_tPvRmT1_T2_T3_mmT4_T5_P12ihipStream_tbEUlRKdE_EESV_SZ_S10_mS11_S14_bEUlT_E_NS1_11comp_targetILNS1_3genE10ELNS1_11target_archE1201ELNS1_3gpuE5ELNS1_3repE0EEENS1_30default_config_static_selectorELNS0_4arch9wavefront6targetE0EEEvSY_.num_agpr, 0
	.set _ZN7rocprim17ROCPRIM_400000_NS6detail17trampoline_kernelINS0_14default_configENS1_29binary_search_config_selectorIdiEEZNS1_14transform_implILb0ES3_S5_N6thrust23THRUST_200600_302600_NS6detail15normal_iteratorINS8_7pointerIdNS8_11hip_rocprim5par_tENS8_11use_defaultESE_EEEENSA_INSB_IiSD_SE_SE_EEEEZNS1_13binary_searchIS3_S5_NSA_INS8_10device_ptrIdEEEESG_SI_NS1_16binary_search_opENS9_16wrapped_functionINS8_6system6detail7generic6detail18binary_search_lessEbEEEE10hipError_tPvRmT1_T2_T3_mmT4_T5_P12ihipStream_tbEUlRKdE_EESV_SZ_S10_mS11_S14_bEUlT_E_NS1_11comp_targetILNS1_3genE10ELNS1_11target_archE1201ELNS1_3gpuE5ELNS1_3repE0EEENS1_30default_config_static_selectorELNS0_4arch9wavefront6targetE0EEEvSY_.numbered_sgpr, 0
	.set _ZN7rocprim17ROCPRIM_400000_NS6detail17trampoline_kernelINS0_14default_configENS1_29binary_search_config_selectorIdiEEZNS1_14transform_implILb0ES3_S5_N6thrust23THRUST_200600_302600_NS6detail15normal_iteratorINS8_7pointerIdNS8_11hip_rocprim5par_tENS8_11use_defaultESE_EEEENSA_INSB_IiSD_SE_SE_EEEEZNS1_13binary_searchIS3_S5_NSA_INS8_10device_ptrIdEEEESG_SI_NS1_16binary_search_opENS9_16wrapped_functionINS8_6system6detail7generic6detail18binary_search_lessEbEEEE10hipError_tPvRmT1_T2_T3_mmT4_T5_P12ihipStream_tbEUlRKdE_EESV_SZ_S10_mS11_S14_bEUlT_E_NS1_11comp_targetILNS1_3genE10ELNS1_11target_archE1201ELNS1_3gpuE5ELNS1_3repE0EEENS1_30default_config_static_selectorELNS0_4arch9wavefront6targetE0EEEvSY_.num_named_barrier, 0
	.set _ZN7rocprim17ROCPRIM_400000_NS6detail17trampoline_kernelINS0_14default_configENS1_29binary_search_config_selectorIdiEEZNS1_14transform_implILb0ES3_S5_N6thrust23THRUST_200600_302600_NS6detail15normal_iteratorINS8_7pointerIdNS8_11hip_rocprim5par_tENS8_11use_defaultESE_EEEENSA_INSB_IiSD_SE_SE_EEEEZNS1_13binary_searchIS3_S5_NSA_INS8_10device_ptrIdEEEESG_SI_NS1_16binary_search_opENS9_16wrapped_functionINS8_6system6detail7generic6detail18binary_search_lessEbEEEE10hipError_tPvRmT1_T2_T3_mmT4_T5_P12ihipStream_tbEUlRKdE_EESV_SZ_S10_mS11_S14_bEUlT_E_NS1_11comp_targetILNS1_3genE10ELNS1_11target_archE1201ELNS1_3gpuE5ELNS1_3repE0EEENS1_30default_config_static_selectorELNS0_4arch9wavefront6targetE0EEEvSY_.private_seg_size, 0
	.set _ZN7rocprim17ROCPRIM_400000_NS6detail17trampoline_kernelINS0_14default_configENS1_29binary_search_config_selectorIdiEEZNS1_14transform_implILb0ES3_S5_N6thrust23THRUST_200600_302600_NS6detail15normal_iteratorINS8_7pointerIdNS8_11hip_rocprim5par_tENS8_11use_defaultESE_EEEENSA_INSB_IiSD_SE_SE_EEEEZNS1_13binary_searchIS3_S5_NSA_INS8_10device_ptrIdEEEESG_SI_NS1_16binary_search_opENS9_16wrapped_functionINS8_6system6detail7generic6detail18binary_search_lessEbEEEE10hipError_tPvRmT1_T2_T3_mmT4_T5_P12ihipStream_tbEUlRKdE_EESV_SZ_S10_mS11_S14_bEUlT_E_NS1_11comp_targetILNS1_3genE10ELNS1_11target_archE1201ELNS1_3gpuE5ELNS1_3repE0EEENS1_30default_config_static_selectorELNS0_4arch9wavefront6targetE0EEEvSY_.uses_vcc, 0
	.set _ZN7rocprim17ROCPRIM_400000_NS6detail17trampoline_kernelINS0_14default_configENS1_29binary_search_config_selectorIdiEEZNS1_14transform_implILb0ES3_S5_N6thrust23THRUST_200600_302600_NS6detail15normal_iteratorINS8_7pointerIdNS8_11hip_rocprim5par_tENS8_11use_defaultESE_EEEENSA_INSB_IiSD_SE_SE_EEEEZNS1_13binary_searchIS3_S5_NSA_INS8_10device_ptrIdEEEESG_SI_NS1_16binary_search_opENS9_16wrapped_functionINS8_6system6detail7generic6detail18binary_search_lessEbEEEE10hipError_tPvRmT1_T2_T3_mmT4_T5_P12ihipStream_tbEUlRKdE_EESV_SZ_S10_mS11_S14_bEUlT_E_NS1_11comp_targetILNS1_3genE10ELNS1_11target_archE1201ELNS1_3gpuE5ELNS1_3repE0EEENS1_30default_config_static_selectorELNS0_4arch9wavefront6targetE0EEEvSY_.uses_flat_scratch, 0
	.set _ZN7rocprim17ROCPRIM_400000_NS6detail17trampoline_kernelINS0_14default_configENS1_29binary_search_config_selectorIdiEEZNS1_14transform_implILb0ES3_S5_N6thrust23THRUST_200600_302600_NS6detail15normal_iteratorINS8_7pointerIdNS8_11hip_rocprim5par_tENS8_11use_defaultESE_EEEENSA_INSB_IiSD_SE_SE_EEEEZNS1_13binary_searchIS3_S5_NSA_INS8_10device_ptrIdEEEESG_SI_NS1_16binary_search_opENS9_16wrapped_functionINS8_6system6detail7generic6detail18binary_search_lessEbEEEE10hipError_tPvRmT1_T2_T3_mmT4_T5_P12ihipStream_tbEUlRKdE_EESV_SZ_S10_mS11_S14_bEUlT_E_NS1_11comp_targetILNS1_3genE10ELNS1_11target_archE1201ELNS1_3gpuE5ELNS1_3repE0EEENS1_30default_config_static_selectorELNS0_4arch9wavefront6targetE0EEEvSY_.has_dyn_sized_stack, 0
	.set _ZN7rocprim17ROCPRIM_400000_NS6detail17trampoline_kernelINS0_14default_configENS1_29binary_search_config_selectorIdiEEZNS1_14transform_implILb0ES3_S5_N6thrust23THRUST_200600_302600_NS6detail15normal_iteratorINS8_7pointerIdNS8_11hip_rocprim5par_tENS8_11use_defaultESE_EEEENSA_INSB_IiSD_SE_SE_EEEEZNS1_13binary_searchIS3_S5_NSA_INS8_10device_ptrIdEEEESG_SI_NS1_16binary_search_opENS9_16wrapped_functionINS8_6system6detail7generic6detail18binary_search_lessEbEEEE10hipError_tPvRmT1_T2_T3_mmT4_T5_P12ihipStream_tbEUlRKdE_EESV_SZ_S10_mS11_S14_bEUlT_E_NS1_11comp_targetILNS1_3genE10ELNS1_11target_archE1201ELNS1_3gpuE5ELNS1_3repE0EEENS1_30default_config_static_selectorELNS0_4arch9wavefront6targetE0EEEvSY_.has_recursion, 0
	.set _ZN7rocprim17ROCPRIM_400000_NS6detail17trampoline_kernelINS0_14default_configENS1_29binary_search_config_selectorIdiEEZNS1_14transform_implILb0ES3_S5_N6thrust23THRUST_200600_302600_NS6detail15normal_iteratorINS8_7pointerIdNS8_11hip_rocprim5par_tENS8_11use_defaultESE_EEEENSA_INSB_IiSD_SE_SE_EEEEZNS1_13binary_searchIS3_S5_NSA_INS8_10device_ptrIdEEEESG_SI_NS1_16binary_search_opENS9_16wrapped_functionINS8_6system6detail7generic6detail18binary_search_lessEbEEEE10hipError_tPvRmT1_T2_T3_mmT4_T5_P12ihipStream_tbEUlRKdE_EESV_SZ_S10_mS11_S14_bEUlT_E_NS1_11comp_targetILNS1_3genE10ELNS1_11target_archE1201ELNS1_3gpuE5ELNS1_3repE0EEENS1_30default_config_static_selectorELNS0_4arch9wavefront6targetE0EEEvSY_.has_indirect_call, 0
	.section	.AMDGPU.csdata,"",@progbits
; Kernel info:
; codeLenInByte = 0
; TotalNumSgprs: 0
; NumVgprs: 0
; ScratchSize: 0
; MemoryBound: 0
; FloatMode: 240
; IeeeMode: 1
; LDSByteSize: 0 bytes/workgroup (compile time only)
; SGPRBlocks: 0
; VGPRBlocks: 0
; NumSGPRsForWavesPerEU: 1
; NumVGPRsForWavesPerEU: 1
; Occupancy: 16
; WaveLimiterHint : 0
; COMPUTE_PGM_RSRC2:SCRATCH_EN: 0
; COMPUTE_PGM_RSRC2:USER_SGPR: 6
; COMPUTE_PGM_RSRC2:TRAP_HANDLER: 0
; COMPUTE_PGM_RSRC2:TGID_X_EN: 1
; COMPUTE_PGM_RSRC2:TGID_Y_EN: 0
; COMPUTE_PGM_RSRC2:TGID_Z_EN: 0
; COMPUTE_PGM_RSRC2:TIDIG_COMP_CNT: 0
	.section	.text._ZN7rocprim17ROCPRIM_400000_NS6detail17trampoline_kernelINS0_14default_configENS1_29binary_search_config_selectorIdiEEZNS1_14transform_implILb0ES3_S5_N6thrust23THRUST_200600_302600_NS6detail15normal_iteratorINS8_7pointerIdNS8_11hip_rocprim5par_tENS8_11use_defaultESE_EEEENSA_INSB_IiSD_SE_SE_EEEEZNS1_13binary_searchIS3_S5_NSA_INS8_10device_ptrIdEEEESG_SI_NS1_16binary_search_opENS9_16wrapped_functionINS8_6system6detail7generic6detail18binary_search_lessEbEEEE10hipError_tPvRmT1_T2_T3_mmT4_T5_P12ihipStream_tbEUlRKdE_EESV_SZ_S10_mS11_S14_bEUlT_E_NS1_11comp_targetILNS1_3genE10ELNS1_11target_archE1200ELNS1_3gpuE4ELNS1_3repE0EEENS1_30default_config_static_selectorELNS0_4arch9wavefront6targetE0EEEvSY_,"axG",@progbits,_ZN7rocprim17ROCPRIM_400000_NS6detail17trampoline_kernelINS0_14default_configENS1_29binary_search_config_selectorIdiEEZNS1_14transform_implILb0ES3_S5_N6thrust23THRUST_200600_302600_NS6detail15normal_iteratorINS8_7pointerIdNS8_11hip_rocprim5par_tENS8_11use_defaultESE_EEEENSA_INSB_IiSD_SE_SE_EEEEZNS1_13binary_searchIS3_S5_NSA_INS8_10device_ptrIdEEEESG_SI_NS1_16binary_search_opENS9_16wrapped_functionINS8_6system6detail7generic6detail18binary_search_lessEbEEEE10hipError_tPvRmT1_T2_T3_mmT4_T5_P12ihipStream_tbEUlRKdE_EESV_SZ_S10_mS11_S14_bEUlT_E_NS1_11comp_targetILNS1_3genE10ELNS1_11target_archE1200ELNS1_3gpuE4ELNS1_3repE0EEENS1_30default_config_static_selectorELNS0_4arch9wavefront6targetE0EEEvSY_,comdat
	.protected	_ZN7rocprim17ROCPRIM_400000_NS6detail17trampoline_kernelINS0_14default_configENS1_29binary_search_config_selectorIdiEEZNS1_14transform_implILb0ES3_S5_N6thrust23THRUST_200600_302600_NS6detail15normal_iteratorINS8_7pointerIdNS8_11hip_rocprim5par_tENS8_11use_defaultESE_EEEENSA_INSB_IiSD_SE_SE_EEEEZNS1_13binary_searchIS3_S5_NSA_INS8_10device_ptrIdEEEESG_SI_NS1_16binary_search_opENS9_16wrapped_functionINS8_6system6detail7generic6detail18binary_search_lessEbEEEE10hipError_tPvRmT1_T2_T3_mmT4_T5_P12ihipStream_tbEUlRKdE_EESV_SZ_S10_mS11_S14_bEUlT_E_NS1_11comp_targetILNS1_3genE10ELNS1_11target_archE1200ELNS1_3gpuE4ELNS1_3repE0EEENS1_30default_config_static_selectorELNS0_4arch9wavefront6targetE0EEEvSY_ ; -- Begin function _ZN7rocprim17ROCPRIM_400000_NS6detail17trampoline_kernelINS0_14default_configENS1_29binary_search_config_selectorIdiEEZNS1_14transform_implILb0ES3_S5_N6thrust23THRUST_200600_302600_NS6detail15normal_iteratorINS8_7pointerIdNS8_11hip_rocprim5par_tENS8_11use_defaultESE_EEEENSA_INSB_IiSD_SE_SE_EEEEZNS1_13binary_searchIS3_S5_NSA_INS8_10device_ptrIdEEEESG_SI_NS1_16binary_search_opENS9_16wrapped_functionINS8_6system6detail7generic6detail18binary_search_lessEbEEEE10hipError_tPvRmT1_T2_T3_mmT4_T5_P12ihipStream_tbEUlRKdE_EESV_SZ_S10_mS11_S14_bEUlT_E_NS1_11comp_targetILNS1_3genE10ELNS1_11target_archE1200ELNS1_3gpuE4ELNS1_3repE0EEENS1_30default_config_static_selectorELNS0_4arch9wavefront6targetE0EEEvSY_
	.globl	_ZN7rocprim17ROCPRIM_400000_NS6detail17trampoline_kernelINS0_14default_configENS1_29binary_search_config_selectorIdiEEZNS1_14transform_implILb0ES3_S5_N6thrust23THRUST_200600_302600_NS6detail15normal_iteratorINS8_7pointerIdNS8_11hip_rocprim5par_tENS8_11use_defaultESE_EEEENSA_INSB_IiSD_SE_SE_EEEEZNS1_13binary_searchIS3_S5_NSA_INS8_10device_ptrIdEEEESG_SI_NS1_16binary_search_opENS9_16wrapped_functionINS8_6system6detail7generic6detail18binary_search_lessEbEEEE10hipError_tPvRmT1_T2_T3_mmT4_T5_P12ihipStream_tbEUlRKdE_EESV_SZ_S10_mS11_S14_bEUlT_E_NS1_11comp_targetILNS1_3genE10ELNS1_11target_archE1200ELNS1_3gpuE4ELNS1_3repE0EEENS1_30default_config_static_selectorELNS0_4arch9wavefront6targetE0EEEvSY_
	.p2align	8
	.type	_ZN7rocprim17ROCPRIM_400000_NS6detail17trampoline_kernelINS0_14default_configENS1_29binary_search_config_selectorIdiEEZNS1_14transform_implILb0ES3_S5_N6thrust23THRUST_200600_302600_NS6detail15normal_iteratorINS8_7pointerIdNS8_11hip_rocprim5par_tENS8_11use_defaultESE_EEEENSA_INSB_IiSD_SE_SE_EEEEZNS1_13binary_searchIS3_S5_NSA_INS8_10device_ptrIdEEEESG_SI_NS1_16binary_search_opENS9_16wrapped_functionINS8_6system6detail7generic6detail18binary_search_lessEbEEEE10hipError_tPvRmT1_T2_T3_mmT4_T5_P12ihipStream_tbEUlRKdE_EESV_SZ_S10_mS11_S14_bEUlT_E_NS1_11comp_targetILNS1_3genE10ELNS1_11target_archE1200ELNS1_3gpuE4ELNS1_3repE0EEENS1_30default_config_static_selectorELNS0_4arch9wavefront6targetE0EEEvSY_,@function
_ZN7rocprim17ROCPRIM_400000_NS6detail17trampoline_kernelINS0_14default_configENS1_29binary_search_config_selectorIdiEEZNS1_14transform_implILb0ES3_S5_N6thrust23THRUST_200600_302600_NS6detail15normal_iteratorINS8_7pointerIdNS8_11hip_rocprim5par_tENS8_11use_defaultESE_EEEENSA_INSB_IiSD_SE_SE_EEEEZNS1_13binary_searchIS3_S5_NSA_INS8_10device_ptrIdEEEESG_SI_NS1_16binary_search_opENS9_16wrapped_functionINS8_6system6detail7generic6detail18binary_search_lessEbEEEE10hipError_tPvRmT1_T2_T3_mmT4_T5_P12ihipStream_tbEUlRKdE_EESV_SZ_S10_mS11_S14_bEUlT_E_NS1_11comp_targetILNS1_3genE10ELNS1_11target_archE1200ELNS1_3gpuE4ELNS1_3repE0EEENS1_30default_config_static_selectorELNS0_4arch9wavefront6targetE0EEEvSY_: ; @_ZN7rocprim17ROCPRIM_400000_NS6detail17trampoline_kernelINS0_14default_configENS1_29binary_search_config_selectorIdiEEZNS1_14transform_implILb0ES3_S5_N6thrust23THRUST_200600_302600_NS6detail15normal_iteratorINS8_7pointerIdNS8_11hip_rocprim5par_tENS8_11use_defaultESE_EEEENSA_INSB_IiSD_SE_SE_EEEEZNS1_13binary_searchIS3_S5_NSA_INS8_10device_ptrIdEEEESG_SI_NS1_16binary_search_opENS9_16wrapped_functionINS8_6system6detail7generic6detail18binary_search_lessEbEEEE10hipError_tPvRmT1_T2_T3_mmT4_T5_P12ihipStream_tbEUlRKdE_EESV_SZ_S10_mS11_S14_bEUlT_E_NS1_11comp_targetILNS1_3genE10ELNS1_11target_archE1200ELNS1_3gpuE4ELNS1_3repE0EEENS1_30default_config_static_selectorELNS0_4arch9wavefront6targetE0EEEvSY_
; %bb.0:
	.section	.rodata,"a",@progbits
	.p2align	6, 0x0
	.amdhsa_kernel _ZN7rocprim17ROCPRIM_400000_NS6detail17trampoline_kernelINS0_14default_configENS1_29binary_search_config_selectorIdiEEZNS1_14transform_implILb0ES3_S5_N6thrust23THRUST_200600_302600_NS6detail15normal_iteratorINS8_7pointerIdNS8_11hip_rocprim5par_tENS8_11use_defaultESE_EEEENSA_INSB_IiSD_SE_SE_EEEEZNS1_13binary_searchIS3_S5_NSA_INS8_10device_ptrIdEEEESG_SI_NS1_16binary_search_opENS9_16wrapped_functionINS8_6system6detail7generic6detail18binary_search_lessEbEEEE10hipError_tPvRmT1_T2_T3_mmT4_T5_P12ihipStream_tbEUlRKdE_EESV_SZ_S10_mS11_S14_bEUlT_E_NS1_11comp_targetILNS1_3genE10ELNS1_11target_archE1200ELNS1_3gpuE4ELNS1_3repE0EEENS1_30default_config_static_selectorELNS0_4arch9wavefront6targetE0EEEvSY_
		.amdhsa_group_segment_fixed_size 0
		.amdhsa_private_segment_fixed_size 0
		.amdhsa_kernarg_size 56
		.amdhsa_user_sgpr_count 6
		.amdhsa_user_sgpr_private_segment_buffer 1
		.amdhsa_user_sgpr_dispatch_ptr 0
		.amdhsa_user_sgpr_queue_ptr 0
		.amdhsa_user_sgpr_kernarg_segment_ptr 1
		.amdhsa_user_sgpr_dispatch_id 0
		.amdhsa_user_sgpr_flat_scratch_init 0
		.amdhsa_user_sgpr_private_segment_size 0
		.amdhsa_wavefront_size32 1
		.amdhsa_uses_dynamic_stack 0
		.amdhsa_system_sgpr_private_segment_wavefront_offset 0
		.amdhsa_system_sgpr_workgroup_id_x 1
		.amdhsa_system_sgpr_workgroup_id_y 0
		.amdhsa_system_sgpr_workgroup_id_z 0
		.amdhsa_system_sgpr_workgroup_info 0
		.amdhsa_system_vgpr_workitem_id 0
		.amdhsa_next_free_vgpr 1
		.amdhsa_next_free_sgpr 1
		.amdhsa_reserve_vcc 0
		.amdhsa_reserve_flat_scratch 0
		.amdhsa_float_round_mode_32 0
		.amdhsa_float_round_mode_16_64 0
		.amdhsa_float_denorm_mode_32 3
		.amdhsa_float_denorm_mode_16_64 3
		.amdhsa_dx10_clamp 1
		.amdhsa_ieee_mode 1
		.amdhsa_fp16_overflow 0
		.amdhsa_workgroup_processor_mode 1
		.amdhsa_memory_ordered 1
		.amdhsa_forward_progress 1
		.amdhsa_shared_vgpr_count 0
		.amdhsa_exception_fp_ieee_invalid_op 0
		.amdhsa_exception_fp_denorm_src 0
		.amdhsa_exception_fp_ieee_div_zero 0
		.amdhsa_exception_fp_ieee_overflow 0
		.amdhsa_exception_fp_ieee_underflow 0
		.amdhsa_exception_fp_ieee_inexact 0
		.amdhsa_exception_int_div_zero 0
	.end_amdhsa_kernel
	.section	.text._ZN7rocprim17ROCPRIM_400000_NS6detail17trampoline_kernelINS0_14default_configENS1_29binary_search_config_selectorIdiEEZNS1_14transform_implILb0ES3_S5_N6thrust23THRUST_200600_302600_NS6detail15normal_iteratorINS8_7pointerIdNS8_11hip_rocprim5par_tENS8_11use_defaultESE_EEEENSA_INSB_IiSD_SE_SE_EEEEZNS1_13binary_searchIS3_S5_NSA_INS8_10device_ptrIdEEEESG_SI_NS1_16binary_search_opENS9_16wrapped_functionINS8_6system6detail7generic6detail18binary_search_lessEbEEEE10hipError_tPvRmT1_T2_T3_mmT4_T5_P12ihipStream_tbEUlRKdE_EESV_SZ_S10_mS11_S14_bEUlT_E_NS1_11comp_targetILNS1_3genE10ELNS1_11target_archE1200ELNS1_3gpuE4ELNS1_3repE0EEENS1_30default_config_static_selectorELNS0_4arch9wavefront6targetE0EEEvSY_,"axG",@progbits,_ZN7rocprim17ROCPRIM_400000_NS6detail17trampoline_kernelINS0_14default_configENS1_29binary_search_config_selectorIdiEEZNS1_14transform_implILb0ES3_S5_N6thrust23THRUST_200600_302600_NS6detail15normal_iteratorINS8_7pointerIdNS8_11hip_rocprim5par_tENS8_11use_defaultESE_EEEENSA_INSB_IiSD_SE_SE_EEEEZNS1_13binary_searchIS3_S5_NSA_INS8_10device_ptrIdEEEESG_SI_NS1_16binary_search_opENS9_16wrapped_functionINS8_6system6detail7generic6detail18binary_search_lessEbEEEE10hipError_tPvRmT1_T2_T3_mmT4_T5_P12ihipStream_tbEUlRKdE_EESV_SZ_S10_mS11_S14_bEUlT_E_NS1_11comp_targetILNS1_3genE10ELNS1_11target_archE1200ELNS1_3gpuE4ELNS1_3repE0EEENS1_30default_config_static_selectorELNS0_4arch9wavefront6targetE0EEEvSY_,comdat
.Lfunc_end632:
	.size	_ZN7rocprim17ROCPRIM_400000_NS6detail17trampoline_kernelINS0_14default_configENS1_29binary_search_config_selectorIdiEEZNS1_14transform_implILb0ES3_S5_N6thrust23THRUST_200600_302600_NS6detail15normal_iteratorINS8_7pointerIdNS8_11hip_rocprim5par_tENS8_11use_defaultESE_EEEENSA_INSB_IiSD_SE_SE_EEEEZNS1_13binary_searchIS3_S5_NSA_INS8_10device_ptrIdEEEESG_SI_NS1_16binary_search_opENS9_16wrapped_functionINS8_6system6detail7generic6detail18binary_search_lessEbEEEE10hipError_tPvRmT1_T2_T3_mmT4_T5_P12ihipStream_tbEUlRKdE_EESV_SZ_S10_mS11_S14_bEUlT_E_NS1_11comp_targetILNS1_3genE10ELNS1_11target_archE1200ELNS1_3gpuE4ELNS1_3repE0EEENS1_30default_config_static_selectorELNS0_4arch9wavefront6targetE0EEEvSY_, .Lfunc_end632-_ZN7rocprim17ROCPRIM_400000_NS6detail17trampoline_kernelINS0_14default_configENS1_29binary_search_config_selectorIdiEEZNS1_14transform_implILb0ES3_S5_N6thrust23THRUST_200600_302600_NS6detail15normal_iteratorINS8_7pointerIdNS8_11hip_rocprim5par_tENS8_11use_defaultESE_EEEENSA_INSB_IiSD_SE_SE_EEEEZNS1_13binary_searchIS3_S5_NSA_INS8_10device_ptrIdEEEESG_SI_NS1_16binary_search_opENS9_16wrapped_functionINS8_6system6detail7generic6detail18binary_search_lessEbEEEE10hipError_tPvRmT1_T2_T3_mmT4_T5_P12ihipStream_tbEUlRKdE_EESV_SZ_S10_mS11_S14_bEUlT_E_NS1_11comp_targetILNS1_3genE10ELNS1_11target_archE1200ELNS1_3gpuE4ELNS1_3repE0EEENS1_30default_config_static_selectorELNS0_4arch9wavefront6targetE0EEEvSY_
                                        ; -- End function
	.set _ZN7rocprim17ROCPRIM_400000_NS6detail17trampoline_kernelINS0_14default_configENS1_29binary_search_config_selectorIdiEEZNS1_14transform_implILb0ES3_S5_N6thrust23THRUST_200600_302600_NS6detail15normal_iteratorINS8_7pointerIdNS8_11hip_rocprim5par_tENS8_11use_defaultESE_EEEENSA_INSB_IiSD_SE_SE_EEEEZNS1_13binary_searchIS3_S5_NSA_INS8_10device_ptrIdEEEESG_SI_NS1_16binary_search_opENS9_16wrapped_functionINS8_6system6detail7generic6detail18binary_search_lessEbEEEE10hipError_tPvRmT1_T2_T3_mmT4_T5_P12ihipStream_tbEUlRKdE_EESV_SZ_S10_mS11_S14_bEUlT_E_NS1_11comp_targetILNS1_3genE10ELNS1_11target_archE1200ELNS1_3gpuE4ELNS1_3repE0EEENS1_30default_config_static_selectorELNS0_4arch9wavefront6targetE0EEEvSY_.num_vgpr, 0
	.set _ZN7rocprim17ROCPRIM_400000_NS6detail17trampoline_kernelINS0_14default_configENS1_29binary_search_config_selectorIdiEEZNS1_14transform_implILb0ES3_S5_N6thrust23THRUST_200600_302600_NS6detail15normal_iteratorINS8_7pointerIdNS8_11hip_rocprim5par_tENS8_11use_defaultESE_EEEENSA_INSB_IiSD_SE_SE_EEEEZNS1_13binary_searchIS3_S5_NSA_INS8_10device_ptrIdEEEESG_SI_NS1_16binary_search_opENS9_16wrapped_functionINS8_6system6detail7generic6detail18binary_search_lessEbEEEE10hipError_tPvRmT1_T2_T3_mmT4_T5_P12ihipStream_tbEUlRKdE_EESV_SZ_S10_mS11_S14_bEUlT_E_NS1_11comp_targetILNS1_3genE10ELNS1_11target_archE1200ELNS1_3gpuE4ELNS1_3repE0EEENS1_30default_config_static_selectorELNS0_4arch9wavefront6targetE0EEEvSY_.num_agpr, 0
	.set _ZN7rocprim17ROCPRIM_400000_NS6detail17trampoline_kernelINS0_14default_configENS1_29binary_search_config_selectorIdiEEZNS1_14transform_implILb0ES3_S5_N6thrust23THRUST_200600_302600_NS6detail15normal_iteratorINS8_7pointerIdNS8_11hip_rocprim5par_tENS8_11use_defaultESE_EEEENSA_INSB_IiSD_SE_SE_EEEEZNS1_13binary_searchIS3_S5_NSA_INS8_10device_ptrIdEEEESG_SI_NS1_16binary_search_opENS9_16wrapped_functionINS8_6system6detail7generic6detail18binary_search_lessEbEEEE10hipError_tPvRmT1_T2_T3_mmT4_T5_P12ihipStream_tbEUlRKdE_EESV_SZ_S10_mS11_S14_bEUlT_E_NS1_11comp_targetILNS1_3genE10ELNS1_11target_archE1200ELNS1_3gpuE4ELNS1_3repE0EEENS1_30default_config_static_selectorELNS0_4arch9wavefront6targetE0EEEvSY_.numbered_sgpr, 0
	.set _ZN7rocprim17ROCPRIM_400000_NS6detail17trampoline_kernelINS0_14default_configENS1_29binary_search_config_selectorIdiEEZNS1_14transform_implILb0ES3_S5_N6thrust23THRUST_200600_302600_NS6detail15normal_iteratorINS8_7pointerIdNS8_11hip_rocprim5par_tENS8_11use_defaultESE_EEEENSA_INSB_IiSD_SE_SE_EEEEZNS1_13binary_searchIS3_S5_NSA_INS8_10device_ptrIdEEEESG_SI_NS1_16binary_search_opENS9_16wrapped_functionINS8_6system6detail7generic6detail18binary_search_lessEbEEEE10hipError_tPvRmT1_T2_T3_mmT4_T5_P12ihipStream_tbEUlRKdE_EESV_SZ_S10_mS11_S14_bEUlT_E_NS1_11comp_targetILNS1_3genE10ELNS1_11target_archE1200ELNS1_3gpuE4ELNS1_3repE0EEENS1_30default_config_static_selectorELNS0_4arch9wavefront6targetE0EEEvSY_.num_named_barrier, 0
	.set _ZN7rocprim17ROCPRIM_400000_NS6detail17trampoline_kernelINS0_14default_configENS1_29binary_search_config_selectorIdiEEZNS1_14transform_implILb0ES3_S5_N6thrust23THRUST_200600_302600_NS6detail15normal_iteratorINS8_7pointerIdNS8_11hip_rocprim5par_tENS8_11use_defaultESE_EEEENSA_INSB_IiSD_SE_SE_EEEEZNS1_13binary_searchIS3_S5_NSA_INS8_10device_ptrIdEEEESG_SI_NS1_16binary_search_opENS9_16wrapped_functionINS8_6system6detail7generic6detail18binary_search_lessEbEEEE10hipError_tPvRmT1_T2_T3_mmT4_T5_P12ihipStream_tbEUlRKdE_EESV_SZ_S10_mS11_S14_bEUlT_E_NS1_11comp_targetILNS1_3genE10ELNS1_11target_archE1200ELNS1_3gpuE4ELNS1_3repE0EEENS1_30default_config_static_selectorELNS0_4arch9wavefront6targetE0EEEvSY_.private_seg_size, 0
	.set _ZN7rocprim17ROCPRIM_400000_NS6detail17trampoline_kernelINS0_14default_configENS1_29binary_search_config_selectorIdiEEZNS1_14transform_implILb0ES3_S5_N6thrust23THRUST_200600_302600_NS6detail15normal_iteratorINS8_7pointerIdNS8_11hip_rocprim5par_tENS8_11use_defaultESE_EEEENSA_INSB_IiSD_SE_SE_EEEEZNS1_13binary_searchIS3_S5_NSA_INS8_10device_ptrIdEEEESG_SI_NS1_16binary_search_opENS9_16wrapped_functionINS8_6system6detail7generic6detail18binary_search_lessEbEEEE10hipError_tPvRmT1_T2_T3_mmT4_T5_P12ihipStream_tbEUlRKdE_EESV_SZ_S10_mS11_S14_bEUlT_E_NS1_11comp_targetILNS1_3genE10ELNS1_11target_archE1200ELNS1_3gpuE4ELNS1_3repE0EEENS1_30default_config_static_selectorELNS0_4arch9wavefront6targetE0EEEvSY_.uses_vcc, 0
	.set _ZN7rocprim17ROCPRIM_400000_NS6detail17trampoline_kernelINS0_14default_configENS1_29binary_search_config_selectorIdiEEZNS1_14transform_implILb0ES3_S5_N6thrust23THRUST_200600_302600_NS6detail15normal_iteratorINS8_7pointerIdNS8_11hip_rocprim5par_tENS8_11use_defaultESE_EEEENSA_INSB_IiSD_SE_SE_EEEEZNS1_13binary_searchIS3_S5_NSA_INS8_10device_ptrIdEEEESG_SI_NS1_16binary_search_opENS9_16wrapped_functionINS8_6system6detail7generic6detail18binary_search_lessEbEEEE10hipError_tPvRmT1_T2_T3_mmT4_T5_P12ihipStream_tbEUlRKdE_EESV_SZ_S10_mS11_S14_bEUlT_E_NS1_11comp_targetILNS1_3genE10ELNS1_11target_archE1200ELNS1_3gpuE4ELNS1_3repE0EEENS1_30default_config_static_selectorELNS0_4arch9wavefront6targetE0EEEvSY_.uses_flat_scratch, 0
	.set _ZN7rocprim17ROCPRIM_400000_NS6detail17trampoline_kernelINS0_14default_configENS1_29binary_search_config_selectorIdiEEZNS1_14transform_implILb0ES3_S5_N6thrust23THRUST_200600_302600_NS6detail15normal_iteratorINS8_7pointerIdNS8_11hip_rocprim5par_tENS8_11use_defaultESE_EEEENSA_INSB_IiSD_SE_SE_EEEEZNS1_13binary_searchIS3_S5_NSA_INS8_10device_ptrIdEEEESG_SI_NS1_16binary_search_opENS9_16wrapped_functionINS8_6system6detail7generic6detail18binary_search_lessEbEEEE10hipError_tPvRmT1_T2_T3_mmT4_T5_P12ihipStream_tbEUlRKdE_EESV_SZ_S10_mS11_S14_bEUlT_E_NS1_11comp_targetILNS1_3genE10ELNS1_11target_archE1200ELNS1_3gpuE4ELNS1_3repE0EEENS1_30default_config_static_selectorELNS0_4arch9wavefront6targetE0EEEvSY_.has_dyn_sized_stack, 0
	.set _ZN7rocprim17ROCPRIM_400000_NS6detail17trampoline_kernelINS0_14default_configENS1_29binary_search_config_selectorIdiEEZNS1_14transform_implILb0ES3_S5_N6thrust23THRUST_200600_302600_NS6detail15normal_iteratorINS8_7pointerIdNS8_11hip_rocprim5par_tENS8_11use_defaultESE_EEEENSA_INSB_IiSD_SE_SE_EEEEZNS1_13binary_searchIS3_S5_NSA_INS8_10device_ptrIdEEEESG_SI_NS1_16binary_search_opENS9_16wrapped_functionINS8_6system6detail7generic6detail18binary_search_lessEbEEEE10hipError_tPvRmT1_T2_T3_mmT4_T5_P12ihipStream_tbEUlRKdE_EESV_SZ_S10_mS11_S14_bEUlT_E_NS1_11comp_targetILNS1_3genE10ELNS1_11target_archE1200ELNS1_3gpuE4ELNS1_3repE0EEENS1_30default_config_static_selectorELNS0_4arch9wavefront6targetE0EEEvSY_.has_recursion, 0
	.set _ZN7rocprim17ROCPRIM_400000_NS6detail17trampoline_kernelINS0_14default_configENS1_29binary_search_config_selectorIdiEEZNS1_14transform_implILb0ES3_S5_N6thrust23THRUST_200600_302600_NS6detail15normal_iteratorINS8_7pointerIdNS8_11hip_rocprim5par_tENS8_11use_defaultESE_EEEENSA_INSB_IiSD_SE_SE_EEEEZNS1_13binary_searchIS3_S5_NSA_INS8_10device_ptrIdEEEESG_SI_NS1_16binary_search_opENS9_16wrapped_functionINS8_6system6detail7generic6detail18binary_search_lessEbEEEE10hipError_tPvRmT1_T2_T3_mmT4_T5_P12ihipStream_tbEUlRKdE_EESV_SZ_S10_mS11_S14_bEUlT_E_NS1_11comp_targetILNS1_3genE10ELNS1_11target_archE1200ELNS1_3gpuE4ELNS1_3repE0EEENS1_30default_config_static_selectorELNS0_4arch9wavefront6targetE0EEEvSY_.has_indirect_call, 0
	.section	.AMDGPU.csdata,"",@progbits
; Kernel info:
; codeLenInByte = 0
; TotalNumSgprs: 0
; NumVgprs: 0
; ScratchSize: 0
; MemoryBound: 0
; FloatMode: 240
; IeeeMode: 1
; LDSByteSize: 0 bytes/workgroup (compile time only)
; SGPRBlocks: 0
; VGPRBlocks: 0
; NumSGPRsForWavesPerEU: 1
; NumVGPRsForWavesPerEU: 1
; Occupancy: 16
; WaveLimiterHint : 0
; COMPUTE_PGM_RSRC2:SCRATCH_EN: 0
; COMPUTE_PGM_RSRC2:USER_SGPR: 6
; COMPUTE_PGM_RSRC2:TRAP_HANDLER: 0
; COMPUTE_PGM_RSRC2:TGID_X_EN: 1
; COMPUTE_PGM_RSRC2:TGID_Y_EN: 0
; COMPUTE_PGM_RSRC2:TGID_Z_EN: 0
; COMPUTE_PGM_RSRC2:TIDIG_COMP_CNT: 0
	.section	.text._ZN7rocprim17ROCPRIM_400000_NS6detail17trampoline_kernelINS0_14default_configENS1_29binary_search_config_selectorIdiEEZNS1_14transform_implILb0ES3_S5_N6thrust23THRUST_200600_302600_NS6detail15normal_iteratorINS8_7pointerIdNS8_11hip_rocprim5par_tENS8_11use_defaultESE_EEEENSA_INSB_IiSD_SE_SE_EEEEZNS1_13binary_searchIS3_S5_NSA_INS8_10device_ptrIdEEEESG_SI_NS1_16binary_search_opENS9_16wrapped_functionINS8_6system6detail7generic6detail18binary_search_lessEbEEEE10hipError_tPvRmT1_T2_T3_mmT4_T5_P12ihipStream_tbEUlRKdE_EESV_SZ_S10_mS11_S14_bEUlT_E_NS1_11comp_targetILNS1_3genE9ELNS1_11target_archE1100ELNS1_3gpuE3ELNS1_3repE0EEENS1_30default_config_static_selectorELNS0_4arch9wavefront6targetE0EEEvSY_,"axG",@progbits,_ZN7rocprim17ROCPRIM_400000_NS6detail17trampoline_kernelINS0_14default_configENS1_29binary_search_config_selectorIdiEEZNS1_14transform_implILb0ES3_S5_N6thrust23THRUST_200600_302600_NS6detail15normal_iteratorINS8_7pointerIdNS8_11hip_rocprim5par_tENS8_11use_defaultESE_EEEENSA_INSB_IiSD_SE_SE_EEEEZNS1_13binary_searchIS3_S5_NSA_INS8_10device_ptrIdEEEESG_SI_NS1_16binary_search_opENS9_16wrapped_functionINS8_6system6detail7generic6detail18binary_search_lessEbEEEE10hipError_tPvRmT1_T2_T3_mmT4_T5_P12ihipStream_tbEUlRKdE_EESV_SZ_S10_mS11_S14_bEUlT_E_NS1_11comp_targetILNS1_3genE9ELNS1_11target_archE1100ELNS1_3gpuE3ELNS1_3repE0EEENS1_30default_config_static_selectorELNS0_4arch9wavefront6targetE0EEEvSY_,comdat
	.protected	_ZN7rocprim17ROCPRIM_400000_NS6detail17trampoline_kernelINS0_14default_configENS1_29binary_search_config_selectorIdiEEZNS1_14transform_implILb0ES3_S5_N6thrust23THRUST_200600_302600_NS6detail15normal_iteratorINS8_7pointerIdNS8_11hip_rocprim5par_tENS8_11use_defaultESE_EEEENSA_INSB_IiSD_SE_SE_EEEEZNS1_13binary_searchIS3_S5_NSA_INS8_10device_ptrIdEEEESG_SI_NS1_16binary_search_opENS9_16wrapped_functionINS8_6system6detail7generic6detail18binary_search_lessEbEEEE10hipError_tPvRmT1_T2_T3_mmT4_T5_P12ihipStream_tbEUlRKdE_EESV_SZ_S10_mS11_S14_bEUlT_E_NS1_11comp_targetILNS1_3genE9ELNS1_11target_archE1100ELNS1_3gpuE3ELNS1_3repE0EEENS1_30default_config_static_selectorELNS0_4arch9wavefront6targetE0EEEvSY_ ; -- Begin function _ZN7rocprim17ROCPRIM_400000_NS6detail17trampoline_kernelINS0_14default_configENS1_29binary_search_config_selectorIdiEEZNS1_14transform_implILb0ES3_S5_N6thrust23THRUST_200600_302600_NS6detail15normal_iteratorINS8_7pointerIdNS8_11hip_rocprim5par_tENS8_11use_defaultESE_EEEENSA_INSB_IiSD_SE_SE_EEEEZNS1_13binary_searchIS3_S5_NSA_INS8_10device_ptrIdEEEESG_SI_NS1_16binary_search_opENS9_16wrapped_functionINS8_6system6detail7generic6detail18binary_search_lessEbEEEE10hipError_tPvRmT1_T2_T3_mmT4_T5_P12ihipStream_tbEUlRKdE_EESV_SZ_S10_mS11_S14_bEUlT_E_NS1_11comp_targetILNS1_3genE9ELNS1_11target_archE1100ELNS1_3gpuE3ELNS1_3repE0EEENS1_30default_config_static_selectorELNS0_4arch9wavefront6targetE0EEEvSY_
	.globl	_ZN7rocprim17ROCPRIM_400000_NS6detail17trampoline_kernelINS0_14default_configENS1_29binary_search_config_selectorIdiEEZNS1_14transform_implILb0ES3_S5_N6thrust23THRUST_200600_302600_NS6detail15normal_iteratorINS8_7pointerIdNS8_11hip_rocprim5par_tENS8_11use_defaultESE_EEEENSA_INSB_IiSD_SE_SE_EEEEZNS1_13binary_searchIS3_S5_NSA_INS8_10device_ptrIdEEEESG_SI_NS1_16binary_search_opENS9_16wrapped_functionINS8_6system6detail7generic6detail18binary_search_lessEbEEEE10hipError_tPvRmT1_T2_T3_mmT4_T5_P12ihipStream_tbEUlRKdE_EESV_SZ_S10_mS11_S14_bEUlT_E_NS1_11comp_targetILNS1_3genE9ELNS1_11target_archE1100ELNS1_3gpuE3ELNS1_3repE0EEENS1_30default_config_static_selectorELNS0_4arch9wavefront6targetE0EEEvSY_
	.p2align	8
	.type	_ZN7rocprim17ROCPRIM_400000_NS6detail17trampoline_kernelINS0_14default_configENS1_29binary_search_config_selectorIdiEEZNS1_14transform_implILb0ES3_S5_N6thrust23THRUST_200600_302600_NS6detail15normal_iteratorINS8_7pointerIdNS8_11hip_rocprim5par_tENS8_11use_defaultESE_EEEENSA_INSB_IiSD_SE_SE_EEEEZNS1_13binary_searchIS3_S5_NSA_INS8_10device_ptrIdEEEESG_SI_NS1_16binary_search_opENS9_16wrapped_functionINS8_6system6detail7generic6detail18binary_search_lessEbEEEE10hipError_tPvRmT1_T2_T3_mmT4_T5_P12ihipStream_tbEUlRKdE_EESV_SZ_S10_mS11_S14_bEUlT_E_NS1_11comp_targetILNS1_3genE9ELNS1_11target_archE1100ELNS1_3gpuE3ELNS1_3repE0EEENS1_30default_config_static_selectorELNS0_4arch9wavefront6targetE0EEEvSY_,@function
_ZN7rocprim17ROCPRIM_400000_NS6detail17trampoline_kernelINS0_14default_configENS1_29binary_search_config_selectorIdiEEZNS1_14transform_implILb0ES3_S5_N6thrust23THRUST_200600_302600_NS6detail15normal_iteratorINS8_7pointerIdNS8_11hip_rocprim5par_tENS8_11use_defaultESE_EEEENSA_INSB_IiSD_SE_SE_EEEEZNS1_13binary_searchIS3_S5_NSA_INS8_10device_ptrIdEEEESG_SI_NS1_16binary_search_opENS9_16wrapped_functionINS8_6system6detail7generic6detail18binary_search_lessEbEEEE10hipError_tPvRmT1_T2_T3_mmT4_T5_P12ihipStream_tbEUlRKdE_EESV_SZ_S10_mS11_S14_bEUlT_E_NS1_11comp_targetILNS1_3genE9ELNS1_11target_archE1100ELNS1_3gpuE3ELNS1_3repE0EEENS1_30default_config_static_selectorELNS0_4arch9wavefront6targetE0EEEvSY_: ; @_ZN7rocprim17ROCPRIM_400000_NS6detail17trampoline_kernelINS0_14default_configENS1_29binary_search_config_selectorIdiEEZNS1_14transform_implILb0ES3_S5_N6thrust23THRUST_200600_302600_NS6detail15normal_iteratorINS8_7pointerIdNS8_11hip_rocprim5par_tENS8_11use_defaultESE_EEEENSA_INSB_IiSD_SE_SE_EEEEZNS1_13binary_searchIS3_S5_NSA_INS8_10device_ptrIdEEEESG_SI_NS1_16binary_search_opENS9_16wrapped_functionINS8_6system6detail7generic6detail18binary_search_lessEbEEEE10hipError_tPvRmT1_T2_T3_mmT4_T5_P12ihipStream_tbEUlRKdE_EESV_SZ_S10_mS11_S14_bEUlT_E_NS1_11comp_targetILNS1_3genE9ELNS1_11target_archE1100ELNS1_3gpuE3ELNS1_3repE0EEENS1_30default_config_static_selectorELNS0_4arch9wavefront6targetE0EEEvSY_
; %bb.0:
	.section	.rodata,"a",@progbits
	.p2align	6, 0x0
	.amdhsa_kernel _ZN7rocprim17ROCPRIM_400000_NS6detail17trampoline_kernelINS0_14default_configENS1_29binary_search_config_selectorIdiEEZNS1_14transform_implILb0ES3_S5_N6thrust23THRUST_200600_302600_NS6detail15normal_iteratorINS8_7pointerIdNS8_11hip_rocprim5par_tENS8_11use_defaultESE_EEEENSA_INSB_IiSD_SE_SE_EEEEZNS1_13binary_searchIS3_S5_NSA_INS8_10device_ptrIdEEEESG_SI_NS1_16binary_search_opENS9_16wrapped_functionINS8_6system6detail7generic6detail18binary_search_lessEbEEEE10hipError_tPvRmT1_T2_T3_mmT4_T5_P12ihipStream_tbEUlRKdE_EESV_SZ_S10_mS11_S14_bEUlT_E_NS1_11comp_targetILNS1_3genE9ELNS1_11target_archE1100ELNS1_3gpuE3ELNS1_3repE0EEENS1_30default_config_static_selectorELNS0_4arch9wavefront6targetE0EEEvSY_
		.amdhsa_group_segment_fixed_size 0
		.amdhsa_private_segment_fixed_size 0
		.amdhsa_kernarg_size 56
		.amdhsa_user_sgpr_count 6
		.amdhsa_user_sgpr_private_segment_buffer 1
		.amdhsa_user_sgpr_dispatch_ptr 0
		.amdhsa_user_sgpr_queue_ptr 0
		.amdhsa_user_sgpr_kernarg_segment_ptr 1
		.amdhsa_user_sgpr_dispatch_id 0
		.amdhsa_user_sgpr_flat_scratch_init 0
		.amdhsa_user_sgpr_private_segment_size 0
		.amdhsa_wavefront_size32 1
		.amdhsa_uses_dynamic_stack 0
		.amdhsa_system_sgpr_private_segment_wavefront_offset 0
		.amdhsa_system_sgpr_workgroup_id_x 1
		.amdhsa_system_sgpr_workgroup_id_y 0
		.amdhsa_system_sgpr_workgroup_id_z 0
		.amdhsa_system_sgpr_workgroup_info 0
		.amdhsa_system_vgpr_workitem_id 0
		.amdhsa_next_free_vgpr 1
		.amdhsa_next_free_sgpr 1
		.amdhsa_reserve_vcc 0
		.amdhsa_reserve_flat_scratch 0
		.amdhsa_float_round_mode_32 0
		.amdhsa_float_round_mode_16_64 0
		.amdhsa_float_denorm_mode_32 3
		.amdhsa_float_denorm_mode_16_64 3
		.amdhsa_dx10_clamp 1
		.amdhsa_ieee_mode 1
		.amdhsa_fp16_overflow 0
		.amdhsa_workgroup_processor_mode 1
		.amdhsa_memory_ordered 1
		.amdhsa_forward_progress 1
		.amdhsa_shared_vgpr_count 0
		.amdhsa_exception_fp_ieee_invalid_op 0
		.amdhsa_exception_fp_denorm_src 0
		.amdhsa_exception_fp_ieee_div_zero 0
		.amdhsa_exception_fp_ieee_overflow 0
		.amdhsa_exception_fp_ieee_underflow 0
		.amdhsa_exception_fp_ieee_inexact 0
		.amdhsa_exception_int_div_zero 0
	.end_amdhsa_kernel
	.section	.text._ZN7rocprim17ROCPRIM_400000_NS6detail17trampoline_kernelINS0_14default_configENS1_29binary_search_config_selectorIdiEEZNS1_14transform_implILb0ES3_S5_N6thrust23THRUST_200600_302600_NS6detail15normal_iteratorINS8_7pointerIdNS8_11hip_rocprim5par_tENS8_11use_defaultESE_EEEENSA_INSB_IiSD_SE_SE_EEEEZNS1_13binary_searchIS3_S5_NSA_INS8_10device_ptrIdEEEESG_SI_NS1_16binary_search_opENS9_16wrapped_functionINS8_6system6detail7generic6detail18binary_search_lessEbEEEE10hipError_tPvRmT1_T2_T3_mmT4_T5_P12ihipStream_tbEUlRKdE_EESV_SZ_S10_mS11_S14_bEUlT_E_NS1_11comp_targetILNS1_3genE9ELNS1_11target_archE1100ELNS1_3gpuE3ELNS1_3repE0EEENS1_30default_config_static_selectorELNS0_4arch9wavefront6targetE0EEEvSY_,"axG",@progbits,_ZN7rocprim17ROCPRIM_400000_NS6detail17trampoline_kernelINS0_14default_configENS1_29binary_search_config_selectorIdiEEZNS1_14transform_implILb0ES3_S5_N6thrust23THRUST_200600_302600_NS6detail15normal_iteratorINS8_7pointerIdNS8_11hip_rocprim5par_tENS8_11use_defaultESE_EEEENSA_INSB_IiSD_SE_SE_EEEEZNS1_13binary_searchIS3_S5_NSA_INS8_10device_ptrIdEEEESG_SI_NS1_16binary_search_opENS9_16wrapped_functionINS8_6system6detail7generic6detail18binary_search_lessEbEEEE10hipError_tPvRmT1_T2_T3_mmT4_T5_P12ihipStream_tbEUlRKdE_EESV_SZ_S10_mS11_S14_bEUlT_E_NS1_11comp_targetILNS1_3genE9ELNS1_11target_archE1100ELNS1_3gpuE3ELNS1_3repE0EEENS1_30default_config_static_selectorELNS0_4arch9wavefront6targetE0EEEvSY_,comdat
.Lfunc_end633:
	.size	_ZN7rocprim17ROCPRIM_400000_NS6detail17trampoline_kernelINS0_14default_configENS1_29binary_search_config_selectorIdiEEZNS1_14transform_implILb0ES3_S5_N6thrust23THRUST_200600_302600_NS6detail15normal_iteratorINS8_7pointerIdNS8_11hip_rocprim5par_tENS8_11use_defaultESE_EEEENSA_INSB_IiSD_SE_SE_EEEEZNS1_13binary_searchIS3_S5_NSA_INS8_10device_ptrIdEEEESG_SI_NS1_16binary_search_opENS9_16wrapped_functionINS8_6system6detail7generic6detail18binary_search_lessEbEEEE10hipError_tPvRmT1_T2_T3_mmT4_T5_P12ihipStream_tbEUlRKdE_EESV_SZ_S10_mS11_S14_bEUlT_E_NS1_11comp_targetILNS1_3genE9ELNS1_11target_archE1100ELNS1_3gpuE3ELNS1_3repE0EEENS1_30default_config_static_selectorELNS0_4arch9wavefront6targetE0EEEvSY_, .Lfunc_end633-_ZN7rocprim17ROCPRIM_400000_NS6detail17trampoline_kernelINS0_14default_configENS1_29binary_search_config_selectorIdiEEZNS1_14transform_implILb0ES3_S5_N6thrust23THRUST_200600_302600_NS6detail15normal_iteratorINS8_7pointerIdNS8_11hip_rocprim5par_tENS8_11use_defaultESE_EEEENSA_INSB_IiSD_SE_SE_EEEEZNS1_13binary_searchIS3_S5_NSA_INS8_10device_ptrIdEEEESG_SI_NS1_16binary_search_opENS9_16wrapped_functionINS8_6system6detail7generic6detail18binary_search_lessEbEEEE10hipError_tPvRmT1_T2_T3_mmT4_T5_P12ihipStream_tbEUlRKdE_EESV_SZ_S10_mS11_S14_bEUlT_E_NS1_11comp_targetILNS1_3genE9ELNS1_11target_archE1100ELNS1_3gpuE3ELNS1_3repE0EEENS1_30default_config_static_selectorELNS0_4arch9wavefront6targetE0EEEvSY_
                                        ; -- End function
	.set _ZN7rocprim17ROCPRIM_400000_NS6detail17trampoline_kernelINS0_14default_configENS1_29binary_search_config_selectorIdiEEZNS1_14transform_implILb0ES3_S5_N6thrust23THRUST_200600_302600_NS6detail15normal_iteratorINS8_7pointerIdNS8_11hip_rocprim5par_tENS8_11use_defaultESE_EEEENSA_INSB_IiSD_SE_SE_EEEEZNS1_13binary_searchIS3_S5_NSA_INS8_10device_ptrIdEEEESG_SI_NS1_16binary_search_opENS9_16wrapped_functionINS8_6system6detail7generic6detail18binary_search_lessEbEEEE10hipError_tPvRmT1_T2_T3_mmT4_T5_P12ihipStream_tbEUlRKdE_EESV_SZ_S10_mS11_S14_bEUlT_E_NS1_11comp_targetILNS1_3genE9ELNS1_11target_archE1100ELNS1_3gpuE3ELNS1_3repE0EEENS1_30default_config_static_selectorELNS0_4arch9wavefront6targetE0EEEvSY_.num_vgpr, 0
	.set _ZN7rocprim17ROCPRIM_400000_NS6detail17trampoline_kernelINS0_14default_configENS1_29binary_search_config_selectorIdiEEZNS1_14transform_implILb0ES3_S5_N6thrust23THRUST_200600_302600_NS6detail15normal_iteratorINS8_7pointerIdNS8_11hip_rocprim5par_tENS8_11use_defaultESE_EEEENSA_INSB_IiSD_SE_SE_EEEEZNS1_13binary_searchIS3_S5_NSA_INS8_10device_ptrIdEEEESG_SI_NS1_16binary_search_opENS9_16wrapped_functionINS8_6system6detail7generic6detail18binary_search_lessEbEEEE10hipError_tPvRmT1_T2_T3_mmT4_T5_P12ihipStream_tbEUlRKdE_EESV_SZ_S10_mS11_S14_bEUlT_E_NS1_11comp_targetILNS1_3genE9ELNS1_11target_archE1100ELNS1_3gpuE3ELNS1_3repE0EEENS1_30default_config_static_selectorELNS0_4arch9wavefront6targetE0EEEvSY_.num_agpr, 0
	.set _ZN7rocprim17ROCPRIM_400000_NS6detail17trampoline_kernelINS0_14default_configENS1_29binary_search_config_selectorIdiEEZNS1_14transform_implILb0ES3_S5_N6thrust23THRUST_200600_302600_NS6detail15normal_iteratorINS8_7pointerIdNS8_11hip_rocprim5par_tENS8_11use_defaultESE_EEEENSA_INSB_IiSD_SE_SE_EEEEZNS1_13binary_searchIS3_S5_NSA_INS8_10device_ptrIdEEEESG_SI_NS1_16binary_search_opENS9_16wrapped_functionINS8_6system6detail7generic6detail18binary_search_lessEbEEEE10hipError_tPvRmT1_T2_T3_mmT4_T5_P12ihipStream_tbEUlRKdE_EESV_SZ_S10_mS11_S14_bEUlT_E_NS1_11comp_targetILNS1_3genE9ELNS1_11target_archE1100ELNS1_3gpuE3ELNS1_3repE0EEENS1_30default_config_static_selectorELNS0_4arch9wavefront6targetE0EEEvSY_.numbered_sgpr, 0
	.set _ZN7rocprim17ROCPRIM_400000_NS6detail17trampoline_kernelINS0_14default_configENS1_29binary_search_config_selectorIdiEEZNS1_14transform_implILb0ES3_S5_N6thrust23THRUST_200600_302600_NS6detail15normal_iteratorINS8_7pointerIdNS8_11hip_rocprim5par_tENS8_11use_defaultESE_EEEENSA_INSB_IiSD_SE_SE_EEEEZNS1_13binary_searchIS3_S5_NSA_INS8_10device_ptrIdEEEESG_SI_NS1_16binary_search_opENS9_16wrapped_functionINS8_6system6detail7generic6detail18binary_search_lessEbEEEE10hipError_tPvRmT1_T2_T3_mmT4_T5_P12ihipStream_tbEUlRKdE_EESV_SZ_S10_mS11_S14_bEUlT_E_NS1_11comp_targetILNS1_3genE9ELNS1_11target_archE1100ELNS1_3gpuE3ELNS1_3repE0EEENS1_30default_config_static_selectorELNS0_4arch9wavefront6targetE0EEEvSY_.num_named_barrier, 0
	.set _ZN7rocprim17ROCPRIM_400000_NS6detail17trampoline_kernelINS0_14default_configENS1_29binary_search_config_selectorIdiEEZNS1_14transform_implILb0ES3_S5_N6thrust23THRUST_200600_302600_NS6detail15normal_iteratorINS8_7pointerIdNS8_11hip_rocprim5par_tENS8_11use_defaultESE_EEEENSA_INSB_IiSD_SE_SE_EEEEZNS1_13binary_searchIS3_S5_NSA_INS8_10device_ptrIdEEEESG_SI_NS1_16binary_search_opENS9_16wrapped_functionINS8_6system6detail7generic6detail18binary_search_lessEbEEEE10hipError_tPvRmT1_T2_T3_mmT4_T5_P12ihipStream_tbEUlRKdE_EESV_SZ_S10_mS11_S14_bEUlT_E_NS1_11comp_targetILNS1_3genE9ELNS1_11target_archE1100ELNS1_3gpuE3ELNS1_3repE0EEENS1_30default_config_static_selectorELNS0_4arch9wavefront6targetE0EEEvSY_.private_seg_size, 0
	.set _ZN7rocprim17ROCPRIM_400000_NS6detail17trampoline_kernelINS0_14default_configENS1_29binary_search_config_selectorIdiEEZNS1_14transform_implILb0ES3_S5_N6thrust23THRUST_200600_302600_NS6detail15normal_iteratorINS8_7pointerIdNS8_11hip_rocprim5par_tENS8_11use_defaultESE_EEEENSA_INSB_IiSD_SE_SE_EEEEZNS1_13binary_searchIS3_S5_NSA_INS8_10device_ptrIdEEEESG_SI_NS1_16binary_search_opENS9_16wrapped_functionINS8_6system6detail7generic6detail18binary_search_lessEbEEEE10hipError_tPvRmT1_T2_T3_mmT4_T5_P12ihipStream_tbEUlRKdE_EESV_SZ_S10_mS11_S14_bEUlT_E_NS1_11comp_targetILNS1_3genE9ELNS1_11target_archE1100ELNS1_3gpuE3ELNS1_3repE0EEENS1_30default_config_static_selectorELNS0_4arch9wavefront6targetE0EEEvSY_.uses_vcc, 0
	.set _ZN7rocprim17ROCPRIM_400000_NS6detail17trampoline_kernelINS0_14default_configENS1_29binary_search_config_selectorIdiEEZNS1_14transform_implILb0ES3_S5_N6thrust23THRUST_200600_302600_NS6detail15normal_iteratorINS8_7pointerIdNS8_11hip_rocprim5par_tENS8_11use_defaultESE_EEEENSA_INSB_IiSD_SE_SE_EEEEZNS1_13binary_searchIS3_S5_NSA_INS8_10device_ptrIdEEEESG_SI_NS1_16binary_search_opENS9_16wrapped_functionINS8_6system6detail7generic6detail18binary_search_lessEbEEEE10hipError_tPvRmT1_T2_T3_mmT4_T5_P12ihipStream_tbEUlRKdE_EESV_SZ_S10_mS11_S14_bEUlT_E_NS1_11comp_targetILNS1_3genE9ELNS1_11target_archE1100ELNS1_3gpuE3ELNS1_3repE0EEENS1_30default_config_static_selectorELNS0_4arch9wavefront6targetE0EEEvSY_.uses_flat_scratch, 0
	.set _ZN7rocprim17ROCPRIM_400000_NS6detail17trampoline_kernelINS0_14default_configENS1_29binary_search_config_selectorIdiEEZNS1_14transform_implILb0ES3_S5_N6thrust23THRUST_200600_302600_NS6detail15normal_iteratorINS8_7pointerIdNS8_11hip_rocprim5par_tENS8_11use_defaultESE_EEEENSA_INSB_IiSD_SE_SE_EEEEZNS1_13binary_searchIS3_S5_NSA_INS8_10device_ptrIdEEEESG_SI_NS1_16binary_search_opENS9_16wrapped_functionINS8_6system6detail7generic6detail18binary_search_lessEbEEEE10hipError_tPvRmT1_T2_T3_mmT4_T5_P12ihipStream_tbEUlRKdE_EESV_SZ_S10_mS11_S14_bEUlT_E_NS1_11comp_targetILNS1_3genE9ELNS1_11target_archE1100ELNS1_3gpuE3ELNS1_3repE0EEENS1_30default_config_static_selectorELNS0_4arch9wavefront6targetE0EEEvSY_.has_dyn_sized_stack, 0
	.set _ZN7rocprim17ROCPRIM_400000_NS6detail17trampoline_kernelINS0_14default_configENS1_29binary_search_config_selectorIdiEEZNS1_14transform_implILb0ES3_S5_N6thrust23THRUST_200600_302600_NS6detail15normal_iteratorINS8_7pointerIdNS8_11hip_rocprim5par_tENS8_11use_defaultESE_EEEENSA_INSB_IiSD_SE_SE_EEEEZNS1_13binary_searchIS3_S5_NSA_INS8_10device_ptrIdEEEESG_SI_NS1_16binary_search_opENS9_16wrapped_functionINS8_6system6detail7generic6detail18binary_search_lessEbEEEE10hipError_tPvRmT1_T2_T3_mmT4_T5_P12ihipStream_tbEUlRKdE_EESV_SZ_S10_mS11_S14_bEUlT_E_NS1_11comp_targetILNS1_3genE9ELNS1_11target_archE1100ELNS1_3gpuE3ELNS1_3repE0EEENS1_30default_config_static_selectorELNS0_4arch9wavefront6targetE0EEEvSY_.has_recursion, 0
	.set _ZN7rocprim17ROCPRIM_400000_NS6detail17trampoline_kernelINS0_14default_configENS1_29binary_search_config_selectorIdiEEZNS1_14transform_implILb0ES3_S5_N6thrust23THRUST_200600_302600_NS6detail15normal_iteratorINS8_7pointerIdNS8_11hip_rocprim5par_tENS8_11use_defaultESE_EEEENSA_INSB_IiSD_SE_SE_EEEEZNS1_13binary_searchIS3_S5_NSA_INS8_10device_ptrIdEEEESG_SI_NS1_16binary_search_opENS9_16wrapped_functionINS8_6system6detail7generic6detail18binary_search_lessEbEEEE10hipError_tPvRmT1_T2_T3_mmT4_T5_P12ihipStream_tbEUlRKdE_EESV_SZ_S10_mS11_S14_bEUlT_E_NS1_11comp_targetILNS1_3genE9ELNS1_11target_archE1100ELNS1_3gpuE3ELNS1_3repE0EEENS1_30default_config_static_selectorELNS0_4arch9wavefront6targetE0EEEvSY_.has_indirect_call, 0
	.section	.AMDGPU.csdata,"",@progbits
; Kernel info:
; codeLenInByte = 0
; TotalNumSgprs: 0
; NumVgprs: 0
; ScratchSize: 0
; MemoryBound: 0
; FloatMode: 240
; IeeeMode: 1
; LDSByteSize: 0 bytes/workgroup (compile time only)
; SGPRBlocks: 0
; VGPRBlocks: 0
; NumSGPRsForWavesPerEU: 1
; NumVGPRsForWavesPerEU: 1
; Occupancy: 16
; WaveLimiterHint : 0
; COMPUTE_PGM_RSRC2:SCRATCH_EN: 0
; COMPUTE_PGM_RSRC2:USER_SGPR: 6
; COMPUTE_PGM_RSRC2:TRAP_HANDLER: 0
; COMPUTE_PGM_RSRC2:TGID_X_EN: 1
; COMPUTE_PGM_RSRC2:TGID_Y_EN: 0
; COMPUTE_PGM_RSRC2:TGID_Z_EN: 0
; COMPUTE_PGM_RSRC2:TIDIG_COMP_CNT: 0
	.section	.text._ZN7rocprim17ROCPRIM_400000_NS6detail17trampoline_kernelINS0_14default_configENS1_29binary_search_config_selectorIdiEEZNS1_14transform_implILb0ES3_S5_N6thrust23THRUST_200600_302600_NS6detail15normal_iteratorINS8_7pointerIdNS8_11hip_rocprim5par_tENS8_11use_defaultESE_EEEENSA_INSB_IiSD_SE_SE_EEEEZNS1_13binary_searchIS3_S5_NSA_INS8_10device_ptrIdEEEESG_SI_NS1_16binary_search_opENS9_16wrapped_functionINS8_6system6detail7generic6detail18binary_search_lessEbEEEE10hipError_tPvRmT1_T2_T3_mmT4_T5_P12ihipStream_tbEUlRKdE_EESV_SZ_S10_mS11_S14_bEUlT_E_NS1_11comp_targetILNS1_3genE8ELNS1_11target_archE1030ELNS1_3gpuE2ELNS1_3repE0EEENS1_30default_config_static_selectorELNS0_4arch9wavefront6targetE0EEEvSY_,"axG",@progbits,_ZN7rocprim17ROCPRIM_400000_NS6detail17trampoline_kernelINS0_14default_configENS1_29binary_search_config_selectorIdiEEZNS1_14transform_implILb0ES3_S5_N6thrust23THRUST_200600_302600_NS6detail15normal_iteratorINS8_7pointerIdNS8_11hip_rocprim5par_tENS8_11use_defaultESE_EEEENSA_INSB_IiSD_SE_SE_EEEEZNS1_13binary_searchIS3_S5_NSA_INS8_10device_ptrIdEEEESG_SI_NS1_16binary_search_opENS9_16wrapped_functionINS8_6system6detail7generic6detail18binary_search_lessEbEEEE10hipError_tPvRmT1_T2_T3_mmT4_T5_P12ihipStream_tbEUlRKdE_EESV_SZ_S10_mS11_S14_bEUlT_E_NS1_11comp_targetILNS1_3genE8ELNS1_11target_archE1030ELNS1_3gpuE2ELNS1_3repE0EEENS1_30default_config_static_selectorELNS0_4arch9wavefront6targetE0EEEvSY_,comdat
	.protected	_ZN7rocprim17ROCPRIM_400000_NS6detail17trampoline_kernelINS0_14default_configENS1_29binary_search_config_selectorIdiEEZNS1_14transform_implILb0ES3_S5_N6thrust23THRUST_200600_302600_NS6detail15normal_iteratorINS8_7pointerIdNS8_11hip_rocprim5par_tENS8_11use_defaultESE_EEEENSA_INSB_IiSD_SE_SE_EEEEZNS1_13binary_searchIS3_S5_NSA_INS8_10device_ptrIdEEEESG_SI_NS1_16binary_search_opENS9_16wrapped_functionINS8_6system6detail7generic6detail18binary_search_lessEbEEEE10hipError_tPvRmT1_T2_T3_mmT4_T5_P12ihipStream_tbEUlRKdE_EESV_SZ_S10_mS11_S14_bEUlT_E_NS1_11comp_targetILNS1_3genE8ELNS1_11target_archE1030ELNS1_3gpuE2ELNS1_3repE0EEENS1_30default_config_static_selectorELNS0_4arch9wavefront6targetE0EEEvSY_ ; -- Begin function _ZN7rocprim17ROCPRIM_400000_NS6detail17trampoline_kernelINS0_14default_configENS1_29binary_search_config_selectorIdiEEZNS1_14transform_implILb0ES3_S5_N6thrust23THRUST_200600_302600_NS6detail15normal_iteratorINS8_7pointerIdNS8_11hip_rocprim5par_tENS8_11use_defaultESE_EEEENSA_INSB_IiSD_SE_SE_EEEEZNS1_13binary_searchIS3_S5_NSA_INS8_10device_ptrIdEEEESG_SI_NS1_16binary_search_opENS9_16wrapped_functionINS8_6system6detail7generic6detail18binary_search_lessEbEEEE10hipError_tPvRmT1_T2_T3_mmT4_T5_P12ihipStream_tbEUlRKdE_EESV_SZ_S10_mS11_S14_bEUlT_E_NS1_11comp_targetILNS1_3genE8ELNS1_11target_archE1030ELNS1_3gpuE2ELNS1_3repE0EEENS1_30default_config_static_selectorELNS0_4arch9wavefront6targetE0EEEvSY_
	.globl	_ZN7rocprim17ROCPRIM_400000_NS6detail17trampoline_kernelINS0_14default_configENS1_29binary_search_config_selectorIdiEEZNS1_14transform_implILb0ES3_S5_N6thrust23THRUST_200600_302600_NS6detail15normal_iteratorINS8_7pointerIdNS8_11hip_rocprim5par_tENS8_11use_defaultESE_EEEENSA_INSB_IiSD_SE_SE_EEEEZNS1_13binary_searchIS3_S5_NSA_INS8_10device_ptrIdEEEESG_SI_NS1_16binary_search_opENS9_16wrapped_functionINS8_6system6detail7generic6detail18binary_search_lessEbEEEE10hipError_tPvRmT1_T2_T3_mmT4_T5_P12ihipStream_tbEUlRKdE_EESV_SZ_S10_mS11_S14_bEUlT_E_NS1_11comp_targetILNS1_3genE8ELNS1_11target_archE1030ELNS1_3gpuE2ELNS1_3repE0EEENS1_30default_config_static_selectorELNS0_4arch9wavefront6targetE0EEEvSY_
	.p2align	8
	.type	_ZN7rocprim17ROCPRIM_400000_NS6detail17trampoline_kernelINS0_14default_configENS1_29binary_search_config_selectorIdiEEZNS1_14transform_implILb0ES3_S5_N6thrust23THRUST_200600_302600_NS6detail15normal_iteratorINS8_7pointerIdNS8_11hip_rocprim5par_tENS8_11use_defaultESE_EEEENSA_INSB_IiSD_SE_SE_EEEEZNS1_13binary_searchIS3_S5_NSA_INS8_10device_ptrIdEEEESG_SI_NS1_16binary_search_opENS9_16wrapped_functionINS8_6system6detail7generic6detail18binary_search_lessEbEEEE10hipError_tPvRmT1_T2_T3_mmT4_T5_P12ihipStream_tbEUlRKdE_EESV_SZ_S10_mS11_S14_bEUlT_E_NS1_11comp_targetILNS1_3genE8ELNS1_11target_archE1030ELNS1_3gpuE2ELNS1_3repE0EEENS1_30default_config_static_selectorELNS0_4arch9wavefront6targetE0EEEvSY_,@function
_ZN7rocprim17ROCPRIM_400000_NS6detail17trampoline_kernelINS0_14default_configENS1_29binary_search_config_selectorIdiEEZNS1_14transform_implILb0ES3_S5_N6thrust23THRUST_200600_302600_NS6detail15normal_iteratorINS8_7pointerIdNS8_11hip_rocprim5par_tENS8_11use_defaultESE_EEEENSA_INSB_IiSD_SE_SE_EEEEZNS1_13binary_searchIS3_S5_NSA_INS8_10device_ptrIdEEEESG_SI_NS1_16binary_search_opENS9_16wrapped_functionINS8_6system6detail7generic6detail18binary_search_lessEbEEEE10hipError_tPvRmT1_T2_T3_mmT4_T5_P12ihipStream_tbEUlRKdE_EESV_SZ_S10_mS11_S14_bEUlT_E_NS1_11comp_targetILNS1_3genE8ELNS1_11target_archE1030ELNS1_3gpuE2ELNS1_3repE0EEENS1_30default_config_static_selectorELNS0_4arch9wavefront6targetE0EEEvSY_: ; @_ZN7rocprim17ROCPRIM_400000_NS6detail17trampoline_kernelINS0_14default_configENS1_29binary_search_config_selectorIdiEEZNS1_14transform_implILb0ES3_S5_N6thrust23THRUST_200600_302600_NS6detail15normal_iteratorINS8_7pointerIdNS8_11hip_rocprim5par_tENS8_11use_defaultESE_EEEENSA_INSB_IiSD_SE_SE_EEEEZNS1_13binary_searchIS3_S5_NSA_INS8_10device_ptrIdEEEESG_SI_NS1_16binary_search_opENS9_16wrapped_functionINS8_6system6detail7generic6detail18binary_search_lessEbEEEE10hipError_tPvRmT1_T2_T3_mmT4_T5_P12ihipStream_tbEUlRKdE_EESV_SZ_S10_mS11_S14_bEUlT_E_NS1_11comp_targetILNS1_3genE8ELNS1_11target_archE1030ELNS1_3gpuE2ELNS1_3repE0EEENS1_30default_config_static_selectorELNS0_4arch9wavefront6targetE0EEEvSY_
; %bb.0:
	s_clause 0x3
	s_load_dwordx4 s[0:3], s[4:5], 0x0
	s_load_dword s17, s[4:5], 0x38
	s_load_dwordx2 s[14:15], s[4:5], 0x28
	s_load_dwordx4 s[8:11], s[4:5], 0x18
	s_waitcnt lgkmcnt(0)
	s_lshl_b64 s[12:13], s[2:3], 3
	s_add_u32 s7, s0, s12
	s_addc_u32 s16, s1, s13
	s_add_i32 s17, s17, -1
	s_lshl_b32 s12, s6, 8
	s_mov_b32 s13, 0
	s_cmp_lg_u32 s6, s17
	s_mov_b32 s0, -1
	s_cbranch_scc0 .LBB634_6
; %bb.1:
	v_lshlrev_b32_e32 v1, 3, v0
	s_lshl_b64 s[0:1], s[12:13], 3
	v_mov_b32_e32 v4, 0
	s_add_u32 s0, s7, s0
	s_addc_u32 s1, s16, s1
	v_add_co_u32 v1, s0, s0, v1
	v_add_co_ci_u32_e64 v2, null, s1, 0, s0
	v_mov_b32_e32 v5, 0
	s_cmp_eq_u64 s[14:15], 0
	flat_load_dwordx2 v[2:3], v[1:2]
	v_mov_b32_e32 v1, 0
	s_cbranch_scc1 .LBB634_5
; %bb.2:
	v_mov_b32_e32 v6, s14
	v_mov_b32_e32 v7, s15
	s_mov_b32 s1, 0
	s_inst_prefetch 0x1
	.p2align	6
.LBB634_3:                              ; =>This Inner Loop Header: Depth=1
	v_sub_co_u32 v8, vcc_lo, v6, v4
	v_sub_co_ci_u32_e64 v9, null, v7, v5, vcc_lo
	v_lshrrev_b64 v[10:11], 1, v[8:9]
	v_lshrrev_b64 v[8:9], 6, v[8:9]
	v_add_co_u32 v10, vcc_lo, v10, v4
	v_add_co_ci_u32_e64 v11, null, v11, v5, vcc_lo
	v_add_co_u32 v8, vcc_lo, v10, v8
	v_add_co_ci_u32_e64 v9, null, v11, v9, vcc_lo
	v_lshlrev_b64 v[10:11], 3, v[8:9]
	v_add_co_u32 v10, vcc_lo, s10, v10
	v_add_co_ci_u32_e64 v11, null, s11, v11, vcc_lo
	global_load_dwordx2 v[10:11], v[10:11], off
	s_waitcnt vmcnt(0) lgkmcnt(0)
	v_cmp_lt_f64_e32 vcc_lo, v[10:11], v[2:3]
	v_add_co_u32 v10, s0, v8, 1
	v_add_co_ci_u32_e64 v11, null, 0, v9, s0
	v_cndmask_b32_e32 v7, v9, v7, vcc_lo
	v_cndmask_b32_e32 v6, v8, v6, vcc_lo
	;; [unrolled: 1-line block ×4, first 2 shown]
	v_cmp_ge_u64_e32 vcc_lo, v[4:5], v[6:7]
	s_or_b32 s1, vcc_lo, s1
	s_andn2_b32 exec_lo, exec_lo, s1
	s_cbranch_execnz .LBB634_3
; %bb.4:
	s_inst_prefetch 0x2
	s_or_b32 exec_lo, exec_lo, s1
.LBB634_5:
	v_cmp_eq_u64_e64 s1, s[14:15], v[4:5]
	v_cmp_ne_u64_e64 s6, s[14:15], v[4:5]
	s_branch .LBB634_14
.LBB634_6:
	s_mov_b32 s6, s13
	s_mov_b32 s1, s13
                                        ; implicit-def: $vgpr2_vgpr3
                                        ; implicit-def: $vgpr4_vgpr5
	s_and_b32 vcc_lo, exec_lo, s0
	s_cbranch_vccz .LBB634_14
; %bb.7:
	s_load_dword s0, s[4:5], 0x10
	s_mov_b32 s4, exec_lo
                                        ; implicit-def: $vgpr2_vgpr3
                                        ; implicit-def: $vgpr4_vgpr5
	s_waitcnt lgkmcnt(0)
	s_sub_i32 s0, s0, s12
	v_cmpx_gt_u32_e64 s0, v0
	s_cbranch_execz .LBB634_13
; %bb.8:
	v_lshlrev_b32_e32 v1, 3, v0
	s_lshl_b64 s[18:19], s[12:13], 3
	v_mov_b32_e32 v4, 0
	s_add_u32 s0, s7, s18
	s_addc_u32 s5, s16, s19
	v_add_co_u32 v1, s0, s0, v1
	s_waitcnt vmcnt(0)
	v_add_co_ci_u32_e64 v2, null, s5, 0, s0
	v_mov_b32_e32 v5, 0
	s_cmp_eq_u64 s[14:15], 0
	flat_load_dwordx2 v[2:3], v[1:2]
	v_mov_b32_e32 v1, 0
	s_cbranch_scc1 .LBB634_12
; %bb.9:
	v_mov_b32_e32 v6, s14
	v_mov_b32_e32 v7, s15
	s_mov_b32 s5, 0
	s_inst_prefetch 0x1
	.p2align	6
.LBB634_10:                             ; =>This Inner Loop Header: Depth=1
	v_sub_co_u32 v8, vcc_lo, v6, v4
	v_sub_co_ci_u32_e64 v9, null, v7, v5, vcc_lo
	v_lshrrev_b64 v[10:11], 1, v[8:9]
	v_lshrrev_b64 v[8:9], 6, v[8:9]
	v_add_co_u32 v10, vcc_lo, v10, v4
	v_add_co_ci_u32_e64 v11, null, v11, v5, vcc_lo
	v_add_co_u32 v8, vcc_lo, v10, v8
	v_add_co_ci_u32_e64 v9, null, v11, v9, vcc_lo
	v_lshlrev_b64 v[10:11], 3, v[8:9]
	v_add_co_u32 v10, vcc_lo, s10, v10
	v_add_co_ci_u32_e64 v11, null, s11, v11, vcc_lo
	global_load_dwordx2 v[10:11], v[10:11], off
	s_waitcnt vmcnt(0) lgkmcnt(0)
	v_cmp_lt_f64_e32 vcc_lo, v[10:11], v[2:3]
	v_add_co_u32 v10, s0, v8, 1
	v_add_co_ci_u32_e64 v11, null, 0, v9, s0
	v_cndmask_b32_e32 v7, v9, v7, vcc_lo
	v_cndmask_b32_e32 v6, v8, v6, vcc_lo
	;; [unrolled: 1-line block ×4, first 2 shown]
	v_cmp_ge_u64_e32 vcc_lo, v[4:5], v[6:7]
	s_or_b32 s5, vcc_lo, s5
	s_andn2_b32 exec_lo, exec_lo, s5
	s_cbranch_execnz .LBB634_10
; %bb.11:
	s_inst_prefetch 0x2
	s_or_b32 exec_lo, exec_lo, s5
.LBB634_12:
	v_cmp_eq_u64_e32 vcc_lo, s[14:15], v[4:5]
	v_cmp_ne_u64_e64 s0, s[14:15], v[4:5]
	s_andn2_b32 s1, s1, exec_lo
	s_andn2_b32 s5, s6, exec_lo
	s_and_b32 s6, vcc_lo, exec_lo
	s_and_b32 s0, s0, exec_lo
	s_or_b32 s1, s1, s6
	s_or_b32 s6, s5, s0
.LBB634_13:
	s_or_b32 exec_lo, exec_lo, s4
.LBB634_14:
	v_mov_b32_e32 v6, 0
	s_and_saveexec_b32 s0, s6
	s_cbranch_execnz .LBB634_17
; %bb.15:
	s_or_b32 exec_lo, exec_lo, s0
	s_and_saveexec_b32 s0, s1
	s_cbranch_execnz .LBB634_18
.LBB634_16:
	s_endpgm
.LBB634_17:
	v_lshlrev_b64 v[4:5], 3, v[4:5]
	s_or_b32 s1, s1, exec_lo
	v_add_co_u32 v4, vcc_lo, s10, v4
	v_add_co_ci_u32_e64 v5, null, s11, v5, vcc_lo
	global_load_dwordx2 v[4:5], v[4:5], off
	s_waitcnt vmcnt(0) lgkmcnt(0)
	v_cmp_nlt_f64_e32 vcc_lo, v[2:3], v[4:5]
	v_cndmask_b32_e64 v6, 0, 1, vcc_lo
	s_or_b32 exec_lo, exec_lo, s0
	s_and_saveexec_b32 s0, s1
	s_cbranch_execz .LBB634_16
.LBB634_18:
	s_lshl_b64 s[0:1], s[2:3], 2
	v_lshlrev_b64 v[0:1], 2, v[0:1]
	s_add_u32 s2, s8, s0
	s_addc_u32 s3, s9, s1
	s_lshl_b64 s[0:1], s[12:13], 2
	s_add_u32 s0, s2, s0
	s_addc_u32 s1, s3, s1
	v_add_co_u32 v0, vcc_lo, s0, v0
	v_add_co_ci_u32_e64 v1, null, s1, v1, vcc_lo
	flat_store_dword v[0:1], v6
	s_endpgm
	.section	.rodata,"a",@progbits
	.p2align	6, 0x0
	.amdhsa_kernel _ZN7rocprim17ROCPRIM_400000_NS6detail17trampoline_kernelINS0_14default_configENS1_29binary_search_config_selectorIdiEEZNS1_14transform_implILb0ES3_S5_N6thrust23THRUST_200600_302600_NS6detail15normal_iteratorINS8_7pointerIdNS8_11hip_rocprim5par_tENS8_11use_defaultESE_EEEENSA_INSB_IiSD_SE_SE_EEEEZNS1_13binary_searchIS3_S5_NSA_INS8_10device_ptrIdEEEESG_SI_NS1_16binary_search_opENS9_16wrapped_functionINS8_6system6detail7generic6detail18binary_search_lessEbEEEE10hipError_tPvRmT1_T2_T3_mmT4_T5_P12ihipStream_tbEUlRKdE_EESV_SZ_S10_mS11_S14_bEUlT_E_NS1_11comp_targetILNS1_3genE8ELNS1_11target_archE1030ELNS1_3gpuE2ELNS1_3repE0EEENS1_30default_config_static_selectorELNS0_4arch9wavefront6targetE0EEEvSY_
		.amdhsa_group_segment_fixed_size 0
		.amdhsa_private_segment_fixed_size 0
		.amdhsa_kernarg_size 312
		.amdhsa_user_sgpr_count 6
		.amdhsa_user_sgpr_private_segment_buffer 1
		.amdhsa_user_sgpr_dispatch_ptr 0
		.amdhsa_user_sgpr_queue_ptr 0
		.amdhsa_user_sgpr_kernarg_segment_ptr 1
		.amdhsa_user_sgpr_dispatch_id 0
		.amdhsa_user_sgpr_flat_scratch_init 0
		.amdhsa_user_sgpr_private_segment_size 0
		.amdhsa_wavefront_size32 1
		.amdhsa_uses_dynamic_stack 0
		.amdhsa_system_sgpr_private_segment_wavefront_offset 0
		.amdhsa_system_sgpr_workgroup_id_x 1
		.amdhsa_system_sgpr_workgroup_id_y 0
		.amdhsa_system_sgpr_workgroup_id_z 0
		.amdhsa_system_sgpr_workgroup_info 0
		.amdhsa_system_vgpr_workitem_id 0
		.amdhsa_next_free_vgpr 12
		.amdhsa_next_free_sgpr 20
		.amdhsa_reserve_vcc 1
		.amdhsa_reserve_flat_scratch 0
		.amdhsa_float_round_mode_32 0
		.amdhsa_float_round_mode_16_64 0
		.amdhsa_float_denorm_mode_32 3
		.amdhsa_float_denorm_mode_16_64 3
		.amdhsa_dx10_clamp 1
		.amdhsa_ieee_mode 1
		.amdhsa_fp16_overflow 0
		.amdhsa_workgroup_processor_mode 1
		.amdhsa_memory_ordered 1
		.amdhsa_forward_progress 1
		.amdhsa_shared_vgpr_count 0
		.amdhsa_exception_fp_ieee_invalid_op 0
		.amdhsa_exception_fp_denorm_src 0
		.amdhsa_exception_fp_ieee_div_zero 0
		.amdhsa_exception_fp_ieee_overflow 0
		.amdhsa_exception_fp_ieee_underflow 0
		.amdhsa_exception_fp_ieee_inexact 0
		.amdhsa_exception_int_div_zero 0
	.end_amdhsa_kernel
	.section	.text._ZN7rocprim17ROCPRIM_400000_NS6detail17trampoline_kernelINS0_14default_configENS1_29binary_search_config_selectorIdiEEZNS1_14transform_implILb0ES3_S5_N6thrust23THRUST_200600_302600_NS6detail15normal_iteratorINS8_7pointerIdNS8_11hip_rocprim5par_tENS8_11use_defaultESE_EEEENSA_INSB_IiSD_SE_SE_EEEEZNS1_13binary_searchIS3_S5_NSA_INS8_10device_ptrIdEEEESG_SI_NS1_16binary_search_opENS9_16wrapped_functionINS8_6system6detail7generic6detail18binary_search_lessEbEEEE10hipError_tPvRmT1_T2_T3_mmT4_T5_P12ihipStream_tbEUlRKdE_EESV_SZ_S10_mS11_S14_bEUlT_E_NS1_11comp_targetILNS1_3genE8ELNS1_11target_archE1030ELNS1_3gpuE2ELNS1_3repE0EEENS1_30default_config_static_selectorELNS0_4arch9wavefront6targetE0EEEvSY_,"axG",@progbits,_ZN7rocprim17ROCPRIM_400000_NS6detail17trampoline_kernelINS0_14default_configENS1_29binary_search_config_selectorIdiEEZNS1_14transform_implILb0ES3_S5_N6thrust23THRUST_200600_302600_NS6detail15normal_iteratorINS8_7pointerIdNS8_11hip_rocprim5par_tENS8_11use_defaultESE_EEEENSA_INSB_IiSD_SE_SE_EEEEZNS1_13binary_searchIS3_S5_NSA_INS8_10device_ptrIdEEEESG_SI_NS1_16binary_search_opENS9_16wrapped_functionINS8_6system6detail7generic6detail18binary_search_lessEbEEEE10hipError_tPvRmT1_T2_T3_mmT4_T5_P12ihipStream_tbEUlRKdE_EESV_SZ_S10_mS11_S14_bEUlT_E_NS1_11comp_targetILNS1_3genE8ELNS1_11target_archE1030ELNS1_3gpuE2ELNS1_3repE0EEENS1_30default_config_static_selectorELNS0_4arch9wavefront6targetE0EEEvSY_,comdat
.Lfunc_end634:
	.size	_ZN7rocprim17ROCPRIM_400000_NS6detail17trampoline_kernelINS0_14default_configENS1_29binary_search_config_selectorIdiEEZNS1_14transform_implILb0ES3_S5_N6thrust23THRUST_200600_302600_NS6detail15normal_iteratorINS8_7pointerIdNS8_11hip_rocprim5par_tENS8_11use_defaultESE_EEEENSA_INSB_IiSD_SE_SE_EEEEZNS1_13binary_searchIS3_S5_NSA_INS8_10device_ptrIdEEEESG_SI_NS1_16binary_search_opENS9_16wrapped_functionINS8_6system6detail7generic6detail18binary_search_lessEbEEEE10hipError_tPvRmT1_T2_T3_mmT4_T5_P12ihipStream_tbEUlRKdE_EESV_SZ_S10_mS11_S14_bEUlT_E_NS1_11comp_targetILNS1_3genE8ELNS1_11target_archE1030ELNS1_3gpuE2ELNS1_3repE0EEENS1_30default_config_static_selectorELNS0_4arch9wavefront6targetE0EEEvSY_, .Lfunc_end634-_ZN7rocprim17ROCPRIM_400000_NS6detail17trampoline_kernelINS0_14default_configENS1_29binary_search_config_selectorIdiEEZNS1_14transform_implILb0ES3_S5_N6thrust23THRUST_200600_302600_NS6detail15normal_iteratorINS8_7pointerIdNS8_11hip_rocprim5par_tENS8_11use_defaultESE_EEEENSA_INSB_IiSD_SE_SE_EEEEZNS1_13binary_searchIS3_S5_NSA_INS8_10device_ptrIdEEEESG_SI_NS1_16binary_search_opENS9_16wrapped_functionINS8_6system6detail7generic6detail18binary_search_lessEbEEEE10hipError_tPvRmT1_T2_T3_mmT4_T5_P12ihipStream_tbEUlRKdE_EESV_SZ_S10_mS11_S14_bEUlT_E_NS1_11comp_targetILNS1_3genE8ELNS1_11target_archE1030ELNS1_3gpuE2ELNS1_3repE0EEENS1_30default_config_static_selectorELNS0_4arch9wavefront6targetE0EEEvSY_
                                        ; -- End function
	.set _ZN7rocprim17ROCPRIM_400000_NS6detail17trampoline_kernelINS0_14default_configENS1_29binary_search_config_selectorIdiEEZNS1_14transform_implILb0ES3_S5_N6thrust23THRUST_200600_302600_NS6detail15normal_iteratorINS8_7pointerIdNS8_11hip_rocprim5par_tENS8_11use_defaultESE_EEEENSA_INSB_IiSD_SE_SE_EEEEZNS1_13binary_searchIS3_S5_NSA_INS8_10device_ptrIdEEEESG_SI_NS1_16binary_search_opENS9_16wrapped_functionINS8_6system6detail7generic6detail18binary_search_lessEbEEEE10hipError_tPvRmT1_T2_T3_mmT4_T5_P12ihipStream_tbEUlRKdE_EESV_SZ_S10_mS11_S14_bEUlT_E_NS1_11comp_targetILNS1_3genE8ELNS1_11target_archE1030ELNS1_3gpuE2ELNS1_3repE0EEENS1_30default_config_static_selectorELNS0_4arch9wavefront6targetE0EEEvSY_.num_vgpr, 12
	.set _ZN7rocprim17ROCPRIM_400000_NS6detail17trampoline_kernelINS0_14default_configENS1_29binary_search_config_selectorIdiEEZNS1_14transform_implILb0ES3_S5_N6thrust23THRUST_200600_302600_NS6detail15normal_iteratorINS8_7pointerIdNS8_11hip_rocprim5par_tENS8_11use_defaultESE_EEEENSA_INSB_IiSD_SE_SE_EEEEZNS1_13binary_searchIS3_S5_NSA_INS8_10device_ptrIdEEEESG_SI_NS1_16binary_search_opENS9_16wrapped_functionINS8_6system6detail7generic6detail18binary_search_lessEbEEEE10hipError_tPvRmT1_T2_T3_mmT4_T5_P12ihipStream_tbEUlRKdE_EESV_SZ_S10_mS11_S14_bEUlT_E_NS1_11comp_targetILNS1_3genE8ELNS1_11target_archE1030ELNS1_3gpuE2ELNS1_3repE0EEENS1_30default_config_static_selectorELNS0_4arch9wavefront6targetE0EEEvSY_.num_agpr, 0
	.set _ZN7rocprim17ROCPRIM_400000_NS6detail17trampoline_kernelINS0_14default_configENS1_29binary_search_config_selectorIdiEEZNS1_14transform_implILb0ES3_S5_N6thrust23THRUST_200600_302600_NS6detail15normal_iteratorINS8_7pointerIdNS8_11hip_rocprim5par_tENS8_11use_defaultESE_EEEENSA_INSB_IiSD_SE_SE_EEEEZNS1_13binary_searchIS3_S5_NSA_INS8_10device_ptrIdEEEESG_SI_NS1_16binary_search_opENS9_16wrapped_functionINS8_6system6detail7generic6detail18binary_search_lessEbEEEE10hipError_tPvRmT1_T2_T3_mmT4_T5_P12ihipStream_tbEUlRKdE_EESV_SZ_S10_mS11_S14_bEUlT_E_NS1_11comp_targetILNS1_3genE8ELNS1_11target_archE1030ELNS1_3gpuE2ELNS1_3repE0EEENS1_30default_config_static_selectorELNS0_4arch9wavefront6targetE0EEEvSY_.numbered_sgpr, 20
	.set _ZN7rocprim17ROCPRIM_400000_NS6detail17trampoline_kernelINS0_14default_configENS1_29binary_search_config_selectorIdiEEZNS1_14transform_implILb0ES3_S5_N6thrust23THRUST_200600_302600_NS6detail15normal_iteratorINS8_7pointerIdNS8_11hip_rocprim5par_tENS8_11use_defaultESE_EEEENSA_INSB_IiSD_SE_SE_EEEEZNS1_13binary_searchIS3_S5_NSA_INS8_10device_ptrIdEEEESG_SI_NS1_16binary_search_opENS9_16wrapped_functionINS8_6system6detail7generic6detail18binary_search_lessEbEEEE10hipError_tPvRmT1_T2_T3_mmT4_T5_P12ihipStream_tbEUlRKdE_EESV_SZ_S10_mS11_S14_bEUlT_E_NS1_11comp_targetILNS1_3genE8ELNS1_11target_archE1030ELNS1_3gpuE2ELNS1_3repE0EEENS1_30default_config_static_selectorELNS0_4arch9wavefront6targetE0EEEvSY_.num_named_barrier, 0
	.set _ZN7rocprim17ROCPRIM_400000_NS6detail17trampoline_kernelINS0_14default_configENS1_29binary_search_config_selectorIdiEEZNS1_14transform_implILb0ES3_S5_N6thrust23THRUST_200600_302600_NS6detail15normal_iteratorINS8_7pointerIdNS8_11hip_rocprim5par_tENS8_11use_defaultESE_EEEENSA_INSB_IiSD_SE_SE_EEEEZNS1_13binary_searchIS3_S5_NSA_INS8_10device_ptrIdEEEESG_SI_NS1_16binary_search_opENS9_16wrapped_functionINS8_6system6detail7generic6detail18binary_search_lessEbEEEE10hipError_tPvRmT1_T2_T3_mmT4_T5_P12ihipStream_tbEUlRKdE_EESV_SZ_S10_mS11_S14_bEUlT_E_NS1_11comp_targetILNS1_3genE8ELNS1_11target_archE1030ELNS1_3gpuE2ELNS1_3repE0EEENS1_30default_config_static_selectorELNS0_4arch9wavefront6targetE0EEEvSY_.private_seg_size, 0
	.set _ZN7rocprim17ROCPRIM_400000_NS6detail17trampoline_kernelINS0_14default_configENS1_29binary_search_config_selectorIdiEEZNS1_14transform_implILb0ES3_S5_N6thrust23THRUST_200600_302600_NS6detail15normal_iteratorINS8_7pointerIdNS8_11hip_rocprim5par_tENS8_11use_defaultESE_EEEENSA_INSB_IiSD_SE_SE_EEEEZNS1_13binary_searchIS3_S5_NSA_INS8_10device_ptrIdEEEESG_SI_NS1_16binary_search_opENS9_16wrapped_functionINS8_6system6detail7generic6detail18binary_search_lessEbEEEE10hipError_tPvRmT1_T2_T3_mmT4_T5_P12ihipStream_tbEUlRKdE_EESV_SZ_S10_mS11_S14_bEUlT_E_NS1_11comp_targetILNS1_3genE8ELNS1_11target_archE1030ELNS1_3gpuE2ELNS1_3repE0EEENS1_30default_config_static_selectorELNS0_4arch9wavefront6targetE0EEEvSY_.uses_vcc, 1
	.set _ZN7rocprim17ROCPRIM_400000_NS6detail17trampoline_kernelINS0_14default_configENS1_29binary_search_config_selectorIdiEEZNS1_14transform_implILb0ES3_S5_N6thrust23THRUST_200600_302600_NS6detail15normal_iteratorINS8_7pointerIdNS8_11hip_rocprim5par_tENS8_11use_defaultESE_EEEENSA_INSB_IiSD_SE_SE_EEEEZNS1_13binary_searchIS3_S5_NSA_INS8_10device_ptrIdEEEESG_SI_NS1_16binary_search_opENS9_16wrapped_functionINS8_6system6detail7generic6detail18binary_search_lessEbEEEE10hipError_tPvRmT1_T2_T3_mmT4_T5_P12ihipStream_tbEUlRKdE_EESV_SZ_S10_mS11_S14_bEUlT_E_NS1_11comp_targetILNS1_3genE8ELNS1_11target_archE1030ELNS1_3gpuE2ELNS1_3repE0EEENS1_30default_config_static_selectorELNS0_4arch9wavefront6targetE0EEEvSY_.uses_flat_scratch, 0
	.set _ZN7rocprim17ROCPRIM_400000_NS6detail17trampoline_kernelINS0_14default_configENS1_29binary_search_config_selectorIdiEEZNS1_14transform_implILb0ES3_S5_N6thrust23THRUST_200600_302600_NS6detail15normal_iteratorINS8_7pointerIdNS8_11hip_rocprim5par_tENS8_11use_defaultESE_EEEENSA_INSB_IiSD_SE_SE_EEEEZNS1_13binary_searchIS3_S5_NSA_INS8_10device_ptrIdEEEESG_SI_NS1_16binary_search_opENS9_16wrapped_functionINS8_6system6detail7generic6detail18binary_search_lessEbEEEE10hipError_tPvRmT1_T2_T3_mmT4_T5_P12ihipStream_tbEUlRKdE_EESV_SZ_S10_mS11_S14_bEUlT_E_NS1_11comp_targetILNS1_3genE8ELNS1_11target_archE1030ELNS1_3gpuE2ELNS1_3repE0EEENS1_30default_config_static_selectorELNS0_4arch9wavefront6targetE0EEEvSY_.has_dyn_sized_stack, 0
	.set _ZN7rocprim17ROCPRIM_400000_NS6detail17trampoline_kernelINS0_14default_configENS1_29binary_search_config_selectorIdiEEZNS1_14transform_implILb0ES3_S5_N6thrust23THRUST_200600_302600_NS6detail15normal_iteratorINS8_7pointerIdNS8_11hip_rocprim5par_tENS8_11use_defaultESE_EEEENSA_INSB_IiSD_SE_SE_EEEEZNS1_13binary_searchIS3_S5_NSA_INS8_10device_ptrIdEEEESG_SI_NS1_16binary_search_opENS9_16wrapped_functionINS8_6system6detail7generic6detail18binary_search_lessEbEEEE10hipError_tPvRmT1_T2_T3_mmT4_T5_P12ihipStream_tbEUlRKdE_EESV_SZ_S10_mS11_S14_bEUlT_E_NS1_11comp_targetILNS1_3genE8ELNS1_11target_archE1030ELNS1_3gpuE2ELNS1_3repE0EEENS1_30default_config_static_selectorELNS0_4arch9wavefront6targetE0EEEvSY_.has_recursion, 0
	.set _ZN7rocprim17ROCPRIM_400000_NS6detail17trampoline_kernelINS0_14default_configENS1_29binary_search_config_selectorIdiEEZNS1_14transform_implILb0ES3_S5_N6thrust23THRUST_200600_302600_NS6detail15normal_iteratorINS8_7pointerIdNS8_11hip_rocprim5par_tENS8_11use_defaultESE_EEEENSA_INSB_IiSD_SE_SE_EEEEZNS1_13binary_searchIS3_S5_NSA_INS8_10device_ptrIdEEEESG_SI_NS1_16binary_search_opENS9_16wrapped_functionINS8_6system6detail7generic6detail18binary_search_lessEbEEEE10hipError_tPvRmT1_T2_T3_mmT4_T5_P12ihipStream_tbEUlRKdE_EESV_SZ_S10_mS11_S14_bEUlT_E_NS1_11comp_targetILNS1_3genE8ELNS1_11target_archE1030ELNS1_3gpuE2ELNS1_3repE0EEENS1_30default_config_static_selectorELNS0_4arch9wavefront6targetE0EEEvSY_.has_indirect_call, 0
	.section	.AMDGPU.csdata,"",@progbits
; Kernel info:
; codeLenInByte = 864
; TotalNumSgprs: 22
; NumVgprs: 12
; ScratchSize: 0
; MemoryBound: 0
; FloatMode: 240
; IeeeMode: 1
; LDSByteSize: 0 bytes/workgroup (compile time only)
; SGPRBlocks: 0
; VGPRBlocks: 1
; NumSGPRsForWavesPerEU: 22
; NumVGPRsForWavesPerEU: 12
; Occupancy: 16
; WaveLimiterHint : 0
; COMPUTE_PGM_RSRC2:SCRATCH_EN: 0
; COMPUTE_PGM_RSRC2:USER_SGPR: 6
; COMPUTE_PGM_RSRC2:TRAP_HANDLER: 0
; COMPUTE_PGM_RSRC2:TGID_X_EN: 1
; COMPUTE_PGM_RSRC2:TGID_Y_EN: 0
; COMPUTE_PGM_RSRC2:TGID_Z_EN: 0
; COMPUTE_PGM_RSRC2:TIDIG_COMP_CNT: 0
	.section	.text._ZN7rocprim17ROCPRIM_400000_NS6detail17trampoline_kernelINS0_14default_configENS1_29binary_search_config_selectorIfiEEZNS1_14transform_implILb0ES3_S5_N6thrust23THRUST_200600_302600_NS6detail15normal_iteratorINS8_7pointerIfNS8_11hip_rocprim16par_det_nosync_tENS8_11use_defaultESE_EEEENSA_INSB_IiSD_SE_SE_EEEEZNS1_13binary_searchIS3_S5_NSA_INS8_10device_ptrIfEEEESG_SI_NS1_16binary_search_opENS9_16wrapped_functionINS8_6system6detail7generic6detail18binary_search_lessEbEEEE10hipError_tPvRmT1_T2_T3_mmT4_T5_P12ihipStream_tbEUlRKfE_EESV_SZ_S10_mS11_S14_bEUlT_E_NS1_11comp_targetILNS1_3genE0ELNS1_11target_archE4294967295ELNS1_3gpuE0ELNS1_3repE0EEENS1_30default_config_static_selectorELNS0_4arch9wavefront6targetE0EEEvSY_,"axG",@progbits,_ZN7rocprim17ROCPRIM_400000_NS6detail17trampoline_kernelINS0_14default_configENS1_29binary_search_config_selectorIfiEEZNS1_14transform_implILb0ES3_S5_N6thrust23THRUST_200600_302600_NS6detail15normal_iteratorINS8_7pointerIfNS8_11hip_rocprim16par_det_nosync_tENS8_11use_defaultESE_EEEENSA_INSB_IiSD_SE_SE_EEEEZNS1_13binary_searchIS3_S5_NSA_INS8_10device_ptrIfEEEESG_SI_NS1_16binary_search_opENS9_16wrapped_functionINS8_6system6detail7generic6detail18binary_search_lessEbEEEE10hipError_tPvRmT1_T2_T3_mmT4_T5_P12ihipStream_tbEUlRKfE_EESV_SZ_S10_mS11_S14_bEUlT_E_NS1_11comp_targetILNS1_3genE0ELNS1_11target_archE4294967295ELNS1_3gpuE0ELNS1_3repE0EEENS1_30default_config_static_selectorELNS0_4arch9wavefront6targetE0EEEvSY_,comdat
	.protected	_ZN7rocprim17ROCPRIM_400000_NS6detail17trampoline_kernelINS0_14default_configENS1_29binary_search_config_selectorIfiEEZNS1_14transform_implILb0ES3_S5_N6thrust23THRUST_200600_302600_NS6detail15normal_iteratorINS8_7pointerIfNS8_11hip_rocprim16par_det_nosync_tENS8_11use_defaultESE_EEEENSA_INSB_IiSD_SE_SE_EEEEZNS1_13binary_searchIS3_S5_NSA_INS8_10device_ptrIfEEEESG_SI_NS1_16binary_search_opENS9_16wrapped_functionINS8_6system6detail7generic6detail18binary_search_lessEbEEEE10hipError_tPvRmT1_T2_T3_mmT4_T5_P12ihipStream_tbEUlRKfE_EESV_SZ_S10_mS11_S14_bEUlT_E_NS1_11comp_targetILNS1_3genE0ELNS1_11target_archE4294967295ELNS1_3gpuE0ELNS1_3repE0EEENS1_30default_config_static_selectorELNS0_4arch9wavefront6targetE0EEEvSY_ ; -- Begin function _ZN7rocprim17ROCPRIM_400000_NS6detail17trampoline_kernelINS0_14default_configENS1_29binary_search_config_selectorIfiEEZNS1_14transform_implILb0ES3_S5_N6thrust23THRUST_200600_302600_NS6detail15normal_iteratorINS8_7pointerIfNS8_11hip_rocprim16par_det_nosync_tENS8_11use_defaultESE_EEEENSA_INSB_IiSD_SE_SE_EEEEZNS1_13binary_searchIS3_S5_NSA_INS8_10device_ptrIfEEEESG_SI_NS1_16binary_search_opENS9_16wrapped_functionINS8_6system6detail7generic6detail18binary_search_lessEbEEEE10hipError_tPvRmT1_T2_T3_mmT4_T5_P12ihipStream_tbEUlRKfE_EESV_SZ_S10_mS11_S14_bEUlT_E_NS1_11comp_targetILNS1_3genE0ELNS1_11target_archE4294967295ELNS1_3gpuE0ELNS1_3repE0EEENS1_30default_config_static_selectorELNS0_4arch9wavefront6targetE0EEEvSY_
	.globl	_ZN7rocprim17ROCPRIM_400000_NS6detail17trampoline_kernelINS0_14default_configENS1_29binary_search_config_selectorIfiEEZNS1_14transform_implILb0ES3_S5_N6thrust23THRUST_200600_302600_NS6detail15normal_iteratorINS8_7pointerIfNS8_11hip_rocprim16par_det_nosync_tENS8_11use_defaultESE_EEEENSA_INSB_IiSD_SE_SE_EEEEZNS1_13binary_searchIS3_S5_NSA_INS8_10device_ptrIfEEEESG_SI_NS1_16binary_search_opENS9_16wrapped_functionINS8_6system6detail7generic6detail18binary_search_lessEbEEEE10hipError_tPvRmT1_T2_T3_mmT4_T5_P12ihipStream_tbEUlRKfE_EESV_SZ_S10_mS11_S14_bEUlT_E_NS1_11comp_targetILNS1_3genE0ELNS1_11target_archE4294967295ELNS1_3gpuE0ELNS1_3repE0EEENS1_30default_config_static_selectorELNS0_4arch9wavefront6targetE0EEEvSY_
	.p2align	8
	.type	_ZN7rocprim17ROCPRIM_400000_NS6detail17trampoline_kernelINS0_14default_configENS1_29binary_search_config_selectorIfiEEZNS1_14transform_implILb0ES3_S5_N6thrust23THRUST_200600_302600_NS6detail15normal_iteratorINS8_7pointerIfNS8_11hip_rocprim16par_det_nosync_tENS8_11use_defaultESE_EEEENSA_INSB_IiSD_SE_SE_EEEEZNS1_13binary_searchIS3_S5_NSA_INS8_10device_ptrIfEEEESG_SI_NS1_16binary_search_opENS9_16wrapped_functionINS8_6system6detail7generic6detail18binary_search_lessEbEEEE10hipError_tPvRmT1_T2_T3_mmT4_T5_P12ihipStream_tbEUlRKfE_EESV_SZ_S10_mS11_S14_bEUlT_E_NS1_11comp_targetILNS1_3genE0ELNS1_11target_archE4294967295ELNS1_3gpuE0ELNS1_3repE0EEENS1_30default_config_static_selectorELNS0_4arch9wavefront6targetE0EEEvSY_,@function
_ZN7rocprim17ROCPRIM_400000_NS6detail17trampoline_kernelINS0_14default_configENS1_29binary_search_config_selectorIfiEEZNS1_14transform_implILb0ES3_S5_N6thrust23THRUST_200600_302600_NS6detail15normal_iteratorINS8_7pointerIfNS8_11hip_rocprim16par_det_nosync_tENS8_11use_defaultESE_EEEENSA_INSB_IiSD_SE_SE_EEEEZNS1_13binary_searchIS3_S5_NSA_INS8_10device_ptrIfEEEESG_SI_NS1_16binary_search_opENS9_16wrapped_functionINS8_6system6detail7generic6detail18binary_search_lessEbEEEE10hipError_tPvRmT1_T2_T3_mmT4_T5_P12ihipStream_tbEUlRKfE_EESV_SZ_S10_mS11_S14_bEUlT_E_NS1_11comp_targetILNS1_3genE0ELNS1_11target_archE4294967295ELNS1_3gpuE0ELNS1_3repE0EEENS1_30default_config_static_selectorELNS0_4arch9wavefront6targetE0EEEvSY_: ; @_ZN7rocprim17ROCPRIM_400000_NS6detail17trampoline_kernelINS0_14default_configENS1_29binary_search_config_selectorIfiEEZNS1_14transform_implILb0ES3_S5_N6thrust23THRUST_200600_302600_NS6detail15normal_iteratorINS8_7pointerIfNS8_11hip_rocprim16par_det_nosync_tENS8_11use_defaultESE_EEEENSA_INSB_IiSD_SE_SE_EEEEZNS1_13binary_searchIS3_S5_NSA_INS8_10device_ptrIfEEEESG_SI_NS1_16binary_search_opENS9_16wrapped_functionINS8_6system6detail7generic6detail18binary_search_lessEbEEEE10hipError_tPvRmT1_T2_T3_mmT4_T5_P12ihipStream_tbEUlRKfE_EESV_SZ_S10_mS11_S14_bEUlT_E_NS1_11comp_targetILNS1_3genE0ELNS1_11target_archE4294967295ELNS1_3gpuE0ELNS1_3repE0EEENS1_30default_config_static_selectorELNS0_4arch9wavefront6targetE0EEEvSY_
; %bb.0:
	.section	.rodata,"a",@progbits
	.p2align	6, 0x0
	.amdhsa_kernel _ZN7rocprim17ROCPRIM_400000_NS6detail17trampoline_kernelINS0_14default_configENS1_29binary_search_config_selectorIfiEEZNS1_14transform_implILb0ES3_S5_N6thrust23THRUST_200600_302600_NS6detail15normal_iteratorINS8_7pointerIfNS8_11hip_rocprim16par_det_nosync_tENS8_11use_defaultESE_EEEENSA_INSB_IiSD_SE_SE_EEEEZNS1_13binary_searchIS3_S5_NSA_INS8_10device_ptrIfEEEESG_SI_NS1_16binary_search_opENS9_16wrapped_functionINS8_6system6detail7generic6detail18binary_search_lessEbEEEE10hipError_tPvRmT1_T2_T3_mmT4_T5_P12ihipStream_tbEUlRKfE_EESV_SZ_S10_mS11_S14_bEUlT_E_NS1_11comp_targetILNS1_3genE0ELNS1_11target_archE4294967295ELNS1_3gpuE0ELNS1_3repE0EEENS1_30default_config_static_selectorELNS0_4arch9wavefront6targetE0EEEvSY_
		.amdhsa_group_segment_fixed_size 0
		.amdhsa_private_segment_fixed_size 0
		.amdhsa_kernarg_size 56
		.amdhsa_user_sgpr_count 6
		.amdhsa_user_sgpr_private_segment_buffer 1
		.amdhsa_user_sgpr_dispatch_ptr 0
		.amdhsa_user_sgpr_queue_ptr 0
		.amdhsa_user_sgpr_kernarg_segment_ptr 1
		.amdhsa_user_sgpr_dispatch_id 0
		.amdhsa_user_sgpr_flat_scratch_init 0
		.amdhsa_user_sgpr_private_segment_size 0
		.amdhsa_wavefront_size32 1
		.amdhsa_uses_dynamic_stack 0
		.amdhsa_system_sgpr_private_segment_wavefront_offset 0
		.amdhsa_system_sgpr_workgroup_id_x 1
		.amdhsa_system_sgpr_workgroup_id_y 0
		.amdhsa_system_sgpr_workgroup_id_z 0
		.amdhsa_system_sgpr_workgroup_info 0
		.amdhsa_system_vgpr_workitem_id 0
		.amdhsa_next_free_vgpr 1
		.amdhsa_next_free_sgpr 1
		.amdhsa_reserve_vcc 0
		.amdhsa_reserve_flat_scratch 0
		.amdhsa_float_round_mode_32 0
		.amdhsa_float_round_mode_16_64 0
		.amdhsa_float_denorm_mode_32 3
		.amdhsa_float_denorm_mode_16_64 3
		.amdhsa_dx10_clamp 1
		.amdhsa_ieee_mode 1
		.amdhsa_fp16_overflow 0
		.amdhsa_workgroup_processor_mode 1
		.amdhsa_memory_ordered 1
		.amdhsa_forward_progress 1
		.amdhsa_shared_vgpr_count 0
		.amdhsa_exception_fp_ieee_invalid_op 0
		.amdhsa_exception_fp_denorm_src 0
		.amdhsa_exception_fp_ieee_div_zero 0
		.amdhsa_exception_fp_ieee_overflow 0
		.amdhsa_exception_fp_ieee_underflow 0
		.amdhsa_exception_fp_ieee_inexact 0
		.amdhsa_exception_int_div_zero 0
	.end_amdhsa_kernel
	.section	.text._ZN7rocprim17ROCPRIM_400000_NS6detail17trampoline_kernelINS0_14default_configENS1_29binary_search_config_selectorIfiEEZNS1_14transform_implILb0ES3_S5_N6thrust23THRUST_200600_302600_NS6detail15normal_iteratorINS8_7pointerIfNS8_11hip_rocprim16par_det_nosync_tENS8_11use_defaultESE_EEEENSA_INSB_IiSD_SE_SE_EEEEZNS1_13binary_searchIS3_S5_NSA_INS8_10device_ptrIfEEEESG_SI_NS1_16binary_search_opENS9_16wrapped_functionINS8_6system6detail7generic6detail18binary_search_lessEbEEEE10hipError_tPvRmT1_T2_T3_mmT4_T5_P12ihipStream_tbEUlRKfE_EESV_SZ_S10_mS11_S14_bEUlT_E_NS1_11comp_targetILNS1_3genE0ELNS1_11target_archE4294967295ELNS1_3gpuE0ELNS1_3repE0EEENS1_30default_config_static_selectorELNS0_4arch9wavefront6targetE0EEEvSY_,"axG",@progbits,_ZN7rocprim17ROCPRIM_400000_NS6detail17trampoline_kernelINS0_14default_configENS1_29binary_search_config_selectorIfiEEZNS1_14transform_implILb0ES3_S5_N6thrust23THRUST_200600_302600_NS6detail15normal_iteratorINS8_7pointerIfNS8_11hip_rocprim16par_det_nosync_tENS8_11use_defaultESE_EEEENSA_INSB_IiSD_SE_SE_EEEEZNS1_13binary_searchIS3_S5_NSA_INS8_10device_ptrIfEEEESG_SI_NS1_16binary_search_opENS9_16wrapped_functionINS8_6system6detail7generic6detail18binary_search_lessEbEEEE10hipError_tPvRmT1_T2_T3_mmT4_T5_P12ihipStream_tbEUlRKfE_EESV_SZ_S10_mS11_S14_bEUlT_E_NS1_11comp_targetILNS1_3genE0ELNS1_11target_archE4294967295ELNS1_3gpuE0ELNS1_3repE0EEENS1_30default_config_static_selectorELNS0_4arch9wavefront6targetE0EEEvSY_,comdat
.Lfunc_end635:
	.size	_ZN7rocprim17ROCPRIM_400000_NS6detail17trampoline_kernelINS0_14default_configENS1_29binary_search_config_selectorIfiEEZNS1_14transform_implILb0ES3_S5_N6thrust23THRUST_200600_302600_NS6detail15normal_iteratorINS8_7pointerIfNS8_11hip_rocprim16par_det_nosync_tENS8_11use_defaultESE_EEEENSA_INSB_IiSD_SE_SE_EEEEZNS1_13binary_searchIS3_S5_NSA_INS8_10device_ptrIfEEEESG_SI_NS1_16binary_search_opENS9_16wrapped_functionINS8_6system6detail7generic6detail18binary_search_lessEbEEEE10hipError_tPvRmT1_T2_T3_mmT4_T5_P12ihipStream_tbEUlRKfE_EESV_SZ_S10_mS11_S14_bEUlT_E_NS1_11comp_targetILNS1_3genE0ELNS1_11target_archE4294967295ELNS1_3gpuE0ELNS1_3repE0EEENS1_30default_config_static_selectorELNS0_4arch9wavefront6targetE0EEEvSY_, .Lfunc_end635-_ZN7rocprim17ROCPRIM_400000_NS6detail17trampoline_kernelINS0_14default_configENS1_29binary_search_config_selectorIfiEEZNS1_14transform_implILb0ES3_S5_N6thrust23THRUST_200600_302600_NS6detail15normal_iteratorINS8_7pointerIfNS8_11hip_rocprim16par_det_nosync_tENS8_11use_defaultESE_EEEENSA_INSB_IiSD_SE_SE_EEEEZNS1_13binary_searchIS3_S5_NSA_INS8_10device_ptrIfEEEESG_SI_NS1_16binary_search_opENS9_16wrapped_functionINS8_6system6detail7generic6detail18binary_search_lessEbEEEE10hipError_tPvRmT1_T2_T3_mmT4_T5_P12ihipStream_tbEUlRKfE_EESV_SZ_S10_mS11_S14_bEUlT_E_NS1_11comp_targetILNS1_3genE0ELNS1_11target_archE4294967295ELNS1_3gpuE0ELNS1_3repE0EEENS1_30default_config_static_selectorELNS0_4arch9wavefront6targetE0EEEvSY_
                                        ; -- End function
	.set _ZN7rocprim17ROCPRIM_400000_NS6detail17trampoline_kernelINS0_14default_configENS1_29binary_search_config_selectorIfiEEZNS1_14transform_implILb0ES3_S5_N6thrust23THRUST_200600_302600_NS6detail15normal_iteratorINS8_7pointerIfNS8_11hip_rocprim16par_det_nosync_tENS8_11use_defaultESE_EEEENSA_INSB_IiSD_SE_SE_EEEEZNS1_13binary_searchIS3_S5_NSA_INS8_10device_ptrIfEEEESG_SI_NS1_16binary_search_opENS9_16wrapped_functionINS8_6system6detail7generic6detail18binary_search_lessEbEEEE10hipError_tPvRmT1_T2_T3_mmT4_T5_P12ihipStream_tbEUlRKfE_EESV_SZ_S10_mS11_S14_bEUlT_E_NS1_11comp_targetILNS1_3genE0ELNS1_11target_archE4294967295ELNS1_3gpuE0ELNS1_3repE0EEENS1_30default_config_static_selectorELNS0_4arch9wavefront6targetE0EEEvSY_.num_vgpr, 0
	.set _ZN7rocprim17ROCPRIM_400000_NS6detail17trampoline_kernelINS0_14default_configENS1_29binary_search_config_selectorIfiEEZNS1_14transform_implILb0ES3_S5_N6thrust23THRUST_200600_302600_NS6detail15normal_iteratorINS8_7pointerIfNS8_11hip_rocprim16par_det_nosync_tENS8_11use_defaultESE_EEEENSA_INSB_IiSD_SE_SE_EEEEZNS1_13binary_searchIS3_S5_NSA_INS8_10device_ptrIfEEEESG_SI_NS1_16binary_search_opENS9_16wrapped_functionINS8_6system6detail7generic6detail18binary_search_lessEbEEEE10hipError_tPvRmT1_T2_T3_mmT4_T5_P12ihipStream_tbEUlRKfE_EESV_SZ_S10_mS11_S14_bEUlT_E_NS1_11comp_targetILNS1_3genE0ELNS1_11target_archE4294967295ELNS1_3gpuE0ELNS1_3repE0EEENS1_30default_config_static_selectorELNS0_4arch9wavefront6targetE0EEEvSY_.num_agpr, 0
	.set _ZN7rocprim17ROCPRIM_400000_NS6detail17trampoline_kernelINS0_14default_configENS1_29binary_search_config_selectorIfiEEZNS1_14transform_implILb0ES3_S5_N6thrust23THRUST_200600_302600_NS6detail15normal_iteratorINS8_7pointerIfNS8_11hip_rocprim16par_det_nosync_tENS8_11use_defaultESE_EEEENSA_INSB_IiSD_SE_SE_EEEEZNS1_13binary_searchIS3_S5_NSA_INS8_10device_ptrIfEEEESG_SI_NS1_16binary_search_opENS9_16wrapped_functionINS8_6system6detail7generic6detail18binary_search_lessEbEEEE10hipError_tPvRmT1_T2_T3_mmT4_T5_P12ihipStream_tbEUlRKfE_EESV_SZ_S10_mS11_S14_bEUlT_E_NS1_11comp_targetILNS1_3genE0ELNS1_11target_archE4294967295ELNS1_3gpuE0ELNS1_3repE0EEENS1_30default_config_static_selectorELNS0_4arch9wavefront6targetE0EEEvSY_.numbered_sgpr, 0
	.set _ZN7rocprim17ROCPRIM_400000_NS6detail17trampoline_kernelINS0_14default_configENS1_29binary_search_config_selectorIfiEEZNS1_14transform_implILb0ES3_S5_N6thrust23THRUST_200600_302600_NS6detail15normal_iteratorINS8_7pointerIfNS8_11hip_rocprim16par_det_nosync_tENS8_11use_defaultESE_EEEENSA_INSB_IiSD_SE_SE_EEEEZNS1_13binary_searchIS3_S5_NSA_INS8_10device_ptrIfEEEESG_SI_NS1_16binary_search_opENS9_16wrapped_functionINS8_6system6detail7generic6detail18binary_search_lessEbEEEE10hipError_tPvRmT1_T2_T3_mmT4_T5_P12ihipStream_tbEUlRKfE_EESV_SZ_S10_mS11_S14_bEUlT_E_NS1_11comp_targetILNS1_3genE0ELNS1_11target_archE4294967295ELNS1_3gpuE0ELNS1_3repE0EEENS1_30default_config_static_selectorELNS0_4arch9wavefront6targetE0EEEvSY_.num_named_barrier, 0
	.set _ZN7rocprim17ROCPRIM_400000_NS6detail17trampoline_kernelINS0_14default_configENS1_29binary_search_config_selectorIfiEEZNS1_14transform_implILb0ES3_S5_N6thrust23THRUST_200600_302600_NS6detail15normal_iteratorINS8_7pointerIfNS8_11hip_rocprim16par_det_nosync_tENS8_11use_defaultESE_EEEENSA_INSB_IiSD_SE_SE_EEEEZNS1_13binary_searchIS3_S5_NSA_INS8_10device_ptrIfEEEESG_SI_NS1_16binary_search_opENS9_16wrapped_functionINS8_6system6detail7generic6detail18binary_search_lessEbEEEE10hipError_tPvRmT1_T2_T3_mmT4_T5_P12ihipStream_tbEUlRKfE_EESV_SZ_S10_mS11_S14_bEUlT_E_NS1_11comp_targetILNS1_3genE0ELNS1_11target_archE4294967295ELNS1_3gpuE0ELNS1_3repE0EEENS1_30default_config_static_selectorELNS0_4arch9wavefront6targetE0EEEvSY_.private_seg_size, 0
	.set _ZN7rocprim17ROCPRIM_400000_NS6detail17trampoline_kernelINS0_14default_configENS1_29binary_search_config_selectorIfiEEZNS1_14transform_implILb0ES3_S5_N6thrust23THRUST_200600_302600_NS6detail15normal_iteratorINS8_7pointerIfNS8_11hip_rocprim16par_det_nosync_tENS8_11use_defaultESE_EEEENSA_INSB_IiSD_SE_SE_EEEEZNS1_13binary_searchIS3_S5_NSA_INS8_10device_ptrIfEEEESG_SI_NS1_16binary_search_opENS9_16wrapped_functionINS8_6system6detail7generic6detail18binary_search_lessEbEEEE10hipError_tPvRmT1_T2_T3_mmT4_T5_P12ihipStream_tbEUlRKfE_EESV_SZ_S10_mS11_S14_bEUlT_E_NS1_11comp_targetILNS1_3genE0ELNS1_11target_archE4294967295ELNS1_3gpuE0ELNS1_3repE0EEENS1_30default_config_static_selectorELNS0_4arch9wavefront6targetE0EEEvSY_.uses_vcc, 0
	.set _ZN7rocprim17ROCPRIM_400000_NS6detail17trampoline_kernelINS0_14default_configENS1_29binary_search_config_selectorIfiEEZNS1_14transform_implILb0ES3_S5_N6thrust23THRUST_200600_302600_NS6detail15normal_iteratorINS8_7pointerIfNS8_11hip_rocprim16par_det_nosync_tENS8_11use_defaultESE_EEEENSA_INSB_IiSD_SE_SE_EEEEZNS1_13binary_searchIS3_S5_NSA_INS8_10device_ptrIfEEEESG_SI_NS1_16binary_search_opENS9_16wrapped_functionINS8_6system6detail7generic6detail18binary_search_lessEbEEEE10hipError_tPvRmT1_T2_T3_mmT4_T5_P12ihipStream_tbEUlRKfE_EESV_SZ_S10_mS11_S14_bEUlT_E_NS1_11comp_targetILNS1_3genE0ELNS1_11target_archE4294967295ELNS1_3gpuE0ELNS1_3repE0EEENS1_30default_config_static_selectorELNS0_4arch9wavefront6targetE0EEEvSY_.uses_flat_scratch, 0
	.set _ZN7rocprim17ROCPRIM_400000_NS6detail17trampoline_kernelINS0_14default_configENS1_29binary_search_config_selectorIfiEEZNS1_14transform_implILb0ES3_S5_N6thrust23THRUST_200600_302600_NS6detail15normal_iteratorINS8_7pointerIfNS8_11hip_rocprim16par_det_nosync_tENS8_11use_defaultESE_EEEENSA_INSB_IiSD_SE_SE_EEEEZNS1_13binary_searchIS3_S5_NSA_INS8_10device_ptrIfEEEESG_SI_NS1_16binary_search_opENS9_16wrapped_functionINS8_6system6detail7generic6detail18binary_search_lessEbEEEE10hipError_tPvRmT1_T2_T3_mmT4_T5_P12ihipStream_tbEUlRKfE_EESV_SZ_S10_mS11_S14_bEUlT_E_NS1_11comp_targetILNS1_3genE0ELNS1_11target_archE4294967295ELNS1_3gpuE0ELNS1_3repE0EEENS1_30default_config_static_selectorELNS0_4arch9wavefront6targetE0EEEvSY_.has_dyn_sized_stack, 0
	.set _ZN7rocprim17ROCPRIM_400000_NS6detail17trampoline_kernelINS0_14default_configENS1_29binary_search_config_selectorIfiEEZNS1_14transform_implILb0ES3_S5_N6thrust23THRUST_200600_302600_NS6detail15normal_iteratorINS8_7pointerIfNS8_11hip_rocprim16par_det_nosync_tENS8_11use_defaultESE_EEEENSA_INSB_IiSD_SE_SE_EEEEZNS1_13binary_searchIS3_S5_NSA_INS8_10device_ptrIfEEEESG_SI_NS1_16binary_search_opENS9_16wrapped_functionINS8_6system6detail7generic6detail18binary_search_lessEbEEEE10hipError_tPvRmT1_T2_T3_mmT4_T5_P12ihipStream_tbEUlRKfE_EESV_SZ_S10_mS11_S14_bEUlT_E_NS1_11comp_targetILNS1_3genE0ELNS1_11target_archE4294967295ELNS1_3gpuE0ELNS1_3repE0EEENS1_30default_config_static_selectorELNS0_4arch9wavefront6targetE0EEEvSY_.has_recursion, 0
	.set _ZN7rocprim17ROCPRIM_400000_NS6detail17trampoline_kernelINS0_14default_configENS1_29binary_search_config_selectorIfiEEZNS1_14transform_implILb0ES3_S5_N6thrust23THRUST_200600_302600_NS6detail15normal_iteratorINS8_7pointerIfNS8_11hip_rocprim16par_det_nosync_tENS8_11use_defaultESE_EEEENSA_INSB_IiSD_SE_SE_EEEEZNS1_13binary_searchIS3_S5_NSA_INS8_10device_ptrIfEEEESG_SI_NS1_16binary_search_opENS9_16wrapped_functionINS8_6system6detail7generic6detail18binary_search_lessEbEEEE10hipError_tPvRmT1_T2_T3_mmT4_T5_P12ihipStream_tbEUlRKfE_EESV_SZ_S10_mS11_S14_bEUlT_E_NS1_11comp_targetILNS1_3genE0ELNS1_11target_archE4294967295ELNS1_3gpuE0ELNS1_3repE0EEENS1_30default_config_static_selectorELNS0_4arch9wavefront6targetE0EEEvSY_.has_indirect_call, 0
	.section	.AMDGPU.csdata,"",@progbits
; Kernel info:
; codeLenInByte = 0
; TotalNumSgprs: 0
; NumVgprs: 0
; ScratchSize: 0
; MemoryBound: 0
; FloatMode: 240
; IeeeMode: 1
; LDSByteSize: 0 bytes/workgroup (compile time only)
; SGPRBlocks: 0
; VGPRBlocks: 0
; NumSGPRsForWavesPerEU: 1
; NumVGPRsForWavesPerEU: 1
; Occupancy: 16
; WaveLimiterHint : 0
; COMPUTE_PGM_RSRC2:SCRATCH_EN: 0
; COMPUTE_PGM_RSRC2:USER_SGPR: 6
; COMPUTE_PGM_RSRC2:TRAP_HANDLER: 0
; COMPUTE_PGM_RSRC2:TGID_X_EN: 1
; COMPUTE_PGM_RSRC2:TGID_Y_EN: 0
; COMPUTE_PGM_RSRC2:TGID_Z_EN: 0
; COMPUTE_PGM_RSRC2:TIDIG_COMP_CNT: 0
	.section	.text._ZN7rocprim17ROCPRIM_400000_NS6detail17trampoline_kernelINS0_14default_configENS1_29binary_search_config_selectorIfiEEZNS1_14transform_implILb0ES3_S5_N6thrust23THRUST_200600_302600_NS6detail15normal_iteratorINS8_7pointerIfNS8_11hip_rocprim16par_det_nosync_tENS8_11use_defaultESE_EEEENSA_INSB_IiSD_SE_SE_EEEEZNS1_13binary_searchIS3_S5_NSA_INS8_10device_ptrIfEEEESG_SI_NS1_16binary_search_opENS9_16wrapped_functionINS8_6system6detail7generic6detail18binary_search_lessEbEEEE10hipError_tPvRmT1_T2_T3_mmT4_T5_P12ihipStream_tbEUlRKfE_EESV_SZ_S10_mS11_S14_bEUlT_E_NS1_11comp_targetILNS1_3genE5ELNS1_11target_archE942ELNS1_3gpuE9ELNS1_3repE0EEENS1_30default_config_static_selectorELNS0_4arch9wavefront6targetE0EEEvSY_,"axG",@progbits,_ZN7rocprim17ROCPRIM_400000_NS6detail17trampoline_kernelINS0_14default_configENS1_29binary_search_config_selectorIfiEEZNS1_14transform_implILb0ES3_S5_N6thrust23THRUST_200600_302600_NS6detail15normal_iteratorINS8_7pointerIfNS8_11hip_rocprim16par_det_nosync_tENS8_11use_defaultESE_EEEENSA_INSB_IiSD_SE_SE_EEEEZNS1_13binary_searchIS3_S5_NSA_INS8_10device_ptrIfEEEESG_SI_NS1_16binary_search_opENS9_16wrapped_functionINS8_6system6detail7generic6detail18binary_search_lessEbEEEE10hipError_tPvRmT1_T2_T3_mmT4_T5_P12ihipStream_tbEUlRKfE_EESV_SZ_S10_mS11_S14_bEUlT_E_NS1_11comp_targetILNS1_3genE5ELNS1_11target_archE942ELNS1_3gpuE9ELNS1_3repE0EEENS1_30default_config_static_selectorELNS0_4arch9wavefront6targetE0EEEvSY_,comdat
	.protected	_ZN7rocprim17ROCPRIM_400000_NS6detail17trampoline_kernelINS0_14default_configENS1_29binary_search_config_selectorIfiEEZNS1_14transform_implILb0ES3_S5_N6thrust23THRUST_200600_302600_NS6detail15normal_iteratorINS8_7pointerIfNS8_11hip_rocprim16par_det_nosync_tENS8_11use_defaultESE_EEEENSA_INSB_IiSD_SE_SE_EEEEZNS1_13binary_searchIS3_S5_NSA_INS8_10device_ptrIfEEEESG_SI_NS1_16binary_search_opENS9_16wrapped_functionINS8_6system6detail7generic6detail18binary_search_lessEbEEEE10hipError_tPvRmT1_T2_T3_mmT4_T5_P12ihipStream_tbEUlRKfE_EESV_SZ_S10_mS11_S14_bEUlT_E_NS1_11comp_targetILNS1_3genE5ELNS1_11target_archE942ELNS1_3gpuE9ELNS1_3repE0EEENS1_30default_config_static_selectorELNS0_4arch9wavefront6targetE0EEEvSY_ ; -- Begin function _ZN7rocprim17ROCPRIM_400000_NS6detail17trampoline_kernelINS0_14default_configENS1_29binary_search_config_selectorIfiEEZNS1_14transform_implILb0ES3_S5_N6thrust23THRUST_200600_302600_NS6detail15normal_iteratorINS8_7pointerIfNS8_11hip_rocprim16par_det_nosync_tENS8_11use_defaultESE_EEEENSA_INSB_IiSD_SE_SE_EEEEZNS1_13binary_searchIS3_S5_NSA_INS8_10device_ptrIfEEEESG_SI_NS1_16binary_search_opENS9_16wrapped_functionINS8_6system6detail7generic6detail18binary_search_lessEbEEEE10hipError_tPvRmT1_T2_T3_mmT4_T5_P12ihipStream_tbEUlRKfE_EESV_SZ_S10_mS11_S14_bEUlT_E_NS1_11comp_targetILNS1_3genE5ELNS1_11target_archE942ELNS1_3gpuE9ELNS1_3repE0EEENS1_30default_config_static_selectorELNS0_4arch9wavefront6targetE0EEEvSY_
	.globl	_ZN7rocprim17ROCPRIM_400000_NS6detail17trampoline_kernelINS0_14default_configENS1_29binary_search_config_selectorIfiEEZNS1_14transform_implILb0ES3_S5_N6thrust23THRUST_200600_302600_NS6detail15normal_iteratorINS8_7pointerIfNS8_11hip_rocprim16par_det_nosync_tENS8_11use_defaultESE_EEEENSA_INSB_IiSD_SE_SE_EEEEZNS1_13binary_searchIS3_S5_NSA_INS8_10device_ptrIfEEEESG_SI_NS1_16binary_search_opENS9_16wrapped_functionINS8_6system6detail7generic6detail18binary_search_lessEbEEEE10hipError_tPvRmT1_T2_T3_mmT4_T5_P12ihipStream_tbEUlRKfE_EESV_SZ_S10_mS11_S14_bEUlT_E_NS1_11comp_targetILNS1_3genE5ELNS1_11target_archE942ELNS1_3gpuE9ELNS1_3repE0EEENS1_30default_config_static_selectorELNS0_4arch9wavefront6targetE0EEEvSY_
	.p2align	8
	.type	_ZN7rocprim17ROCPRIM_400000_NS6detail17trampoline_kernelINS0_14default_configENS1_29binary_search_config_selectorIfiEEZNS1_14transform_implILb0ES3_S5_N6thrust23THRUST_200600_302600_NS6detail15normal_iteratorINS8_7pointerIfNS8_11hip_rocprim16par_det_nosync_tENS8_11use_defaultESE_EEEENSA_INSB_IiSD_SE_SE_EEEEZNS1_13binary_searchIS3_S5_NSA_INS8_10device_ptrIfEEEESG_SI_NS1_16binary_search_opENS9_16wrapped_functionINS8_6system6detail7generic6detail18binary_search_lessEbEEEE10hipError_tPvRmT1_T2_T3_mmT4_T5_P12ihipStream_tbEUlRKfE_EESV_SZ_S10_mS11_S14_bEUlT_E_NS1_11comp_targetILNS1_3genE5ELNS1_11target_archE942ELNS1_3gpuE9ELNS1_3repE0EEENS1_30default_config_static_selectorELNS0_4arch9wavefront6targetE0EEEvSY_,@function
_ZN7rocprim17ROCPRIM_400000_NS6detail17trampoline_kernelINS0_14default_configENS1_29binary_search_config_selectorIfiEEZNS1_14transform_implILb0ES3_S5_N6thrust23THRUST_200600_302600_NS6detail15normal_iteratorINS8_7pointerIfNS8_11hip_rocprim16par_det_nosync_tENS8_11use_defaultESE_EEEENSA_INSB_IiSD_SE_SE_EEEEZNS1_13binary_searchIS3_S5_NSA_INS8_10device_ptrIfEEEESG_SI_NS1_16binary_search_opENS9_16wrapped_functionINS8_6system6detail7generic6detail18binary_search_lessEbEEEE10hipError_tPvRmT1_T2_T3_mmT4_T5_P12ihipStream_tbEUlRKfE_EESV_SZ_S10_mS11_S14_bEUlT_E_NS1_11comp_targetILNS1_3genE5ELNS1_11target_archE942ELNS1_3gpuE9ELNS1_3repE0EEENS1_30default_config_static_selectorELNS0_4arch9wavefront6targetE0EEEvSY_: ; @_ZN7rocprim17ROCPRIM_400000_NS6detail17trampoline_kernelINS0_14default_configENS1_29binary_search_config_selectorIfiEEZNS1_14transform_implILb0ES3_S5_N6thrust23THRUST_200600_302600_NS6detail15normal_iteratorINS8_7pointerIfNS8_11hip_rocprim16par_det_nosync_tENS8_11use_defaultESE_EEEENSA_INSB_IiSD_SE_SE_EEEEZNS1_13binary_searchIS3_S5_NSA_INS8_10device_ptrIfEEEESG_SI_NS1_16binary_search_opENS9_16wrapped_functionINS8_6system6detail7generic6detail18binary_search_lessEbEEEE10hipError_tPvRmT1_T2_T3_mmT4_T5_P12ihipStream_tbEUlRKfE_EESV_SZ_S10_mS11_S14_bEUlT_E_NS1_11comp_targetILNS1_3genE5ELNS1_11target_archE942ELNS1_3gpuE9ELNS1_3repE0EEENS1_30default_config_static_selectorELNS0_4arch9wavefront6targetE0EEEvSY_
; %bb.0:
	.section	.rodata,"a",@progbits
	.p2align	6, 0x0
	.amdhsa_kernel _ZN7rocprim17ROCPRIM_400000_NS6detail17trampoline_kernelINS0_14default_configENS1_29binary_search_config_selectorIfiEEZNS1_14transform_implILb0ES3_S5_N6thrust23THRUST_200600_302600_NS6detail15normal_iteratorINS8_7pointerIfNS8_11hip_rocprim16par_det_nosync_tENS8_11use_defaultESE_EEEENSA_INSB_IiSD_SE_SE_EEEEZNS1_13binary_searchIS3_S5_NSA_INS8_10device_ptrIfEEEESG_SI_NS1_16binary_search_opENS9_16wrapped_functionINS8_6system6detail7generic6detail18binary_search_lessEbEEEE10hipError_tPvRmT1_T2_T3_mmT4_T5_P12ihipStream_tbEUlRKfE_EESV_SZ_S10_mS11_S14_bEUlT_E_NS1_11comp_targetILNS1_3genE5ELNS1_11target_archE942ELNS1_3gpuE9ELNS1_3repE0EEENS1_30default_config_static_selectorELNS0_4arch9wavefront6targetE0EEEvSY_
		.amdhsa_group_segment_fixed_size 0
		.amdhsa_private_segment_fixed_size 0
		.amdhsa_kernarg_size 56
		.amdhsa_user_sgpr_count 6
		.amdhsa_user_sgpr_private_segment_buffer 1
		.amdhsa_user_sgpr_dispatch_ptr 0
		.amdhsa_user_sgpr_queue_ptr 0
		.amdhsa_user_sgpr_kernarg_segment_ptr 1
		.amdhsa_user_sgpr_dispatch_id 0
		.amdhsa_user_sgpr_flat_scratch_init 0
		.amdhsa_user_sgpr_private_segment_size 0
		.amdhsa_wavefront_size32 1
		.amdhsa_uses_dynamic_stack 0
		.amdhsa_system_sgpr_private_segment_wavefront_offset 0
		.amdhsa_system_sgpr_workgroup_id_x 1
		.amdhsa_system_sgpr_workgroup_id_y 0
		.amdhsa_system_sgpr_workgroup_id_z 0
		.amdhsa_system_sgpr_workgroup_info 0
		.amdhsa_system_vgpr_workitem_id 0
		.amdhsa_next_free_vgpr 1
		.amdhsa_next_free_sgpr 1
		.amdhsa_reserve_vcc 0
		.amdhsa_reserve_flat_scratch 0
		.amdhsa_float_round_mode_32 0
		.amdhsa_float_round_mode_16_64 0
		.amdhsa_float_denorm_mode_32 3
		.amdhsa_float_denorm_mode_16_64 3
		.amdhsa_dx10_clamp 1
		.amdhsa_ieee_mode 1
		.amdhsa_fp16_overflow 0
		.amdhsa_workgroup_processor_mode 1
		.amdhsa_memory_ordered 1
		.amdhsa_forward_progress 1
		.amdhsa_shared_vgpr_count 0
		.amdhsa_exception_fp_ieee_invalid_op 0
		.amdhsa_exception_fp_denorm_src 0
		.amdhsa_exception_fp_ieee_div_zero 0
		.amdhsa_exception_fp_ieee_overflow 0
		.amdhsa_exception_fp_ieee_underflow 0
		.amdhsa_exception_fp_ieee_inexact 0
		.amdhsa_exception_int_div_zero 0
	.end_amdhsa_kernel
	.section	.text._ZN7rocprim17ROCPRIM_400000_NS6detail17trampoline_kernelINS0_14default_configENS1_29binary_search_config_selectorIfiEEZNS1_14transform_implILb0ES3_S5_N6thrust23THRUST_200600_302600_NS6detail15normal_iteratorINS8_7pointerIfNS8_11hip_rocprim16par_det_nosync_tENS8_11use_defaultESE_EEEENSA_INSB_IiSD_SE_SE_EEEEZNS1_13binary_searchIS3_S5_NSA_INS8_10device_ptrIfEEEESG_SI_NS1_16binary_search_opENS9_16wrapped_functionINS8_6system6detail7generic6detail18binary_search_lessEbEEEE10hipError_tPvRmT1_T2_T3_mmT4_T5_P12ihipStream_tbEUlRKfE_EESV_SZ_S10_mS11_S14_bEUlT_E_NS1_11comp_targetILNS1_3genE5ELNS1_11target_archE942ELNS1_3gpuE9ELNS1_3repE0EEENS1_30default_config_static_selectorELNS0_4arch9wavefront6targetE0EEEvSY_,"axG",@progbits,_ZN7rocprim17ROCPRIM_400000_NS6detail17trampoline_kernelINS0_14default_configENS1_29binary_search_config_selectorIfiEEZNS1_14transform_implILb0ES3_S5_N6thrust23THRUST_200600_302600_NS6detail15normal_iteratorINS8_7pointerIfNS8_11hip_rocprim16par_det_nosync_tENS8_11use_defaultESE_EEEENSA_INSB_IiSD_SE_SE_EEEEZNS1_13binary_searchIS3_S5_NSA_INS8_10device_ptrIfEEEESG_SI_NS1_16binary_search_opENS9_16wrapped_functionINS8_6system6detail7generic6detail18binary_search_lessEbEEEE10hipError_tPvRmT1_T2_T3_mmT4_T5_P12ihipStream_tbEUlRKfE_EESV_SZ_S10_mS11_S14_bEUlT_E_NS1_11comp_targetILNS1_3genE5ELNS1_11target_archE942ELNS1_3gpuE9ELNS1_3repE0EEENS1_30default_config_static_selectorELNS0_4arch9wavefront6targetE0EEEvSY_,comdat
.Lfunc_end636:
	.size	_ZN7rocprim17ROCPRIM_400000_NS6detail17trampoline_kernelINS0_14default_configENS1_29binary_search_config_selectorIfiEEZNS1_14transform_implILb0ES3_S5_N6thrust23THRUST_200600_302600_NS6detail15normal_iteratorINS8_7pointerIfNS8_11hip_rocprim16par_det_nosync_tENS8_11use_defaultESE_EEEENSA_INSB_IiSD_SE_SE_EEEEZNS1_13binary_searchIS3_S5_NSA_INS8_10device_ptrIfEEEESG_SI_NS1_16binary_search_opENS9_16wrapped_functionINS8_6system6detail7generic6detail18binary_search_lessEbEEEE10hipError_tPvRmT1_T2_T3_mmT4_T5_P12ihipStream_tbEUlRKfE_EESV_SZ_S10_mS11_S14_bEUlT_E_NS1_11comp_targetILNS1_3genE5ELNS1_11target_archE942ELNS1_3gpuE9ELNS1_3repE0EEENS1_30default_config_static_selectorELNS0_4arch9wavefront6targetE0EEEvSY_, .Lfunc_end636-_ZN7rocprim17ROCPRIM_400000_NS6detail17trampoline_kernelINS0_14default_configENS1_29binary_search_config_selectorIfiEEZNS1_14transform_implILb0ES3_S5_N6thrust23THRUST_200600_302600_NS6detail15normal_iteratorINS8_7pointerIfNS8_11hip_rocprim16par_det_nosync_tENS8_11use_defaultESE_EEEENSA_INSB_IiSD_SE_SE_EEEEZNS1_13binary_searchIS3_S5_NSA_INS8_10device_ptrIfEEEESG_SI_NS1_16binary_search_opENS9_16wrapped_functionINS8_6system6detail7generic6detail18binary_search_lessEbEEEE10hipError_tPvRmT1_T2_T3_mmT4_T5_P12ihipStream_tbEUlRKfE_EESV_SZ_S10_mS11_S14_bEUlT_E_NS1_11comp_targetILNS1_3genE5ELNS1_11target_archE942ELNS1_3gpuE9ELNS1_3repE0EEENS1_30default_config_static_selectorELNS0_4arch9wavefront6targetE0EEEvSY_
                                        ; -- End function
	.set _ZN7rocprim17ROCPRIM_400000_NS6detail17trampoline_kernelINS0_14default_configENS1_29binary_search_config_selectorIfiEEZNS1_14transform_implILb0ES3_S5_N6thrust23THRUST_200600_302600_NS6detail15normal_iteratorINS8_7pointerIfNS8_11hip_rocprim16par_det_nosync_tENS8_11use_defaultESE_EEEENSA_INSB_IiSD_SE_SE_EEEEZNS1_13binary_searchIS3_S5_NSA_INS8_10device_ptrIfEEEESG_SI_NS1_16binary_search_opENS9_16wrapped_functionINS8_6system6detail7generic6detail18binary_search_lessEbEEEE10hipError_tPvRmT1_T2_T3_mmT4_T5_P12ihipStream_tbEUlRKfE_EESV_SZ_S10_mS11_S14_bEUlT_E_NS1_11comp_targetILNS1_3genE5ELNS1_11target_archE942ELNS1_3gpuE9ELNS1_3repE0EEENS1_30default_config_static_selectorELNS0_4arch9wavefront6targetE0EEEvSY_.num_vgpr, 0
	.set _ZN7rocprim17ROCPRIM_400000_NS6detail17trampoline_kernelINS0_14default_configENS1_29binary_search_config_selectorIfiEEZNS1_14transform_implILb0ES3_S5_N6thrust23THRUST_200600_302600_NS6detail15normal_iteratorINS8_7pointerIfNS8_11hip_rocprim16par_det_nosync_tENS8_11use_defaultESE_EEEENSA_INSB_IiSD_SE_SE_EEEEZNS1_13binary_searchIS3_S5_NSA_INS8_10device_ptrIfEEEESG_SI_NS1_16binary_search_opENS9_16wrapped_functionINS8_6system6detail7generic6detail18binary_search_lessEbEEEE10hipError_tPvRmT1_T2_T3_mmT4_T5_P12ihipStream_tbEUlRKfE_EESV_SZ_S10_mS11_S14_bEUlT_E_NS1_11comp_targetILNS1_3genE5ELNS1_11target_archE942ELNS1_3gpuE9ELNS1_3repE0EEENS1_30default_config_static_selectorELNS0_4arch9wavefront6targetE0EEEvSY_.num_agpr, 0
	.set _ZN7rocprim17ROCPRIM_400000_NS6detail17trampoline_kernelINS0_14default_configENS1_29binary_search_config_selectorIfiEEZNS1_14transform_implILb0ES3_S5_N6thrust23THRUST_200600_302600_NS6detail15normal_iteratorINS8_7pointerIfNS8_11hip_rocprim16par_det_nosync_tENS8_11use_defaultESE_EEEENSA_INSB_IiSD_SE_SE_EEEEZNS1_13binary_searchIS3_S5_NSA_INS8_10device_ptrIfEEEESG_SI_NS1_16binary_search_opENS9_16wrapped_functionINS8_6system6detail7generic6detail18binary_search_lessEbEEEE10hipError_tPvRmT1_T2_T3_mmT4_T5_P12ihipStream_tbEUlRKfE_EESV_SZ_S10_mS11_S14_bEUlT_E_NS1_11comp_targetILNS1_3genE5ELNS1_11target_archE942ELNS1_3gpuE9ELNS1_3repE0EEENS1_30default_config_static_selectorELNS0_4arch9wavefront6targetE0EEEvSY_.numbered_sgpr, 0
	.set _ZN7rocprim17ROCPRIM_400000_NS6detail17trampoline_kernelINS0_14default_configENS1_29binary_search_config_selectorIfiEEZNS1_14transform_implILb0ES3_S5_N6thrust23THRUST_200600_302600_NS6detail15normal_iteratorINS8_7pointerIfNS8_11hip_rocprim16par_det_nosync_tENS8_11use_defaultESE_EEEENSA_INSB_IiSD_SE_SE_EEEEZNS1_13binary_searchIS3_S5_NSA_INS8_10device_ptrIfEEEESG_SI_NS1_16binary_search_opENS9_16wrapped_functionINS8_6system6detail7generic6detail18binary_search_lessEbEEEE10hipError_tPvRmT1_T2_T3_mmT4_T5_P12ihipStream_tbEUlRKfE_EESV_SZ_S10_mS11_S14_bEUlT_E_NS1_11comp_targetILNS1_3genE5ELNS1_11target_archE942ELNS1_3gpuE9ELNS1_3repE0EEENS1_30default_config_static_selectorELNS0_4arch9wavefront6targetE0EEEvSY_.num_named_barrier, 0
	.set _ZN7rocprim17ROCPRIM_400000_NS6detail17trampoline_kernelINS0_14default_configENS1_29binary_search_config_selectorIfiEEZNS1_14transform_implILb0ES3_S5_N6thrust23THRUST_200600_302600_NS6detail15normal_iteratorINS8_7pointerIfNS8_11hip_rocprim16par_det_nosync_tENS8_11use_defaultESE_EEEENSA_INSB_IiSD_SE_SE_EEEEZNS1_13binary_searchIS3_S5_NSA_INS8_10device_ptrIfEEEESG_SI_NS1_16binary_search_opENS9_16wrapped_functionINS8_6system6detail7generic6detail18binary_search_lessEbEEEE10hipError_tPvRmT1_T2_T3_mmT4_T5_P12ihipStream_tbEUlRKfE_EESV_SZ_S10_mS11_S14_bEUlT_E_NS1_11comp_targetILNS1_3genE5ELNS1_11target_archE942ELNS1_3gpuE9ELNS1_3repE0EEENS1_30default_config_static_selectorELNS0_4arch9wavefront6targetE0EEEvSY_.private_seg_size, 0
	.set _ZN7rocprim17ROCPRIM_400000_NS6detail17trampoline_kernelINS0_14default_configENS1_29binary_search_config_selectorIfiEEZNS1_14transform_implILb0ES3_S5_N6thrust23THRUST_200600_302600_NS6detail15normal_iteratorINS8_7pointerIfNS8_11hip_rocprim16par_det_nosync_tENS8_11use_defaultESE_EEEENSA_INSB_IiSD_SE_SE_EEEEZNS1_13binary_searchIS3_S5_NSA_INS8_10device_ptrIfEEEESG_SI_NS1_16binary_search_opENS9_16wrapped_functionINS8_6system6detail7generic6detail18binary_search_lessEbEEEE10hipError_tPvRmT1_T2_T3_mmT4_T5_P12ihipStream_tbEUlRKfE_EESV_SZ_S10_mS11_S14_bEUlT_E_NS1_11comp_targetILNS1_3genE5ELNS1_11target_archE942ELNS1_3gpuE9ELNS1_3repE0EEENS1_30default_config_static_selectorELNS0_4arch9wavefront6targetE0EEEvSY_.uses_vcc, 0
	.set _ZN7rocprim17ROCPRIM_400000_NS6detail17trampoline_kernelINS0_14default_configENS1_29binary_search_config_selectorIfiEEZNS1_14transform_implILb0ES3_S5_N6thrust23THRUST_200600_302600_NS6detail15normal_iteratorINS8_7pointerIfNS8_11hip_rocprim16par_det_nosync_tENS8_11use_defaultESE_EEEENSA_INSB_IiSD_SE_SE_EEEEZNS1_13binary_searchIS3_S5_NSA_INS8_10device_ptrIfEEEESG_SI_NS1_16binary_search_opENS9_16wrapped_functionINS8_6system6detail7generic6detail18binary_search_lessEbEEEE10hipError_tPvRmT1_T2_T3_mmT4_T5_P12ihipStream_tbEUlRKfE_EESV_SZ_S10_mS11_S14_bEUlT_E_NS1_11comp_targetILNS1_3genE5ELNS1_11target_archE942ELNS1_3gpuE9ELNS1_3repE0EEENS1_30default_config_static_selectorELNS0_4arch9wavefront6targetE0EEEvSY_.uses_flat_scratch, 0
	.set _ZN7rocprim17ROCPRIM_400000_NS6detail17trampoline_kernelINS0_14default_configENS1_29binary_search_config_selectorIfiEEZNS1_14transform_implILb0ES3_S5_N6thrust23THRUST_200600_302600_NS6detail15normal_iteratorINS8_7pointerIfNS8_11hip_rocprim16par_det_nosync_tENS8_11use_defaultESE_EEEENSA_INSB_IiSD_SE_SE_EEEEZNS1_13binary_searchIS3_S5_NSA_INS8_10device_ptrIfEEEESG_SI_NS1_16binary_search_opENS9_16wrapped_functionINS8_6system6detail7generic6detail18binary_search_lessEbEEEE10hipError_tPvRmT1_T2_T3_mmT4_T5_P12ihipStream_tbEUlRKfE_EESV_SZ_S10_mS11_S14_bEUlT_E_NS1_11comp_targetILNS1_3genE5ELNS1_11target_archE942ELNS1_3gpuE9ELNS1_3repE0EEENS1_30default_config_static_selectorELNS0_4arch9wavefront6targetE0EEEvSY_.has_dyn_sized_stack, 0
	.set _ZN7rocprim17ROCPRIM_400000_NS6detail17trampoline_kernelINS0_14default_configENS1_29binary_search_config_selectorIfiEEZNS1_14transform_implILb0ES3_S5_N6thrust23THRUST_200600_302600_NS6detail15normal_iteratorINS8_7pointerIfNS8_11hip_rocprim16par_det_nosync_tENS8_11use_defaultESE_EEEENSA_INSB_IiSD_SE_SE_EEEEZNS1_13binary_searchIS3_S5_NSA_INS8_10device_ptrIfEEEESG_SI_NS1_16binary_search_opENS9_16wrapped_functionINS8_6system6detail7generic6detail18binary_search_lessEbEEEE10hipError_tPvRmT1_T2_T3_mmT4_T5_P12ihipStream_tbEUlRKfE_EESV_SZ_S10_mS11_S14_bEUlT_E_NS1_11comp_targetILNS1_3genE5ELNS1_11target_archE942ELNS1_3gpuE9ELNS1_3repE0EEENS1_30default_config_static_selectorELNS0_4arch9wavefront6targetE0EEEvSY_.has_recursion, 0
	.set _ZN7rocprim17ROCPRIM_400000_NS6detail17trampoline_kernelINS0_14default_configENS1_29binary_search_config_selectorIfiEEZNS1_14transform_implILb0ES3_S5_N6thrust23THRUST_200600_302600_NS6detail15normal_iteratorINS8_7pointerIfNS8_11hip_rocprim16par_det_nosync_tENS8_11use_defaultESE_EEEENSA_INSB_IiSD_SE_SE_EEEEZNS1_13binary_searchIS3_S5_NSA_INS8_10device_ptrIfEEEESG_SI_NS1_16binary_search_opENS9_16wrapped_functionINS8_6system6detail7generic6detail18binary_search_lessEbEEEE10hipError_tPvRmT1_T2_T3_mmT4_T5_P12ihipStream_tbEUlRKfE_EESV_SZ_S10_mS11_S14_bEUlT_E_NS1_11comp_targetILNS1_3genE5ELNS1_11target_archE942ELNS1_3gpuE9ELNS1_3repE0EEENS1_30default_config_static_selectorELNS0_4arch9wavefront6targetE0EEEvSY_.has_indirect_call, 0
	.section	.AMDGPU.csdata,"",@progbits
; Kernel info:
; codeLenInByte = 0
; TotalNumSgprs: 0
; NumVgprs: 0
; ScratchSize: 0
; MemoryBound: 0
; FloatMode: 240
; IeeeMode: 1
; LDSByteSize: 0 bytes/workgroup (compile time only)
; SGPRBlocks: 0
; VGPRBlocks: 0
; NumSGPRsForWavesPerEU: 1
; NumVGPRsForWavesPerEU: 1
; Occupancy: 16
; WaveLimiterHint : 0
; COMPUTE_PGM_RSRC2:SCRATCH_EN: 0
; COMPUTE_PGM_RSRC2:USER_SGPR: 6
; COMPUTE_PGM_RSRC2:TRAP_HANDLER: 0
; COMPUTE_PGM_RSRC2:TGID_X_EN: 1
; COMPUTE_PGM_RSRC2:TGID_Y_EN: 0
; COMPUTE_PGM_RSRC2:TGID_Z_EN: 0
; COMPUTE_PGM_RSRC2:TIDIG_COMP_CNT: 0
	.section	.text._ZN7rocprim17ROCPRIM_400000_NS6detail17trampoline_kernelINS0_14default_configENS1_29binary_search_config_selectorIfiEEZNS1_14transform_implILb0ES3_S5_N6thrust23THRUST_200600_302600_NS6detail15normal_iteratorINS8_7pointerIfNS8_11hip_rocprim16par_det_nosync_tENS8_11use_defaultESE_EEEENSA_INSB_IiSD_SE_SE_EEEEZNS1_13binary_searchIS3_S5_NSA_INS8_10device_ptrIfEEEESG_SI_NS1_16binary_search_opENS9_16wrapped_functionINS8_6system6detail7generic6detail18binary_search_lessEbEEEE10hipError_tPvRmT1_T2_T3_mmT4_T5_P12ihipStream_tbEUlRKfE_EESV_SZ_S10_mS11_S14_bEUlT_E_NS1_11comp_targetILNS1_3genE4ELNS1_11target_archE910ELNS1_3gpuE8ELNS1_3repE0EEENS1_30default_config_static_selectorELNS0_4arch9wavefront6targetE0EEEvSY_,"axG",@progbits,_ZN7rocprim17ROCPRIM_400000_NS6detail17trampoline_kernelINS0_14default_configENS1_29binary_search_config_selectorIfiEEZNS1_14transform_implILb0ES3_S5_N6thrust23THRUST_200600_302600_NS6detail15normal_iteratorINS8_7pointerIfNS8_11hip_rocprim16par_det_nosync_tENS8_11use_defaultESE_EEEENSA_INSB_IiSD_SE_SE_EEEEZNS1_13binary_searchIS3_S5_NSA_INS8_10device_ptrIfEEEESG_SI_NS1_16binary_search_opENS9_16wrapped_functionINS8_6system6detail7generic6detail18binary_search_lessEbEEEE10hipError_tPvRmT1_T2_T3_mmT4_T5_P12ihipStream_tbEUlRKfE_EESV_SZ_S10_mS11_S14_bEUlT_E_NS1_11comp_targetILNS1_3genE4ELNS1_11target_archE910ELNS1_3gpuE8ELNS1_3repE0EEENS1_30default_config_static_selectorELNS0_4arch9wavefront6targetE0EEEvSY_,comdat
	.protected	_ZN7rocprim17ROCPRIM_400000_NS6detail17trampoline_kernelINS0_14default_configENS1_29binary_search_config_selectorIfiEEZNS1_14transform_implILb0ES3_S5_N6thrust23THRUST_200600_302600_NS6detail15normal_iteratorINS8_7pointerIfNS8_11hip_rocprim16par_det_nosync_tENS8_11use_defaultESE_EEEENSA_INSB_IiSD_SE_SE_EEEEZNS1_13binary_searchIS3_S5_NSA_INS8_10device_ptrIfEEEESG_SI_NS1_16binary_search_opENS9_16wrapped_functionINS8_6system6detail7generic6detail18binary_search_lessEbEEEE10hipError_tPvRmT1_T2_T3_mmT4_T5_P12ihipStream_tbEUlRKfE_EESV_SZ_S10_mS11_S14_bEUlT_E_NS1_11comp_targetILNS1_3genE4ELNS1_11target_archE910ELNS1_3gpuE8ELNS1_3repE0EEENS1_30default_config_static_selectorELNS0_4arch9wavefront6targetE0EEEvSY_ ; -- Begin function _ZN7rocprim17ROCPRIM_400000_NS6detail17trampoline_kernelINS0_14default_configENS1_29binary_search_config_selectorIfiEEZNS1_14transform_implILb0ES3_S5_N6thrust23THRUST_200600_302600_NS6detail15normal_iteratorINS8_7pointerIfNS8_11hip_rocprim16par_det_nosync_tENS8_11use_defaultESE_EEEENSA_INSB_IiSD_SE_SE_EEEEZNS1_13binary_searchIS3_S5_NSA_INS8_10device_ptrIfEEEESG_SI_NS1_16binary_search_opENS9_16wrapped_functionINS8_6system6detail7generic6detail18binary_search_lessEbEEEE10hipError_tPvRmT1_T2_T3_mmT4_T5_P12ihipStream_tbEUlRKfE_EESV_SZ_S10_mS11_S14_bEUlT_E_NS1_11comp_targetILNS1_3genE4ELNS1_11target_archE910ELNS1_3gpuE8ELNS1_3repE0EEENS1_30default_config_static_selectorELNS0_4arch9wavefront6targetE0EEEvSY_
	.globl	_ZN7rocprim17ROCPRIM_400000_NS6detail17trampoline_kernelINS0_14default_configENS1_29binary_search_config_selectorIfiEEZNS1_14transform_implILb0ES3_S5_N6thrust23THRUST_200600_302600_NS6detail15normal_iteratorINS8_7pointerIfNS8_11hip_rocprim16par_det_nosync_tENS8_11use_defaultESE_EEEENSA_INSB_IiSD_SE_SE_EEEEZNS1_13binary_searchIS3_S5_NSA_INS8_10device_ptrIfEEEESG_SI_NS1_16binary_search_opENS9_16wrapped_functionINS8_6system6detail7generic6detail18binary_search_lessEbEEEE10hipError_tPvRmT1_T2_T3_mmT4_T5_P12ihipStream_tbEUlRKfE_EESV_SZ_S10_mS11_S14_bEUlT_E_NS1_11comp_targetILNS1_3genE4ELNS1_11target_archE910ELNS1_3gpuE8ELNS1_3repE0EEENS1_30default_config_static_selectorELNS0_4arch9wavefront6targetE0EEEvSY_
	.p2align	8
	.type	_ZN7rocprim17ROCPRIM_400000_NS6detail17trampoline_kernelINS0_14default_configENS1_29binary_search_config_selectorIfiEEZNS1_14transform_implILb0ES3_S5_N6thrust23THRUST_200600_302600_NS6detail15normal_iteratorINS8_7pointerIfNS8_11hip_rocprim16par_det_nosync_tENS8_11use_defaultESE_EEEENSA_INSB_IiSD_SE_SE_EEEEZNS1_13binary_searchIS3_S5_NSA_INS8_10device_ptrIfEEEESG_SI_NS1_16binary_search_opENS9_16wrapped_functionINS8_6system6detail7generic6detail18binary_search_lessEbEEEE10hipError_tPvRmT1_T2_T3_mmT4_T5_P12ihipStream_tbEUlRKfE_EESV_SZ_S10_mS11_S14_bEUlT_E_NS1_11comp_targetILNS1_3genE4ELNS1_11target_archE910ELNS1_3gpuE8ELNS1_3repE0EEENS1_30default_config_static_selectorELNS0_4arch9wavefront6targetE0EEEvSY_,@function
_ZN7rocprim17ROCPRIM_400000_NS6detail17trampoline_kernelINS0_14default_configENS1_29binary_search_config_selectorIfiEEZNS1_14transform_implILb0ES3_S5_N6thrust23THRUST_200600_302600_NS6detail15normal_iteratorINS8_7pointerIfNS8_11hip_rocprim16par_det_nosync_tENS8_11use_defaultESE_EEEENSA_INSB_IiSD_SE_SE_EEEEZNS1_13binary_searchIS3_S5_NSA_INS8_10device_ptrIfEEEESG_SI_NS1_16binary_search_opENS9_16wrapped_functionINS8_6system6detail7generic6detail18binary_search_lessEbEEEE10hipError_tPvRmT1_T2_T3_mmT4_T5_P12ihipStream_tbEUlRKfE_EESV_SZ_S10_mS11_S14_bEUlT_E_NS1_11comp_targetILNS1_3genE4ELNS1_11target_archE910ELNS1_3gpuE8ELNS1_3repE0EEENS1_30default_config_static_selectorELNS0_4arch9wavefront6targetE0EEEvSY_: ; @_ZN7rocprim17ROCPRIM_400000_NS6detail17trampoline_kernelINS0_14default_configENS1_29binary_search_config_selectorIfiEEZNS1_14transform_implILb0ES3_S5_N6thrust23THRUST_200600_302600_NS6detail15normal_iteratorINS8_7pointerIfNS8_11hip_rocprim16par_det_nosync_tENS8_11use_defaultESE_EEEENSA_INSB_IiSD_SE_SE_EEEEZNS1_13binary_searchIS3_S5_NSA_INS8_10device_ptrIfEEEESG_SI_NS1_16binary_search_opENS9_16wrapped_functionINS8_6system6detail7generic6detail18binary_search_lessEbEEEE10hipError_tPvRmT1_T2_T3_mmT4_T5_P12ihipStream_tbEUlRKfE_EESV_SZ_S10_mS11_S14_bEUlT_E_NS1_11comp_targetILNS1_3genE4ELNS1_11target_archE910ELNS1_3gpuE8ELNS1_3repE0EEENS1_30default_config_static_selectorELNS0_4arch9wavefront6targetE0EEEvSY_
; %bb.0:
	.section	.rodata,"a",@progbits
	.p2align	6, 0x0
	.amdhsa_kernel _ZN7rocprim17ROCPRIM_400000_NS6detail17trampoline_kernelINS0_14default_configENS1_29binary_search_config_selectorIfiEEZNS1_14transform_implILb0ES3_S5_N6thrust23THRUST_200600_302600_NS6detail15normal_iteratorINS8_7pointerIfNS8_11hip_rocprim16par_det_nosync_tENS8_11use_defaultESE_EEEENSA_INSB_IiSD_SE_SE_EEEEZNS1_13binary_searchIS3_S5_NSA_INS8_10device_ptrIfEEEESG_SI_NS1_16binary_search_opENS9_16wrapped_functionINS8_6system6detail7generic6detail18binary_search_lessEbEEEE10hipError_tPvRmT1_T2_T3_mmT4_T5_P12ihipStream_tbEUlRKfE_EESV_SZ_S10_mS11_S14_bEUlT_E_NS1_11comp_targetILNS1_3genE4ELNS1_11target_archE910ELNS1_3gpuE8ELNS1_3repE0EEENS1_30default_config_static_selectorELNS0_4arch9wavefront6targetE0EEEvSY_
		.amdhsa_group_segment_fixed_size 0
		.amdhsa_private_segment_fixed_size 0
		.amdhsa_kernarg_size 56
		.amdhsa_user_sgpr_count 6
		.amdhsa_user_sgpr_private_segment_buffer 1
		.amdhsa_user_sgpr_dispatch_ptr 0
		.amdhsa_user_sgpr_queue_ptr 0
		.amdhsa_user_sgpr_kernarg_segment_ptr 1
		.amdhsa_user_sgpr_dispatch_id 0
		.amdhsa_user_sgpr_flat_scratch_init 0
		.amdhsa_user_sgpr_private_segment_size 0
		.amdhsa_wavefront_size32 1
		.amdhsa_uses_dynamic_stack 0
		.amdhsa_system_sgpr_private_segment_wavefront_offset 0
		.amdhsa_system_sgpr_workgroup_id_x 1
		.amdhsa_system_sgpr_workgroup_id_y 0
		.amdhsa_system_sgpr_workgroup_id_z 0
		.amdhsa_system_sgpr_workgroup_info 0
		.amdhsa_system_vgpr_workitem_id 0
		.amdhsa_next_free_vgpr 1
		.amdhsa_next_free_sgpr 1
		.amdhsa_reserve_vcc 0
		.amdhsa_reserve_flat_scratch 0
		.amdhsa_float_round_mode_32 0
		.amdhsa_float_round_mode_16_64 0
		.amdhsa_float_denorm_mode_32 3
		.amdhsa_float_denorm_mode_16_64 3
		.amdhsa_dx10_clamp 1
		.amdhsa_ieee_mode 1
		.amdhsa_fp16_overflow 0
		.amdhsa_workgroup_processor_mode 1
		.amdhsa_memory_ordered 1
		.amdhsa_forward_progress 1
		.amdhsa_shared_vgpr_count 0
		.amdhsa_exception_fp_ieee_invalid_op 0
		.amdhsa_exception_fp_denorm_src 0
		.amdhsa_exception_fp_ieee_div_zero 0
		.amdhsa_exception_fp_ieee_overflow 0
		.amdhsa_exception_fp_ieee_underflow 0
		.amdhsa_exception_fp_ieee_inexact 0
		.amdhsa_exception_int_div_zero 0
	.end_amdhsa_kernel
	.section	.text._ZN7rocprim17ROCPRIM_400000_NS6detail17trampoline_kernelINS0_14default_configENS1_29binary_search_config_selectorIfiEEZNS1_14transform_implILb0ES3_S5_N6thrust23THRUST_200600_302600_NS6detail15normal_iteratorINS8_7pointerIfNS8_11hip_rocprim16par_det_nosync_tENS8_11use_defaultESE_EEEENSA_INSB_IiSD_SE_SE_EEEEZNS1_13binary_searchIS3_S5_NSA_INS8_10device_ptrIfEEEESG_SI_NS1_16binary_search_opENS9_16wrapped_functionINS8_6system6detail7generic6detail18binary_search_lessEbEEEE10hipError_tPvRmT1_T2_T3_mmT4_T5_P12ihipStream_tbEUlRKfE_EESV_SZ_S10_mS11_S14_bEUlT_E_NS1_11comp_targetILNS1_3genE4ELNS1_11target_archE910ELNS1_3gpuE8ELNS1_3repE0EEENS1_30default_config_static_selectorELNS0_4arch9wavefront6targetE0EEEvSY_,"axG",@progbits,_ZN7rocprim17ROCPRIM_400000_NS6detail17trampoline_kernelINS0_14default_configENS1_29binary_search_config_selectorIfiEEZNS1_14transform_implILb0ES3_S5_N6thrust23THRUST_200600_302600_NS6detail15normal_iteratorINS8_7pointerIfNS8_11hip_rocprim16par_det_nosync_tENS8_11use_defaultESE_EEEENSA_INSB_IiSD_SE_SE_EEEEZNS1_13binary_searchIS3_S5_NSA_INS8_10device_ptrIfEEEESG_SI_NS1_16binary_search_opENS9_16wrapped_functionINS8_6system6detail7generic6detail18binary_search_lessEbEEEE10hipError_tPvRmT1_T2_T3_mmT4_T5_P12ihipStream_tbEUlRKfE_EESV_SZ_S10_mS11_S14_bEUlT_E_NS1_11comp_targetILNS1_3genE4ELNS1_11target_archE910ELNS1_3gpuE8ELNS1_3repE0EEENS1_30default_config_static_selectorELNS0_4arch9wavefront6targetE0EEEvSY_,comdat
.Lfunc_end637:
	.size	_ZN7rocprim17ROCPRIM_400000_NS6detail17trampoline_kernelINS0_14default_configENS1_29binary_search_config_selectorIfiEEZNS1_14transform_implILb0ES3_S5_N6thrust23THRUST_200600_302600_NS6detail15normal_iteratorINS8_7pointerIfNS8_11hip_rocprim16par_det_nosync_tENS8_11use_defaultESE_EEEENSA_INSB_IiSD_SE_SE_EEEEZNS1_13binary_searchIS3_S5_NSA_INS8_10device_ptrIfEEEESG_SI_NS1_16binary_search_opENS9_16wrapped_functionINS8_6system6detail7generic6detail18binary_search_lessEbEEEE10hipError_tPvRmT1_T2_T3_mmT4_T5_P12ihipStream_tbEUlRKfE_EESV_SZ_S10_mS11_S14_bEUlT_E_NS1_11comp_targetILNS1_3genE4ELNS1_11target_archE910ELNS1_3gpuE8ELNS1_3repE0EEENS1_30default_config_static_selectorELNS0_4arch9wavefront6targetE0EEEvSY_, .Lfunc_end637-_ZN7rocprim17ROCPRIM_400000_NS6detail17trampoline_kernelINS0_14default_configENS1_29binary_search_config_selectorIfiEEZNS1_14transform_implILb0ES3_S5_N6thrust23THRUST_200600_302600_NS6detail15normal_iteratorINS8_7pointerIfNS8_11hip_rocprim16par_det_nosync_tENS8_11use_defaultESE_EEEENSA_INSB_IiSD_SE_SE_EEEEZNS1_13binary_searchIS3_S5_NSA_INS8_10device_ptrIfEEEESG_SI_NS1_16binary_search_opENS9_16wrapped_functionINS8_6system6detail7generic6detail18binary_search_lessEbEEEE10hipError_tPvRmT1_T2_T3_mmT4_T5_P12ihipStream_tbEUlRKfE_EESV_SZ_S10_mS11_S14_bEUlT_E_NS1_11comp_targetILNS1_3genE4ELNS1_11target_archE910ELNS1_3gpuE8ELNS1_3repE0EEENS1_30default_config_static_selectorELNS0_4arch9wavefront6targetE0EEEvSY_
                                        ; -- End function
	.set _ZN7rocprim17ROCPRIM_400000_NS6detail17trampoline_kernelINS0_14default_configENS1_29binary_search_config_selectorIfiEEZNS1_14transform_implILb0ES3_S5_N6thrust23THRUST_200600_302600_NS6detail15normal_iteratorINS8_7pointerIfNS8_11hip_rocprim16par_det_nosync_tENS8_11use_defaultESE_EEEENSA_INSB_IiSD_SE_SE_EEEEZNS1_13binary_searchIS3_S5_NSA_INS8_10device_ptrIfEEEESG_SI_NS1_16binary_search_opENS9_16wrapped_functionINS8_6system6detail7generic6detail18binary_search_lessEbEEEE10hipError_tPvRmT1_T2_T3_mmT4_T5_P12ihipStream_tbEUlRKfE_EESV_SZ_S10_mS11_S14_bEUlT_E_NS1_11comp_targetILNS1_3genE4ELNS1_11target_archE910ELNS1_3gpuE8ELNS1_3repE0EEENS1_30default_config_static_selectorELNS0_4arch9wavefront6targetE0EEEvSY_.num_vgpr, 0
	.set _ZN7rocprim17ROCPRIM_400000_NS6detail17trampoline_kernelINS0_14default_configENS1_29binary_search_config_selectorIfiEEZNS1_14transform_implILb0ES3_S5_N6thrust23THRUST_200600_302600_NS6detail15normal_iteratorINS8_7pointerIfNS8_11hip_rocprim16par_det_nosync_tENS8_11use_defaultESE_EEEENSA_INSB_IiSD_SE_SE_EEEEZNS1_13binary_searchIS3_S5_NSA_INS8_10device_ptrIfEEEESG_SI_NS1_16binary_search_opENS9_16wrapped_functionINS8_6system6detail7generic6detail18binary_search_lessEbEEEE10hipError_tPvRmT1_T2_T3_mmT4_T5_P12ihipStream_tbEUlRKfE_EESV_SZ_S10_mS11_S14_bEUlT_E_NS1_11comp_targetILNS1_3genE4ELNS1_11target_archE910ELNS1_3gpuE8ELNS1_3repE0EEENS1_30default_config_static_selectorELNS0_4arch9wavefront6targetE0EEEvSY_.num_agpr, 0
	.set _ZN7rocprim17ROCPRIM_400000_NS6detail17trampoline_kernelINS0_14default_configENS1_29binary_search_config_selectorIfiEEZNS1_14transform_implILb0ES3_S5_N6thrust23THRUST_200600_302600_NS6detail15normal_iteratorINS8_7pointerIfNS8_11hip_rocprim16par_det_nosync_tENS8_11use_defaultESE_EEEENSA_INSB_IiSD_SE_SE_EEEEZNS1_13binary_searchIS3_S5_NSA_INS8_10device_ptrIfEEEESG_SI_NS1_16binary_search_opENS9_16wrapped_functionINS8_6system6detail7generic6detail18binary_search_lessEbEEEE10hipError_tPvRmT1_T2_T3_mmT4_T5_P12ihipStream_tbEUlRKfE_EESV_SZ_S10_mS11_S14_bEUlT_E_NS1_11comp_targetILNS1_3genE4ELNS1_11target_archE910ELNS1_3gpuE8ELNS1_3repE0EEENS1_30default_config_static_selectorELNS0_4arch9wavefront6targetE0EEEvSY_.numbered_sgpr, 0
	.set _ZN7rocprim17ROCPRIM_400000_NS6detail17trampoline_kernelINS0_14default_configENS1_29binary_search_config_selectorIfiEEZNS1_14transform_implILb0ES3_S5_N6thrust23THRUST_200600_302600_NS6detail15normal_iteratorINS8_7pointerIfNS8_11hip_rocprim16par_det_nosync_tENS8_11use_defaultESE_EEEENSA_INSB_IiSD_SE_SE_EEEEZNS1_13binary_searchIS3_S5_NSA_INS8_10device_ptrIfEEEESG_SI_NS1_16binary_search_opENS9_16wrapped_functionINS8_6system6detail7generic6detail18binary_search_lessEbEEEE10hipError_tPvRmT1_T2_T3_mmT4_T5_P12ihipStream_tbEUlRKfE_EESV_SZ_S10_mS11_S14_bEUlT_E_NS1_11comp_targetILNS1_3genE4ELNS1_11target_archE910ELNS1_3gpuE8ELNS1_3repE0EEENS1_30default_config_static_selectorELNS0_4arch9wavefront6targetE0EEEvSY_.num_named_barrier, 0
	.set _ZN7rocprim17ROCPRIM_400000_NS6detail17trampoline_kernelINS0_14default_configENS1_29binary_search_config_selectorIfiEEZNS1_14transform_implILb0ES3_S5_N6thrust23THRUST_200600_302600_NS6detail15normal_iteratorINS8_7pointerIfNS8_11hip_rocprim16par_det_nosync_tENS8_11use_defaultESE_EEEENSA_INSB_IiSD_SE_SE_EEEEZNS1_13binary_searchIS3_S5_NSA_INS8_10device_ptrIfEEEESG_SI_NS1_16binary_search_opENS9_16wrapped_functionINS8_6system6detail7generic6detail18binary_search_lessEbEEEE10hipError_tPvRmT1_T2_T3_mmT4_T5_P12ihipStream_tbEUlRKfE_EESV_SZ_S10_mS11_S14_bEUlT_E_NS1_11comp_targetILNS1_3genE4ELNS1_11target_archE910ELNS1_3gpuE8ELNS1_3repE0EEENS1_30default_config_static_selectorELNS0_4arch9wavefront6targetE0EEEvSY_.private_seg_size, 0
	.set _ZN7rocprim17ROCPRIM_400000_NS6detail17trampoline_kernelINS0_14default_configENS1_29binary_search_config_selectorIfiEEZNS1_14transform_implILb0ES3_S5_N6thrust23THRUST_200600_302600_NS6detail15normal_iteratorINS8_7pointerIfNS8_11hip_rocprim16par_det_nosync_tENS8_11use_defaultESE_EEEENSA_INSB_IiSD_SE_SE_EEEEZNS1_13binary_searchIS3_S5_NSA_INS8_10device_ptrIfEEEESG_SI_NS1_16binary_search_opENS9_16wrapped_functionINS8_6system6detail7generic6detail18binary_search_lessEbEEEE10hipError_tPvRmT1_T2_T3_mmT4_T5_P12ihipStream_tbEUlRKfE_EESV_SZ_S10_mS11_S14_bEUlT_E_NS1_11comp_targetILNS1_3genE4ELNS1_11target_archE910ELNS1_3gpuE8ELNS1_3repE0EEENS1_30default_config_static_selectorELNS0_4arch9wavefront6targetE0EEEvSY_.uses_vcc, 0
	.set _ZN7rocprim17ROCPRIM_400000_NS6detail17trampoline_kernelINS0_14default_configENS1_29binary_search_config_selectorIfiEEZNS1_14transform_implILb0ES3_S5_N6thrust23THRUST_200600_302600_NS6detail15normal_iteratorINS8_7pointerIfNS8_11hip_rocprim16par_det_nosync_tENS8_11use_defaultESE_EEEENSA_INSB_IiSD_SE_SE_EEEEZNS1_13binary_searchIS3_S5_NSA_INS8_10device_ptrIfEEEESG_SI_NS1_16binary_search_opENS9_16wrapped_functionINS8_6system6detail7generic6detail18binary_search_lessEbEEEE10hipError_tPvRmT1_T2_T3_mmT4_T5_P12ihipStream_tbEUlRKfE_EESV_SZ_S10_mS11_S14_bEUlT_E_NS1_11comp_targetILNS1_3genE4ELNS1_11target_archE910ELNS1_3gpuE8ELNS1_3repE0EEENS1_30default_config_static_selectorELNS0_4arch9wavefront6targetE0EEEvSY_.uses_flat_scratch, 0
	.set _ZN7rocprim17ROCPRIM_400000_NS6detail17trampoline_kernelINS0_14default_configENS1_29binary_search_config_selectorIfiEEZNS1_14transform_implILb0ES3_S5_N6thrust23THRUST_200600_302600_NS6detail15normal_iteratorINS8_7pointerIfNS8_11hip_rocprim16par_det_nosync_tENS8_11use_defaultESE_EEEENSA_INSB_IiSD_SE_SE_EEEEZNS1_13binary_searchIS3_S5_NSA_INS8_10device_ptrIfEEEESG_SI_NS1_16binary_search_opENS9_16wrapped_functionINS8_6system6detail7generic6detail18binary_search_lessEbEEEE10hipError_tPvRmT1_T2_T3_mmT4_T5_P12ihipStream_tbEUlRKfE_EESV_SZ_S10_mS11_S14_bEUlT_E_NS1_11comp_targetILNS1_3genE4ELNS1_11target_archE910ELNS1_3gpuE8ELNS1_3repE0EEENS1_30default_config_static_selectorELNS0_4arch9wavefront6targetE0EEEvSY_.has_dyn_sized_stack, 0
	.set _ZN7rocprim17ROCPRIM_400000_NS6detail17trampoline_kernelINS0_14default_configENS1_29binary_search_config_selectorIfiEEZNS1_14transform_implILb0ES3_S5_N6thrust23THRUST_200600_302600_NS6detail15normal_iteratorINS8_7pointerIfNS8_11hip_rocprim16par_det_nosync_tENS8_11use_defaultESE_EEEENSA_INSB_IiSD_SE_SE_EEEEZNS1_13binary_searchIS3_S5_NSA_INS8_10device_ptrIfEEEESG_SI_NS1_16binary_search_opENS9_16wrapped_functionINS8_6system6detail7generic6detail18binary_search_lessEbEEEE10hipError_tPvRmT1_T2_T3_mmT4_T5_P12ihipStream_tbEUlRKfE_EESV_SZ_S10_mS11_S14_bEUlT_E_NS1_11comp_targetILNS1_3genE4ELNS1_11target_archE910ELNS1_3gpuE8ELNS1_3repE0EEENS1_30default_config_static_selectorELNS0_4arch9wavefront6targetE0EEEvSY_.has_recursion, 0
	.set _ZN7rocprim17ROCPRIM_400000_NS6detail17trampoline_kernelINS0_14default_configENS1_29binary_search_config_selectorIfiEEZNS1_14transform_implILb0ES3_S5_N6thrust23THRUST_200600_302600_NS6detail15normal_iteratorINS8_7pointerIfNS8_11hip_rocprim16par_det_nosync_tENS8_11use_defaultESE_EEEENSA_INSB_IiSD_SE_SE_EEEEZNS1_13binary_searchIS3_S5_NSA_INS8_10device_ptrIfEEEESG_SI_NS1_16binary_search_opENS9_16wrapped_functionINS8_6system6detail7generic6detail18binary_search_lessEbEEEE10hipError_tPvRmT1_T2_T3_mmT4_T5_P12ihipStream_tbEUlRKfE_EESV_SZ_S10_mS11_S14_bEUlT_E_NS1_11comp_targetILNS1_3genE4ELNS1_11target_archE910ELNS1_3gpuE8ELNS1_3repE0EEENS1_30default_config_static_selectorELNS0_4arch9wavefront6targetE0EEEvSY_.has_indirect_call, 0
	.section	.AMDGPU.csdata,"",@progbits
; Kernel info:
; codeLenInByte = 0
; TotalNumSgprs: 0
; NumVgprs: 0
; ScratchSize: 0
; MemoryBound: 0
; FloatMode: 240
; IeeeMode: 1
; LDSByteSize: 0 bytes/workgroup (compile time only)
; SGPRBlocks: 0
; VGPRBlocks: 0
; NumSGPRsForWavesPerEU: 1
; NumVGPRsForWavesPerEU: 1
; Occupancy: 16
; WaveLimiterHint : 0
; COMPUTE_PGM_RSRC2:SCRATCH_EN: 0
; COMPUTE_PGM_RSRC2:USER_SGPR: 6
; COMPUTE_PGM_RSRC2:TRAP_HANDLER: 0
; COMPUTE_PGM_RSRC2:TGID_X_EN: 1
; COMPUTE_PGM_RSRC2:TGID_Y_EN: 0
; COMPUTE_PGM_RSRC2:TGID_Z_EN: 0
; COMPUTE_PGM_RSRC2:TIDIG_COMP_CNT: 0
	.section	.text._ZN7rocprim17ROCPRIM_400000_NS6detail17trampoline_kernelINS0_14default_configENS1_29binary_search_config_selectorIfiEEZNS1_14transform_implILb0ES3_S5_N6thrust23THRUST_200600_302600_NS6detail15normal_iteratorINS8_7pointerIfNS8_11hip_rocprim16par_det_nosync_tENS8_11use_defaultESE_EEEENSA_INSB_IiSD_SE_SE_EEEEZNS1_13binary_searchIS3_S5_NSA_INS8_10device_ptrIfEEEESG_SI_NS1_16binary_search_opENS9_16wrapped_functionINS8_6system6detail7generic6detail18binary_search_lessEbEEEE10hipError_tPvRmT1_T2_T3_mmT4_T5_P12ihipStream_tbEUlRKfE_EESV_SZ_S10_mS11_S14_bEUlT_E_NS1_11comp_targetILNS1_3genE3ELNS1_11target_archE908ELNS1_3gpuE7ELNS1_3repE0EEENS1_30default_config_static_selectorELNS0_4arch9wavefront6targetE0EEEvSY_,"axG",@progbits,_ZN7rocprim17ROCPRIM_400000_NS6detail17trampoline_kernelINS0_14default_configENS1_29binary_search_config_selectorIfiEEZNS1_14transform_implILb0ES3_S5_N6thrust23THRUST_200600_302600_NS6detail15normal_iteratorINS8_7pointerIfNS8_11hip_rocprim16par_det_nosync_tENS8_11use_defaultESE_EEEENSA_INSB_IiSD_SE_SE_EEEEZNS1_13binary_searchIS3_S5_NSA_INS8_10device_ptrIfEEEESG_SI_NS1_16binary_search_opENS9_16wrapped_functionINS8_6system6detail7generic6detail18binary_search_lessEbEEEE10hipError_tPvRmT1_T2_T3_mmT4_T5_P12ihipStream_tbEUlRKfE_EESV_SZ_S10_mS11_S14_bEUlT_E_NS1_11comp_targetILNS1_3genE3ELNS1_11target_archE908ELNS1_3gpuE7ELNS1_3repE0EEENS1_30default_config_static_selectorELNS0_4arch9wavefront6targetE0EEEvSY_,comdat
	.protected	_ZN7rocprim17ROCPRIM_400000_NS6detail17trampoline_kernelINS0_14default_configENS1_29binary_search_config_selectorIfiEEZNS1_14transform_implILb0ES3_S5_N6thrust23THRUST_200600_302600_NS6detail15normal_iteratorINS8_7pointerIfNS8_11hip_rocprim16par_det_nosync_tENS8_11use_defaultESE_EEEENSA_INSB_IiSD_SE_SE_EEEEZNS1_13binary_searchIS3_S5_NSA_INS8_10device_ptrIfEEEESG_SI_NS1_16binary_search_opENS9_16wrapped_functionINS8_6system6detail7generic6detail18binary_search_lessEbEEEE10hipError_tPvRmT1_T2_T3_mmT4_T5_P12ihipStream_tbEUlRKfE_EESV_SZ_S10_mS11_S14_bEUlT_E_NS1_11comp_targetILNS1_3genE3ELNS1_11target_archE908ELNS1_3gpuE7ELNS1_3repE0EEENS1_30default_config_static_selectorELNS0_4arch9wavefront6targetE0EEEvSY_ ; -- Begin function _ZN7rocprim17ROCPRIM_400000_NS6detail17trampoline_kernelINS0_14default_configENS1_29binary_search_config_selectorIfiEEZNS1_14transform_implILb0ES3_S5_N6thrust23THRUST_200600_302600_NS6detail15normal_iteratorINS8_7pointerIfNS8_11hip_rocprim16par_det_nosync_tENS8_11use_defaultESE_EEEENSA_INSB_IiSD_SE_SE_EEEEZNS1_13binary_searchIS3_S5_NSA_INS8_10device_ptrIfEEEESG_SI_NS1_16binary_search_opENS9_16wrapped_functionINS8_6system6detail7generic6detail18binary_search_lessEbEEEE10hipError_tPvRmT1_T2_T3_mmT4_T5_P12ihipStream_tbEUlRKfE_EESV_SZ_S10_mS11_S14_bEUlT_E_NS1_11comp_targetILNS1_3genE3ELNS1_11target_archE908ELNS1_3gpuE7ELNS1_3repE0EEENS1_30default_config_static_selectorELNS0_4arch9wavefront6targetE0EEEvSY_
	.globl	_ZN7rocprim17ROCPRIM_400000_NS6detail17trampoline_kernelINS0_14default_configENS1_29binary_search_config_selectorIfiEEZNS1_14transform_implILb0ES3_S5_N6thrust23THRUST_200600_302600_NS6detail15normal_iteratorINS8_7pointerIfNS8_11hip_rocprim16par_det_nosync_tENS8_11use_defaultESE_EEEENSA_INSB_IiSD_SE_SE_EEEEZNS1_13binary_searchIS3_S5_NSA_INS8_10device_ptrIfEEEESG_SI_NS1_16binary_search_opENS9_16wrapped_functionINS8_6system6detail7generic6detail18binary_search_lessEbEEEE10hipError_tPvRmT1_T2_T3_mmT4_T5_P12ihipStream_tbEUlRKfE_EESV_SZ_S10_mS11_S14_bEUlT_E_NS1_11comp_targetILNS1_3genE3ELNS1_11target_archE908ELNS1_3gpuE7ELNS1_3repE0EEENS1_30default_config_static_selectorELNS0_4arch9wavefront6targetE0EEEvSY_
	.p2align	8
	.type	_ZN7rocprim17ROCPRIM_400000_NS6detail17trampoline_kernelINS0_14default_configENS1_29binary_search_config_selectorIfiEEZNS1_14transform_implILb0ES3_S5_N6thrust23THRUST_200600_302600_NS6detail15normal_iteratorINS8_7pointerIfNS8_11hip_rocprim16par_det_nosync_tENS8_11use_defaultESE_EEEENSA_INSB_IiSD_SE_SE_EEEEZNS1_13binary_searchIS3_S5_NSA_INS8_10device_ptrIfEEEESG_SI_NS1_16binary_search_opENS9_16wrapped_functionINS8_6system6detail7generic6detail18binary_search_lessEbEEEE10hipError_tPvRmT1_T2_T3_mmT4_T5_P12ihipStream_tbEUlRKfE_EESV_SZ_S10_mS11_S14_bEUlT_E_NS1_11comp_targetILNS1_3genE3ELNS1_11target_archE908ELNS1_3gpuE7ELNS1_3repE0EEENS1_30default_config_static_selectorELNS0_4arch9wavefront6targetE0EEEvSY_,@function
_ZN7rocprim17ROCPRIM_400000_NS6detail17trampoline_kernelINS0_14default_configENS1_29binary_search_config_selectorIfiEEZNS1_14transform_implILb0ES3_S5_N6thrust23THRUST_200600_302600_NS6detail15normal_iteratorINS8_7pointerIfNS8_11hip_rocprim16par_det_nosync_tENS8_11use_defaultESE_EEEENSA_INSB_IiSD_SE_SE_EEEEZNS1_13binary_searchIS3_S5_NSA_INS8_10device_ptrIfEEEESG_SI_NS1_16binary_search_opENS9_16wrapped_functionINS8_6system6detail7generic6detail18binary_search_lessEbEEEE10hipError_tPvRmT1_T2_T3_mmT4_T5_P12ihipStream_tbEUlRKfE_EESV_SZ_S10_mS11_S14_bEUlT_E_NS1_11comp_targetILNS1_3genE3ELNS1_11target_archE908ELNS1_3gpuE7ELNS1_3repE0EEENS1_30default_config_static_selectorELNS0_4arch9wavefront6targetE0EEEvSY_: ; @_ZN7rocprim17ROCPRIM_400000_NS6detail17trampoline_kernelINS0_14default_configENS1_29binary_search_config_selectorIfiEEZNS1_14transform_implILb0ES3_S5_N6thrust23THRUST_200600_302600_NS6detail15normal_iteratorINS8_7pointerIfNS8_11hip_rocprim16par_det_nosync_tENS8_11use_defaultESE_EEEENSA_INSB_IiSD_SE_SE_EEEEZNS1_13binary_searchIS3_S5_NSA_INS8_10device_ptrIfEEEESG_SI_NS1_16binary_search_opENS9_16wrapped_functionINS8_6system6detail7generic6detail18binary_search_lessEbEEEE10hipError_tPvRmT1_T2_T3_mmT4_T5_P12ihipStream_tbEUlRKfE_EESV_SZ_S10_mS11_S14_bEUlT_E_NS1_11comp_targetILNS1_3genE3ELNS1_11target_archE908ELNS1_3gpuE7ELNS1_3repE0EEENS1_30default_config_static_selectorELNS0_4arch9wavefront6targetE0EEEvSY_
; %bb.0:
	.section	.rodata,"a",@progbits
	.p2align	6, 0x0
	.amdhsa_kernel _ZN7rocprim17ROCPRIM_400000_NS6detail17trampoline_kernelINS0_14default_configENS1_29binary_search_config_selectorIfiEEZNS1_14transform_implILb0ES3_S5_N6thrust23THRUST_200600_302600_NS6detail15normal_iteratorINS8_7pointerIfNS8_11hip_rocprim16par_det_nosync_tENS8_11use_defaultESE_EEEENSA_INSB_IiSD_SE_SE_EEEEZNS1_13binary_searchIS3_S5_NSA_INS8_10device_ptrIfEEEESG_SI_NS1_16binary_search_opENS9_16wrapped_functionINS8_6system6detail7generic6detail18binary_search_lessEbEEEE10hipError_tPvRmT1_T2_T3_mmT4_T5_P12ihipStream_tbEUlRKfE_EESV_SZ_S10_mS11_S14_bEUlT_E_NS1_11comp_targetILNS1_3genE3ELNS1_11target_archE908ELNS1_3gpuE7ELNS1_3repE0EEENS1_30default_config_static_selectorELNS0_4arch9wavefront6targetE0EEEvSY_
		.amdhsa_group_segment_fixed_size 0
		.amdhsa_private_segment_fixed_size 0
		.amdhsa_kernarg_size 56
		.amdhsa_user_sgpr_count 6
		.amdhsa_user_sgpr_private_segment_buffer 1
		.amdhsa_user_sgpr_dispatch_ptr 0
		.amdhsa_user_sgpr_queue_ptr 0
		.amdhsa_user_sgpr_kernarg_segment_ptr 1
		.amdhsa_user_sgpr_dispatch_id 0
		.amdhsa_user_sgpr_flat_scratch_init 0
		.amdhsa_user_sgpr_private_segment_size 0
		.amdhsa_wavefront_size32 1
		.amdhsa_uses_dynamic_stack 0
		.amdhsa_system_sgpr_private_segment_wavefront_offset 0
		.amdhsa_system_sgpr_workgroup_id_x 1
		.amdhsa_system_sgpr_workgroup_id_y 0
		.amdhsa_system_sgpr_workgroup_id_z 0
		.amdhsa_system_sgpr_workgroup_info 0
		.amdhsa_system_vgpr_workitem_id 0
		.amdhsa_next_free_vgpr 1
		.amdhsa_next_free_sgpr 1
		.amdhsa_reserve_vcc 0
		.amdhsa_reserve_flat_scratch 0
		.amdhsa_float_round_mode_32 0
		.amdhsa_float_round_mode_16_64 0
		.amdhsa_float_denorm_mode_32 3
		.amdhsa_float_denorm_mode_16_64 3
		.amdhsa_dx10_clamp 1
		.amdhsa_ieee_mode 1
		.amdhsa_fp16_overflow 0
		.amdhsa_workgroup_processor_mode 1
		.amdhsa_memory_ordered 1
		.amdhsa_forward_progress 1
		.amdhsa_shared_vgpr_count 0
		.amdhsa_exception_fp_ieee_invalid_op 0
		.amdhsa_exception_fp_denorm_src 0
		.amdhsa_exception_fp_ieee_div_zero 0
		.amdhsa_exception_fp_ieee_overflow 0
		.amdhsa_exception_fp_ieee_underflow 0
		.amdhsa_exception_fp_ieee_inexact 0
		.amdhsa_exception_int_div_zero 0
	.end_amdhsa_kernel
	.section	.text._ZN7rocprim17ROCPRIM_400000_NS6detail17trampoline_kernelINS0_14default_configENS1_29binary_search_config_selectorIfiEEZNS1_14transform_implILb0ES3_S5_N6thrust23THRUST_200600_302600_NS6detail15normal_iteratorINS8_7pointerIfNS8_11hip_rocprim16par_det_nosync_tENS8_11use_defaultESE_EEEENSA_INSB_IiSD_SE_SE_EEEEZNS1_13binary_searchIS3_S5_NSA_INS8_10device_ptrIfEEEESG_SI_NS1_16binary_search_opENS9_16wrapped_functionINS8_6system6detail7generic6detail18binary_search_lessEbEEEE10hipError_tPvRmT1_T2_T3_mmT4_T5_P12ihipStream_tbEUlRKfE_EESV_SZ_S10_mS11_S14_bEUlT_E_NS1_11comp_targetILNS1_3genE3ELNS1_11target_archE908ELNS1_3gpuE7ELNS1_3repE0EEENS1_30default_config_static_selectorELNS0_4arch9wavefront6targetE0EEEvSY_,"axG",@progbits,_ZN7rocprim17ROCPRIM_400000_NS6detail17trampoline_kernelINS0_14default_configENS1_29binary_search_config_selectorIfiEEZNS1_14transform_implILb0ES3_S5_N6thrust23THRUST_200600_302600_NS6detail15normal_iteratorINS8_7pointerIfNS8_11hip_rocprim16par_det_nosync_tENS8_11use_defaultESE_EEEENSA_INSB_IiSD_SE_SE_EEEEZNS1_13binary_searchIS3_S5_NSA_INS8_10device_ptrIfEEEESG_SI_NS1_16binary_search_opENS9_16wrapped_functionINS8_6system6detail7generic6detail18binary_search_lessEbEEEE10hipError_tPvRmT1_T2_T3_mmT4_T5_P12ihipStream_tbEUlRKfE_EESV_SZ_S10_mS11_S14_bEUlT_E_NS1_11comp_targetILNS1_3genE3ELNS1_11target_archE908ELNS1_3gpuE7ELNS1_3repE0EEENS1_30default_config_static_selectorELNS0_4arch9wavefront6targetE0EEEvSY_,comdat
.Lfunc_end638:
	.size	_ZN7rocprim17ROCPRIM_400000_NS6detail17trampoline_kernelINS0_14default_configENS1_29binary_search_config_selectorIfiEEZNS1_14transform_implILb0ES3_S5_N6thrust23THRUST_200600_302600_NS6detail15normal_iteratorINS8_7pointerIfNS8_11hip_rocprim16par_det_nosync_tENS8_11use_defaultESE_EEEENSA_INSB_IiSD_SE_SE_EEEEZNS1_13binary_searchIS3_S5_NSA_INS8_10device_ptrIfEEEESG_SI_NS1_16binary_search_opENS9_16wrapped_functionINS8_6system6detail7generic6detail18binary_search_lessEbEEEE10hipError_tPvRmT1_T2_T3_mmT4_T5_P12ihipStream_tbEUlRKfE_EESV_SZ_S10_mS11_S14_bEUlT_E_NS1_11comp_targetILNS1_3genE3ELNS1_11target_archE908ELNS1_3gpuE7ELNS1_3repE0EEENS1_30default_config_static_selectorELNS0_4arch9wavefront6targetE0EEEvSY_, .Lfunc_end638-_ZN7rocprim17ROCPRIM_400000_NS6detail17trampoline_kernelINS0_14default_configENS1_29binary_search_config_selectorIfiEEZNS1_14transform_implILb0ES3_S5_N6thrust23THRUST_200600_302600_NS6detail15normal_iteratorINS8_7pointerIfNS8_11hip_rocprim16par_det_nosync_tENS8_11use_defaultESE_EEEENSA_INSB_IiSD_SE_SE_EEEEZNS1_13binary_searchIS3_S5_NSA_INS8_10device_ptrIfEEEESG_SI_NS1_16binary_search_opENS9_16wrapped_functionINS8_6system6detail7generic6detail18binary_search_lessEbEEEE10hipError_tPvRmT1_T2_T3_mmT4_T5_P12ihipStream_tbEUlRKfE_EESV_SZ_S10_mS11_S14_bEUlT_E_NS1_11comp_targetILNS1_3genE3ELNS1_11target_archE908ELNS1_3gpuE7ELNS1_3repE0EEENS1_30default_config_static_selectorELNS0_4arch9wavefront6targetE0EEEvSY_
                                        ; -- End function
	.set _ZN7rocprim17ROCPRIM_400000_NS6detail17trampoline_kernelINS0_14default_configENS1_29binary_search_config_selectorIfiEEZNS1_14transform_implILb0ES3_S5_N6thrust23THRUST_200600_302600_NS6detail15normal_iteratorINS8_7pointerIfNS8_11hip_rocprim16par_det_nosync_tENS8_11use_defaultESE_EEEENSA_INSB_IiSD_SE_SE_EEEEZNS1_13binary_searchIS3_S5_NSA_INS8_10device_ptrIfEEEESG_SI_NS1_16binary_search_opENS9_16wrapped_functionINS8_6system6detail7generic6detail18binary_search_lessEbEEEE10hipError_tPvRmT1_T2_T3_mmT4_T5_P12ihipStream_tbEUlRKfE_EESV_SZ_S10_mS11_S14_bEUlT_E_NS1_11comp_targetILNS1_3genE3ELNS1_11target_archE908ELNS1_3gpuE7ELNS1_3repE0EEENS1_30default_config_static_selectorELNS0_4arch9wavefront6targetE0EEEvSY_.num_vgpr, 0
	.set _ZN7rocprim17ROCPRIM_400000_NS6detail17trampoline_kernelINS0_14default_configENS1_29binary_search_config_selectorIfiEEZNS1_14transform_implILb0ES3_S5_N6thrust23THRUST_200600_302600_NS6detail15normal_iteratorINS8_7pointerIfNS8_11hip_rocprim16par_det_nosync_tENS8_11use_defaultESE_EEEENSA_INSB_IiSD_SE_SE_EEEEZNS1_13binary_searchIS3_S5_NSA_INS8_10device_ptrIfEEEESG_SI_NS1_16binary_search_opENS9_16wrapped_functionINS8_6system6detail7generic6detail18binary_search_lessEbEEEE10hipError_tPvRmT1_T2_T3_mmT4_T5_P12ihipStream_tbEUlRKfE_EESV_SZ_S10_mS11_S14_bEUlT_E_NS1_11comp_targetILNS1_3genE3ELNS1_11target_archE908ELNS1_3gpuE7ELNS1_3repE0EEENS1_30default_config_static_selectorELNS0_4arch9wavefront6targetE0EEEvSY_.num_agpr, 0
	.set _ZN7rocprim17ROCPRIM_400000_NS6detail17trampoline_kernelINS0_14default_configENS1_29binary_search_config_selectorIfiEEZNS1_14transform_implILb0ES3_S5_N6thrust23THRUST_200600_302600_NS6detail15normal_iteratorINS8_7pointerIfNS8_11hip_rocprim16par_det_nosync_tENS8_11use_defaultESE_EEEENSA_INSB_IiSD_SE_SE_EEEEZNS1_13binary_searchIS3_S5_NSA_INS8_10device_ptrIfEEEESG_SI_NS1_16binary_search_opENS9_16wrapped_functionINS8_6system6detail7generic6detail18binary_search_lessEbEEEE10hipError_tPvRmT1_T2_T3_mmT4_T5_P12ihipStream_tbEUlRKfE_EESV_SZ_S10_mS11_S14_bEUlT_E_NS1_11comp_targetILNS1_3genE3ELNS1_11target_archE908ELNS1_3gpuE7ELNS1_3repE0EEENS1_30default_config_static_selectorELNS0_4arch9wavefront6targetE0EEEvSY_.numbered_sgpr, 0
	.set _ZN7rocprim17ROCPRIM_400000_NS6detail17trampoline_kernelINS0_14default_configENS1_29binary_search_config_selectorIfiEEZNS1_14transform_implILb0ES3_S5_N6thrust23THRUST_200600_302600_NS6detail15normal_iteratorINS8_7pointerIfNS8_11hip_rocprim16par_det_nosync_tENS8_11use_defaultESE_EEEENSA_INSB_IiSD_SE_SE_EEEEZNS1_13binary_searchIS3_S5_NSA_INS8_10device_ptrIfEEEESG_SI_NS1_16binary_search_opENS9_16wrapped_functionINS8_6system6detail7generic6detail18binary_search_lessEbEEEE10hipError_tPvRmT1_T2_T3_mmT4_T5_P12ihipStream_tbEUlRKfE_EESV_SZ_S10_mS11_S14_bEUlT_E_NS1_11comp_targetILNS1_3genE3ELNS1_11target_archE908ELNS1_3gpuE7ELNS1_3repE0EEENS1_30default_config_static_selectorELNS0_4arch9wavefront6targetE0EEEvSY_.num_named_barrier, 0
	.set _ZN7rocprim17ROCPRIM_400000_NS6detail17trampoline_kernelINS0_14default_configENS1_29binary_search_config_selectorIfiEEZNS1_14transform_implILb0ES3_S5_N6thrust23THRUST_200600_302600_NS6detail15normal_iteratorINS8_7pointerIfNS8_11hip_rocprim16par_det_nosync_tENS8_11use_defaultESE_EEEENSA_INSB_IiSD_SE_SE_EEEEZNS1_13binary_searchIS3_S5_NSA_INS8_10device_ptrIfEEEESG_SI_NS1_16binary_search_opENS9_16wrapped_functionINS8_6system6detail7generic6detail18binary_search_lessEbEEEE10hipError_tPvRmT1_T2_T3_mmT4_T5_P12ihipStream_tbEUlRKfE_EESV_SZ_S10_mS11_S14_bEUlT_E_NS1_11comp_targetILNS1_3genE3ELNS1_11target_archE908ELNS1_3gpuE7ELNS1_3repE0EEENS1_30default_config_static_selectorELNS0_4arch9wavefront6targetE0EEEvSY_.private_seg_size, 0
	.set _ZN7rocprim17ROCPRIM_400000_NS6detail17trampoline_kernelINS0_14default_configENS1_29binary_search_config_selectorIfiEEZNS1_14transform_implILb0ES3_S5_N6thrust23THRUST_200600_302600_NS6detail15normal_iteratorINS8_7pointerIfNS8_11hip_rocprim16par_det_nosync_tENS8_11use_defaultESE_EEEENSA_INSB_IiSD_SE_SE_EEEEZNS1_13binary_searchIS3_S5_NSA_INS8_10device_ptrIfEEEESG_SI_NS1_16binary_search_opENS9_16wrapped_functionINS8_6system6detail7generic6detail18binary_search_lessEbEEEE10hipError_tPvRmT1_T2_T3_mmT4_T5_P12ihipStream_tbEUlRKfE_EESV_SZ_S10_mS11_S14_bEUlT_E_NS1_11comp_targetILNS1_3genE3ELNS1_11target_archE908ELNS1_3gpuE7ELNS1_3repE0EEENS1_30default_config_static_selectorELNS0_4arch9wavefront6targetE0EEEvSY_.uses_vcc, 0
	.set _ZN7rocprim17ROCPRIM_400000_NS6detail17trampoline_kernelINS0_14default_configENS1_29binary_search_config_selectorIfiEEZNS1_14transform_implILb0ES3_S5_N6thrust23THRUST_200600_302600_NS6detail15normal_iteratorINS8_7pointerIfNS8_11hip_rocprim16par_det_nosync_tENS8_11use_defaultESE_EEEENSA_INSB_IiSD_SE_SE_EEEEZNS1_13binary_searchIS3_S5_NSA_INS8_10device_ptrIfEEEESG_SI_NS1_16binary_search_opENS9_16wrapped_functionINS8_6system6detail7generic6detail18binary_search_lessEbEEEE10hipError_tPvRmT1_T2_T3_mmT4_T5_P12ihipStream_tbEUlRKfE_EESV_SZ_S10_mS11_S14_bEUlT_E_NS1_11comp_targetILNS1_3genE3ELNS1_11target_archE908ELNS1_3gpuE7ELNS1_3repE0EEENS1_30default_config_static_selectorELNS0_4arch9wavefront6targetE0EEEvSY_.uses_flat_scratch, 0
	.set _ZN7rocprim17ROCPRIM_400000_NS6detail17trampoline_kernelINS0_14default_configENS1_29binary_search_config_selectorIfiEEZNS1_14transform_implILb0ES3_S5_N6thrust23THRUST_200600_302600_NS6detail15normal_iteratorINS8_7pointerIfNS8_11hip_rocprim16par_det_nosync_tENS8_11use_defaultESE_EEEENSA_INSB_IiSD_SE_SE_EEEEZNS1_13binary_searchIS3_S5_NSA_INS8_10device_ptrIfEEEESG_SI_NS1_16binary_search_opENS9_16wrapped_functionINS8_6system6detail7generic6detail18binary_search_lessEbEEEE10hipError_tPvRmT1_T2_T3_mmT4_T5_P12ihipStream_tbEUlRKfE_EESV_SZ_S10_mS11_S14_bEUlT_E_NS1_11comp_targetILNS1_3genE3ELNS1_11target_archE908ELNS1_3gpuE7ELNS1_3repE0EEENS1_30default_config_static_selectorELNS0_4arch9wavefront6targetE0EEEvSY_.has_dyn_sized_stack, 0
	.set _ZN7rocprim17ROCPRIM_400000_NS6detail17trampoline_kernelINS0_14default_configENS1_29binary_search_config_selectorIfiEEZNS1_14transform_implILb0ES3_S5_N6thrust23THRUST_200600_302600_NS6detail15normal_iteratorINS8_7pointerIfNS8_11hip_rocprim16par_det_nosync_tENS8_11use_defaultESE_EEEENSA_INSB_IiSD_SE_SE_EEEEZNS1_13binary_searchIS3_S5_NSA_INS8_10device_ptrIfEEEESG_SI_NS1_16binary_search_opENS9_16wrapped_functionINS8_6system6detail7generic6detail18binary_search_lessEbEEEE10hipError_tPvRmT1_T2_T3_mmT4_T5_P12ihipStream_tbEUlRKfE_EESV_SZ_S10_mS11_S14_bEUlT_E_NS1_11comp_targetILNS1_3genE3ELNS1_11target_archE908ELNS1_3gpuE7ELNS1_3repE0EEENS1_30default_config_static_selectorELNS0_4arch9wavefront6targetE0EEEvSY_.has_recursion, 0
	.set _ZN7rocprim17ROCPRIM_400000_NS6detail17trampoline_kernelINS0_14default_configENS1_29binary_search_config_selectorIfiEEZNS1_14transform_implILb0ES3_S5_N6thrust23THRUST_200600_302600_NS6detail15normal_iteratorINS8_7pointerIfNS8_11hip_rocprim16par_det_nosync_tENS8_11use_defaultESE_EEEENSA_INSB_IiSD_SE_SE_EEEEZNS1_13binary_searchIS3_S5_NSA_INS8_10device_ptrIfEEEESG_SI_NS1_16binary_search_opENS9_16wrapped_functionINS8_6system6detail7generic6detail18binary_search_lessEbEEEE10hipError_tPvRmT1_T2_T3_mmT4_T5_P12ihipStream_tbEUlRKfE_EESV_SZ_S10_mS11_S14_bEUlT_E_NS1_11comp_targetILNS1_3genE3ELNS1_11target_archE908ELNS1_3gpuE7ELNS1_3repE0EEENS1_30default_config_static_selectorELNS0_4arch9wavefront6targetE0EEEvSY_.has_indirect_call, 0
	.section	.AMDGPU.csdata,"",@progbits
; Kernel info:
; codeLenInByte = 0
; TotalNumSgprs: 0
; NumVgprs: 0
; ScratchSize: 0
; MemoryBound: 0
; FloatMode: 240
; IeeeMode: 1
; LDSByteSize: 0 bytes/workgroup (compile time only)
; SGPRBlocks: 0
; VGPRBlocks: 0
; NumSGPRsForWavesPerEU: 1
; NumVGPRsForWavesPerEU: 1
; Occupancy: 16
; WaveLimiterHint : 0
; COMPUTE_PGM_RSRC2:SCRATCH_EN: 0
; COMPUTE_PGM_RSRC2:USER_SGPR: 6
; COMPUTE_PGM_RSRC2:TRAP_HANDLER: 0
; COMPUTE_PGM_RSRC2:TGID_X_EN: 1
; COMPUTE_PGM_RSRC2:TGID_Y_EN: 0
; COMPUTE_PGM_RSRC2:TGID_Z_EN: 0
; COMPUTE_PGM_RSRC2:TIDIG_COMP_CNT: 0
	.section	.text._ZN7rocprim17ROCPRIM_400000_NS6detail17trampoline_kernelINS0_14default_configENS1_29binary_search_config_selectorIfiEEZNS1_14transform_implILb0ES3_S5_N6thrust23THRUST_200600_302600_NS6detail15normal_iteratorINS8_7pointerIfNS8_11hip_rocprim16par_det_nosync_tENS8_11use_defaultESE_EEEENSA_INSB_IiSD_SE_SE_EEEEZNS1_13binary_searchIS3_S5_NSA_INS8_10device_ptrIfEEEESG_SI_NS1_16binary_search_opENS9_16wrapped_functionINS8_6system6detail7generic6detail18binary_search_lessEbEEEE10hipError_tPvRmT1_T2_T3_mmT4_T5_P12ihipStream_tbEUlRKfE_EESV_SZ_S10_mS11_S14_bEUlT_E_NS1_11comp_targetILNS1_3genE2ELNS1_11target_archE906ELNS1_3gpuE6ELNS1_3repE0EEENS1_30default_config_static_selectorELNS0_4arch9wavefront6targetE0EEEvSY_,"axG",@progbits,_ZN7rocprim17ROCPRIM_400000_NS6detail17trampoline_kernelINS0_14default_configENS1_29binary_search_config_selectorIfiEEZNS1_14transform_implILb0ES3_S5_N6thrust23THRUST_200600_302600_NS6detail15normal_iteratorINS8_7pointerIfNS8_11hip_rocprim16par_det_nosync_tENS8_11use_defaultESE_EEEENSA_INSB_IiSD_SE_SE_EEEEZNS1_13binary_searchIS3_S5_NSA_INS8_10device_ptrIfEEEESG_SI_NS1_16binary_search_opENS9_16wrapped_functionINS8_6system6detail7generic6detail18binary_search_lessEbEEEE10hipError_tPvRmT1_T2_T3_mmT4_T5_P12ihipStream_tbEUlRKfE_EESV_SZ_S10_mS11_S14_bEUlT_E_NS1_11comp_targetILNS1_3genE2ELNS1_11target_archE906ELNS1_3gpuE6ELNS1_3repE0EEENS1_30default_config_static_selectorELNS0_4arch9wavefront6targetE0EEEvSY_,comdat
	.protected	_ZN7rocprim17ROCPRIM_400000_NS6detail17trampoline_kernelINS0_14default_configENS1_29binary_search_config_selectorIfiEEZNS1_14transform_implILb0ES3_S5_N6thrust23THRUST_200600_302600_NS6detail15normal_iteratorINS8_7pointerIfNS8_11hip_rocprim16par_det_nosync_tENS8_11use_defaultESE_EEEENSA_INSB_IiSD_SE_SE_EEEEZNS1_13binary_searchIS3_S5_NSA_INS8_10device_ptrIfEEEESG_SI_NS1_16binary_search_opENS9_16wrapped_functionINS8_6system6detail7generic6detail18binary_search_lessEbEEEE10hipError_tPvRmT1_T2_T3_mmT4_T5_P12ihipStream_tbEUlRKfE_EESV_SZ_S10_mS11_S14_bEUlT_E_NS1_11comp_targetILNS1_3genE2ELNS1_11target_archE906ELNS1_3gpuE6ELNS1_3repE0EEENS1_30default_config_static_selectorELNS0_4arch9wavefront6targetE0EEEvSY_ ; -- Begin function _ZN7rocprim17ROCPRIM_400000_NS6detail17trampoline_kernelINS0_14default_configENS1_29binary_search_config_selectorIfiEEZNS1_14transform_implILb0ES3_S5_N6thrust23THRUST_200600_302600_NS6detail15normal_iteratorINS8_7pointerIfNS8_11hip_rocprim16par_det_nosync_tENS8_11use_defaultESE_EEEENSA_INSB_IiSD_SE_SE_EEEEZNS1_13binary_searchIS3_S5_NSA_INS8_10device_ptrIfEEEESG_SI_NS1_16binary_search_opENS9_16wrapped_functionINS8_6system6detail7generic6detail18binary_search_lessEbEEEE10hipError_tPvRmT1_T2_T3_mmT4_T5_P12ihipStream_tbEUlRKfE_EESV_SZ_S10_mS11_S14_bEUlT_E_NS1_11comp_targetILNS1_3genE2ELNS1_11target_archE906ELNS1_3gpuE6ELNS1_3repE0EEENS1_30default_config_static_selectorELNS0_4arch9wavefront6targetE0EEEvSY_
	.globl	_ZN7rocprim17ROCPRIM_400000_NS6detail17trampoline_kernelINS0_14default_configENS1_29binary_search_config_selectorIfiEEZNS1_14transform_implILb0ES3_S5_N6thrust23THRUST_200600_302600_NS6detail15normal_iteratorINS8_7pointerIfNS8_11hip_rocprim16par_det_nosync_tENS8_11use_defaultESE_EEEENSA_INSB_IiSD_SE_SE_EEEEZNS1_13binary_searchIS3_S5_NSA_INS8_10device_ptrIfEEEESG_SI_NS1_16binary_search_opENS9_16wrapped_functionINS8_6system6detail7generic6detail18binary_search_lessEbEEEE10hipError_tPvRmT1_T2_T3_mmT4_T5_P12ihipStream_tbEUlRKfE_EESV_SZ_S10_mS11_S14_bEUlT_E_NS1_11comp_targetILNS1_3genE2ELNS1_11target_archE906ELNS1_3gpuE6ELNS1_3repE0EEENS1_30default_config_static_selectorELNS0_4arch9wavefront6targetE0EEEvSY_
	.p2align	8
	.type	_ZN7rocprim17ROCPRIM_400000_NS6detail17trampoline_kernelINS0_14default_configENS1_29binary_search_config_selectorIfiEEZNS1_14transform_implILb0ES3_S5_N6thrust23THRUST_200600_302600_NS6detail15normal_iteratorINS8_7pointerIfNS8_11hip_rocprim16par_det_nosync_tENS8_11use_defaultESE_EEEENSA_INSB_IiSD_SE_SE_EEEEZNS1_13binary_searchIS3_S5_NSA_INS8_10device_ptrIfEEEESG_SI_NS1_16binary_search_opENS9_16wrapped_functionINS8_6system6detail7generic6detail18binary_search_lessEbEEEE10hipError_tPvRmT1_T2_T3_mmT4_T5_P12ihipStream_tbEUlRKfE_EESV_SZ_S10_mS11_S14_bEUlT_E_NS1_11comp_targetILNS1_3genE2ELNS1_11target_archE906ELNS1_3gpuE6ELNS1_3repE0EEENS1_30default_config_static_selectorELNS0_4arch9wavefront6targetE0EEEvSY_,@function
_ZN7rocprim17ROCPRIM_400000_NS6detail17trampoline_kernelINS0_14default_configENS1_29binary_search_config_selectorIfiEEZNS1_14transform_implILb0ES3_S5_N6thrust23THRUST_200600_302600_NS6detail15normal_iteratorINS8_7pointerIfNS8_11hip_rocprim16par_det_nosync_tENS8_11use_defaultESE_EEEENSA_INSB_IiSD_SE_SE_EEEEZNS1_13binary_searchIS3_S5_NSA_INS8_10device_ptrIfEEEESG_SI_NS1_16binary_search_opENS9_16wrapped_functionINS8_6system6detail7generic6detail18binary_search_lessEbEEEE10hipError_tPvRmT1_T2_T3_mmT4_T5_P12ihipStream_tbEUlRKfE_EESV_SZ_S10_mS11_S14_bEUlT_E_NS1_11comp_targetILNS1_3genE2ELNS1_11target_archE906ELNS1_3gpuE6ELNS1_3repE0EEENS1_30default_config_static_selectorELNS0_4arch9wavefront6targetE0EEEvSY_: ; @_ZN7rocprim17ROCPRIM_400000_NS6detail17trampoline_kernelINS0_14default_configENS1_29binary_search_config_selectorIfiEEZNS1_14transform_implILb0ES3_S5_N6thrust23THRUST_200600_302600_NS6detail15normal_iteratorINS8_7pointerIfNS8_11hip_rocprim16par_det_nosync_tENS8_11use_defaultESE_EEEENSA_INSB_IiSD_SE_SE_EEEEZNS1_13binary_searchIS3_S5_NSA_INS8_10device_ptrIfEEEESG_SI_NS1_16binary_search_opENS9_16wrapped_functionINS8_6system6detail7generic6detail18binary_search_lessEbEEEE10hipError_tPvRmT1_T2_T3_mmT4_T5_P12ihipStream_tbEUlRKfE_EESV_SZ_S10_mS11_S14_bEUlT_E_NS1_11comp_targetILNS1_3genE2ELNS1_11target_archE906ELNS1_3gpuE6ELNS1_3repE0EEENS1_30default_config_static_selectorELNS0_4arch9wavefront6targetE0EEEvSY_
; %bb.0:
	.section	.rodata,"a",@progbits
	.p2align	6, 0x0
	.amdhsa_kernel _ZN7rocprim17ROCPRIM_400000_NS6detail17trampoline_kernelINS0_14default_configENS1_29binary_search_config_selectorIfiEEZNS1_14transform_implILb0ES3_S5_N6thrust23THRUST_200600_302600_NS6detail15normal_iteratorINS8_7pointerIfNS8_11hip_rocprim16par_det_nosync_tENS8_11use_defaultESE_EEEENSA_INSB_IiSD_SE_SE_EEEEZNS1_13binary_searchIS3_S5_NSA_INS8_10device_ptrIfEEEESG_SI_NS1_16binary_search_opENS9_16wrapped_functionINS8_6system6detail7generic6detail18binary_search_lessEbEEEE10hipError_tPvRmT1_T2_T3_mmT4_T5_P12ihipStream_tbEUlRKfE_EESV_SZ_S10_mS11_S14_bEUlT_E_NS1_11comp_targetILNS1_3genE2ELNS1_11target_archE906ELNS1_3gpuE6ELNS1_3repE0EEENS1_30default_config_static_selectorELNS0_4arch9wavefront6targetE0EEEvSY_
		.amdhsa_group_segment_fixed_size 0
		.amdhsa_private_segment_fixed_size 0
		.amdhsa_kernarg_size 56
		.amdhsa_user_sgpr_count 6
		.amdhsa_user_sgpr_private_segment_buffer 1
		.amdhsa_user_sgpr_dispatch_ptr 0
		.amdhsa_user_sgpr_queue_ptr 0
		.amdhsa_user_sgpr_kernarg_segment_ptr 1
		.amdhsa_user_sgpr_dispatch_id 0
		.amdhsa_user_sgpr_flat_scratch_init 0
		.amdhsa_user_sgpr_private_segment_size 0
		.amdhsa_wavefront_size32 1
		.amdhsa_uses_dynamic_stack 0
		.amdhsa_system_sgpr_private_segment_wavefront_offset 0
		.amdhsa_system_sgpr_workgroup_id_x 1
		.amdhsa_system_sgpr_workgroup_id_y 0
		.amdhsa_system_sgpr_workgroup_id_z 0
		.amdhsa_system_sgpr_workgroup_info 0
		.amdhsa_system_vgpr_workitem_id 0
		.amdhsa_next_free_vgpr 1
		.amdhsa_next_free_sgpr 1
		.amdhsa_reserve_vcc 0
		.amdhsa_reserve_flat_scratch 0
		.amdhsa_float_round_mode_32 0
		.amdhsa_float_round_mode_16_64 0
		.amdhsa_float_denorm_mode_32 3
		.amdhsa_float_denorm_mode_16_64 3
		.amdhsa_dx10_clamp 1
		.amdhsa_ieee_mode 1
		.amdhsa_fp16_overflow 0
		.amdhsa_workgroup_processor_mode 1
		.amdhsa_memory_ordered 1
		.amdhsa_forward_progress 1
		.amdhsa_shared_vgpr_count 0
		.amdhsa_exception_fp_ieee_invalid_op 0
		.amdhsa_exception_fp_denorm_src 0
		.amdhsa_exception_fp_ieee_div_zero 0
		.amdhsa_exception_fp_ieee_overflow 0
		.amdhsa_exception_fp_ieee_underflow 0
		.amdhsa_exception_fp_ieee_inexact 0
		.amdhsa_exception_int_div_zero 0
	.end_amdhsa_kernel
	.section	.text._ZN7rocprim17ROCPRIM_400000_NS6detail17trampoline_kernelINS0_14default_configENS1_29binary_search_config_selectorIfiEEZNS1_14transform_implILb0ES3_S5_N6thrust23THRUST_200600_302600_NS6detail15normal_iteratorINS8_7pointerIfNS8_11hip_rocprim16par_det_nosync_tENS8_11use_defaultESE_EEEENSA_INSB_IiSD_SE_SE_EEEEZNS1_13binary_searchIS3_S5_NSA_INS8_10device_ptrIfEEEESG_SI_NS1_16binary_search_opENS9_16wrapped_functionINS8_6system6detail7generic6detail18binary_search_lessEbEEEE10hipError_tPvRmT1_T2_T3_mmT4_T5_P12ihipStream_tbEUlRKfE_EESV_SZ_S10_mS11_S14_bEUlT_E_NS1_11comp_targetILNS1_3genE2ELNS1_11target_archE906ELNS1_3gpuE6ELNS1_3repE0EEENS1_30default_config_static_selectorELNS0_4arch9wavefront6targetE0EEEvSY_,"axG",@progbits,_ZN7rocprim17ROCPRIM_400000_NS6detail17trampoline_kernelINS0_14default_configENS1_29binary_search_config_selectorIfiEEZNS1_14transform_implILb0ES3_S5_N6thrust23THRUST_200600_302600_NS6detail15normal_iteratorINS8_7pointerIfNS8_11hip_rocprim16par_det_nosync_tENS8_11use_defaultESE_EEEENSA_INSB_IiSD_SE_SE_EEEEZNS1_13binary_searchIS3_S5_NSA_INS8_10device_ptrIfEEEESG_SI_NS1_16binary_search_opENS9_16wrapped_functionINS8_6system6detail7generic6detail18binary_search_lessEbEEEE10hipError_tPvRmT1_T2_T3_mmT4_T5_P12ihipStream_tbEUlRKfE_EESV_SZ_S10_mS11_S14_bEUlT_E_NS1_11comp_targetILNS1_3genE2ELNS1_11target_archE906ELNS1_3gpuE6ELNS1_3repE0EEENS1_30default_config_static_selectorELNS0_4arch9wavefront6targetE0EEEvSY_,comdat
.Lfunc_end639:
	.size	_ZN7rocprim17ROCPRIM_400000_NS6detail17trampoline_kernelINS0_14default_configENS1_29binary_search_config_selectorIfiEEZNS1_14transform_implILb0ES3_S5_N6thrust23THRUST_200600_302600_NS6detail15normal_iteratorINS8_7pointerIfNS8_11hip_rocprim16par_det_nosync_tENS8_11use_defaultESE_EEEENSA_INSB_IiSD_SE_SE_EEEEZNS1_13binary_searchIS3_S5_NSA_INS8_10device_ptrIfEEEESG_SI_NS1_16binary_search_opENS9_16wrapped_functionINS8_6system6detail7generic6detail18binary_search_lessEbEEEE10hipError_tPvRmT1_T2_T3_mmT4_T5_P12ihipStream_tbEUlRKfE_EESV_SZ_S10_mS11_S14_bEUlT_E_NS1_11comp_targetILNS1_3genE2ELNS1_11target_archE906ELNS1_3gpuE6ELNS1_3repE0EEENS1_30default_config_static_selectorELNS0_4arch9wavefront6targetE0EEEvSY_, .Lfunc_end639-_ZN7rocprim17ROCPRIM_400000_NS6detail17trampoline_kernelINS0_14default_configENS1_29binary_search_config_selectorIfiEEZNS1_14transform_implILb0ES3_S5_N6thrust23THRUST_200600_302600_NS6detail15normal_iteratorINS8_7pointerIfNS8_11hip_rocprim16par_det_nosync_tENS8_11use_defaultESE_EEEENSA_INSB_IiSD_SE_SE_EEEEZNS1_13binary_searchIS3_S5_NSA_INS8_10device_ptrIfEEEESG_SI_NS1_16binary_search_opENS9_16wrapped_functionINS8_6system6detail7generic6detail18binary_search_lessEbEEEE10hipError_tPvRmT1_T2_T3_mmT4_T5_P12ihipStream_tbEUlRKfE_EESV_SZ_S10_mS11_S14_bEUlT_E_NS1_11comp_targetILNS1_3genE2ELNS1_11target_archE906ELNS1_3gpuE6ELNS1_3repE0EEENS1_30default_config_static_selectorELNS0_4arch9wavefront6targetE0EEEvSY_
                                        ; -- End function
	.set _ZN7rocprim17ROCPRIM_400000_NS6detail17trampoline_kernelINS0_14default_configENS1_29binary_search_config_selectorIfiEEZNS1_14transform_implILb0ES3_S5_N6thrust23THRUST_200600_302600_NS6detail15normal_iteratorINS8_7pointerIfNS8_11hip_rocprim16par_det_nosync_tENS8_11use_defaultESE_EEEENSA_INSB_IiSD_SE_SE_EEEEZNS1_13binary_searchIS3_S5_NSA_INS8_10device_ptrIfEEEESG_SI_NS1_16binary_search_opENS9_16wrapped_functionINS8_6system6detail7generic6detail18binary_search_lessEbEEEE10hipError_tPvRmT1_T2_T3_mmT4_T5_P12ihipStream_tbEUlRKfE_EESV_SZ_S10_mS11_S14_bEUlT_E_NS1_11comp_targetILNS1_3genE2ELNS1_11target_archE906ELNS1_3gpuE6ELNS1_3repE0EEENS1_30default_config_static_selectorELNS0_4arch9wavefront6targetE0EEEvSY_.num_vgpr, 0
	.set _ZN7rocprim17ROCPRIM_400000_NS6detail17trampoline_kernelINS0_14default_configENS1_29binary_search_config_selectorIfiEEZNS1_14transform_implILb0ES3_S5_N6thrust23THRUST_200600_302600_NS6detail15normal_iteratorINS8_7pointerIfNS8_11hip_rocprim16par_det_nosync_tENS8_11use_defaultESE_EEEENSA_INSB_IiSD_SE_SE_EEEEZNS1_13binary_searchIS3_S5_NSA_INS8_10device_ptrIfEEEESG_SI_NS1_16binary_search_opENS9_16wrapped_functionINS8_6system6detail7generic6detail18binary_search_lessEbEEEE10hipError_tPvRmT1_T2_T3_mmT4_T5_P12ihipStream_tbEUlRKfE_EESV_SZ_S10_mS11_S14_bEUlT_E_NS1_11comp_targetILNS1_3genE2ELNS1_11target_archE906ELNS1_3gpuE6ELNS1_3repE0EEENS1_30default_config_static_selectorELNS0_4arch9wavefront6targetE0EEEvSY_.num_agpr, 0
	.set _ZN7rocprim17ROCPRIM_400000_NS6detail17trampoline_kernelINS0_14default_configENS1_29binary_search_config_selectorIfiEEZNS1_14transform_implILb0ES3_S5_N6thrust23THRUST_200600_302600_NS6detail15normal_iteratorINS8_7pointerIfNS8_11hip_rocprim16par_det_nosync_tENS8_11use_defaultESE_EEEENSA_INSB_IiSD_SE_SE_EEEEZNS1_13binary_searchIS3_S5_NSA_INS8_10device_ptrIfEEEESG_SI_NS1_16binary_search_opENS9_16wrapped_functionINS8_6system6detail7generic6detail18binary_search_lessEbEEEE10hipError_tPvRmT1_T2_T3_mmT4_T5_P12ihipStream_tbEUlRKfE_EESV_SZ_S10_mS11_S14_bEUlT_E_NS1_11comp_targetILNS1_3genE2ELNS1_11target_archE906ELNS1_3gpuE6ELNS1_3repE0EEENS1_30default_config_static_selectorELNS0_4arch9wavefront6targetE0EEEvSY_.numbered_sgpr, 0
	.set _ZN7rocprim17ROCPRIM_400000_NS6detail17trampoline_kernelINS0_14default_configENS1_29binary_search_config_selectorIfiEEZNS1_14transform_implILb0ES3_S5_N6thrust23THRUST_200600_302600_NS6detail15normal_iteratorINS8_7pointerIfNS8_11hip_rocprim16par_det_nosync_tENS8_11use_defaultESE_EEEENSA_INSB_IiSD_SE_SE_EEEEZNS1_13binary_searchIS3_S5_NSA_INS8_10device_ptrIfEEEESG_SI_NS1_16binary_search_opENS9_16wrapped_functionINS8_6system6detail7generic6detail18binary_search_lessEbEEEE10hipError_tPvRmT1_T2_T3_mmT4_T5_P12ihipStream_tbEUlRKfE_EESV_SZ_S10_mS11_S14_bEUlT_E_NS1_11comp_targetILNS1_3genE2ELNS1_11target_archE906ELNS1_3gpuE6ELNS1_3repE0EEENS1_30default_config_static_selectorELNS0_4arch9wavefront6targetE0EEEvSY_.num_named_barrier, 0
	.set _ZN7rocprim17ROCPRIM_400000_NS6detail17trampoline_kernelINS0_14default_configENS1_29binary_search_config_selectorIfiEEZNS1_14transform_implILb0ES3_S5_N6thrust23THRUST_200600_302600_NS6detail15normal_iteratorINS8_7pointerIfNS8_11hip_rocprim16par_det_nosync_tENS8_11use_defaultESE_EEEENSA_INSB_IiSD_SE_SE_EEEEZNS1_13binary_searchIS3_S5_NSA_INS8_10device_ptrIfEEEESG_SI_NS1_16binary_search_opENS9_16wrapped_functionINS8_6system6detail7generic6detail18binary_search_lessEbEEEE10hipError_tPvRmT1_T2_T3_mmT4_T5_P12ihipStream_tbEUlRKfE_EESV_SZ_S10_mS11_S14_bEUlT_E_NS1_11comp_targetILNS1_3genE2ELNS1_11target_archE906ELNS1_3gpuE6ELNS1_3repE0EEENS1_30default_config_static_selectorELNS0_4arch9wavefront6targetE0EEEvSY_.private_seg_size, 0
	.set _ZN7rocprim17ROCPRIM_400000_NS6detail17trampoline_kernelINS0_14default_configENS1_29binary_search_config_selectorIfiEEZNS1_14transform_implILb0ES3_S5_N6thrust23THRUST_200600_302600_NS6detail15normal_iteratorINS8_7pointerIfNS8_11hip_rocprim16par_det_nosync_tENS8_11use_defaultESE_EEEENSA_INSB_IiSD_SE_SE_EEEEZNS1_13binary_searchIS3_S5_NSA_INS8_10device_ptrIfEEEESG_SI_NS1_16binary_search_opENS9_16wrapped_functionINS8_6system6detail7generic6detail18binary_search_lessEbEEEE10hipError_tPvRmT1_T2_T3_mmT4_T5_P12ihipStream_tbEUlRKfE_EESV_SZ_S10_mS11_S14_bEUlT_E_NS1_11comp_targetILNS1_3genE2ELNS1_11target_archE906ELNS1_3gpuE6ELNS1_3repE0EEENS1_30default_config_static_selectorELNS0_4arch9wavefront6targetE0EEEvSY_.uses_vcc, 0
	.set _ZN7rocprim17ROCPRIM_400000_NS6detail17trampoline_kernelINS0_14default_configENS1_29binary_search_config_selectorIfiEEZNS1_14transform_implILb0ES3_S5_N6thrust23THRUST_200600_302600_NS6detail15normal_iteratorINS8_7pointerIfNS8_11hip_rocprim16par_det_nosync_tENS8_11use_defaultESE_EEEENSA_INSB_IiSD_SE_SE_EEEEZNS1_13binary_searchIS3_S5_NSA_INS8_10device_ptrIfEEEESG_SI_NS1_16binary_search_opENS9_16wrapped_functionINS8_6system6detail7generic6detail18binary_search_lessEbEEEE10hipError_tPvRmT1_T2_T3_mmT4_T5_P12ihipStream_tbEUlRKfE_EESV_SZ_S10_mS11_S14_bEUlT_E_NS1_11comp_targetILNS1_3genE2ELNS1_11target_archE906ELNS1_3gpuE6ELNS1_3repE0EEENS1_30default_config_static_selectorELNS0_4arch9wavefront6targetE0EEEvSY_.uses_flat_scratch, 0
	.set _ZN7rocprim17ROCPRIM_400000_NS6detail17trampoline_kernelINS0_14default_configENS1_29binary_search_config_selectorIfiEEZNS1_14transform_implILb0ES3_S5_N6thrust23THRUST_200600_302600_NS6detail15normal_iteratorINS8_7pointerIfNS8_11hip_rocprim16par_det_nosync_tENS8_11use_defaultESE_EEEENSA_INSB_IiSD_SE_SE_EEEEZNS1_13binary_searchIS3_S5_NSA_INS8_10device_ptrIfEEEESG_SI_NS1_16binary_search_opENS9_16wrapped_functionINS8_6system6detail7generic6detail18binary_search_lessEbEEEE10hipError_tPvRmT1_T2_T3_mmT4_T5_P12ihipStream_tbEUlRKfE_EESV_SZ_S10_mS11_S14_bEUlT_E_NS1_11comp_targetILNS1_3genE2ELNS1_11target_archE906ELNS1_3gpuE6ELNS1_3repE0EEENS1_30default_config_static_selectorELNS0_4arch9wavefront6targetE0EEEvSY_.has_dyn_sized_stack, 0
	.set _ZN7rocprim17ROCPRIM_400000_NS6detail17trampoline_kernelINS0_14default_configENS1_29binary_search_config_selectorIfiEEZNS1_14transform_implILb0ES3_S5_N6thrust23THRUST_200600_302600_NS6detail15normal_iteratorINS8_7pointerIfNS8_11hip_rocprim16par_det_nosync_tENS8_11use_defaultESE_EEEENSA_INSB_IiSD_SE_SE_EEEEZNS1_13binary_searchIS3_S5_NSA_INS8_10device_ptrIfEEEESG_SI_NS1_16binary_search_opENS9_16wrapped_functionINS8_6system6detail7generic6detail18binary_search_lessEbEEEE10hipError_tPvRmT1_T2_T3_mmT4_T5_P12ihipStream_tbEUlRKfE_EESV_SZ_S10_mS11_S14_bEUlT_E_NS1_11comp_targetILNS1_3genE2ELNS1_11target_archE906ELNS1_3gpuE6ELNS1_3repE0EEENS1_30default_config_static_selectorELNS0_4arch9wavefront6targetE0EEEvSY_.has_recursion, 0
	.set _ZN7rocprim17ROCPRIM_400000_NS6detail17trampoline_kernelINS0_14default_configENS1_29binary_search_config_selectorIfiEEZNS1_14transform_implILb0ES3_S5_N6thrust23THRUST_200600_302600_NS6detail15normal_iteratorINS8_7pointerIfNS8_11hip_rocprim16par_det_nosync_tENS8_11use_defaultESE_EEEENSA_INSB_IiSD_SE_SE_EEEEZNS1_13binary_searchIS3_S5_NSA_INS8_10device_ptrIfEEEESG_SI_NS1_16binary_search_opENS9_16wrapped_functionINS8_6system6detail7generic6detail18binary_search_lessEbEEEE10hipError_tPvRmT1_T2_T3_mmT4_T5_P12ihipStream_tbEUlRKfE_EESV_SZ_S10_mS11_S14_bEUlT_E_NS1_11comp_targetILNS1_3genE2ELNS1_11target_archE906ELNS1_3gpuE6ELNS1_3repE0EEENS1_30default_config_static_selectorELNS0_4arch9wavefront6targetE0EEEvSY_.has_indirect_call, 0
	.section	.AMDGPU.csdata,"",@progbits
; Kernel info:
; codeLenInByte = 0
; TotalNumSgprs: 0
; NumVgprs: 0
; ScratchSize: 0
; MemoryBound: 0
; FloatMode: 240
; IeeeMode: 1
; LDSByteSize: 0 bytes/workgroup (compile time only)
; SGPRBlocks: 0
; VGPRBlocks: 0
; NumSGPRsForWavesPerEU: 1
; NumVGPRsForWavesPerEU: 1
; Occupancy: 16
; WaveLimiterHint : 0
; COMPUTE_PGM_RSRC2:SCRATCH_EN: 0
; COMPUTE_PGM_RSRC2:USER_SGPR: 6
; COMPUTE_PGM_RSRC2:TRAP_HANDLER: 0
; COMPUTE_PGM_RSRC2:TGID_X_EN: 1
; COMPUTE_PGM_RSRC2:TGID_Y_EN: 0
; COMPUTE_PGM_RSRC2:TGID_Z_EN: 0
; COMPUTE_PGM_RSRC2:TIDIG_COMP_CNT: 0
	.section	.text._ZN7rocprim17ROCPRIM_400000_NS6detail17trampoline_kernelINS0_14default_configENS1_29binary_search_config_selectorIfiEEZNS1_14transform_implILb0ES3_S5_N6thrust23THRUST_200600_302600_NS6detail15normal_iteratorINS8_7pointerIfNS8_11hip_rocprim16par_det_nosync_tENS8_11use_defaultESE_EEEENSA_INSB_IiSD_SE_SE_EEEEZNS1_13binary_searchIS3_S5_NSA_INS8_10device_ptrIfEEEESG_SI_NS1_16binary_search_opENS9_16wrapped_functionINS8_6system6detail7generic6detail18binary_search_lessEbEEEE10hipError_tPvRmT1_T2_T3_mmT4_T5_P12ihipStream_tbEUlRKfE_EESV_SZ_S10_mS11_S14_bEUlT_E_NS1_11comp_targetILNS1_3genE10ELNS1_11target_archE1201ELNS1_3gpuE5ELNS1_3repE0EEENS1_30default_config_static_selectorELNS0_4arch9wavefront6targetE0EEEvSY_,"axG",@progbits,_ZN7rocprim17ROCPRIM_400000_NS6detail17trampoline_kernelINS0_14default_configENS1_29binary_search_config_selectorIfiEEZNS1_14transform_implILb0ES3_S5_N6thrust23THRUST_200600_302600_NS6detail15normal_iteratorINS8_7pointerIfNS8_11hip_rocprim16par_det_nosync_tENS8_11use_defaultESE_EEEENSA_INSB_IiSD_SE_SE_EEEEZNS1_13binary_searchIS3_S5_NSA_INS8_10device_ptrIfEEEESG_SI_NS1_16binary_search_opENS9_16wrapped_functionINS8_6system6detail7generic6detail18binary_search_lessEbEEEE10hipError_tPvRmT1_T2_T3_mmT4_T5_P12ihipStream_tbEUlRKfE_EESV_SZ_S10_mS11_S14_bEUlT_E_NS1_11comp_targetILNS1_3genE10ELNS1_11target_archE1201ELNS1_3gpuE5ELNS1_3repE0EEENS1_30default_config_static_selectorELNS0_4arch9wavefront6targetE0EEEvSY_,comdat
	.protected	_ZN7rocprim17ROCPRIM_400000_NS6detail17trampoline_kernelINS0_14default_configENS1_29binary_search_config_selectorIfiEEZNS1_14transform_implILb0ES3_S5_N6thrust23THRUST_200600_302600_NS6detail15normal_iteratorINS8_7pointerIfNS8_11hip_rocprim16par_det_nosync_tENS8_11use_defaultESE_EEEENSA_INSB_IiSD_SE_SE_EEEEZNS1_13binary_searchIS3_S5_NSA_INS8_10device_ptrIfEEEESG_SI_NS1_16binary_search_opENS9_16wrapped_functionINS8_6system6detail7generic6detail18binary_search_lessEbEEEE10hipError_tPvRmT1_T2_T3_mmT4_T5_P12ihipStream_tbEUlRKfE_EESV_SZ_S10_mS11_S14_bEUlT_E_NS1_11comp_targetILNS1_3genE10ELNS1_11target_archE1201ELNS1_3gpuE5ELNS1_3repE0EEENS1_30default_config_static_selectorELNS0_4arch9wavefront6targetE0EEEvSY_ ; -- Begin function _ZN7rocprim17ROCPRIM_400000_NS6detail17trampoline_kernelINS0_14default_configENS1_29binary_search_config_selectorIfiEEZNS1_14transform_implILb0ES3_S5_N6thrust23THRUST_200600_302600_NS6detail15normal_iteratorINS8_7pointerIfNS8_11hip_rocprim16par_det_nosync_tENS8_11use_defaultESE_EEEENSA_INSB_IiSD_SE_SE_EEEEZNS1_13binary_searchIS3_S5_NSA_INS8_10device_ptrIfEEEESG_SI_NS1_16binary_search_opENS9_16wrapped_functionINS8_6system6detail7generic6detail18binary_search_lessEbEEEE10hipError_tPvRmT1_T2_T3_mmT4_T5_P12ihipStream_tbEUlRKfE_EESV_SZ_S10_mS11_S14_bEUlT_E_NS1_11comp_targetILNS1_3genE10ELNS1_11target_archE1201ELNS1_3gpuE5ELNS1_3repE0EEENS1_30default_config_static_selectorELNS0_4arch9wavefront6targetE0EEEvSY_
	.globl	_ZN7rocprim17ROCPRIM_400000_NS6detail17trampoline_kernelINS0_14default_configENS1_29binary_search_config_selectorIfiEEZNS1_14transform_implILb0ES3_S5_N6thrust23THRUST_200600_302600_NS6detail15normal_iteratorINS8_7pointerIfNS8_11hip_rocprim16par_det_nosync_tENS8_11use_defaultESE_EEEENSA_INSB_IiSD_SE_SE_EEEEZNS1_13binary_searchIS3_S5_NSA_INS8_10device_ptrIfEEEESG_SI_NS1_16binary_search_opENS9_16wrapped_functionINS8_6system6detail7generic6detail18binary_search_lessEbEEEE10hipError_tPvRmT1_T2_T3_mmT4_T5_P12ihipStream_tbEUlRKfE_EESV_SZ_S10_mS11_S14_bEUlT_E_NS1_11comp_targetILNS1_3genE10ELNS1_11target_archE1201ELNS1_3gpuE5ELNS1_3repE0EEENS1_30default_config_static_selectorELNS0_4arch9wavefront6targetE0EEEvSY_
	.p2align	8
	.type	_ZN7rocprim17ROCPRIM_400000_NS6detail17trampoline_kernelINS0_14default_configENS1_29binary_search_config_selectorIfiEEZNS1_14transform_implILb0ES3_S5_N6thrust23THRUST_200600_302600_NS6detail15normal_iteratorINS8_7pointerIfNS8_11hip_rocprim16par_det_nosync_tENS8_11use_defaultESE_EEEENSA_INSB_IiSD_SE_SE_EEEEZNS1_13binary_searchIS3_S5_NSA_INS8_10device_ptrIfEEEESG_SI_NS1_16binary_search_opENS9_16wrapped_functionINS8_6system6detail7generic6detail18binary_search_lessEbEEEE10hipError_tPvRmT1_T2_T3_mmT4_T5_P12ihipStream_tbEUlRKfE_EESV_SZ_S10_mS11_S14_bEUlT_E_NS1_11comp_targetILNS1_3genE10ELNS1_11target_archE1201ELNS1_3gpuE5ELNS1_3repE0EEENS1_30default_config_static_selectorELNS0_4arch9wavefront6targetE0EEEvSY_,@function
_ZN7rocprim17ROCPRIM_400000_NS6detail17trampoline_kernelINS0_14default_configENS1_29binary_search_config_selectorIfiEEZNS1_14transform_implILb0ES3_S5_N6thrust23THRUST_200600_302600_NS6detail15normal_iteratorINS8_7pointerIfNS8_11hip_rocprim16par_det_nosync_tENS8_11use_defaultESE_EEEENSA_INSB_IiSD_SE_SE_EEEEZNS1_13binary_searchIS3_S5_NSA_INS8_10device_ptrIfEEEESG_SI_NS1_16binary_search_opENS9_16wrapped_functionINS8_6system6detail7generic6detail18binary_search_lessEbEEEE10hipError_tPvRmT1_T2_T3_mmT4_T5_P12ihipStream_tbEUlRKfE_EESV_SZ_S10_mS11_S14_bEUlT_E_NS1_11comp_targetILNS1_3genE10ELNS1_11target_archE1201ELNS1_3gpuE5ELNS1_3repE0EEENS1_30default_config_static_selectorELNS0_4arch9wavefront6targetE0EEEvSY_: ; @_ZN7rocprim17ROCPRIM_400000_NS6detail17trampoline_kernelINS0_14default_configENS1_29binary_search_config_selectorIfiEEZNS1_14transform_implILb0ES3_S5_N6thrust23THRUST_200600_302600_NS6detail15normal_iteratorINS8_7pointerIfNS8_11hip_rocprim16par_det_nosync_tENS8_11use_defaultESE_EEEENSA_INSB_IiSD_SE_SE_EEEEZNS1_13binary_searchIS3_S5_NSA_INS8_10device_ptrIfEEEESG_SI_NS1_16binary_search_opENS9_16wrapped_functionINS8_6system6detail7generic6detail18binary_search_lessEbEEEE10hipError_tPvRmT1_T2_T3_mmT4_T5_P12ihipStream_tbEUlRKfE_EESV_SZ_S10_mS11_S14_bEUlT_E_NS1_11comp_targetILNS1_3genE10ELNS1_11target_archE1201ELNS1_3gpuE5ELNS1_3repE0EEENS1_30default_config_static_selectorELNS0_4arch9wavefront6targetE0EEEvSY_
; %bb.0:
	.section	.rodata,"a",@progbits
	.p2align	6, 0x0
	.amdhsa_kernel _ZN7rocprim17ROCPRIM_400000_NS6detail17trampoline_kernelINS0_14default_configENS1_29binary_search_config_selectorIfiEEZNS1_14transform_implILb0ES3_S5_N6thrust23THRUST_200600_302600_NS6detail15normal_iteratorINS8_7pointerIfNS8_11hip_rocprim16par_det_nosync_tENS8_11use_defaultESE_EEEENSA_INSB_IiSD_SE_SE_EEEEZNS1_13binary_searchIS3_S5_NSA_INS8_10device_ptrIfEEEESG_SI_NS1_16binary_search_opENS9_16wrapped_functionINS8_6system6detail7generic6detail18binary_search_lessEbEEEE10hipError_tPvRmT1_T2_T3_mmT4_T5_P12ihipStream_tbEUlRKfE_EESV_SZ_S10_mS11_S14_bEUlT_E_NS1_11comp_targetILNS1_3genE10ELNS1_11target_archE1201ELNS1_3gpuE5ELNS1_3repE0EEENS1_30default_config_static_selectorELNS0_4arch9wavefront6targetE0EEEvSY_
		.amdhsa_group_segment_fixed_size 0
		.amdhsa_private_segment_fixed_size 0
		.amdhsa_kernarg_size 56
		.amdhsa_user_sgpr_count 6
		.amdhsa_user_sgpr_private_segment_buffer 1
		.amdhsa_user_sgpr_dispatch_ptr 0
		.amdhsa_user_sgpr_queue_ptr 0
		.amdhsa_user_sgpr_kernarg_segment_ptr 1
		.amdhsa_user_sgpr_dispatch_id 0
		.amdhsa_user_sgpr_flat_scratch_init 0
		.amdhsa_user_sgpr_private_segment_size 0
		.amdhsa_wavefront_size32 1
		.amdhsa_uses_dynamic_stack 0
		.amdhsa_system_sgpr_private_segment_wavefront_offset 0
		.amdhsa_system_sgpr_workgroup_id_x 1
		.amdhsa_system_sgpr_workgroup_id_y 0
		.amdhsa_system_sgpr_workgroup_id_z 0
		.amdhsa_system_sgpr_workgroup_info 0
		.amdhsa_system_vgpr_workitem_id 0
		.amdhsa_next_free_vgpr 1
		.amdhsa_next_free_sgpr 1
		.amdhsa_reserve_vcc 0
		.amdhsa_reserve_flat_scratch 0
		.amdhsa_float_round_mode_32 0
		.amdhsa_float_round_mode_16_64 0
		.amdhsa_float_denorm_mode_32 3
		.amdhsa_float_denorm_mode_16_64 3
		.amdhsa_dx10_clamp 1
		.amdhsa_ieee_mode 1
		.amdhsa_fp16_overflow 0
		.amdhsa_workgroup_processor_mode 1
		.amdhsa_memory_ordered 1
		.amdhsa_forward_progress 1
		.amdhsa_shared_vgpr_count 0
		.amdhsa_exception_fp_ieee_invalid_op 0
		.amdhsa_exception_fp_denorm_src 0
		.amdhsa_exception_fp_ieee_div_zero 0
		.amdhsa_exception_fp_ieee_overflow 0
		.amdhsa_exception_fp_ieee_underflow 0
		.amdhsa_exception_fp_ieee_inexact 0
		.amdhsa_exception_int_div_zero 0
	.end_amdhsa_kernel
	.section	.text._ZN7rocprim17ROCPRIM_400000_NS6detail17trampoline_kernelINS0_14default_configENS1_29binary_search_config_selectorIfiEEZNS1_14transform_implILb0ES3_S5_N6thrust23THRUST_200600_302600_NS6detail15normal_iteratorINS8_7pointerIfNS8_11hip_rocprim16par_det_nosync_tENS8_11use_defaultESE_EEEENSA_INSB_IiSD_SE_SE_EEEEZNS1_13binary_searchIS3_S5_NSA_INS8_10device_ptrIfEEEESG_SI_NS1_16binary_search_opENS9_16wrapped_functionINS8_6system6detail7generic6detail18binary_search_lessEbEEEE10hipError_tPvRmT1_T2_T3_mmT4_T5_P12ihipStream_tbEUlRKfE_EESV_SZ_S10_mS11_S14_bEUlT_E_NS1_11comp_targetILNS1_3genE10ELNS1_11target_archE1201ELNS1_3gpuE5ELNS1_3repE0EEENS1_30default_config_static_selectorELNS0_4arch9wavefront6targetE0EEEvSY_,"axG",@progbits,_ZN7rocprim17ROCPRIM_400000_NS6detail17trampoline_kernelINS0_14default_configENS1_29binary_search_config_selectorIfiEEZNS1_14transform_implILb0ES3_S5_N6thrust23THRUST_200600_302600_NS6detail15normal_iteratorINS8_7pointerIfNS8_11hip_rocprim16par_det_nosync_tENS8_11use_defaultESE_EEEENSA_INSB_IiSD_SE_SE_EEEEZNS1_13binary_searchIS3_S5_NSA_INS8_10device_ptrIfEEEESG_SI_NS1_16binary_search_opENS9_16wrapped_functionINS8_6system6detail7generic6detail18binary_search_lessEbEEEE10hipError_tPvRmT1_T2_T3_mmT4_T5_P12ihipStream_tbEUlRKfE_EESV_SZ_S10_mS11_S14_bEUlT_E_NS1_11comp_targetILNS1_3genE10ELNS1_11target_archE1201ELNS1_3gpuE5ELNS1_3repE0EEENS1_30default_config_static_selectorELNS0_4arch9wavefront6targetE0EEEvSY_,comdat
.Lfunc_end640:
	.size	_ZN7rocprim17ROCPRIM_400000_NS6detail17trampoline_kernelINS0_14default_configENS1_29binary_search_config_selectorIfiEEZNS1_14transform_implILb0ES3_S5_N6thrust23THRUST_200600_302600_NS6detail15normal_iteratorINS8_7pointerIfNS8_11hip_rocprim16par_det_nosync_tENS8_11use_defaultESE_EEEENSA_INSB_IiSD_SE_SE_EEEEZNS1_13binary_searchIS3_S5_NSA_INS8_10device_ptrIfEEEESG_SI_NS1_16binary_search_opENS9_16wrapped_functionINS8_6system6detail7generic6detail18binary_search_lessEbEEEE10hipError_tPvRmT1_T2_T3_mmT4_T5_P12ihipStream_tbEUlRKfE_EESV_SZ_S10_mS11_S14_bEUlT_E_NS1_11comp_targetILNS1_3genE10ELNS1_11target_archE1201ELNS1_3gpuE5ELNS1_3repE0EEENS1_30default_config_static_selectorELNS0_4arch9wavefront6targetE0EEEvSY_, .Lfunc_end640-_ZN7rocprim17ROCPRIM_400000_NS6detail17trampoline_kernelINS0_14default_configENS1_29binary_search_config_selectorIfiEEZNS1_14transform_implILb0ES3_S5_N6thrust23THRUST_200600_302600_NS6detail15normal_iteratorINS8_7pointerIfNS8_11hip_rocprim16par_det_nosync_tENS8_11use_defaultESE_EEEENSA_INSB_IiSD_SE_SE_EEEEZNS1_13binary_searchIS3_S5_NSA_INS8_10device_ptrIfEEEESG_SI_NS1_16binary_search_opENS9_16wrapped_functionINS8_6system6detail7generic6detail18binary_search_lessEbEEEE10hipError_tPvRmT1_T2_T3_mmT4_T5_P12ihipStream_tbEUlRKfE_EESV_SZ_S10_mS11_S14_bEUlT_E_NS1_11comp_targetILNS1_3genE10ELNS1_11target_archE1201ELNS1_3gpuE5ELNS1_3repE0EEENS1_30default_config_static_selectorELNS0_4arch9wavefront6targetE0EEEvSY_
                                        ; -- End function
	.set _ZN7rocprim17ROCPRIM_400000_NS6detail17trampoline_kernelINS0_14default_configENS1_29binary_search_config_selectorIfiEEZNS1_14transform_implILb0ES3_S5_N6thrust23THRUST_200600_302600_NS6detail15normal_iteratorINS8_7pointerIfNS8_11hip_rocprim16par_det_nosync_tENS8_11use_defaultESE_EEEENSA_INSB_IiSD_SE_SE_EEEEZNS1_13binary_searchIS3_S5_NSA_INS8_10device_ptrIfEEEESG_SI_NS1_16binary_search_opENS9_16wrapped_functionINS8_6system6detail7generic6detail18binary_search_lessEbEEEE10hipError_tPvRmT1_T2_T3_mmT4_T5_P12ihipStream_tbEUlRKfE_EESV_SZ_S10_mS11_S14_bEUlT_E_NS1_11comp_targetILNS1_3genE10ELNS1_11target_archE1201ELNS1_3gpuE5ELNS1_3repE0EEENS1_30default_config_static_selectorELNS0_4arch9wavefront6targetE0EEEvSY_.num_vgpr, 0
	.set _ZN7rocprim17ROCPRIM_400000_NS6detail17trampoline_kernelINS0_14default_configENS1_29binary_search_config_selectorIfiEEZNS1_14transform_implILb0ES3_S5_N6thrust23THRUST_200600_302600_NS6detail15normal_iteratorINS8_7pointerIfNS8_11hip_rocprim16par_det_nosync_tENS8_11use_defaultESE_EEEENSA_INSB_IiSD_SE_SE_EEEEZNS1_13binary_searchIS3_S5_NSA_INS8_10device_ptrIfEEEESG_SI_NS1_16binary_search_opENS9_16wrapped_functionINS8_6system6detail7generic6detail18binary_search_lessEbEEEE10hipError_tPvRmT1_T2_T3_mmT4_T5_P12ihipStream_tbEUlRKfE_EESV_SZ_S10_mS11_S14_bEUlT_E_NS1_11comp_targetILNS1_3genE10ELNS1_11target_archE1201ELNS1_3gpuE5ELNS1_3repE0EEENS1_30default_config_static_selectorELNS0_4arch9wavefront6targetE0EEEvSY_.num_agpr, 0
	.set _ZN7rocprim17ROCPRIM_400000_NS6detail17trampoline_kernelINS0_14default_configENS1_29binary_search_config_selectorIfiEEZNS1_14transform_implILb0ES3_S5_N6thrust23THRUST_200600_302600_NS6detail15normal_iteratorINS8_7pointerIfNS8_11hip_rocprim16par_det_nosync_tENS8_11use_defaultESE_EEEENSA_INSB_IiSD_SE_SE_EEEEZNS1_13binary_searchIS3_S5_NSA_INS8_10device_ptrIfEEEESG_SI_NS1_16binary_search_opENS9_16wrapped_functionINS8_6system6detail7generic6detail18binary_search_lessEbEEEE10hipError_tPvRmT1_T2_T3_mmT4_T5_P12ihipStream_tbEUlRKfE_EESV_SZ_S10_mS11_S14_bEUlT_E_NS1_11comp_targetILNS1_3genE10ELNS1_11target_archE1201ELNS1_3gpuE5ELNS1_3repE0EEENS1_30default_config_static_selectorELNS0_4arch9wavefront6targetE0EEEvSY_.numbered_sgpr, 0
	.set _ZN7rocprim17ROCPRIM_400000_NS6detail17trampoline_kernelINS0_14default_configENS1_29binary_search_config_selectorIfiEEZNS1_14transform_implILb0ES3_S5_N6thrust23THRUST_200600_302600_NS6detail15normal_iteratorINS8_7pointerIfNS8_11hip_rocprim16par_det_nosync_tENS8_11use_defaultESE_EEEENSA_INSB_IiSD_SE_SE_EEEEZNS1_13binary_searchIS3_S5_NSA_INS8_10device_ptrIfEEEESG_SI_NS1_16binary_search_opENS9_16wrapped_functionINS8_6system6detail7generic6detail18binary_search_lessEbEEEE10hipError_tPvRmT1_T2_T3_mmT4_T5_P12ihipStream_tbEUlRKfE_EESV_SZ_S10_mS11_S14_bEUlT_E_NS1_11comp_targetILNS1_3genE10ELNS1_11target_archE1201ELNS1_3gpuE5ELNS1_3repE0EEENS1_30default_config_static_selectorELNS0_4arch9wavefront6targetE0EEEvSY_.num_named_barrier, 0
	.set _ZN7rocprim17ROCPRIM_400000_NS6detail17trampoline_kernelINS0_14default_configENS1_29binary_search_config_selectorIfiEEZNS1_14transform_implILb0ES3_S5_N6thrust23THRUST_200600_302600_NS6detail15normal_iteratorINS8_7pointerIfNS8_11hip_rocprim16par_det_nosync_tENS8_11use_defaultESE_EEEENSA_INSB_IiSD_SE_SE_EEEEZNS1_13binary_searchIS3_S5_NSA_INS8_10device_ptrIfEEEESG_SI_NS1_16binary_search_opENS9_16wrapped_functionINS8_6system6detail7generic6detail18binary_search_lessEbEEEE10hipError_tPvRmT1_T2_T3_mmT4_T5_P12ihipStream_tbEUlRKfE_EESV_SZ_S10_mS11_S14_bEUlT_E_NS1_11comp_targetILNS1_3genE10ELNS1_11target_archE1201ELNS1_3gpuE5ELNS1_3repE0EEENS1_30default_config_static_selectorELNS0_4arch9wavefront6targetE0EEEvSY_.private_seg_size, 0
	.set _ZN7rocprim17ROCPRIM_400000_NS6detail17trampoline_kernelINS0_14default_configENS1_29binary_search_config_selectorIfiEEZNS1_14transform_implILb0ES3_S5_N6thrust23THRUST_200600_302600_NS6detail15normal_iteratorINS8_7pointerIfNS8_11hip_rocprim16par_det_nosync_tENS8_11use_defaultESE_EEEENSA_INSB_IiSD_SE_SE_EEEEZNS1_13binary_searchIS3_S5_NSA_INS8_10device_ptrIfEEEESG_SI_NS1_16binary_search_opENS9_16wrapped_functionINS8_6system6detail7generic6detail18binary_search_lessEbEEEE10hipError_tPvRmT1_T2_T3_mmT4_T5_P12ihipStream_tbEUlRKfE_EESV_SZ_S10_mS11_S14_bEUlT_E_NS1_11comp_targetILNS1_3genE10ELNS1_11target_archE1201ELNS1_3gpuE5ELNS1_3repE0EEENS1_30default_config_static_selectorELNS0_4arch9wavefront6targetE0EEEvSY_.uses_vcc, 0
	.set _ZN7rocprim17ROCPRIM_400000_NS6detail17trampoline_kernelINS0_14default_configENS1_29binary_search_config_selectorIfiEEZNS1_14transform_implILb0ES3_S5_N6thrust23THRUST_200600_302600_NS6detail15normal_iteratorINS8_7pointerIfNS8_11hip_rocprim16par_det_nosync_tENS8_11use_defaultESE_EEEENSA_INSB_IiSD_SE_SE_EEEEZNS1_13binary_searchIS3_S5_NSA_INS8_10device_ptrIfEEEESG_SI_NS1_16binary_search_opENS9_16wrapped_functionINS8_6system6detail7generic6detail18binary_search_lessEbEEEE10hipError_tPvRmT1_T2_T3_mmT4_T5_P12ihipStream_tbEUlRKfE_EESV_SZ_S10_mS11_S14_bEUlT_E_NS1_11comp_targetILNS1_3genE10ELNS1_11target_archE1201ELNS1_3gpuE5ELNS1_3repE0EEENS1_30default_config_static_selectorELNS0_4arch9wavefront6targetE0EEEvSY_.uses_flat_scratch, 0
	.set _ZN7rocprim17ROCPRIM_400000_NS6detail17trampoline_kernelINS0_14default_configENS1_29binary_search_config_selectorIfiEEZNS1_14transform_implILb0ES3_S5_N6thrust23THRUST_200600_302600_NS6detail15normal_iteratorINS8_7pointerIfNS8_11hip_rocprim16par_det_nosync_tENS8_11use_defaultESE_EEEENSA_INSB_IiSD_SE_SE_EEEEZNS1_13binary_searchIS3_S5_NSA_INS8_10device_ptrIfEEEESG_SI_NS1_16binary_search_opENS9_16wrapped_functionINS8_6system6detail7generic6detail18binary_search_lessEbEEEE10hipError_tPvRmT1_T2_T3_mmT4_T5_P12ihipStream_tbEUlRKfE_EESV_SZ_S10_mS11_S14_bEUlT_E_NS1_11comp_targetILNS1_3genE10ELNS1_11target_archE1201ELNS1_3gpuE5ELNS1_3repE0EEENS1_30default_config_static_selectorELNS0_4arch9wavefront6targetE0EEEvSY_.has_dyn_sized_stack, 0
	.set _ZN7rocprim17ROCPRIM_400000_NS6detail17trampoline_kernelINS0_14default_configENS1_29binary_search_config_selectorIfiEEZNS1_14transform_implILb0ES3_S5_N6thrust23THRUST_200600_302600_NS6detail15normal_iteratorINS8_7pointerIfNS8_11hip_rocprim16par_det_nosync_tENS8_11use_defaultESE_EEEENSA_INSB_IiSD_SE_SE_EEEEZNS1_13binary_searchIS3_S5_NSA_INS8_10device_ptrIfEEEESG_SI_NS1_16binary_search_opENS9_16wrapped_functionINS8_6system6detail7generic6detail18binary_search_lessEbEEEE10hipError_tPvRmT1_T2_T3_mmT4_T5_P12ihipStream_tbEUlRKfE_EESV_SZ_S10_mS11_S14_bEUlT_E_NS1_11comp_targetILNS1_3genE10ELNS1_11target_archE1201ELNS1_3gpuE5ELNS1_3repE0EEENS1_30default_config_static_selectorELNS0_4arch9wavefront6targetE0EEEvSY_.has_recursion, 0
	.set _ZN7rocprim17ROCPRIM_400000_NS6detail17trampoline_kernelINS0_14default_configENS1_29binary_search_config_selectorIfiEEZNS1_14transform_implILb0ES3_S5_N6thrust23THRUST_200600_302600_NS6detail15normal_iteratorINS8_7pointerIfNS8_11hip_rocprim16par_det_nosync_tENS8_11use_defaultESE_EEEENSA_INSB_IiSD_SE_SE_EEEEZNS1_13binary_searchIS3_S5_NSA_INS8_10device_ptrIfEEEESG_SI_NS1_16binary_search_opENS9_16wrapped_functionINS8_6system6detail7generic6detail18binary_search_lessEbEEEE10hipError_tPvRmT1_T2_T3_mmT4_T5_P12ihipStream_tbEUlRKfE_EESV_SZ_S10_mS11_S14_bEUlT_E_NS1_11comp_targetILNS1_3genE10ELNS1_11target_archE1201ELNS1_3gpuE5ELNS1_3repE0EEENS1_30default_config_static_selectorELNS0_4arch9wavefront6targetE0EEEvSY_.has_indirect_call, 0
	.section	.AMDGPU.csdata,"",@progbits
; Kernel info:
; codeLenInByte = 0
; TotalNumSgprs: 0
; NumVgprs: 0
; ScratchSize: 0
; MemoryBound: 0
; FloatMode: 240
; IeeeMode: 1
; LDSByteSize: 0 bytes/workgroup (compile time only)
; SGPRBlocks: 0
; VGPRBlocks: 0
; NumSGPRsForWavesPerEU: 1
; NumVGPRsForWavesPerEU: 1
; Occupancy: 16
; WaveLimiterHint : 0
; COMPUTE_PGM_RSRC2:SCRATCH_EN: 0
; COMPUTE_PGM_RSRC2:USER_SGPR: 6
; COMPUTE_PGM_RSRC2:TRAP_HANDLER: 0
; COMPUTE_PGM_RSRC2:TGID_X_EN: 1
; COMPUTE_PGM_RSRC2:TGID_Y_EN: 0
; COMPUTE_PGM_RSRC2:TGID_Z_EN: 0
; COMPUTE_PGM_RSRC2:TIDIG_COMP_CNT: 0
	.section	.text._ZN7rocprim17ROCPRIM_400000_NS6detail17trampoline_kernelINS0_14default_configENS1_29binary_search_config_selectorIfiEEZNS1_14transform_implILb0ES3_S5_N6thrust23THRUST_200600_302600_NS6detail15normal_iteratorINS8_7pointerIfNS8_11hip_rocprim16par_det_nosync_tENS8_11use_defaultESE_EEEENSA_INSB_IiSD_SE_SE_EEEEZNS1_13binary_searchIS3_S5_NSA_INS8_10device_ptrIfEEEESG_SI_NS1_16binary_search_opENS9_16wrapped_functionINS8_6system6detail7generic6detail18binary_search_lessEbEEEE10hipError_tPvRmT1_T2_T3_mmT4_T5_P12ihipStream_tbEUlRKfE_EESV_SZ_S10_mS11_S14_bEUlT_E_NS1_11comp_targetILNS1_3genE10ELNS1_11target_archE1200ELNS1_3gpuE4ELNS1_3repE0EEENS1_30default_config_static_selectorELNS0_4arch9wavefront6targetE0EEEvSY_,"axG",@progbits,_ZN7rocprim17ROCPRIM_400000_NS6detail17trampoline_kernelINS0_14default_configENS1_29binary_search_config_selectorIfiEEZNS1_14transform_implILb0ES3_S5_N6thrust23THRUST_200600_302600_NS6detail15normal_iteratorINS8_7pointerIfNS8_11hip_rocprim16par_det_nosync_tENS8_11use_defaultESE_EEEENSA_INSB_IiSD_SE_SE_EEEEZNS1_13binary_searchIS3_S5_NSA_INS8_10device_ptrIfEEEESG_SI_NS1_16binary_search_opENS9_16wrapped_functionINS8_6system6detail7generic6detail18binary_search_lessEbEEEE10hipError_tPvRmT1_T2_T3_mmT4_T5_P12ihipStream_tbEUlRKfE_EESV_SZ_S10_mS11_S14_bEUlT_E_NS1_11comp_targetILNS1_3genE10ELNS1_11target_archE1200ELNS1_3gpuE4ELNS1_3repE0EEENS1_30default_config_static_selectorELNS0_4arch9wavefront6targetE0EEEvSY_,comdat
	.protected	_ZN7rocprim17ROCPRIM_400000_NS6detail17trampoline_kernelINS0_14default_configENS1_29binary_search_config_selectorIfiEEZNS1_14transform_implILb0ES3_S5_N6thrust23THRUST_200600_302600_NS6detail15normal_iteratorINS8_7pointerIfNS8_11hip_rocprim16par_det_nosync_tENS8_11use_defaultESE_EEEENSA_INSB_IiSD_SE_SE_EEEEZNS1_13binary_searchIS3_S5_NSA_INS8_10device_ptrIfEEEESG_SI_NS1_16binary_search_opENS9_16wrapped_functionINS8_6system6detail7generic6detail18binary_search_lessEbEEEE10hipError_tPvRmT1_T2_T3_mmT4_T5_P12ihipStream_tbEUlRKfE_EESV_SZ_S10_mS11_S14_bEUlT_E_NS1_11comp_targetILNS1_3genE10ELNS1_11target_archE1200ELNS1_3gpuE4ELNS1_3repE0EEENS1_30default_config_static_selectorELNS0_4arch9wavefront6targetE0EEEvSY_ ; -- Begin function _ZN7rocprim17ROCPRIM_400000_NS6detail17trampoline_kernelINS0_14default_configENS1_29binary_search_config_selectorIfiEEZNS1_14transform_implILb0ES3_S5_N6thrust23THRUST_200600_302600_NS6detail15normal_iteratorINS8_7pointerIfNS8_11hip_rocprim16par_det_nosync_tENS8_11use_defaultESE_EEEENSA_INSB_IiSD_SE_SE_EEEEZNS1_13binary_searchIS3_S5_NSA_INS8_10device_ptrIfEEEESG_SI_NS1_16binary_search_opENS9_16wrapped_functionINS8_6system6detail7generic6detail18binary_search_lessEbEEEE10hipError_tPvRmT1_T2_T3_mmT4_T5_P12ihipStream_tbEUlRKfE_EESV_SZ_S10_mS11_S14_bEUlT_E_NS1_11comp_targetILNS1_3genE10ELNS1_11target_archE1200ELNS1_3gpuE4ELNS1_3repE0EEENS1_30default_config_static_selectorELNS0_4arch9wavefront6targetE0EEEvSY_
	.globl	_ZN7rocprim17ROCPRIM_400000_NS6detail17trampoline_kernelINS0_14default_configENS1_29binary_search_config_selectorIfiEEZNS1_14transform_implILb0ES3_S5_N6thrust23THRUST_200600_302600_NS6detail15normal_iteratorINS8_7pointerIfNS8_11hip_rocprim16par_det_nosync_tENS8_11use_defaultESE_EEEENSA_INSB_IiSD_SE_SE_EEEEZNS1_13binary_searchIS3_S5_NSA_INS8_10device_ptrIfEEEESG_SI_NS1_16binary_search_opENS9_16wrapped_functionINS8_6system6detail7generic6detail18binary_search_lessEbEEEE10hipError_tPvRmT1_T2_T3_mmT4_T5_P12ihipStream_tbEUlRKfE_EESV_SZ_S10_mS11_S14_bEUlT_E_NS1_11comp_targetILNS1_3genE10ELNS1_11target_archE1200ELNS1_3gpuE4ELNS1_3repE0EEENS1_30default_config_static_selectorELNS0_4arch9wavefront6targetE0EEEvSY_
	.p2align	8
	.type	_ZN7rocprim17ROCPRIM_400000_NS6detail17trampoline_kernelINS0_14default_configENS1_29binary_search_config_selectorIfiEEZNS1_14transform_implILb0ES3_S5_N6thrust23THRUST_200600_302600_NS6detail15normal_iteratorINS8_7pointerIfNS8_11hip_rocprim16par_det_nosync_tENS8_11use_defaultESE_EEEENSA_INSB_IiSD_SE_SE_EEEEZNS1_13binary_searchIS3_S5_NSA_INS8_10device_ptrIfEEEESG_SI_NS1_16binary_search_opENS9_16wrapped_functionINS8_6system6detail7generic6detail18binary_search_lessEbEEEE10hipError_tPvRmT1_T2_T3_mmT4_T5_P12ihipStream_tbEUlRKfE_EESV_SZ_S10_mS11_S14_bEUlT_E_NS1_11comp_targetILNS1_3genE10ELNS1_11target_archE1200ELNS1_3gpuE4ELNS1_3repE0EEENS1_30default_config_static_selectorELNS0_4arch9wavefront6targetE0EEEvSY_,@function
_ZN7rocprim17ROCPRIM_400000_NS6detail17trampoline_kernelINS0_14default_configENS1_29binary_search_config_selectorIfiEEZNS1_14transform_implILb0ES3_S5_N6thrust23THRUST_200600_302600_NS6detail15normal_iteratorINS8_7pointerIfNS8_11hip_rocprim16par_det_nosync_tENS8_11use_defaultESE_EEEENSA_INSB_IiSD_SE_SE_EEEEZNS1_13binary_searchIS3_S5_NSA_INS8_10device_ptrIfEEEESG_SI_NS1_16binary_search_opENS9_16wrapped_functionINS8_6system6detail7generic6detail18binary_search_lessEbEEEE10hipError_tPvRmT1_T2_T3_mmT4_T5_P12ihipStream_tbEUlRKfE_EESV_SZ_S10_mS11_S14_bEUlT_E_NS1_11comp_targetILNS1_3genE10ELNS1_11target_archE1200ELNS1_3gpuE4ELNS1_3repE0EEENS1_30default_config_static_selectorELNS0_4arch9wavefront6targetE0EEEvSY_: ; @_ZN7rocprim17ROCPRIM_400000_NS6detail17trampoline_kernelINS0_14default_configENS1_29binary_search_config_selectorIfiEEZNS1_14transform_implILb0ES3_S5_N6thrust23THRUST_200600_302600_NS6detail15normal_iteratorINS8_7pointerIfNS8_11hip_rocprim16par_det_nosync_tENS8_11use_defaultESE_EEEENSA_INSB_IiSD_SE_SE_EEEEZNS1_13binary_searchIS3_S5_NSA_INS8_10device_ptrIfEEEESG_SI_NS1_16binary_search_opENS9_16wrapped_functionINS8_6system6detail7generic6detail18binary_search_lessEbEEEE10hipError_tPvRmT1_T2_T3_mmT4_T5_P12ihipStream_tbEUlRKfE_EESV_SZ_S10_mS11_S14_bEUlT_E_NS1_11comp_targetILNS1_3genE10ELNS1_11target_archE1200ELNS1_3gpuE4ELNS1_3repE0EEENS1_30default_config_static_selectorELNS0_4arch9wavefront6targetE0EEEvSY_
; %bb.0:
	.section	.rodata,"a",@progbits
	.p2align	6, 0x0
	.amdhsa_kernel _ZN7rocprim17ROCPRIM_400000_NS6detail17trampoline_kernelINS0_14default_configENS1_29binary_search_config_selectorIfiEEZNS1_14transform_implILb0ES3_S5_N6thrust23THRUST_200600_302600_NS6detail15normal_iteratorINS8_7pointerIfNS8_11hip_rocprim16par_det_nosync_tENS8_11use_defaultESE_EEEENSA_INSB_IiSD_SE_SE_EEEEZNS1_13binary_searchIS3_S5_NSA_INS8_10device_ptrIfEEEESG_SI_NS1_16binary_search_opENS9_16wrapped_functionINS8_6system6detail7generic6detail18binary_search_lessEbEEEE10hipError_tPvRmT1_T2_T3_mmT4_T5_P12ihipStream_tbEUlRKfE_EESV_SZ_S10_mS11_S14_bEUlT_E_NS1_11comp_targetILNS1_3genE10ELNS1_11target_archE1200ELNS1_3gpuE4ELNS1_3repE0EEENS1_30default_config_static_selectorELNS0_4arch9wavefront6targetE0EEEvSY_
		.amdhsa_group_segment_fixed_size 0
		.amdhsa_private_segment_fixed_size 0
		.amdhsa_kernarg_size 56
		.amdhsa_user_sgpr_count 6
		.amdhsa_user_sgpr_private_segment_buffer 1
		.amdhsa_user_sgpr_dispatch_ptr 0
		.amdhsa_user_sgpr_queue_ptr 0
		.amdhsa_user_sgpr_kernarg_segment_ptr 1
		.amdhsa_user_sgpr_dispatch_id 0
		.amdhsa_user_sgpr_flat_scratch_init 0
		.amdhsa_user_sgpr_private_segment_size 0
		.amdhsa_wavefront_size32 1
		.amdhsa_uses_dynamic_stack 0
		.amdhsa_system_sgpr_private_segment_wavefront_offset 0
		.amdhsa_system_sgpr_workgroup_id_x 1
		.amdhsa_system_sgpr_workgroup_id_y 0
		.amdhsa_system_sgpr_workgroup_id_z 0
		.amdhsa_system_sgpr_workgroup_info 0
		.amdhsa_system_vgpr_workitem_id 0
		.amdhsa_next_free_vgpr 1
		.amdhsa_next_free_sgpr 1
		.amdhsa_reserve_vcc 0
		.amdhsa_reserve_flat_scratch 0
		.amdhsa_float_round_mode_32 0
		.amdhsa_float_round_mode_16_64 0
		.amdhsa_float_denorm_mode_32 3
		.amdhsa_float_denorm_mode_16_64 3
		.amdhsa_dx10_clamp 1
		.amdhsa_ieee_mode 1
		.amdhsa_fp16_overflow 0
		.amdhsa_workgroup_processor_mode 1
		.amdhsa_memory_ordered 1
		.amdhsa_forward_progress 1
		.amdhsa_shared_vgpr_count 0
		.amdhsa_exception_fp_ieee_invalid_op 0
		.amdhsa_exception_fp_denorm_src 0
		.amdhsa_exception_fp_ieee_div_zero 0
		.amdhsa_exception_fp_ieee_overflow 0
		.amdhsa_exception_fp_ieee_underflow 0
		.amdhsa_exception_fp_ieee_inexact 0
		.amdhsa_exception_int_div_zero 0
	.end_amdhsa_kernel
	.section	.text._ZN7rocprim17ROCPRIM_400000_NS6detail17trampoline_kernelINS0_14default_configENS1_29binary_search_config_selectorIfiEEZNS1_14transform_implILb0ES3_S5_N6thrust23THRUST_200600_302600_NS6detail15normal_iteratorINS8_7pointerIfNS8_11hip_rocprim16par_det_nosync_tENS8_11use_defaultESE_EEEENSA_INSB_IiSD_SE_SE_EEEEZNS1_13binary_searchIS3_S5_NSA_INS8_10device_ptrIfEEEESG_SI_NS1_16binary_search_opENS9_16wrapped_functionINS8_6system6detail7generic6detail18binary_search_lessEbEEEE10hipError_tPvRmT1_T2_T3_mmT4_T5_P12ihipStream_tbEUlRKfE_EESV_SZ_S10_mS11_S14_bEUlT_E_NS1_11comp_targetILNS1_3genE10ELNS1_11target_archE1200ELNS1_3gpuE4ELNS1_3repE0EEENS1_30default_config_static_selectorELNS0_4arch9wavefront6targetE0EEEvSY_,"axG",@progbits,_ZN7rocprim17ROCPRIM_400000_NS6detail17trampoline_kernelINS0_14default_configENS1_29binary_search_config_selectorIfiEEZNS1_14transform_implILb0ES3_S5_N6thrust23THRUST_200600_302600_NS6detail15normal_iteratorINS8_7pointerIfNS8_11hip_rocprim16par_det_nosync_tENS8_11use_defaultESE_EEEENSA_INSB_IiSD_SE_SE_EEEEZNS1_13binary_searchIS3_S5_NSA_INS8_10device_ptrIfEEEESG_SI_NS1_16binary_search_opENS9_16wrapped_functionINS8_6system6detail7generic6detail18binary_search_lessEbEEEE10hipError_tPvRmT1_T2_T3_mmT4_T5_P12ihipStream_tbEUlRKfE_EESV_SZ_S10_mS11_S14_bEUlT_E_NS1_11comp_targetILNS1_3genE10ELNS1_11target_archE1200ELNS1_3gpuE4ELNS1_3repE0EEENS1_30default_config_static_selectorELNS0_4arch9wavefront6targetE0EEEvSY_,comdat
.Lfunc_end641:
	.size	_ZN7rocprim17ROCPRIM_400000_NS6detail17trampoline_kernelINS0_14default_configENS1_29binary_search_config_selectorIfiEEZNS1_14transform_implILb0ES3_S5_N6thrust23THRUST_200600_302600_NS6detail15normal_iteratorINS8_7pointerIfNS8_11hip_rocprim16par_det_nosync_tENS8_11use_defaultESE_EEEENSA_INSB_IiSD_SE_SE_EEEEZNS1_13binary_searchIS3_S5_NSA_INS8_10device_ptrIfEEEESG_SI_NS1_16binary_search_opENS9_16wrapped_functionINS8_6system6detail7generic6detail18binary_search_lessEbEEEE10hipError_tPvRmT1_T2_T3_mmT4_T5_P12ihipStream_tbEUlRKfE_EESV_SZ_S10_mS11_S14_bEUlT_E_NS1_11comp_targetILNS1_3genE10ELNS1_11target_archE1200ELNS1_3gpuE4ELNS1_3repE0EEENS1_30default_config_static_selectorELNS0_4arch9wavefront6targetE0EEEvSY_, .Lfunc_end641-_ZN7rocprim17ROCPRIM_400000_NS6detail17trampoline_kernelINS0_14default_configENS1_29binary_search_config_selectorIfiEEZNS1_14transform_implILb0ES3_S5_N6thrust23THRUST_200600_302600_NS6detail15normal_iteratorINS8_7pointerIfNS8_11hip_rocprim16par_det_nosync_tENS8_11use_defaultESE_EEEENSA_INSB_IiSD_SE_SE_EEEEZNS1_13binary_searchIS3_S5_NSA_INS8_10device_ptrIfEEEESG_SI_NS1_16binary_search_opENS9_16wrapped_functionINS8_6system6detail7generic6detail18binary_search_lessEbEEEE10hipError_tPvRmT1_T2_T3_mmT4_T5_P12ihipStream_tbEUlRKfE_EESV_SZ_S10_mS11_S14_bEUlT_E_NS1_11comp_targetILNS1_3genE10ELNS1_11target_archE1200ELNS1_3gpuE4ELNS1_3repE0EEENS1_30default_config_static_selectorELNS0_4arch9wavefront6targetE0EEEvSY_
                                        ; -- End function
	.set _ZN7rocprim17ROCPRIM_400000_NS6detail17trampoline_kernelINS0_14default_configENS1_29binary_search_config_selectorIfiEEZNS1_14transform_implILb0ES3_S5_N6thrust23THRUST_200600_302600_NS6detail15normal_iteratorINS8_7pointerIfNS8_11hip_rocprim16par_det_nosync_tENS8_11use_defaultESE_EEEENSA_INSB_IiSD_SE_SE_EEEEZNS1_13binary_searchIS3_S5_NSA_INS8_10device_ptrIfEEEESG_SI_NS1_16binary_search_opENS9_16wrapped_functionINS8_6system6detail7generic6detail18binary_search_lessEbEEEE10hipError_tPvRmT1_T2_T3_mmT4_T5_P12ihipStream_tbEUlRKfE_EESV_SZ_S10_mS11_S14_bEUlT_E_NS1_11comp_targetILNS1_3genE10ELNS1_11target_archE1200ELNS1_3gpuE4ELNS1_3repE0EEENS1_30default_config_static_selectorELNS0_4arch9wavefront6targetE0EEEvSY_.num_vgpr, 0
	.set _ZN7rocprim17ROCPRIM_400000_NS6detail17trampoline_kernelINS0_14default_configENS1_29binary_search_config_selectorIfiEEZNS1_14transform_implILb0ES3_S5_N6thrust23THRUST_200600_302600_NS6detail15normal_iteratorINS8_7pointerIfNS8_11hip_rocprim16par_det_nosync_tENS8_11use_defaultESE_EEEENSA_INSB_IiSD_SE_SE_EEEEZNS1_13binary_searchIS3_S5_NSA_INS8_10device_ptrIfEEEESG_SI_NS1_16binary_search_opENS9_16wrapped_functionINS8_6system6detail7generic6detail18binary_search_lessEbEEEE10hipError_tPvRmT1_T2_T3_mmT4_T5_P12ihipStream_tbEUlRKfE_EESV_SZ_S10_mS11_S14_bEUlT_E_NS1_11comp_targetILNS1_3genE10ELNS1_11target_archE1200ELNS1_3gpuE4ELNS1_3repE0EEENS1_30default_config_static_selectorELNS0_4arch9wavefront6targetE0EEEvSY_.num_agpr, 0
	.set _ZN7rocprim17ROCPRIM_400000_NS6detail17trampoline_kernelINS0_14default_configENS1_29binary_search_config_selectorIfiEEZNS1_14transform_implILb0ES3_S5_N6thrust23THRUST_200600_302600_NS6detail15normal_iteratorINS8_7pointerIfNS8_11hip_rocprim16par_det_nosync_tENS8_11use_defaultESE_EEEENSA_INSB_IiSD_SE_SE_EEEEZNS1_13binary_searchIS3_S5_NSA_INS8_10device_ptrIfEEEESG_SI_NS1_16binary_search_opENS9_16wrapped_functionINS8_6system6detail7generic6detail18binary_search_lessEbEEEE10hipError_tPvRmT1_T2_T3_mmT4_T5_P12ihipStream_tbEUlRKfE_EESV_SZ_S10_mS11_S14_bEUlT_E_NS1_11comp_targetILNS1_3genE10ELNS1_11target_archE1200ELNS1_3gpuE4ELNS1_3repE0EEENS1_30default_config_static_selectorELNS0_4arch9wavefront6targetE0EEEvSY_.numbered_sgpr, 0
	.set _ZN7rocprim17ROCPRIM_400000_NS6detail17trampoline_kernelINS0_14default_configENS1_29binary_search_config_selectorIfiEEZNS1_14transform_implILb0ES3_S5_N6thrust23THRUST_200600_302600_NS6detail15normal_iteratorINS8_7pointerIfNS8_11hip_rocprim16par_det_nosync_tENS8_11use_defaultESE_EEEENSA_INSB_IiSD_SE_SE_EEEEZNS1_13binary_searchIS3_S5_NSA_INS8_10device_ptrIfEEEESG_SI_NS1_16binary_search_opENS9_16wrapped_functionINS8_6system6detail7generic6detail18binary_search_lessEbEEEE10hipError_tPvRmT1_T2_T3_mmT4_T5_P12ihipStream_tbEUlRKfE_EESV_SZ_S10_mS11_S14_bEUlT_E_NS1_11comp_targetILNS1_3genE10ELNS1_11target_archE1200ELNS1_3gpuE4ELNS1_3repE0EEENS1_30default_config_static_selectorELNS0_4arch9wavefront6targetE0EEEvSY_.num_named_barrier, 0
	.set _ZN7rocprim17ROCPRIM_400000_NS6detail17trampoline_kernelINS0_14default_configENS1_29binary_search_config_selectorIfiEEZNS1_14transform_implILb0ES3_S5_N6thrust23THRUST_200600_302600_NS6detail15normal_iteratorINS8_7pointerIfNS8_11hip_rocprim16par_det_nosync_tENS8_11use_defaultESE_EEEENSA_INSB_IiSD_SE_SE_EEEEZNS1_13binary_searchIS3_S5_NSA_INS8_10device_ptrIfEEEESG_SI_NS1_16binary_search_opENS9_16wrapped_functionINS8_6system6detail7generic6detail18binary_search_lessEbEEEE10hipError_tPvRmT1_T2_T3_mmT4_T5_P12ihipStream_tbEUlRKfE_EESV_SZ_S10_mS11_S14_bEUlT_E_NS1_11comp_targetILNS1_3genE10ELNS1_11target_archE1200ELNS1_3gpuE4ELNS1_3repE0EEENS1_30default_config_static_selectorELNS0_4arch9wavefront6targetE0EEEvSY_.private_seg_size, 0
	.set _ZN7rocprim17ROCPRIM_400000_NS6detail17trampoline_kernelINS0_14default_configENS1_29binary_search_config_selectorIfiEEZNS1_14transform_implILb0ES3_S5_N6thrust23THRUST_200600_302600_NS6detail15normal_iteratorINS8_7pointerIfNS8_11hip_rocprim16par_det_nosync_tENS8_11use_defaultESE_EEEENSA_INSB_IiSD_SE_SE_EEEEZNS1_13binary_searchIS3_S5_NSA_INS8_10device_ptrIfEEEESG_SI_NS1_16binary_search_opENS9_16wrapped_functionINS8_6system6detail7generic6detail18binary_search_lessEbEEEE10hipError_tPvRmT1_T2_T3_mmT4_T5_P12ihipStream_tbEUlRKfE_EESV_SZ_S10_mS11_S14_bEUlT_E_NS1_11comp_targetILNS1_3genE10ELNS1_11target_archE1200ELNS1_3gpuE4ELNS1_3repE0EEENS1_30default_config_static_selectorELNS0_4arch9wavefront6targetE0EEEvSY_.uses_vcc, 0
	.set _ZN7rocprim17ROCPRIM_400000_NS6detail17trampoline_kernelINS0_14default_configENS1_29binary_search_config_selectorIfiEEZNS1_14transform_implILb0ES3_S5_N6thrust23THRUST_200600_302600_NS6detail15normal_iteratorINS8_7pointerIfNS8_11hip_rocprim16par_det_nosync_tENS8_11use_defaultESE_EEEENSA_INSB_IiSD_SE_SE_EEEEZNS1_13binary_searchIS3_S5_NSA_INS8_10device_ptrIfEEEESG_SI_NS1_16binary_search_opENS9_16wrapped_functionINS8_6system6detail7generic6detail18binary_search_lessEbEEEE10hipError_tPvRmT1_T2_T3_mmT4_T5_P12ihipStream_tbEUlRKfE_EESV_SZ_S10_mS11_S14_bEUlT_E_NS1_11comp_targetILNS1_3genE10ELNS1_11target_archE1200ELNS1_3gpuE4ELNS1_3repE0EEENS1_30default_config_static_selectorELNS0_4arch9wavefront6targetE0EEEvSY_.uses_flat_scratch, 0
	.set _ZN7rocprim17ROCPRIM_400000_NS6detail17trampoline_kernelINS0_14default_configENS1_29binary_search_config_selectorIfiEEZNS1_14transform_implILb0ES3_S5_N6thrust23THRUST_200600_302600_NS6detail15normal_iteratorINS8_7pointerIfNS8_11hip_rocprim16par_det_nosync_tENS8_11use_defaultESE_EEEENSA_INSB_IiSD_SE_SE_EEEEZNS1_13binary_searchIS3_S5_NSA_INS8_10device_ptrIfEEEESG_SI_NS1_16binary_search_opENS9_16wrapped_functionINS8_6system6detail7generic6detail18binary_search_lessEbEEEE10hipError_tPvRmT1_T2_T3_mmT4_T5_P12ihipStream_tbEUlRKfE_EESV_SZ_S10_mS11_S14_bEUlT_E_NS1_11comp_targetILNS1_3genE10ELNS1_11target_archE1200ELNS1_3gpuE4ELNS1_3repE0EEENS1_30default_config_static_selectorELNS0_4arch9wavefront6targetE0EEEvSY_.has_dyn_sized_stack, 0
	.set _ZN7rocprim17ROCPRIM_400000_NS6detail17trampoline_kernelINS0_14default_configENS1_29binary_search_config_selectorIfiEEZNS1_14transform_implILb0ES3_S5_N6thrust23THRUST_200600_302600_NS6detail15normal_iteratorINS8_7pointerIfNS8_11hip_rocprim16par_det_nosync_tENS8_11use_defaultESE_EEEENSA_INSB_IiSD_SE_SE_EEEEZNS1_13binary_searchIS3_S5_NSA_INS8_10device_ptrIfEEEESG_SI_NS1_16binary_search_opENS9_16wrapped_functionINS8_6system6detail7generic6detail18binary_search_lessEbEEEE10hipError_tPvRmT1_T2_T3_mmT4_T5_P12ihipStream_tbEUlRKfE_EESV_SZ_S10_mS11_S14_bEUlT_E_NS1_11comp_targetILNS1_3genE10ELNS1_11target_archE1200ELNS1_3gpuE4ELNS1_3repE0EEENS1_30default_config_static_selectorELNS0_4arch9wavefront6targetE0EEEvSY_.has_recursion, 0
	.set _ZN7rocprim17ROCPRIM_400000_NS6detail17trampoline_kernelINS0_14default_configENS1_29binary_search_config_selectorIfiEEZNS1_14transform_implILb0ES3_S5_N6thrust23THRUST_200600_302600_NS6detail15normal_iteratorINS8_7pointerIfNS8_11hip_rocprim16par_det_nosync_tENS8_11use_defaultESE_EEEENSA_INSB_IiSD_SE_SE_EEEEZNS1_13binary_searchIS3_S5_NSA_INS8_10device_ptrIfEEEESG_SI_NS1_16binary_search_opENS9_16wrapped_functionINS8_6system6detail7generic6detail18binary_search_lessEbEEEE10hipError_tPvRmT1_T2_T3_mmT4_T5_P12ihipStream_tbEUlRKfE_EESV_SZ_S10_mS11_S14_bEUlT_E_NS1_11comp_targetILNS1_3genE10ELNS1_11target_archE1200ELNS1_3gpuE4ELNS1_3repE0EEENS1_30default_config_static_selectorELNS0_4arch9wavefront6targetE0EEEvSY_.has_indirect_call, 0
	.section	.AMDGPU.csdata,"",@progbits
; Kernel info:
; codeLenInByte = 0
; TotalNumSgprs: 0
; NumVgprs: 0
; ScratchSize: 0
; MemoryBound: 0
; FloatMode: 240
; IeeeMode: 1
; LDSByteSize: 0 bytes/workgroup (compile time only)
; SGPRBlocks: 0
; VGPRBlocks: 0
; NumSGPRsForWavesPerEU: 1
; NumVGPRsForWavesPerEU: 1
; Occupancy: 16
; WaveLimiterHint : 0
; COMPUTE_PGM_RSRC2:SCRATCH_EN: 0
; COMPUTE_PGM_RSRC2:USER_SGPR: 6
; COMPUTE_PGM_RSRC2:TRAP_HANDLER: 0
; COMPUTE_PGM_RSRC2:TGID_X_EN: 1
; COMPUTE_PGM_RSRC2:TGID_Y_EN: 0
; COMPUTE_PGM_RSRC2:TGID_Z_EN: 0
; COMPUTE_PGM_RSRC2:TIDIG_COMP_CNT: 0
	.section	.text._ZN7rocprim17ROCPRIM_400000_NS6detail17trampoline_kernelINS0_14default_configENS1_29binary_search_config_selectorIfiEEZNS1_14transform_implILb0ES3_S5_N6thrust23THRUST_200600_302600_NS6detail15normal_iteratorINS8_7pointerIfNS8_11hip_rocprim16par_det_nosync_tENS8_11use_defaultESE_EEEENSA_INSB_IiSD_SE_SE_EEEEZNS1_13binary_searchIS3_S5_NSA_INS8_10device_ptrIfEEEESG_SI_NS1_16binary_search_opENS9_16wrapped_functionINS8_6system6detail7generic6detail18binary_search_lessEbEEEE10hipError_tPvRmT1_T2_T3_mmT4_T5_P12ihipStream_tbEUlRKfE_EESV_SZ_S10_mS11_S14_bEUlT_E_NS1_11comp_targetILNS1_3genE9ELNS1_11target_archE1100ELNS1_3gpuE3ELNS1_3repE0EEENS1_30default_config_static_selectorELNS0_4arch9wavefront6targetE0EEEvSY_,"axG",@progbits,_ZN7rocprim17ROCPRIM_400000_NS6detail17trampoline_kernelINS0_14default_configENS1_29binary_search_config_selectorIfiEEZNS1_14transform_implILb0ES3_S5_N6thrust23THRUST_200600_302600_NS6detail15normal_iteratorINS8_7pointerIfNS8_11hip_rocprim16par_det_nosync_tENS8_11use_defaultESE_EEEENSA_INSB_IiSD_SE_SE_EEEEZNS1_13binary_searchIS3_S5_NSA_INS8_10device_ptrIfEEEESG_SI_NS1_16binary_search_opENS9_16wrapped_functionINS8_6system6detail7generic6detail18binary_search_lessEbEEEE10hipError_tPvRmT1_T2_T3_mmT4_T5_P12ihipStream_tbEUlRKfE_EESV_SZ_S10_mS11_S14_bEUlT_E_NS1_11comp_targetILNS1_3genE9ELNS1_11target_archE1100ELNS1_3gpuE3ELNS1_3repE0EEENS1_30default_config_static_selectorELNS0_4arch9wavefront6targetE0EEEvSY_,comdat
	.protected	_ZN7rocprim17ROCPRIM_400000_NS6detail17trampoline_kernelINS0_14default_configENS1_29binary_search_config_selectorIfiEEZNS1_14transform_implILb0ES3_S5_N6thrust23THRUST_200600_302600_NS6detail15normal_iteratorINS8_7pointerIfNS8_11hip_rocprim16par_det_nosync_tENS8_11use_defaultESE_EEEENSA_INSB_IiSD_SE_SE_EEEEZNS1_13binary_searchIS3_S5_NSA_INS8_10device_ptrIfEEEESG_SI_NS1_16binary_search_opENS9_16wrapped_functionINS8_6system6detail7generic6detail18binary_search_lessEbEEEE10hipError_tPvRmT1_T2_T3_mmT4_T5_P12ihipStream_tbEUlRKfE_EESV_SZ_S10_mS11_S14_bEUlT_E_NS1_11comp_targetILNS1_3genE9ELNS1_11target_archE1100ELNS1_3gpuE3ELNS1_3repE0EEENS1_30default_config_static_selectorELNS0_4arch9wavefront6targetE0EEEvSY_ ; -- Begin function _ZN7rocprim17ROCPRIM_400000_NS6detail17trampoline_kernelINS0_14default_configENS1_29binary_search_config_selectorIfiEEZNS1_14transform_implILb0ES3_S5_N6thrust23THRUST_200600_302600_NS6detail15normal_iteratorINS8_7pointerIfNS8_11hip_rocprim16par_det_nosync_tENS8_11use_defaultESE_EEEENSA_INSB_IiSD_SE_SE_EEEEZNS1_13binary_searchIS3_S5_NSA_INS8_10device_ptrIfEEEESG_SI_NS1_16binary_search_opENS9_16wrapped_functionINS8_6system6detail7generic6detail18binary_search_lessEbEEEE10hipError_tPvRmT1_T2_T3_mmT4_T5_P12ihipStream_tbEUlRKfE_EESV_SZ_S10_mS11_S14_bEUlT_E_NS1_11comp_targetILNS1_3genE9ELNS1_11target_archE1100ELNS1_3gpuE3ELNS1_3repE0EEENS1_30default_config_static_selectorELNS0_4arch9wavefront6targetE0EEEvSY_
	.globl	_ZN7rocprim17ROCPRIM_400000_NS6detail17trampoline_kernelINS0_14default_configENS1_29binary_search_config_selectorIfiEEZNS1_14transform_implILb0ES3_S5_N6thrust23THRUST_200600_302600_NS6detail15normal_iteratorINS8_7pointerIfNS8_11hip_rocprim16par_det_nosync_tENS8_11use_defaultESE_EEEENSA_INSB_IiSD_SE_SE_EEEEZNS1_13binary_searchIS3_S5_NSA_INS8_10device_ptrIfEEEESG_SI_NS1_16binary_search_opENS9_16wrapped_functionINS8_6system6detail7generic6detail18binary_search_lessEbEEEE10hipError_tPvRmT1_T2_T3_mmT4_T5_P12ihipStream_tbEUlRKfE_EESV_SZ_S10_mS11_S14_bEUlT_E_NS1_11comp_targetILNS1_3genE9ELNS1_11target_archE1100ELNS1_3gpuE3ELNS1_3repE0EEENS1_30default_config_static_selectorELNS0_4arch9wavefront6targetE0EEEvSY_
	.p2align	8
	.type	_ZN7rocprim17ROCPRIM_400000_NS6detail17trampoline_kernelINS0_14default_configENS1_29binary_search_config_selectorIfiEEZNS1_14transform_implILb0ES3_S5_N6thrust23THRUST_200600_302600_NS6detail15normal_iteratorINS8_7pointerIfNS8_11hip_rocprim16par_det_nosync_tENS8_11use_defaultESE_EEEENSA_INSB_IiSD_SE_SE_EEEEZNS1_13binary_searchIS3_S5_NSA_INS8_10device_ptrIfEEEESG_SI_NS1_16binary_search_opENS9_16wrapped_functionINS8_6system6detail7generic6detail18binary_search_lessEbEEEE10hipError_tPvRmT1_T2_T3_mmT4_T5_P12ihipStream_tbEUlRKfE_EESV_SZ_S10_mS11_S14_bEUlT_E_NS1_11comp_targetILNS1_3genE9ELNS1_11target_archE1100ELNS1_3gpuE3ELNS1_3repE0EEENS1_30default_config_static_selectorELNS0_4arch9wavefront6targetE0EEEvSY_,@function
_ZN7rocprim17ROCPRIM_400000_NS6detail17trampoline_kernelINS0_14default_configENS1_29binary_search_config_selectorIfiEEZNS1_14transform_implILb0ES3_S5_N6thrust23THRUST_200600_302600_NS6detail15normal_iteratorINS8_7pointerIfNS8_11hip_rocprim16par_det_nosync_tENS8_11use_defaultESE_EEEENSA_INSB_IiSD_SE_SE_EEEEZNS1_13binary_searchIS3_S5_NSA_INS8_10device_ptrIfEEEESG_SI_NS1_16binary_search_opENS9_16wrapped_functionINS8_6system6detail7generic6detail18binary_search_lessEbEEEE10hipError_tPvRmT1_T2_T3_mmT4_T5_P12ihipStream_tbEUlRKfE_EESV_SZ_S10_mS11_S14_bEUlT_E_NS1_11comp_targetILNS1_3genE9ELNS1_11target_archE1100ELNS1_3gpuE3ELNS1_3repE0EEENS1_30default_config_static_selectorELNS0_4arch9wavefront6targetE0EEEvSY_: ; @_ZN7rocprim17ROCPRIM_400000_NS6detail17trampoline_kernelINS0_14default_configENS1_29binary_search_config_selectorIfiEEZNS1_14transform_implILb0ES3_S5_N6thrust23THRUST_200600_302600_NS6detail15normal_iteratorINS8_7pointerIfNS8_11hip_rocprim16par_det_nosync_tENS8_11use_defaultESE_EEEENSA_INSB_IiSD_SE_SE_EEEEZNS1_13binary_searchIS3_S5_NSA_INS8_10device_ptrIfEEEESG_SI_NS1_16binary_search_opENS9_16wrapped_functionINS8_6system6detail7generic6detail18binary_search_lessEbEEEE10hipError_tPvRmT1_T2_T3_mmT4_T5_P12ihipStream_tbEUlRKfE_EESV_SZ_S10_mS11_S14_bEUlT_E_NS1_11comp_targetILNS1_3genE9ELNS1_11target_archE1100ELNS1_3gpuE3ELNS1_3repE0EEENS1_30default_config_static_selectorELNS0_4arch9wavefront6targetE0EEEvSY_
; %bb.0:
	.section	.rodata,"a",@progbits
	.p2align	6, 0x0
	.amdhsa_kernel _ZN7rocprim17ROCPRIM_400000_NS6detail17trampoline_kernelINS0_14default_configENS1_29binary_search_config_selectorIfiEEZNS1_14transform_implILb0ES3_S5_N6thrust23THRUST_200600_302600_NS6detail15normal_iteratorINS8_7pointerIfNS8_11hip_rocprim16par_det_nosync_tENS8_11use_defaultESE_EEEENSA_INSB_IiSD_SE_SE_EEEEZNS1_13binary_searchIS3_S5_NSA_INS8_10device_ptrIfEEEESG_SI_NS1_16binary_search_opENS9_16wrapped_functionINS8_6system6detail7generic6detail18binary_search_lessEbEEEE10hipError_tPvRmT1_T2_T3_mmT4_T5_P12ihipStream_tbEUlRKfE_EESV_SZ_S10_mS11_S14_bEUlT_E_NS1_11comp_targetILNS1_3genE9ELNS1_11target_archE1100ELNS1_3gpuE3ELNS1_3repE0EEENS1_30default_config_static_selectorELNS0_4arch9wavefront6targetE0EEEvSY_
		.amdhsa_group_segment_fixed_size 0
		.amdhsa_private_segment_fixed_size 0
		.amdhsa_kernarg_size 56
		.amdhsa_user_sgpr_count 6
		.amdhsa_user_sgpr_private_segment_buffer 1
		.amdhsa_user_sgpr_dispatch_ptr 0
		.amdhsa_user_sgpr_queue_ptr 0
		.amdhsa_user_sgpr_kernarg_segment_ptr 1
		.amdhsa_user_sgpr_dispatch_id 0
		.amdhsa_user_sgpr_flat_scratch_init 0
		.amdhsa_user_sgpr_private_segment_size 0
		.amdhsa_wavefront_size32 1
		.amdhsa_uses_dynamic_stack 0
		.amdhsa_system_sgpr_private_segment_wavefront_offset 0
		.amdhsa_system_sgpr_workgroup_id_x 1
		.amdhsa_system_sgpr_workgroup_id_y 0
		.amdhsa_system_sgpr_workgroup_id_z 0
		.amdhsa_system_sgpr_workgroup_info 0
		.amdhsa_system_vgpr_workitem_id 0
		.amdhsa_next_free_vgpr 1
		.amdhsa_next_free_sgpr 1
		.amdhsa_reserve_vcc 0
		.amdhsa_reserve_flat_scratch 0
		.amdhsa_float_round_mode_32 0
		.amdhsa_float_round_mode_16_64 0
		.amdhsa_float_denorm_mode_32 3
		.amdhsa_float_denorm_mode_16_64 3
		.amdhsa_dx10_clamp 1
		.amdhsa_ieee_mode 1
		.amdhsa_fp16_overflow 0
		.amdhsa_workgroup_processor_mode 1
		.amdhsa_memory_ordered 1
		.amdhsa_forward_progress 1
		.amdhsa_shared_vgpr_count 0
		.amdhsa_exception_fp_ieee_invalid_op 0
		.amdhsa_exception_fp_denorm_src 0
		.amdhsa_exception_fp_ieee_div_zero 0
		.amdhsa_exception_fp_ieee_overflow 0
		.amdhsa_exception_fp_ieee_underflow 0
		.amdhsa_exception_fp_ieee_inexact 0
		.amdhsa_exception_int_div_zero 0
	.end_amdhsa_kernel
	.section	.text._ZN7rocprim17ROCPRIM_400000_NS6detail17trampoline_kernelINS0_14default_configENS1_29binary_search_config_selectorIfiEEZNS1_14transform_implILb0ES3_S5_N6thrust23THRUST_200600_302600_NS6detail15normal_iteratorINS8_7pointerIfNS8_11hip_rocprim16par_det_nosync_tENS8_11use_defaultESE_EEEENSA_INSB_IiSD_SE_SE_EEEEZNS1_13binary_searchIS3_S5_NSA_INS8_10device_ptrIfEEEESG_SI_NS1_16binary_search_opENS9_16wrapped_functionINS8_6system6detail7generic6detail18binary_search_lessEbEEEE10hipError_tPvRmT1_T2_T3_mmT4_T5_P12ihipStream_tbEUlRKfE_EESV_SZ_S10_mS11_S14_bEUlT_E_NS1_11comp_targetILNS1_3genE9ELNS1_11target_archE1100ELNS1_3gpuE3ELNS1_3repE0EEENS1_30default_config_static_selectorELNS0_4arch9wavefront6targetE0EEEvSY_,"axG",@progbits,_ZN7rocprim17ROCPRIM_400000_NS6detail17trampoline_kernelINS0_14default_configENS1_29binary_search_config_selectorIfiEEZNS1_14transform_implILb0ES3_S5_N6thrust23THRUST_200600_302600_NS6detail15normal_iteratorINS8_7pointerIfNS8_11hip_rocprim16par_det_nosync_tENS8_11use_defaultESE_EEEENSA_INSB_IiSD_SE_SE_EEEEZNS1_13binary_searchIS3_S5_NSA_INS8_10device_ptrIfEEEESG_SI_NS1_16binary_search_opENS9_16wrapped_functionINS8_6system6detail7generic6detail18binary_search_lessEbEEEE10hipError_tPvRmT1_T2_T3_mmT4_T5_P12ihipStream_tbEUlRKfE_EESV_SZ_S10_mS11_S14_bEUlT_E_NS1_11comp_targetILNS1_3genE9ELNS1_11target_archE1100ELNS1_3gpuE3ELNS1_3repE0EEENS1_30default_config_static_selectorELNS0_4arch9wavefront6targetE0EEEvSY_,comdat
.Lfunc_end642:
	.size	_ZN7rocprim17ROCPRIM_400000_NS6detail17trampoline_kernelINS0_14default_configENS1_29binary_search_config_selectorIfiEEZNS1_14transform_implILb0ES3_S5_N6thrust23THRUST_200600_302600_NS6detail15normal_iteratorINS8_7pointerIfNS8_11hip_rocprim16par_det_nosync_tENS8_11use_defaultESE_EEEENSA_INSB_IiSD_SE_SE_EEEEZNS1_13binary_searchIS3_S5_NSA_INS8_10device_ptrIfEEEESG_SI_NS1_16binary_search_opENS9_16wrapped_functionINS8_6system6detail7generic6detail18binary_search_lessEbEEEE10hipError_tPvRmT1_T2_T3_mmT4_T5_P12ihipStream_tbEUlRKfE_EESV_SZ_S10_mS11_S14_bEUlT_E_NS1_11comp_targetILNS1_3genE9ELNS1_11target_archE1100ELNS1_3gpuE3ELNS1_3repE0EEENS1_30default_config_static_selectorELNS0_4arch9wavefront6targetE0EEEvSY_, .Lfunc_end642-_ZN7rocprim17ROCPRIM_400000_NS6detail17trampoline_kernelINS0_14default_configENS1_29binary_search_config_selectorIfiEEZNS1_14transform_implILb0ES3_S5_N6thrust23THRUST_200600_302600_NS6detail15normal_iteratorINS8_7pointerIfNS8_11hip_rocprim16par_det_nosync_tENS8_11use_defaultESE_EEEENSA_INSB_IiSD_SE_SE_EEEEZNS1_13binary_searchIS3_S5_NSA_INS8_10device_ptrIfEEEESG_SI_NS1_16binary_search_opENS9_16wrapped_functionINS8_6system6detail7generic6detail18binary_search_lessEbEEEE10hipError_tPvRmT1_T2_T3_mmT4_T5_P12ihipStream_tbEUlRKfE_EESV_SZ_S10_mS11_S14_bEUlT_E_NS1_11comp_targetILNS1_3genE9ELNS1_11target_archE1100ELNS1_3gpuE3ELNS1_3repE0EEENS1_30default_config_static_selectorELNS0_4arch9wavefront6targetE0EEEvSY_
                                        ; -- End function
	.set _ZN7rocprim17ROCPRIM_400000_NS6detail17trampoline_kernelINS0_14default_configENS1_29binary_search_config_selectorIfiEEZNS1_14transform_implILb0ES3_S5_N6thrust23THRUST_200600_302600_NS6detail15normal_iteratorINS8_7pointerIfNS8_11hip_rocprim16par_det_nosync_tENS8_11use_defaultESE_EEEENSA_INSB_IiSD_SE_SE_EEEEZNS1_13binary_searchIS3_S5_NSA_INS8_10device_ptrIfEEEESG_SI_NS1_16binary_search_opENS9_16wrapped_functionINS8_6system6detail7generic6detail18binary_search_lessEbEEEE10hipError_tPvRmT1_T2_T3_mmT4_T5_P12ihipStream_tbEUlRKfE_EESV_SZ_S10_mS11_S14_bEUlT_E_NS1_11comp_targetILNS1_3genE9ELNS1_11target_archE1100ELNS1_3gpuE3ELNS1_3repE0EEENS1_30default_config_static_selectorELNS0_4arch9wavefront6targetE0EEEvSY_.num_vgpr, 0
	.set _ZN7rocprim17ROCPRIM_400000_NS6detail17trampoline_kernelINS0_14default_configENS1_29binary_search_config_selectorIfiEEZNS1_14transform_implILb0ES3_S5_N6thrust23THRUST_200600_302600_NS6detail15normal_iteratorINS8_7pointerIfNS8_11hip_rocprim16par_det_nosync_tENS8_11use_defaultESE_EEEENSA_INSB_IiSD_SE_SE_EEEEZNS1_13binary_searchIS3_S5_NSA_INS8_10device_ptrIfEEEESG_SI_NS1_16binary_search_opENS9_16wrapped_functionINS8_6system6detail7generic6detail18binary_search_lessEbEEEE10hipError_tPvRmT1_T2_T3_mmT4_T5_P12ihipStream_tbEUlRKfE_EESV_SZ_S10_mS11_S14_bEUlT_E_NS1_11comp_targetILNS1_3genE9ELNS1_11target_archE1100ELNS1_3gpuE3ELNS1_3repE0EEENS1_30default_config_static_selectorELNS0_4arch9wavefront6targetE0EEEvSY_.num_agpr, 0
	.set _ZN7rocprim17ROCPRIM_400000_NS6detail17trampoline_kernelINS0_14default_configENS1_29binary_search_config_selectorIfiEEZNS1_14transform_implILb0ES3_S5_N6thrust23THRUST_200600_302600_NS6detail15normal_iteratorINS8_7pointerIfNS8_11hip_rocprim16par_det_nosync_tENS8_11use_defaultESE_EEEENSA_INSB_IiSD_SE_SE_EEEEZNS1_13binary_searchIS3_S5_NSA_INS8_10device_ptrIfEEEESG_SI_NS1_16binary_search_opENS9_16wrapped_functionINS8_6system6detail7generic6detail18binary_search_lessEbEEEE10hipError_tPvRmT1_T2_T3_mmT4_T5_P12ihipStream_tbEUlRKfE_EESV_SZ_S10_mS11_S14_bEUlT_E_NS1_11comp_targetILNS1_3genE9ELNS1_11target_archE1100ELNS1_3gpuE3ELNS1_3repE0EEENS1_30default_config_static_selectorELNS0_4arch9wavefront6targetE0EEEvSY_.numbered_sgpr, 0
	.set _ZN7rocprim17ROCPRIM_400000_NS6detail17trampoline_kernelINS0_14default_configENS1_29binary_search_config_selectorIfiEEZNS1_14transform_implILb0ES3_S5_N6thrust23THRUST_200600_302600_NS6detail15normal_iteratorINS8_7pointerIfNS8_11hip_rocprim16par_det_nosync_tENS8_11use_defaultESE_EEEENSA_INSB_IiSD_SE_SE_EEEEZNS1_13binary_searchIS3_S5_NSA_INS8_10device_ptrIfEEEESG_SI_NS1_16binary_search_opENS9_16wrapped_functionINS8_6system6detail7generic6detail18binary_search_lessEbEEEE10hipError_tPvRmT1_T2_T3_mmT4_T5_P12ihipStream_tbEUlRKfE_EESV_SZ_S10_mS11_S14_bEUlT_E_NS1_11comp_targetILNS1_3genE9ELNS1_11target_archE1100ELNS1_3gpuE3ELNS1_3repE0EEENS1_30default_config_static_selectorELNS0_4arch9wavefront6targetE0EEEvSY_.num_named_barrier, 0
	.set _ZN7rocprim17ROCPRIM_400000_NS6detail17trampoline_kernelINS0_14default_configENS1_29binary_search_config_selectorIfiEEZNS1_14transform_implILb0ES3_S5_N6thrust23THRUST_200600_302600_NS6detail15normal_iteratorINS8_7pointerIfNS8_11hip_rocprim16par_det_nosync_tENS8_11use_defaultESE_EEEENSA_INSB_IiSD_SE_SE_EEEEZNS1_13binary_searchIS3_S5_NSA_INS8_10device_ptrIfEEEESG_SI_NS1_16binary_search_opENS9_16wrapped_functionINS8_6system6detail7generic6detail18binary_search_lessEbEEEE10hipError_tPvRmT1_T2_T3_mmT4_T5_P12ihipStream_tbEUlRKfE_EESV_SZ_S10_mS11_S14_bEUlT_E_NS1_11comp_targetILNS1_3genE9ELNS1_11target_archE1100ELNS1_3gpuE3ELNS1_3repE0EEENS1_30default_config_static_selectorELNS0_4arch9wavefront6targetE0EEEvSY_.private_seg_size, 0
	.set _ZN7rocprim17ROCPRIM_400000_NS6detail17trampoline_kernelINS0_14default_configENS1_29binary_search_config_selectorIfiEEZNS1_14transform_implILb0ES3_S5_N6thrust23THRUST_200600_302600_NS6detail15normal_iteratorINS8_7pointerIfNS8_11hip_rocprim16par_det_nosync_tENS8_11use_defaultESE_EEEENSA_INSB_IiSD_SE_SE_EEEEZNS1_13binary_searchIS3_S5_NSA_INS8_10device_ptrIfEEEESG_SI_NS1_16binary_search_opENS9_16wrapped_functionINS8_6system6detail7generic6detail18binary_search_lessEbEEEE10hipError_tPvRmT1_T2_T3_mmT4_T5_P12ihipStream_tbEUlRKfE_EESV_SZ_S10_mS11_S14_bEUlT_E_NS1_11comp_targetILNS1_3genE9ELNS1_11target_archE1100ELNS1_3gpuE3ELNS1_3repE0EEENS1_30default_config_static_selectorELNS0_4arch9wavefront6targetE0EEEvSY_.uses_vcc, 0
	.set _ZN7rocprim17ROCPRIM_400000_NS6detail17trampoline_kernelINS0_14default_configENS1_29binary_search_config_selectorIfiEEZNS1_14transform_implILb0ES3_S5_N6thrust23THRUST_200600_302600_NS6detail15normal_iteratorINS8_7pointerIfNS8_11hip_rocprim16par_det_nosync_tENS8_11use_defaultESE_EEEENSA_INSB_IiSD_SE_SE_EEEEZNS1_13binary_searchIS3_S5_NSA_INS8_10device_ptrIfEEEESG_SI_NS1_16binary_search_opENS9_16wrapped_functionINS8_6system6detail7generic6detail18binary_search_lessEbEEEE10hipError_tPvRmT1_T2_T3_mmT4_T5_P12ihipStream_tbEUlRKfE_EESV_SZ_S10_mS11_S14_bEUlT_E_NS1_11comp_targetILNS1_3genE9ELNS1_11target_archE1100ELNS1_3gpuE3ELNS1_3repE0EEENS1_30default_config_static_selectorELNS0_4arch9wavefront6targetE0EEEvSY_.uses_flat_scratch, 0
	.set _ZN7rocprim17ROCPRIM_400000_NS6detail17trampoline_kernelINS0_14default_configENS1_29binary_search_config_selectorIfiEEZNS1_14transform_implILb0ES3_S5_N6thrust23THRUST_200600_302600_NS6detail15normal_iteratorINS8_7pointerIfNS8_11hip_rocprim16par_det_nosync_tENS8_11use_defaultESE_EEEENSA_INSB_IiSD_SE_SE_EEEEZNS1_13binary_searchIS3_S5_NSA_INS8_10device_ptrIfEEEESG_SI_NS1_16binary_search_opENS9_16wrapped_functionINS8_6system6detail7generic6detail18binary_search_lessEbEEEE10hipError_tPvRmT1_T2_T3_mmT4_T5_P12ihipStream_tbEUlRKfE_EESV_SZ_S10_mS11_S14_bEUlT_E_NS1_11comp_targetILNS1_3genE9ELNS1_11target_archE1100ELNS1_3gpuE3ELNS1_3repE0EEENS1_30default_config_static_selectorELNS0_4arch9wavefront6targetE0EEEvSY_.has_dyn_sized_stack, 0
	.set _ZN7rocprim17ROCPRIM_400000_NS6detail17trampoline_kernelINS0_14default_configENS1_29binary_search_config_selectorIfiEEZNS1_14transform_implILb0ES3_S5_N6thrust23THRUST_200600_302600_NS6detail15normal_iteratorINS8_7pointerIfNS8_11hip_rocprim16par_det_nosync_tENS8_11use_defaultESE_EEEENSA_INSB_IiSD_SE_SE_EEEEZNS1_13binary_searchIS3_S5_NSA_INS8_10device_ptrIfEEEESG_SI_NS1_16binary_search_opENS9_16wrapped_functionINS8_6system6detail7generic6detail18binary_search_lessEbEEEE10hipError_tPvRmT1_T2_T3_mmT4_T5_P12ihipStream_tbEUlRKfE_EESV_SZ_S10_mS11_S14_bEUlT_E_NS1_11comp_targetILNS1_3genE9ELNS1_11target_archE1100ELNS1_3gpuE3ELNS1_3repE0EEENS1_30default_config_static_selectorELNS0_4arch9wavefront6targetE0EEEvSY_.has_recursion, 0
	.set _ZN7rocprim17ROCPRIM_400000_NS6detail17trampoline_kernelINS0_14default_configENS1_29binary_search_config_selectorIfiEEZNS1_14transform_implILb0ES3_S5_N6thrust23THRUST_200600_302600_NS6detail15normal_iteratorINS8_7pointerIfNS8_11hip_rocprim16par_det_nosync_tENS8_11use_defaultESE_EEEENSA_INSB_IiSD_SE_SE_EEEEZNS1_13binary_searchIS3_S5_NSA_INS8_10device_ptrIfEEEESG_SI_NS1_16binary_search_opENS9_16wrapped_functionINS8_6system6detail7generic6detail18binary_search_lessEbEEEE10hipError_tPvRmT1_T2_T3_mmT4_T5_P12ihipStream_tbEUlRKfE_EESV_SZ_S10_mS11_S14_bEUlT_E_NS1_11comp_targetILNS1_3genE9ELNS1_11target_archE1100ELNS1_3gpuE3ELNS1_3repE0EEENS1_30default_config_static_selectorELNS0_4arch9wavefront6targetE0EEEvSY_.has_indirect_call, 0
	.section	.AMDGPU.csdata,"",@progbits
; Kernel info:
; codeLenInByte = 0
; TotalNumSgprs: 0
; NumVgprs: 0
; ScratchSize: 0
; MemoryBound: 0
; FloatMode: 240
; IeeeMode: 1
; LDSByteSize: 0 bytes/workgroup (compile time only)
; SGPRBlocks: 0
; VGPRBlocks: 0
; NumSGPRsForWavesPerEU: 1
; NumVGPRsForWavesPerEU: 1
; Occupancy: 16
; WaveLimiterHint : 0
; COMPUTE_PGM_RSRC2:SCRATCH_EN: 0
; COMPUTE_PGM_RSRC2:USER_SGPR: 6
; COMPUTE_PGM_RSRC2:TRAP_HANDLER: 0
; COMPUTE_PGM_RSRC2:TGID_X_EN: 1
; COMPUTE_PGM_RSRC2:TGID_Y_EN: 0
; COMPUTE_PGM_RSRC2:TGID_Z_EN: 0
; COMPUTE_PGM_RSRC2:TIDIG_COMP_CNT: 0
	.section	.text._ZN7rocprim17ROCPRIM_400000_NS6detail17trampoline_kernelINS0_14default_configENS1_29binary_search_config_selectorIfiEEZNS1_14transform_implILb0ES3_S5_N6thrust23THRUST_200600_302600_NS6detail15normal_iteratorINS8_7pointerIfNS8_11hip_rocprim16par_det_nosync_tENS8_11use_defaultESE_EEEENSA_INSB_IiSD_SE_SE_EEEEZNS1_13binary_searchIS3_S5_NSA_INS8_10device_ptrIfEEEESG_SI_NS1_16binary_search_opENS9_16wrapped_functionINS8_6system6detail7generic6detail18binary_search_lessEbEEEE10hipError_tPvRmT1_T2_T3_mmT4_T5_P12ihipStream_tbEUlRKfE_EESV_SZ_S10_mS11_S14_bEUlT_E_NS1_11comp_targetILNS1_3genE8ELNS1_11target_archE1030ELNS1_3gpuE2ELNS1_3repE0EEENS1_30default_config_static_selectorELNS0_4arch9wavefront6targetE0EEEvSY_,"axG",@progbits,_ZN7rocprim17ROCPRIM_400000_NS6detail17trampoline_kernelINS0_14default_configENS1_29binary_search_config_selectorIfiEEZNS1_14transform_implILb0ES3_S5_N6thrust23THRUST_200600_302600_NS6detail15normal_iteratorINS8_7pointerIfNS8_11hip_rocprim16par_det_nosync_tENS8_11use_defaultESE_EEEENSA_INSB_IiSD_SE_SE_EEEEZNS1_13binary_searchIS3_S5_NSA_INS8_10device_ptrIfEEEESG_SI_NS1_16binary_search_opENS9_16wrapped_functionINS8_6system6detail7generic6detail18binary_search_lessEbEEEE10hipError_tPvRmT1_T2_T3_mmT4_T5_P12ihipStream_tbEUlRKfE_EESV_SZ_S10_mS11_S14_bEUlT_E_NS1_11comp_targetILNS1_3genE8ELNS1_11target_archE1030ELNS1_3gpuE2ELNS1_3repE0EEENS1_30default_config_static_selectorELNS0_4arch9wavefront6targetE0EEEvSY_,comdat
	.protected	_ZN7rocprim17ROCPRIM_400000_NS6detail17trampoline_kernelINS0_14default_configENS1_29binary_search_config_selectorIfiEEZNS1_14transform_implILb0ES3_S5_N6thrust23THRUST_200600_302600_NS6detail15normal_iteratorINS8_7pointerIfNS8_11hip_rocprim16par_det_nosync_tENS8_11use_defaultESE_EEEENSA_INSB_IiSD_SE_SE_EEEEZNS1_13binary_searchIS3_S5_NSA_INS8_10device_ptrIfEEEESG_SI_NS1_16binary_search_opENS9_16wrapped_functionINS8_6system6detail7generic6detail18binary_search_lessEbEEEE10hipError_tPvRmT1_T2_T3_mmT4_T5_P12ihipStream_tbEUlRKfE_EESV_SZ_S10_mS11_S14_bEUlT_E_NS1_11comp_targetILNS1_3genE8ELNS1_11target_archE1030ELNS1_3gpuE2ELNS1_3repE0EEENS1_30default_config_static_selectorELNS0_4arch9wavefront6targetE0EEEvSY_ ; -- Begin function _ZN7rocprim17ROCPRIM_400000_NS6detail17trampoline_kernelINS0_14default_configENS1_29binary_search_config_selectorIfiEEZNS1_14transform_implILb0ES3_S5_N6thrust23THRUST_200600_302600_NS6detail15normal_iteratorINS8_7pointerIfNS8_11hip_rocprim16par_det_nosync_tENS8_11use_defaultESE_EEEENSA_INSB_IiSD_SE_SE_EEEEZNS1_13binary_searchIS3_S5_NSA_INS8_10device_ptrIfEEEESG_SI_NS1_16binary_search_opENS9_16wrapped_functionINS8_6system6detail7generic6detail18binary_search_lessEbEEEE10hipError_tPvRmT1_T2_T3_mmT4_T5_P12ihipStream_tbEUlRKfE_EESV_SZ_S10_mS11_S14_bEUlT_E_NS1_11comp_targetILNS1_3genE8ELNS1_11target_archE1030ELNS1_3gpuE2ELNS1_3repE0EEENS1_30default_config_static_selectorELNS0_4arch9wavefront6targetE0EEEvSY_
	.globl	_ZN7rocprim17ROCPRIM_400000_NS6detail17trampoline_kernelINS0_14default_configENS1_29binary_search_config_selectorIfiEEZNS1_14transform_implILb0ES3_S5_N6thrust23THRUST_200600_302600_NS6detail15normal_iteratorINS8_7pointerIfNS8_11hip_rocprim16par_det_nosync_tENS8_11use_defaultESE_EEEENSA_INSB_IiSD_SE_SE_EEEEZNS1_13binary_searchIS3_S5_NSA_INS8_10device_ptrIfEEEESG_SI_NS1_16binary_search_opENS9_16wrapped_functionINS8_6system6detail7generic6detail18binary_search_lessEbEEEE10hipError_tPvRmT1_T2_T3_mmT4_T5_P12ihipStream_tbEUlRKfE_EESV_SZ_S10_mS11_S14_bEUlT_E_NS1_11comp_targetILNS1_3genE8ELNS1_11target_archE1030ELNS1_3gpuE2ELNS1_3repE0EEENS1_30default_config_static_selectorELNS0_4arch9wavefront6targetE0EEEvSY_
	.p2align	8
	.type	_ZN7rocprim17ROCPRIM_400000_NS6detail17trampoline_kernelINS0_14default_configENS1_29binary_search_config_selectorIfiEEZNS1_14transform_implILb0ES3_S5_N6thrust23THRUST_200600_302600_NS6detail15normal_iteratorINS8_7pointerIfNS8_11hip_rocprim16par_det_nosync_tENS8_11use_defaultESE_EEEENSA_INSB_IiSD_SE_SE_EEEEZNS1_13binary_searchIS3_S5_NSA_INS8_10device_ptrIfEEEESG_SI_NS1_16binary_search_opENS9_16wrapped_functionINS8_6system6detail7generic6detail18binary_search_lessEbEEEE10hipError_tPvRmT1_T2_T3_mmT4_T5_P12ihipStream_tbEUlRKfE_EESV_SZ_S10_mS11_S14_bEUlT_E_NS1_11comp_targetILNS1_3genE8ELNS1_11target_archE1030ELNS1_3gpuE2ELNS1_3repE0EEENS1_30default_config_static_selectorELNS0_4arch9wavefront6targetE0EEEvSY_,@function
_ZN7rocprim17ROCPRIM_400000_NS6detail17trampoline_kernelINS0_14default_configENS1_29binary_search_config_selectorIfiEEZNS1_14transform_implILb0ES3_S5_N6thrust23THRUST_200600_302600_NS6detail15normal_iteratorINS8_7pointerIfNS8_11hip_rocprim16par_det_nosync_tENS8_11use_defaultESE_EEEENSA_INSB_IiSD_SE_SE_EEEEZNS1_13binary_searchIS3_S5_NSA_INS8_10device_ptrIfEEEESG_SI_NS1_16binary_search_opENS9_16wrapped_functionINS8_6system6detail7generic6detail18binary_search_lessEbEEEE10hipError_tPvRmT1_T2_T3_mmT4_T5_P12ihipStream_tbEUlRKfE_EESV_SZ_S10_mS11_S14_bEUlT_E_NS1_11comp_targetILNS1_3genE8ELNS1_11target_archE1030ELNS1_3gpuE2ELNS1_3repE0EEENS1_30default_config_static_selectorELNS0_4arch9wavefront6targetE0EEEvSY_: ; @_ZN7rocprim17ROCPRIM_400000_NS6detail17trampoline_kernelINS0_14default_configENS1_29binary_search_config_selectorIfiEEZNS1_14transform_implILb0ES3_S5_N6thrust23THRUST_200600_302600_NS6detail15normal_iteratorINS8_7pointerIfNS8_11hip_rocprim16par_det_nosync_tENS8_11use_defaultESE_EEEENSA_INSB_IiSD_SE_SE_EEEEZNS1_13binary_searchIS3_S5_NSA_INS8_10device_ptrIfEEEESG_SI_NS1_16binary_search_opENS9_16wrapped_functionINS8_6system6detail7generic6detail18binary_search_lessEbEEEE10hipError_tPvRmT1_T2_T3_mmT4_T5_P12ihipStream_tbEUlRKfE_EESV_SZ_S10_mS11_S14_bEUlT_E_NS1_11comp_targetILNS1_3genE8ELNS1_11target_archE1030ELNS1_3gpuE2ELNS1_3repE0EEENS1_30default_config_static_selectorELNS0_4arch9wavefront6targetE0EEEvSY_
; %bb.0:
	s_clause 0x3
	s_load_dwordx4 s[16:19], s[4:5], 0x0
	s_load_dword s3, s[4:5], 0x38
	s_load_dwordx2 s[0:1], s[4:5], 0x28
	s_load_dwordx4 s[8:11], s[4:5], 0x18
	s_waitcnt lgkmcnt(0)
	s_lshl_b64 s[12:13], s[18:19], 2
	s_add_u32 s14, s16, s12
	s_addc_u32 s15, s17, s13
	s_add_i32 s7, s3, -1
	s_lshl_b32 s2, s6, 8
	s_mov_b32 s3, 0
	s_cmp_lg_u32 s6, s7
	s_mov_b32 s16, -1
	s_cbranch_scc0 .LBB643_6
; %bb.1:
	v_lshlrev_b32_e32 v1, 2, v0
	s_lshl_b64 s[6:7], s[2:3], 2
	s_add_u32 s6, s14, s6
	s_addc_u32 s7, s15, s7
	v_add_co_u32 v1, s6, s6, v1
	v_add_co_ci_u32_e64 v2, null, s7, 0, s6
	s_cmp_eq_u64 s[0:1], 0
	flat_load_dword v6, v[1:2]
	v_mov_b32_e32 v2, 0
	v_mov_b32_e32 v1, 0
	;; [unrolled: 1-line block ×3, first 2 shown]
	s_cbranch_scc1 .LBB643_5
; %bb.2:
	v_mov_b32_e32 v5, s1
	v_mov_b32_e32 v4, s0
	s_mov_b32 s6, 0
	s_inst_prefetch 0x1
	.p2align	6
.LBB643_3:                              ; =>This Inner Loop Header: Depth=1
	v_sub_co_u32 v7, vcc_lo, v4, v2
	v_sub_co_ci_u32_e64 v8, null, v5, v3, vcc_lo
	v_lshrrev_b64 v[9:10], 1, v[7:8]
	v_lshrrev_b64 v[7:8], 6, v[7:8]
	v_add_co_u32 v9, vcc_lo, v9, v2
	v_add_co_ci_u32_e64 v10, null, v10, v3, vcc_lo
	v_add_co_u32 v7, vcc_lo, v9, v7
	v_add_co_ci_u32_e64 v8, null, v10, v8, vcc_lo
	v_lshlrev_b64 v[9:10], 2, v[7:8]
	v_add_co_u32 v9, vcc_lo, s10, v9
	v_add_co_ci_u32_e64 v10, null, s11, v10, vcc_lo
	global_load_dword v9, v[9:10], off
	v_add_co_u32 v10, vcc_lo, v7, 1
	v_add_co_ci_u32_e64 v11, null, 0, v8, vcc_lo
	s_waitcnt vmcnt(0) lgkmcnt(0)
	v_cmp_lt_f32_e32 vcc_lo, v9, v6
	v_cndmask_b32_e32 v5, v8, v5, vcc_lo
	v_cndmask_b32_e32 v4, v7, v4, vcc_lo
	;; [unrolled: 1-line block ×4, first 2 shown]
	v_cmp_ge_u64_e32 vcc_lo, v[2:3], v[4:5]
	s_or_b32 s6, vcc_lo, s6
	s_andn2_b32 exec_lo, exec_lo, s6
	s_cbranch_execnz .LBB643_3
; %bb.4:
	s_inst_prefetch 0x2
	s_or_b32 exec_lo, exec_lo, s6
.LBB643_5:
	v_cmp_eq_u64_e64 s6, s[0:1], v[2:3]
	v_cmp_ne_u64_e64 s7, s[0:1], v[2:3]
	s_branch .LBB643_14
.LBB643_6:
	s_mov_b32 s7, s3
	s_mov_b32 s6, s3
                                        ; implicit-def: $vgpr6
                                        ; implicit-def: $vgpr2_vgpr3
	s_and_b32 vcc_lo, exec_lo, s16
	s_cbranch_vccz .LBB643_14
; %bb.7:
	s_load_dword s4, s[4:5], 0x10
                                        ; implicit-def: $vgpr6
                                        ; implicit-def: $vgpr2_vgpr3
	s_waitcnt lgkmcnt(0)
	s_sub_i32 s4, s4, s2
	v_cmp_gt_u32_e32 vcc_lo, s4, v0
	s_and_saveexec_b32 s4, vcc_lo
	s_cbranch_execz .LBB643_13
; %bb.8:
	v_lshlrev_b32_e32 v1, 2, v0
	s_lshl_b64 s[16:17], s[2:3], 2
	s_add_u32 s5, s14, s16
	s_addc_u32 s14, s15, s17
	v_add_co_u32 v1, s5, s5, v1
	v_add_co_ci_u32_e64 v2, null, s14, 0, s5
	s_cmp_eq_u64 s[0:1], 0
	s_waitcnt vmcnt(0)
	flat_load_dword v6, v[1:2]
	v_mov_b32_e32 v2, 0
	v_mov_b32_e32 v1, 0
	;; [unrolled: 1-line block ×3, first 2 shown]
	s_cbranch_scc1 .LBB643_12
; %bb.9:
	v_mov_b32_e32 v5, s1
	v_mov_b32_e32 v4, s0
	s_mov_b32 s5, 0
	s_inst_prefetch 0x1
	.p2align	6
.LBB643_10:                             ; =>This Inner Loop Header: Depth=1
	v_sub_co_u32 v7, vcc_lo, v4, v2
	v_sub_co_ci_u32_e64 v8, null, v5, v3, vcc_lo
	v_lshrrev_b64 v[9:10], 1, v[7:8]
	v_lshrrev_b64 v[7:8], 6, v[7:8]
	v_add_co_u32 v9, vcc_lo, v9, v2
	v_add_co_ci_u32_e64 v10, null, v10, v3, vcc_lo
	v_add_co_u32 v7, vcc_lo, v9, v7
	v_add_co_ci_u32_e64 v8, null, v10, v8, vcc_lo
	v_lshlrev_b64 v[9:10], 2, v[7:8]
	v_add_co_u32 v9, vcc_lo, s10, v9
	v_add_co_ci_u32_e64 v10, null, s11, v10, vcc_lo
	global_load_dword v9, v[9:10], off
	v_add_co_u32 v10, vcc_lo, v7, 1
	v_add_co_ci_u32_e64 v11, null, 0, v8, vcc_lo
	s_waitcnt vmcnt(0) lgkmcnt(0)
	v_cmp_lt_f32_e32 vcc_lo, v9, v6
	v_cndmask_b32_e32 v5, v8, v5, vcc_lo
	v_cndmask_b32_e32 v4, v7, v4, vcc_lo
	v_cndmask_b32_e32 v3, v3, v11, vcc_lo
	v_cndmask_b32_e32 v2, v2, v10, vcc_lo
	v_cmp_ge_u64_e32 vcc_lo, v[2:3], v[4:5]
	s_or_b32 s5, vcc_lo, s5
	s_andn2_b32 exec_lo, exec_lo, s5
	s_cbranch_execnz .LBB643_10
; %bb.11:
	s_inst_prefetch 0x2
	s_or_b32 exec_lo, exec_lo, s5
.LBB643_12:
	v_cmp_eq_u64_e32 vcc_lo, s[0:1], v[2:3]
	v_cmp_ne_u64_e64 s0, s[0:1], v[2:3]
	s_andn2_b32 s1, s6, exec_lo
	s_andn2_b32 s5, s7, exec_lo
	s_and_b32 s6, vcc_lo, exec_lo
	s_and_b32 s0, s0, exec_lo
	s_or_b32 s6, s1, s6
	s_or_b32 s7, s5, s0
.LBB643_13:
	s_or_b32 exec_lo, exec_lo, s4
.LBB643_14:
	v_mov_b32_e32 v4, 0
	s_and_saveexec_b32 s0, s7
	s_cbranch_execnz .LBB643_17
; %bb.15:
	s_or_b32 exec_lo, exec_lo, s0
	s_and_saveexec_b32 s0, s6
	s_cbranch_execnz .LBB643_18
.LBB643_16:
	s_endpgm
.LBB643_17:
	v_lshlrev_b64 v[2:3], 2, v[2:3]
	s_or_b32 s6, s6, exec_lo
	v_add_co_u32 v2, vcc_lo, s10, v2
	v_add_co_ci_u32_e64 v3, null, s11, v3, vcc_lo
	global_load_dword v2, v[2:3], off
	s_waitcnt vmcnt(0) lgkmcnt(0)
	v_cmp_nlt_f32_e32 vcc_lo, v6, v2
	v_cndmask_b32_e64 v4, 0, 1, vcc_lo
	s_or_b32 exec_lo, exec_lo, s0
	s_and_saveexec_b32 s0, s6
	s_cbranch_execz .LBB643_16
.LBB643_18:
	v_lshlrev_b64 v[0:1], 2, v[0:1]
	s_add_u32 s4, s8, s12
	s_addc_u32 s5, s9, s13
	s_lshl_b64 s[0:1], s[2:3], 2
	s_add_u32 s0, s4, s0
	s_addc_u32 s1, s5, s1
	v_add_co_u32 v0, vcc_lo, s0, v0
	v_add_co_ci_u32_e64 v1, null, s1, v1, vcc_lo
	flat_store_dword v[0:1], v4
	s_endpgm
	.section	.rodata,"a",@progbits
	.p2align	6, 0x0
	.amdhsa_kernel _ZN7rocprim17ROCPRIM_400000_NS6detail17trampoline_kernelINS0_14default_configENS1_29binary_search_config_selectorIfiEEZNS1_14transform_implILb0ES3_S5_N6thrust23THRUST_200600_302600_NS6detail15normal_iteratorINS8_7pointerIfNS8_11hip_rocprim16par_det_nosync_tENS8_11use_defaultESE_EEEENSA_INSB_IiSD_SE_SE_EEEEZNS1_13binary_searchIS3_S5_NSA_INS8_10device_ptrIfEEEESG_SI_NS1_16binary_search_opENS9_16wrapped_functionINS8_6system6detail7generic6detail18binary_search_lessEbEEEE10hipError_tPvRmT1_T2_T3_mmT4_T5_P12ihipStream_tbEUlRKfE_EESV_SZ_S10_mS11_S14_bEUlT_E_NS1_11comp_targetILNS1_3genE8ELNS1_11target_archE1030ELNS1_3gpuE2ELNS1_3repE0EEENS1_30default_config_static_selectorELNS0_4arch9wavefront6targetE0EEEvSY_
		.amdhsa_group_segment_fixed_size 0
		.amdhsa_private_segment_fixed_size 0
		.amdhsa_kernarg_size 312
		.amdhsa_user_sgpr_count 6
		.amdhsa_user_sgpr_private_segment_buffer 1
		.amdhsa_user_sgpr_dispatch_ptr 0
		.amdhsa_user_sgpr_queue_ptr 0
		.amdhsa_user_sgpr_kernarg_segment_ptr 1
		.amdhsa_user_sgpr_dispatch_id 0
		.amdhsa_user_sgpr_flat_scratch_init 0
		.amdhsa_user_sgpr_private_segment_size 0
		.amdhsa_wavefront_size32 1
		.amdhsa_uses_dynamic_stack 0
		.amdhsa_system_sgpr_private_segment_wavefront_offset 0
		.amdhsa_system_sgpr_workgroup_id_x 1
		.amdhsa_system_sgpr_workgroup_id_y 0
		.amdhsa_system_sgpr_workgroup_id_z 0
		.amdhsa_system_sgpr_workgroup_info 0
		.amdhsa_system_vgpr_workitem_id 0
		.amdhsa_next_free_vgpr 12
		.amdhsa_next_free_sgpr 20
		.amdhsa_reserve_vcc 1
		.amdhsa_reserve_flat_scratch 0
		.amdhsa_float_round_mode_32 0
		.amdhsa_float_round_mode_16_64 0
		.amdhsa_float_denorm_mode_32 3
		.amdhsa_float_denorm_mode_16_64 3
		.amdhsa_dx10_clamp 1
		.amdhsa_ieee_mode 1
		.amdhsa_fp16_overflow 0
		.amdhsa_workgroup_processor_mode 1
		.amdhsa_memory_ordered 1
		.amdhsa_forward_progress 1
		.amdhsa_shared_vgpr_count 0
		.amdhsa_exception_fp_ieee_invalid_op 0
		.amdhsa_exception_fp_denorm_src 0
		.amdhsa_exception_fp_ieee_div_zero 0
		.amdhsa_exception_fp_ieee_overflow 0
		.amdhsa_exception_fp_ieee_underflow 0
		.amdhsa_exception_fp_ieee_inexact 0
		.amdhsa_exception_int_div_zero 0
	.end_amdhsa_kernel
	.section	.text._ZN7rocprim17ROCPRIM_400000_NS6detail17trampoline_kernelINS0_14default_configENS1_29binary_search_config_selectorIfiEEZNS1_14transform_implILb0ES3_S5_N6thrust23THRUST_200600_302600_NS6detail15normal_iteratorINS8_7pointerIfNS8_11hip_rocprim16par_det_nosync_tENS8_11use_defaultESE_EEEENSA_INSB_IiSD_SE_SE_EEEEZNS1_13binary_searchIS3_S5_NSA_INS8_10device_ptrIfEEEESG_SI_NS1_16binary_search_opENS9_16wrapped_functionINS8_6system6detail7generic6detail18binary_search_lessEbEEEE10hipError_tPvRmT1_T2_T3_mmT4_T5_P12ihipStream_tbEUlRKfE_EESV_SZ_S10_mS11_S14_bEUlT_E_NS1_11comp_targetILNS1_3genE8ELNS1_11target_archE1030ELNS1_3gpuE2ELNS1_3repE0EEENS1_30default_config_static_selectorELNS0_4arch9wavefront6targetE0EEEvSY_,"axG",@progbits,_ZN7rocprim17ROCPRIM_400000_NS6detail17trampoline_kernelINS0_14default_configENS1_29binary_search_config_selectorIfiEEZNS1_14transform_implILb0ES3_S5_N6thrust23THRUST_200600_302600_NS6detail15normal_iteratorINS8_7pointerIfNS8_11hip_rocprim16par_det_nosync_tENS8_11use_defaultESE_EEEENSA_INSB_IiSD_SE_SE_EEEEZNS1_13binary_searchIS3_S5_NSA_INS8_10device_ptrIfEEEESG_SI_NS1_16binary_search_opENS9_16wrapped_functionINS8_6system6detail7generic6detail18binary_search_lessEbEEEE10hipError_tPvRmT1_T2_T3_mmT4_T5_P12ihipStream_tbEUlRKfE_EESV_SZ_S10_mS11_S14_bEUlT_E_NS1_11comp_targetILNS1_3genE8ELNS1_11target_archE1030ELNS1_3gpuE2ELNS1_3repE0EEENS1_30default_config_static_selectorELNS0_4arch9wavefront6targetE0EEEvSY_,comdat
.Lfunc_end643:
	.size	_ZN7rocprim17ROCPRIM_400000_NS6detail17trampoline_kernelINS0_14default_configENS1_29binary_search_config_selectorIfiEEZNS1_14transform_implILb0ES3_S5_N6thrust23THRUST_200600_302600_NS6detail15normal_iteratorINS8_7pointerIfNS8_11hip_rocprim16par_det_nosync_tENS8_11use_defaultESE_EEEENSA_INSB_IiSD_SE_SE_EEEEZNS1_13binary_searchIS3_S5_NSA_INS8_10device_ptrIfEEEESG_SI_NS1_16binary_search_opENS9_16wrapped_functionINS8_6system6detail7generic6detail18binary_search_lessEbEEEE10hipError_tPvRmT1_T2_T3_mmT4_T5_P12ihipStream_tbEUlRKfE_EESV_SZ_S10_mS11_S14_bEUlT_E_NS1_11comp_targetILNS1_3genE8ELNS1_11target_archE1030ELNS1_3gpuE2ELNS1_3repE0EEENS1_30default_config_static_selectorELNS0_4arch9wavefront6targetE0EEEvSY_, .Lfunc_end643-_ZN7rocprim17ROCPRIM_400000_NS6detail17trampoline_kernelINS0_14default_configENS1_29binary_search_config_selectorIfiEEZNS1_14transform_implILb0ES3_S5_N6thrust23THRUST_200600_302600_NS6detail15normal_iteratorINS8_7pointerIfNS8_11hip_rocprim16par_det_nosync_tENS8_11use_defaultESE_EEEENSA_INSB_IiSD_SE_SE_EEEEZNS1_13binary_searchIS3_S5_NSA_INS8_10device_ptrIfEEEESG_SI_NS1_16binary_search_opENS9_16wrapped_functionINS8_6system6detail7generic6detail18binary_search_lessEbEEEE10hipError_tPvRmT1_T2_T3_mmT4_T5_P12ihipStream_tbEUlRKfE_EESV_SZ_S10_mS11_S14_bEUlT_E_NS1_11comp_targetILNS1_3genE8ELNS1_11target_archE1030ELNS1_3gpuE2ELNS1_3repE0EEENS1_30default_config_static_selectorELNS0_4arch9wavefront6targetE0EEEvSY_
                                        ; -- End function
	.set _ZN7rocprim17ROCPRIM_400000_NS6detail17trampoline_kernelINS0_14default_configENS1_29binary_search_config_selectorIfiEEZNS1_14transform_implILb0ES3_S5_N6thrust23THRUST_200600_302600_NS6detail15normal_iteratorINS8_7pointerIfNS8_11hip_rocprim16par_det_nosync_tENS8_11use_defaultESE_EEEENSA_INSB_IiSD_SE_SE_EEEEZNS1_13binary_searchIS3_S5_NSA_INS8_10device_ptrIfEEEESG_SI_NS1_16binary_search_opENS9_16wrapped_functionINS8_6system6detail7generic6detail18binary_search_lessEbEEEE10hipError_tPvRmT1_T2_T3_mmT4_T5_P12ihipStream_tbEUlRKfE_EESV_SZ_S10_mS11_S14_bEUlT_E_NS1_11comp_targetILNS1_3genE8ELNS1_11target_archE1030ELNS1_3gpuE2ELNS1_3repE0EEENS1_30default_config_static_selectorELNS0_4arch9wavefront6targetE0EEEvSY_.num_vgpr, 12
	.set _ZN7rocprim17ROCPRIM_400000_NS6detail17trampoline_kernelINS0_14default_configENS1_29binary_search_config_selectorIfiEEZNS1_14transform_implILb0ES3_S5_N6thrust23THRUST_200600_302600_NS6detail15normal_iteratorINS8_7pointerIfNS8_11hip_rocprim16par_det_nosync_tENS8_11use_defaultESE_EEEENSA_INSB_IiSD_SE_SE_EEEEZNS1_13binary_searchIS3_S5_NSA_INS8_10device_ptrIfEEEESG_SI_NS1_16binary_search_opENS9_16wrapped_functionINS8_6system6detail7generic6detail18binary_search_lessEbEEEE10hipError_tPvRmT1_T2_T3_mmT4_T5_P12ihipStream_tbEUlRKfE_EESV_SZ_S10_mS11_S14_bEUlT_E_NS1_11comp_targetILNS1_3genE8ELNS1_11target_archE1030ELNS1_3gpuE2ELNS1_3repE0EEENS1_30default_config_static_selectorELNS0_4arch9wavefront6targetE0EEEvSY_.num_agpr, 0
	.set _ZN7rocprim17ROCPRIM_400000_NS6detail17trampoline_kernelINS0_14default_configENS1_29binary_search_config_selectorIfiEEZNS1_14transform_implILb0ES3_S5_N6thrust23THRUST_200600_302600_NS6detail15normal_iteratorINS8_7pointerIfNS8_11hip_rocprim16par_det_nosync_tENS8_11use_defaultESE_EEEENSA_INSB_IiSD_SE_SE_EEEEZNS1_13binary_searchIS3_S5_NSA_INS8_10device_ptrIfEEEESG_SI_NS1_16binary_search_opENS9_16wrapped_functionINS8_6system6detail7generic6detail18binary_search_lessEbEEEE10hipError_tPvRmT1_T2_T3_mmT4_T5_P12ihipStream_tbEUlRKfE_EESV_SZ_S10_mS11_S14_bEUlT_E_NS1_11comp_targetILNS1_3genE8ELNS1_11target_archE1030ELNS1_3gpuE2ELNS1_3repE0EEENS1_30default_config_static_selectorELNS0_4arch9wavefront6targetE0EEEvSY_.numbered_sgpr, 20
	.set _ZN7rocprim17ROCPRIM_400000_NS6detail17trampoline_kernelINS0_14default_configENS1_29binary_search_config_selectorIfiEEZNS1_14transform_implILb0ES3_S5_N6thrust23THRUST_200600_302600_NS6detail15normal_iteratorINS8_7pointerIfNS8_11hip_rocprim16par_det_nosync_tENS8_11use_defaultESE_EEEENSA_INSB_IiSD_SE_SE_EEEEZNS1_13binary_searchIS3_S5_NSA_INS8_10device_ptrIfEEEESG_SI_NS1_16binary_search_opENS9_16wrapped_functionINS8_6system6detail7generic6detail18binary_search_lessEbEEEE10hipError_tPvRmT1_T2_T3_mmT4_T5_P12ihipStream_tbEUlRKfE_EESV_SZ_S10_mS11_S14_bEUlT_E_NS1_11comp_targetILNS1_3genE8ELNS1_11target_archE1030ELNS1_3gpuE2ELNS1_3repE0EEENS1_30default_config_static_selectorELNS0_4arch9wavefront6targetE0EEEvSY_.num_named_barrier, 0
	.set _ZN7rocprim17ROCPRIM_400000_NS6detail17trampoline_kernelINS0_14default_configENS1_29binary_search_config_selectorIfiEEZNS1_14transform_implILb0ES3_S5_N6thrust23THRUST_200600_302600_NS6detail15normal_iteratorINS8_7pointerIfNS8_11hip_rocprim16par_det_nosync_tENS8_11use_defaultESE_EEEENSA_INSB_IiSD_SE_SE_EEEEZNS1_13binary_searchIS3_S5_NSA_INS8_10device_ptrIfEEEESG_SI_NS1_16binary_search_opENS9_16wrapped_functionINS8_6system6detail7generic6detail18binary_search_lessEbEEEE10hipError_tPvRmT1_T2_T3_mmT4_T5_P12ihipStream_tbEUlRKfE_EESV_SZ_S10_mS11_S14_bEUlT_E_NS1_11comp_targetILNS1_3genE8ELNS1_11target_archE1030ELNS1_3gpuE2ELNS1_3repE0EEENS1_30default_config_static_selectorELNS0_4arch9wavefront6targetE0EEEvSY_.private_seg_size, 0
	.set _ZN7rocprim17ROCPRIM_400000_NS6detail17trampoline_kernelINS0_14default_configENS1_29binary_search_config_selectorIfiEEZNS1_14transform_implILb0ES3_S5_N6thrust23THRUST_200600_302600_NS6detail15normal_iteratorINS8_7pointerIfNS8_11hip_rocprim16par_det_nosync_tENS8_11use_defaultESE_EEEENSA_INSB_IiSD_SE_SE_EEEEZNS1_13binary_searchIS3_S5_NSA_INS8_10device_ptrIfEEEESG_SI_NS1_16binary_search_opENS9_16wrapped_functionINS8_6system6detail7generic6detail18binary_search_lessEbEEEE10hipError_tPvRmT1_T2_T3_mmT4_T5_P12ihipStream_tbEUlRKfE_EESV_SZ_S10_mS11_S14_bEUlT_E_NS1_11comp_targetILNS1_3genE8ELNS1_11target_archE1030ELNS1_3gpuE2ELNS1_3repE0EEENS1_30default_config_static_selectorELNS0_4arch9wavefront6targetE0EEEvSY_.uses_vcc, 1
	.set _ZN7rocprim17ROCPRIM_400000_NS6detail17trampoline_kernelINS0_14default_configENS1_29binary_search_config_selectorIfiEEZNS1_14transform_implILb0ES3_S5_N6thrust23THRUST_200600_302600_NS6detail15normal_iteratorINS8_7pointerIfNS8_11hip_rocprim16par_det_nosync_tENS8_11use_defaultESE_EEEENSA_INSB_IiSD_SE_SE_EEEEZNS1_13binary_searchIS3_S5_NSA_INS8_10device_ptrIfEEEESG_SI_NS1_16binary_search_opENS9_16wrapped_functionINS8_6system6detail7generic6detail18binary_search_lessEbEEEE10hipError_tPvRmT1_T2_T3_mmT4_T5_P12ihipStream_tbEUlRKfE_EESV_SZ_S10_mS11_S14_bEUlT_E_NS1_11comp_targetILNS1_3genE8ELNS1_11target_archE1030ELNS1_3gpuE2ELNS1_3repE0EEENS1_30default_config_static_selectorELNS0_4arch9wavefront6targetE0EEEvSY_.uses_flat_scratch, 0
	.set _ZN7rocprim17ROCPRIM_400000_NS6detail17trampoline_kernelINS0_14default_configENS1_29binary_search_config_selectorIfiEEZNS1_14transform_implILb0ES3_S5_N6thrust23THRUST_200600_302600_NS6detail15normal_iteratorINS8_7pointerIfNS8_11hip_rocprim16par_det_nosync_tENS8_11use_defaultESE_EEEENSA_INSB_IiSD_SE_SE_EEEEZNS1_13binary_searchIS3_S5_NSA_INS8_10device_ptrIfEEEESG_SI_NS1_16binary_search_opENS9_16wrapped_functionINS8_6system6detail7generic6detail18binary_search_lessEbEEEE10hipError_tPvRmT1_T2_T3_mmT4_T5_P12ihipStream_tbEUlRKfE_EESV_SZ_S10_mS11_S14_bEUlT_E_NS1_11comp_targetILNS1_3genE8ELNS1_11target_archE1030ELNS1_3gpuE2ELNS1_3repE0EEENS1_30default_config_static_selectorELNS0_4arch9wavefront6targetE0EEEvSY_.has_dyn_sized_stack, 0
	.set _ZN7rocprim17ROCPRIM_400000_NS6detail17trampoline_kernelINS0_14default_configENS1_29binary_search_config_selectorIfiEEZNS1_14transform_implILb0ES3_S5_N6thrust23THRUST_200600_302600_NS6detail15normal_iteratorINS8_7pointerIfNS8_11hip_rocprim16par_det_nosync_tENS8_11use_defaultESE_EEEENSA_INSB_IiSD_SE_SE_EEEEZNS1_13binary_searchIS3_S5_NSA_INS8_10device_ptrIfEEEESG_SI_NS1_16binary_search_opENS9_16wrapped_functionINS8_6system6detail7generic6detail18binary_search_lessEbEEEE10hipError_tPvRmT1_T2_T3_mmT4_T5_P12ihipStream_tbEUlRKfE_EESV_SZ_S10_mS11_S14_bEUlT_E_NS1_11comp_targetILNS1_3genE8ELNS1_11target_archE1030ELNS1_3gpuE2ELNS1_3repE0EEENS1_30default_config_static_selectorELNS0_4arch9wavefront6targetE0EEEvSY_.has_recursion, 0
	.set _ZN7rocprim17ROCPRIM_400000_NS6detail17trampoline_kernelINS0_14default_configENS1_29binary_search_config_selectorIfiEEZNS1_14transform_implILb0ES3_S5_N6thrust23THRUST_200600_302600_NS6detail15normal_iteratorINS8_7pointerIfNS8_11hip_rocprim16par_det_nosync_tENS8_11use_defaultESE_EEEENSA_INSB_IiSD_SE_SE_EEEEZNS1_13binary_searchIS3_S5_NSA_INS8_10device_ptrIfEEEESG_SI_NS1_16binary_search_opENS9_16wrapped_functionINS8_6system6detail7generic6detail18binary_search_lessEbEEEE10hipError_tPvRmT1_T2_T3_mmT4_T5_P12ihipStream_tbEUlRKfE_EESV_SZ_S10_mS11_S14_bEUlT_E_NS1_11comp_targetILNS1_3genE8ELNS1_11target_archE1030ELNS1_3gpuE2ELNS1_3repE0EEENS1_30default_config_static_selectorELNS0_4arch9wavefront6targetE0EEEvSY_.has_indirect_call, 0
	.section	.AMDGPU.csdata,"",@progbits
; Kernel info:
; codeLenInByte = 860
; TotalNumSgprs: 22
; NumVgprs: 12
; ScratchSize: 0
; MemoryBound: 0
; FloatMode: 240
; IeeeMode: 1
; LDSByteSize: 0 bytes/workgroup (compile time only)
; SGPRBlocks: 0
; VGPRBlocks: 1
; NumSGPRsForWavesPerEU: 22
; NumVGPRsForWavesPerEU: 12
; Occupancy: 16
; WaveLimiterHint : 0
; COMPUTE_PGM_RSRC2:SCRATCH_EN: 0
; COMPUTE_PGM_RSRC2:USER_SGPR: 6
; COMPUTE_PGM_RSRC2:TRAP_HANDLER: 0
; COMPUTE_PGM_RSRC2:TGID_X_EN: 1
; COMPUTE_PGM_RSRC2:TGID_Y_EN: 0
; COMPUTE_PGM_RSRC2:TGID_Z_EN: 0
; COMPUTE_PGM_RSRC2:TIDIG_COMP_CNT: 0
	.section	.text._ZN7rocprim17ROCPRIM_400000_NS6detail17trampoline_kernelINS0_14default_configENS1_29binary_search_config_selectorIfiEEZNS1_14transform_implILb0ES3_S5_N6thrust23THRUST_200600_302600_NS6detail15normal_iteratorINS8_7pointerIfNS8_11hip_rocprim9par_det_tENS8_11use_defaultESE_EEEENSA_INSB_IiSD_SE_SE_EEEEZNS1_13binary_searchIS3_S5_NSA_INS8_10device_ptrIfEEEESG_SI_NS1_16binary_search_opENS9_16wrapped_functionINS8_6system6detail7generic6detail18binary_search_lessEbEEEE10hipError_tPvRmT1_T2_T3_mmT4_T5_P12ihipStream_tbEUlRKfE_EESV_SZ_S10_mS11_S14_bEUlT_E_NS1_11comp_targetILNS1_3genE0ELNS1_11target_archE4294967295ELNS1_3gpuE0ELNS1_3repE0EEENS1_30default_config_static_selectorELNS0_4arch9wavefront6targetE0EEEvSY_,"axG",@progbits,_ZN7rocprim17ROCPRIM_400000_NS6detail17trampoline_kernelINS0_14default_configENS1_29binary_search_config_selectorIfiEEZNS1_14transform_implILb0ES3_S5_N6thrust23THRUST_200600_302600_NS6detail15normal_iteratorINS8_7pointerIfNS8_11hip_rocprim9par_det_tENS8_11use_defaultESE_EEEENSA_INSB_IiSD_SE_SE_EEEEZNS1_13binary_searchIS3_S5_NSA_INS8_10device_ptrIfEEEESG_SI_NS1_16binary_search_opENS9_16wrapped_functionINS8_6system6detail7generic6detail18binary_search_lessEbEEEE10hipError_tPvRmT1_T2_T3_mmT4_T5_P12ihipStream_tbEUlRKfE_EESV_SZ_S10_mS11_S14_bEUlT_E_NS1_11comp_targetILNS1_3genE0ELNS1_11target_archE4294967295ELNS1_3gpuE0ELNS1_3repE0EEENS1_30default_config_static_selectorELNS0_4arch9wavefront6targetE0EEEvSY_,comdat
	.protected	_ZN7rocprim17ROCPRIM_400000_NS6detail17trampoline_kernelINS0_14default_configENS1_29binary_search_config_selectorIfiEEZNS1_14transform_implILb0ES3_S5_N6thrust23THRUST_200600_302600_NS6detail15normal_iteratorINS8_7pointerIfNS8_11hip_rocprim9par_det_tENS8_11use_defaultESE_EEEENSA_INSB_IiSD_SE_SE_EEEEZNS1_13binary_searchIS3_S5_NSA_INS8_10device_ptrIfEEEESG_SI_NS1_16binary_search_opENS9_16wrapped_functionINS8_6system6detail7generic6detail18binary_search_lessEbEEEE10hipError_tPvRmT1_T2_T3_mmT4_T5_P12ihipStream_tbEUlRKfE_EESV_SZ_S10_mS11_S14_bEUlT_E_NS1_11comp_targetILNS1_3genE0ELNS1_11target_archE4294967295ELNS1_3gpuE0ELNS1_3repE0EEENS1_30default_config_static_selectorELNS0_4arch9wavefront6targetE0EEEvSY_ ; -- Begin function _ZN7rocprim17ROCPRIM_400000_NS6detail17trampoline_kernelINS0_14default_configENS1_29binary_search_config_selectorIfiEEZNS1_14transform_implILb0ES3_S5_N6thrust23THRUST_200600_302600_NS6detail15normal_iteratorINS8_7pointerIfNS8_11hip_rocprim9par_det_tENS8_11use_defaultESE_EEEENSA_INSB_IiSD_SE_SE_EEEEZNS1_13binary_searchIS3_S5_NSA_INS8_10device_ptrIfEEEESG_SI_NS1_16binary_search_opENS9_16wrapped_functionINS8_6system6detail7generic6detail18binary_search_lessEbEEEE10hipError_tPvRmT1_T2_T3_mmT4_T5_P12ihipStream_tbEUlRKfE_EESV_SZ_S10_mS11_S14_bEUlT_E_NS1_11comp_targetILNS1_3genE0ELNS1_11target_archE4294967295ELNS1_3gpuE0ELNS1_3repE0EEENS1_30default_config_static_selectorELNS0_4arch9wavefront6targetE0EEEvSY_
	.globl	_ZN7rocprim17ROCPRIM_400000_NS6detail17trampoline_kernelINS0_14default_configENS1_29binary_search_config_selectorIfiEEZNS1_14transform_implILb0ES3_S5_N6thrust23THRUST_200600_302600_NS6detail15normal_iteratorINS8_7pointerIfNS8_11hip_rocprim9par_det_tENS8_11use_defaultESE_EEEENSA_INSB_IiSD_SE_SE_EEEEZNS1_13binary_searchIS3_S5_NSA_INS8_10device_ptrIfEEEESG_SI_NS1_16binary_search_opENS9_16wrapped_functionINS8_6system6detail7generic6detail18binary_search_lessEbEEEE10hipError_tPvRmT1_T2_T3_mmT4_T5_P12ihipStream_tbEUlRKfE_EESV_SZ_S10_mS11_S14_bEUlT_E_NS1_11comp_targetILNS1_3genE0ELNS1_11target_archE4294967295ELNS1_3gpuE0ELNS1_3repE0EEENS1_30default_config_static_selectorELNS0_4arch9wavefront6targetE0EEEvSY_
	.p2align	8
	.type	_ZN7rocprim17ROCPRIM_400000_NS6detail17trampoline_kernelINS0_14default_configENS1_29binary_search_config_selectorIfiEEZNS1_14transform_implILb0ES3_S5_N6thrust23THRUST_200600_302600_NS6detail15normal_iteratorINS8_7pointerIfNS8_11hip_rocprim9par_det_tENS8_11use_defaultESE_EEEENSA_INSB_IiSD_SE_SE_EEEEZNS1_13binary_searchIS3_S5_NSA_INS8_10device_ptrIfEEEESG_SI_NS1_16binary_search_opENS9_16wrapped_functionINS8_6system6detail7generic6detail18binary_search_lessEbEEEE10hipError_tPvRmT1_T2_T3_mmT4_T5_P12ihipStream_tbEUlRKfE_EESV_SZ_S10_mS11_S14_bEUlT_E_NS1_11comp_targetILNS1_3genE0ELNS1_11target_archE4294967295ELNS1_3gpuE0ELNS1_3repE0EEENS1_30default_config_static_selectorELNS0_4arch9wavefront6targetE0EEEvSY_,@function
_ZN7rocprim17ROCPRIM_400000_NS6detail17trampoline_kernelINS0_14default_configENS1_29binary_search_config_selectorIfiEEZNS1_14transform_implILb0ES3_S5_N6thrust23THRUST_200600_302600_NS6detail15normal_iteratorINS8_7pointerIfNS8_11hip_rocprim9par_det_tENS8_11use_defaultESE_EEEENSA_INSB_IiSD_SE_SE_EEEEZNS1_13binary_searchIS3_S5_NSA_INS8_10device_ptrIfEEEESG_SI_NS1_16binary_search_opENS9_16wrapped_functionINS8_6system6detail7generic6detail18binary_search_lessEbEEEE10hipError_tPvRmT1_T2_T3_mmT4_T5_P12ihipStream_tbEUlRKfE_EESV_SZ_S10_mS11_S14_bEUlT_E_NS1_11comp_targetILNS1_3genE0ELNS1_11target_archE4294967295ELNS1_3gpuE0ELNS1_3repE0EEENS1_30default_config_static_selectorELNS0_4arch9wavefront6targetE0EEEvSY_: ; @_ZN7rocprim17ROCPRIM_400000_NS6detail17trampoline_kernelINS0_14default_configENS1_29binary_search_config_selectorIfiEEZNS1_14transform_implILb0ES3_S5_N6thrust23THRUST_200600_302600_NS6detail15normal_iteratorINS8_7pointerIfNS8_11hip_rocprim9par_det_tENS8_11use_defaultESE_EEEENSA_INSB_IiSD_SE_SE_EEEEZNS1_13binary_searchIS3_S5_NSA_INS8_10device_ptrIfEEEESG_SI_NS1_16binary_search_opENS9_16wrapped_functionINS8_6system6detail7generic6detail18binary_search_lessEbEEEE10hipError_tPvRmT1_T2_T3_mmT4_T5_P12ihipStream_tbEUlRKfE_EESV_SZ_S10_mS11_S14_bEUlT_E_NS1_11comp_targetILNS1_3genE0ELNS1_11target_archE4294967295ELNS1_3gpuE0ELNS1_3repE0EEENS1_30default_config_static_selectorELNS0_4arch9wavefront6targetE0EEEvSY_
; %bb.0:
	.section	.rodata,"a",@progbits
	.p2align	6, 0x0
	.amdhsa_kernel _ZN7rocprim17ROCPRIM_400000_NS6detail17trampoline_kernelINS0_14default_configENS1_29binary_search_config_selectorIfiEEZNS1_14transform_implILb0ES3_S5_N6thrust23THRUST_200600_302600_NS6detail15normal_iteratorINS8_7pointerIfNS8_11hip_rocprim9par_det_tENS8_11use_defaultESE_EEEENSA_INSB_IiSD_SE_SE_EEEEZNS1_13binary_searchIS3_S5_NSA_INS8_10device_ptrIfEEEESG_SI_NS1_16binary_search_opENS9_16wrapped_functionINS8_6system6detail7generic6detail18binary_search_lessEbEEEE10hipError_tPvRmT1_T2_T3_mmT4_T5_P12ihipStream_tbEUlRKfE_EESV_SZ_S10_mS11_S14_bEUlT_E_NS1_11comp_targetILNS1_3genE0ELNS1_11target_archE4294967295ELNS1_3gpuE0ELNS1_3repE0EEENS1_30default_config_static_selectorELNS0_4arch9wavefront6targetE0EEEvSY_
		.amdhsa_group_segment_fixed_size 0
		.amdhsa_private_segment_fixed_size 0
		.amdhsa_kernarg_size 56
		.amdhsa_user_sgpr_count 6
		.amdhsa_user_sgpr_private_segment_buffer 1
		.amdhsa_user_sgpr_dispatch_ptr 0
		.amdhsa_user_sgpr_queue_ptr 0
		.amdhsa_user_sgpr_kernarg_segment_ptr 1
		.amdhsa_user_sgpr_dispatch_id 0
		.amdhsa_user_sgpr_flat_scratch_init 0
		.amdhsa_user_sgpr_private_segment_size 0
		.amdhsa_wavefront_size32 1
		.amdhsa_uses_dynamic_stack 0
		.amdhsa_system_sgpr_private_segment_wavefront_offset 0
		.amdhsa_system_sgpr_workgroup_id_x 1
		.amdhsa_system_sgpr_workgroup_id_y 0
		.amdhsa_system_sgpr_workgroup_id_z 0
		.amdhsa_system_sgpr_workgroup_info 0
		.amdhsa_system_vgpr_workitem_id 0
		.amdhsa_next_free_vgpr 1
		.amdhsa_next_free_sgpr 1
		.amdhsa_reserve_vcc 0
		.amdhsa_reserve_flat_scratch 0
		.amdhsa_float_round_mode_32 0
		.amdhsa_float_round_mode_16_64 0
		.amdhsa_float_denorm_mode_32 3
		.amdhsa_float_denorm_mode_16_64 3
		.amdhsa_dx10_clamp 1
		.amdhsa_ieee_mode 1
		.amdhsa_fp16_overflow 0
		.amdhsa_workgroup_processor_mode 1
		.amdhsa_memory_ordered 1
		.amdhsa_forward_progress 1
		.amdhsa_shared_vgpr_count 0
		.amdhsa_exception_fp_ieee_invalid_op 0
		.amdhsa_exception_fp_denorm_src 0
		.amdhsa_exception_fp_ieee_div_zero 0
		.amdhsa_exception_fp_ieee_overflow 0
		.amdhsa_exception_fp_ieee_underflow 0
		.amdhsa_exception_fp_ieee_inexact 0
		.amdhsa_exception_int_div_zero 0
	.end_amdhsa_kernel
	.section	.text._ZN7rocprim17ROCPRIM_400000_NS6detail17trampoline_kernelINS0_14default_configENS1_29binary_search_config_selectorIfiEEZNS1_14transform_implILb0ES3_S5_N6thrust23THRUST_200600_302600_NS6detail15normal_iteratorINS8_7pointerIfNS8_11hip_rocprim9par_det_tENS8_11use_defaultESE_EEEENSA_INSB_IiSD_SE_SE_EEEEZNS1_13binary_searchIS3_S5_NSA_INS8_10device_ptrIfEEEESG_SI_NS1_16binary_search_opENS9_16wrapped_functionINS8_6system6detail7generic6detail18binary_search_lessEbEEEE10hipError_tPvRmT1_T2_T3_mmT4_T5_P12ihipStream_tbEUlRKfE_EESV_SZ_S10_mS11_S14_bEUlT_E_NS1_11comp_targetILNS1_3genE0ELNS1_11target_archE4294967295ELNS1_3gpuE0ELNS1_3repE0EEENS1_30default_config_static_selectorELNS0_4arch9wavefront6targetE0EEEvSY_,"axG",@progbits,_ZN7rocprim17ROCPRIM_400000_NS6detail17trampoline_kernelINS0_14default_configENS1_29binary_search_config_selectorIfiEEZNS1_14transform_implILb0ES3_S5_N6thrust23THRUST_200600_302600_NS6detail15normal_iteratorINS8_7pointerIfNS8_11hip_rocprim9par_det_tENS8_11use_defaultESE_EEEENSA_INSB_IiSD_SE_SE_EEEEZNS1_13binary_searchIS3_S5_NSA_INS8_10device_ptrIfEEEESG_SI_NS1_16binary_search_opENS9_16wrapped_functionINS8_6system6detail7generic6detail18binary_search_lessEbEEEE10hipError_tPvRmT1_T2_T3_mmT4_T5_P12ihipStream_tbEUlRKfE_EESV_SZ_S10_mS11_S14_bEUlT_E_NS1_11comp_targetILNS1_3genE0ELNS1_11target_archE4294967295ELNS1_3gpuE0ELNS1_3repE0EEENS1_30default_config_static_selectorELNS0_4arch9wavefront6targetE0EEEvSY_,comdat
.Lfunc_end644:
	.size	_ZN7rocprim17ROCPRIM_400000_NS6detail17trampoline_kernelINS0_14default_configENS1_29binary_search_config_selectorIfiEEZNS1_14transform_implILb0ES3_S5_N6thrust23THRUST_200600_302600_NS6detail15normal_iteratorINS8_7pointerIfNS8_11hip_rocprim9par_det_tENS8_11use_defaultESE_EEEENSA_INSB_IiSD_SE_SE_EEEEZNS1_13binary_searchIS3_S5_NSA_INS8_10device_ptrIfEEEESG_SI_NS1_16binary_search_opENS9_16wrapped_functionINS8_6system6detail7generic6detail18binary_search_lessEbEEEE10hipError_tPvRmT1_T2_T3_mmT4_T5_P12ihipStream_tbEUlRKfE_EESV_SZ_S10_mS11_S14_bEUlT_E_NS1_11comp_targetILNS1_3genE0ELNS1_11target_archE4294967295ELNS1_3gpuE0ELNS1_3repE0EEENS1_30default_config_static_selectorELNS0_4arch9wavefront6targetE0EEEvSY_, .Lfunc_end644-_ZN7rocprim17ROCPRIM_400000_NS6detail17trampoline_kernelINS0_14default_configENS1_29binary_search_config_selectorIfiEEZNS1_14transform_implILb0ES3_S5_N6thrust23THRUST_200600_302600_NS6detail15normal_iteratorINS8_7pointerIfNS8_11hip_rocprim9par_det_tENS8_11use_defaultESE_EEEENSA_INSB_IiSD_SE_SE_EEEEZNS1_13binary_searchIS3_S5_NSA_INS8_10device_ptrIfEEEESG_SI_NS1_16binary_search_opENS9_16wrapped_functionINS8_6system6detail7generic6detail18binary_search_lessEbEEEE10hipError_tPvRmT1_T2_T3_mmT4_T5_P12ihipStream_tbEUlRKfE_EESV_SZ_S10_mS11_S14_bEUlT_E_NS1_11comp_targetILNS1_3genE0ELNS1_11target_archE4294967295ELNS1_3gpuE0ELNS1_3repE0EEENS1_30default_config_static_selectorELNS0_4arch9wavefront6targetE0EEEvSY_
                                        ; -- End function
	.set _ZN7rocprim17ROCPRIM_400000_NS6detail17trampoline_kernelINS0_14default_configENS1_29binary_search_config_selectorIfiEEZNS1_14transform_implILb0ES3_S5_N6thrust23THRUST_200600_302600_NS6detail15normal_iteratorINS8_7pointerIfNS8_11hip_rocprim9par_det_tENS8_11use_defaultESE_EEEENSA_INSB_IiSD_SE_SE_EEEEZNS1_13binary_searchIS3_S5_NSA_INS8_10device_ptrIfEEEESG_SI_NS1_16binary_search_opENS9_16wrapped_functionINS8_6system6detail7generic6detail18binary_search_lessEbEEEE10hipError_tPvRmT1_T2_T3_mmT4_T5_P12ihipStream_tbEUlRKfE_EESV_SZ_S10_mS11_S14_bEUlT_E_NS1_11comp_targetILNS1_3genE0ELNS1_11target_archE4294967295ELNS1_3gpuE0ELNS1_3repE0EEENS1_30default_config_static_selectorELNS0_4arch9wavefront6targetE0EEEvSY_.num_vgpr, 0
	.set _ZN7rocprim17ROCPRIM_400000_NS6detail17trampoline_kernelINS0_14default_configENS1_29binary_search_config_selectorIfiEEZNS1_14transform_implILb0ES3_S5_N6thrust23THRUST_200600_302600_NS6detail15normal_iteratorINS8_7pointerIfNS8_11hip_rocprim9par_det_tENS8_11use_defaultESE_EEEENSA_INSB_IiSD_SE_SE_EEEEZNS1_13binary_searchIS3_S5_NSA_INS8_10device_ptrIfEEEESG_SI_NS1_16binary_search_opENS9_16wrapped_functionINS8_6system6detail7generic6detail18binary_search_lessEbEEEE10hipError_tPvRmT1_T2_T3_mmT4_T5_P12ihipStream_tbEUlRKfE_EESV_SZ_S10_mS11_S14_bEUlT_E_NS1_11comp_targetILNS1_3genE0ELNS1_11target_archE4294967295ELNS1_3gpuE0ELNS1_3repE0EEENS1_30default_config_static_selectorELNS0_4arch9wavefront6targetE0EEEvSY_.num_agpr, 0
	.set _ZN7rocprim17ROCPRIM_400000_NS6detail17trampoline_kernelINS0_14default_configENS1_29binary_search_config_selectorIfiEEZNS1_14transform_implILb0ES3_S5_N6thrust23THRUST_200600_302600_NS6detail15normal_iteratorINS8_7pointerIfNS8_11hip_rocprim9par_det_tENS8_11use_defaultESE_EEEENSA_INSB_IiSD_SE_SE_EEEEZNS1_13binary_searchIS3_S5_NSA_INS8_10device_ptrIfEEEESG_SI_NS1_16binary_search_opENS9_16wrapped_functionINS8_6system6detail7generic6detail18binary_search_lessEbEEEE10hipError_tPvRmT1_T2_T3_mmT4_T5_P12ihipStream_tbEUlRKfE_EESV_SZ_S10_mS11_S14_bEUlT_E_NS1_11comp_targetILNS1_3genE0ELNS1_11target_archE4294967295ELNS1_3gpuE0ELNS1_3repE0EEENS1_30default_config_static_selectorELNS0_4arch9wavefront6targetE0EEEvSY_.numbered_sgpr, 0
	.set _ZN7rocprim17ROCPRIM_400000_NS6detail17trampoline_kernelINS0_14default_configENS1_29binary_search_config_selectorIfiEEZNS1_14transform_implILb0ES3_S5_N6thrust23THRUST_200600_302600_NS6detail15normal_iteratorINS8_7pointerIfNS8_11hip_rocprim9par_det_tENS8_11use_defaultESE_EEEENSA_INSB_IiSD_SE_SE_EEEEZNS1_13binary_searchIS3_S5_NSA_INS8_10device_ptrIfEEEESG_SI_NS1_16binary_search_opENS9_16wrapped_functionINS8_6system6detail7generic6detail18binary_search_lessEbEEEE10hipError_tPvRmT1_T2_T3_mmT4_T5_P12ihipStream_tbEUlRKfE_EESV_SZ_S10_mS11_S14_bEUlT_E_NS1_11comp_targetILNS1_3genE0ELNS1_11target_archE4294967295ELNS1_3gpuE0ELNS1_3repE0EEENS1_30default_config_static_selectorELNS0_4arch9wavefront6targetE0EEEvSY_.num_named_barrier, 0
	.set _ZN7rocprim17ROCPRIM_400000_NS6detail17trampoline_kernelINS0_14default_configENS1_29binary_search_config_selectorIfiEEZNS1_14transform_implILb0ES3_S5_N6thrust23THRUST_200600_302600_NS6detail15normal_iteratorINS8_7pointerIfNS8_11hip_rocprim9par_det_tENS8_11use_defaultESE_EEEENSA_INSB_IiSD_SE_SE_EEEEZNS1_13binary_searchIS3_S5_NSA_INS8_10device_ptrIfEEEESG_SI_NS1_16binary_search_opENS9_16wrapped_functionINS8_6system6detail7generic6detail18binary_search_lessEbEEEE10hipError_tPvRmT1_T2_T3_mmT4_T5_P12ihipStream_tbEUlRKfE_EESV_SZ_S10_mS11_S14_bEUlT_E_NS1_11comp_targetILNS1_3genE0ELNS1_11target_archE4294967295ELNS1_3gpuE0ELNS1_3repE0EEENS1_30default_config_static_selectorELNS0_4arch9wavefront6targetE0EEEvSY_.private_seg_size, 0
	.set _ZN7rocprim17ROCPRIM_400000_NS6detail17trampoline_kernelINS0_14default_configENS1_29binary_search_config_selectorIfiEEZNS1_14transform_implILb0ES3_S5_N6thrust23THRUST_200600_302600_NS6detail15normal_iteratorINS8_7pointerIfNS8_11hip_rocprim9par_det_tENS8_11use_defaultESE_EEEENSA_INSB_IiSD_SE_SE_EEEEZNS1_13binary_searchIS3_S5_NSA_INS8_10device_ptrIfEEEESG_SI_NS1_16binary_search_opENS9_16wrapped_functionINS8_6system6detail7generic6detail18binary_search_lessEbEEEE10hipError_tPvRmT1_T2_T3_mmT4_T5_P12ihipStream_tbEUlRKfE_EESV_SZ_S10_mS11_S14_bEUlT_E_NS1_11comp_targetILNS1_3genE0ELNS1_11target_archE4294967295ELNS1_3gpuE0ELNS1_3repE0EEENS1_30default_config_static_selectorELNS0_4arch9wavefront6targetE0EEEvSY_.uses_vcc, 0
	.set _ZN7rocprim17ROCPRIM_400000_NS6detail17trampoline_kernelINS0_14default_configENS1_29binary_search_config_selectorIfiEEZNS1_14transform_implILb0ES3_S5_N6thrust23THRUST_200600_302600_NS6detail15normal_iteratorINS8_7pointerIfNS8_11hip_rocprim9par_det_tENS8_11use_defaultESE_EEEENSA_INSB_IiSD_SE_SE_EEEEZNS1_13binary_searchIS3_S5_NSA_INS8_10device_ptrIfEEEESG_SI_NS1_16binary_search_opENS9_16wrapped_functionINS8_6system6detail7generic6detail18binary_search_lessEbEEEE10hipError_tPvRmT1_T2_T3_mmT4_T5_P12ihipStream_tbEUlRKfE_EESV_SZ_S10_mS11_S14_bEUlT_E_NS1_11comp_targetILNS1_3genE0ELNS1_11target_archE4294967295ELNS1_3gpuE0ELNS1_3repE0EEENS1_30default_config_static_selectorELNS0_4arch9wavefront6targetE0EEEvSY_.uses_flat_scratch, 0
	.set _ZN7rocprim17ROCPRIM_400000_NS6detail17trampoline_kernelINS0_14default_configENS1_29binary_search_config_selectorIfiEEZNS1_14transform_implILb0ES3_S5_N6thrust23THRUST_200600_302600_NS6detail15normal_iteratorINS8_7pointerIfNS8_11hip_rocprim9par_det_tENS8_11use_defaultESE_EEEENSA_INSB_IiSD_SE_SE_EEEEZNS1_13binary_searchIS3_S5_NSA_INS8_10device_ptrIfEEEESG_SI_NS1_16binary_search_opENS9_16wrapped_functionINS8_6system6detail7generic6detail18binary_search_lessEbEEEE10hipError_tPvRmT1_T2_T3_mmT4_T5_P12ihipStream_tbEUlRKfE_EESV_SZ_S10_mS11_S14_bEUlT_E_NS1_11comp_targetILNS1_3genE0ELNS1_11target_archE4294967295ELNS1_3gpuE0ELNS1_3repE0EEENS1_30default_config_static_selectorELNS0_4arch9wavefront6targetE0EEEvSY_.has_dyn_sized_stack, 0
	.set _ZN7rocprim17ROCPRIM_400000_NS6detail17trampoline_kernelINS0_14default_configENS1_29binary_search_config_selectorIfiEEZNS1_14transform_implILb0ES3_S5_N6thrust23THRUST_200600_302600_NS6detail15normal_iteratorINS8_7pointerIfNS8_11hip_rocprim9par_det_tENS8_11use_defaultESE_EEEENSA_INSB_IiSD_SE_SE_EEEEZNS1_13binary_searchIS3_S5_NSA_INS8_10device_ptrIfEEEESG_SI_NS1_16binary_search_opENS9_16wrapped_functionINS8_6system6detail7generic6detail18binary_search_lessEbEEEE10hipError_tPvRmT1_T2_T3_mmT4_T5_P12ihipStream_tbEUlRKfE_EESV_SZ_S10_mS11_S14_bEUlT_E_NS1_11comp_targetILNS1_3genE0ELNS1_11target_archE4294967295ELNS1_3gpuE0ELNS1_3repE0EEENS1_30default_config_static_selectorELNS0_4arch9wavefront6targetE0EEEvSY_.has_recursion, 0
	.set _ZN7rocprim17ROCPRIM_400000_NS6detail17trampoline_kernelINS0_14default_configENS1_29binary_search_config_selectorIfiEEZNS1_14transform_implILb0ES3_S5_N6thrust23THRUST_200600_302600_NS6detail15normal_iteratorINS8_7pointerIfNS8_11hip_rocprim9par_det_tENS8_11use_defaultESE_EEEENSA_INSB_IiSD_SE_SE_EEEEZNS1_13binary_searchIS3_S5_NSA_INS8_10device_ptrIfEEEESG_SI_NS1_16binary_search_opENS9_16wrapped_functionINS8_6system6detail7generic6detail18binary_search_lessEbEEEE10hipError_tPvRmT1_T2_T3_mmT4_T5_P12ihipStream_tbEUlRKfE_EESV_SZ_S10_mS11_S14_bEUlT_E_NS1_11comp_targetILNS1_3genE0ELNS1_11target_archE4294967295ELNS1_3gpuE0ELNS1_3repE0EEENS1_30default_config_static_selectorELNS0_4arch9wavefront6targetE0EEEvSY_.has_indirect_call, 0
	.section	.AMDGPU.csdata,"",@progbits
; Kernel info:
; codeLenInByte = 0
; TotalNumSgprs: 0
; NumVgprs: 0
; ScratchSize: 0
; MemoryBound: 0
; FloatMode: 240
; IeeeMode: 1
; LDSByteSize: 0 bytes/workgroup (compile time only)
; SGPRBlocks: 0
; VGPRBlocks: 0
; NumSGPRsForWavesPerEU: 1
; NumVGPRsForWavesPerEU: 1
; Occupancy: 16
; WaveLimiterHint : 0
; COMPUTE_PGM_RSRC2:SCRATCH_EN: 0
; COMPUTE_PGM_RSRC2:USER_SGPR: 6
; COMPUTE_PGM_RSRC2:TRAP_HANDLER: 0
; COMPUTE_PGM_RSRC2:TGID_X_EN: 1
; COMPUTE_PGM_RSRC2:TGID_Y_EN: 0
; COMPUTE_PGM_RSRC2:TGID_Z_EN: 0
; COMPUTE_PGM_RSRC2:TIDIG_COMP_CNT: 0
	.section	.text._ZN7rocprim17ROCPRIM_400000_NS6detail17trampoline_kernelINS0_14default_configENS1_29binary_search_config_selectorIfiEEZNS1_14transform_implILb0ES3_S5_N6thrust23THRUST_200600_302600_NS6detail15normal_iteratorINS8_7pointerIfNS8_11hip_rocprim9par_det_tENS8_11use_defaultESE_EEEENSA_INSB_IiSD_SE_SE_EEEEZNS1_13binary_searchIS3_S5_NSA_INS8_10device_ptrIfEEEESG_SI_NS1_16binary_search_opENS9_16wrapped_functionINS8_6system6detail7generic6detail18binary_search_lessEbEEEE10hipError_tPvRmT1_T2_T3_mmT4_T5_P12ihipStream_tbEUlRKfE_EESV_SZ_S10_mS11_S14_bEUlT_E_NS1_11comp_targetILNS1_3genE5ELNS1_11target_archE942ELNS1_3gpuE9ELNS1_3repE0EEENS1_30default_config_static_selectorELNS0_4arch9wavefront6targetE0EEEvSY_,"axG",@progbits,_ZN7rocprim17ROCPRIM_400000_NS6detail17trampoline_kernelINS0_14default_configENS1_29binary_search_config_selectorIfiEEZNS1_14transform_implILb0ES3_S5_N6thrust23THRUST_200600_302600_NS6detail15normal_iteratorINS8_7pointerIfNS8_11hip_rocprim9par_det_tENS8_11use_defaultESE_EEEENSA_INSB_IiSD_SE_SE_EEEEZNS1_13binary_searchIS3_S5_NSA_INS8_10device_ptrIfEEEESG_SI_NS1_16binary_search_opENS9_16wrapped_functionINS8_6system6detail7generic6detail18binary_search_lessEbEEEE10hipError_tPvRmT1_T2_T3_mmT4_T5_P12ihipStream_tbEUlRKfE_EESV_SZ_S10_mS11_S14_bEUlT_E_NS1_11comp_targetILNS1_3genE5ELNS1_11target_archE942ELNS1_3gpuE9ELNS1_3repE0EEENS1_30default_config_static_selectorELNS0_4arch9wavefront6targetE0EEEvSY_,comdat
	.protected	_ZN7rocprim17ROCPRIM_400000_NS6detail17trampoline_kernelINS0_14default_configENS1_29binary_search_config_selectorIfiEEZNS1_14transform_implILb0ES3_S5_N6thrust23THRUST_200600_302600_NS6detail15normal_iteratorINS8_7pointerIfNS8_11hip_rocprim9par_det_tENS8_11use_defaultESE_EEEENSA_INSB_IiSD_SE_SE_EEEEZNS1_13binary_searchIS3_S5_NSA_INS8_10device_ptrIfEEEESG_SI_NS1_16binary_search_opENS9_16wrapped_functionINS8_6system6detail7generic6detail18binary_search_lessEbEEEE10hipError_tPvRmT1_T2_T3_mmT4_T5_P12ihipStream_tbEUlRKfE_EESV_SZ_S10_mS11_S14_bEUlT_E_NS1_11comp_targetILNS1_3genE5ELNS1_11target_archE942ELNS1_3gpuE9ELNS1_3repE0EEENS1_30default_config_static_selectorELNS0_4arch9wavefront6targetE0EEEvSY_ ; -- Begin function _ZN7rocprim17ROCPRIM_400000_NS6detail17trampoline_kernelINS0_14default_configENS1_29binary_search_config_selectorIfiEEZNS1_14transform_implILb0ES3_S5_N6thrust23THRUST_200600_302600_NS6detail15normal_iteratorINS8_7pointerIfNS8_11hip_rocprim9par_det_tENS8_11use_defaultESE_EEEENSA_INSB_IiSD_SE_SE_EEEEZNS1_13binary_searchIS3_S5_NSA_INS8_10device_ptrIfEEEESG_SI_NS1_16binary_search_opENS9_16wrapped_functionINS8_6system6detail7generic6detail18binary_search_lessEbEEEE10hipError_tPvRmT1_T2_T3_mmT4_T5_P12ihipStream_tbEUlRKfE_EESV_SZ_S10_mS11_S14_bEUlT_E_NS1_11comp_targetILNS1_3genE5ELNS1_11target_archE942ELNS1_3gpuE9ELNS1_3repE0EEENS1_30default_config_static_selectorELNS0_4arch9wavefront6targetE0EEEvSY_
	.globl	_ZN7rocprim17ROCPRIM_400000_NS6detail17trampoline_kernelINS0_14default_configENS1_29binary_search_config_selectorIfiEEZNS1_14transform_implILb0ES3_S5_N6thrust23THRUST_200600_302600_NS6detail15normal_iteratorINS8_7pointerIfNS8_11hip_rocprim9par_det_tENS8_11use_defaultESE_EEEENSA_INSB_IiSD_SE_SE_EEEEZNS1_13binary_searchIS3_S5_NSA_INS8_10device_ptrIfEEEESG_SI_NS1_16binary_search_opENS9_16wrapped_functionINS8_6system6detail7generic6detail18binary_search_lessEbEEEE10hipError_tPvRmT1_T2_T3_mmT4_T5_P12ihipStream_tbEUlRKfE_EESV_SZ_S10_mS11_S14_bEUlT_E_NS1_11comp_targetILNS1_3genE5ELNS1_11target_archE942ELNS1_3gpuE9ELNS1_3repE0EEENS1_30default_config_static_selectorELNS0_4arch9wavefront6targetE0EEEvSY_
	.p2align	8
	.type	_ZN7rocprim17ROCPRIM_400000_NS6detail17trampoline_kernelINS0_14default_configENS1_29binary_search_config_selectorIfiEEZNS1_14transform_implILb0ES3_S5_N6thrust23THRUST_200600_302600_NS6detail15normal_iteratorINS8_7pointerIfNS8_11hip_rocprim9par_det_tENS8_11use_defaultESE_EEEENSA_INSB_IiSD_SE_SE_EEEEZNS1_13binary_searchIS3_S5_NSA_INS8_10device_ptrIfEEEESG_SI_NS1_16binary_search_opENS9_16wrapped_functionINS8_6system6detail7generic6detail18binary_search_lessEbEEEE10hipError_tPvRmT1_T2_T3_mmT4_T5_P12ihipStream_tbEUlRKfE_EESV_SZ_S10_mS11_S14_bEUlT_E_NS1_11comp_targetILNS1_3genE5ELNS1_11target_archE942ELNS1_3gpuE9ELNS1_3repE0EEENS1_30default_config_static_selectorELNS0_4arch9wavefront6targetE0EEEvSY_,@function
_ZN7rocprim17ROCPRIM_400000_NS6detail17trampoline_kernelINS0_14default_configENS1_29binary_search_config_selectorIfiEEZNS1_14transform_implILb0ES3_S5_N6thrust23THRUST_200600_302600_NS6detail15normal_iteratorINS8_7pointerIfNS8_11hip_rocprim9par_det_tENS8_11use_defaultESE_EEEENSA_INSB_IiSD_SE_SE_EEEEZNS1_13binary_searchIS3_S5_NSA_INS8_10device_ptrIfEEEESG_SI_NS1_16binary_search_opENS9_16wrapped_functionINS8_6system6detail7generic6detail18binary_search_lessEbEEEE10hipError_tPvRmT1_T2_T3_mmT4_T5_P12ihipStream_tbEUlRKfE_EESV_SZ_S10_mS11_S14_bEUlT_E_NS1_11comp_targetILNS1_3genE5ELNS1_11target_archE942ELNS1_3gpuE9ELNS1_3repE0EEENS1_30default_config_static_selectorELNS0_4arch9wavefront6targetE0EEEvSY_: ; @_ZN7rocprim17ROCPRIM_400000_NS6detail17trampoline_kernelINS0_14default_configENS1_29binary_search_config_selectorIfiEEZNS1_14transform_implILb0ES3_S5_N6thrust23THRUST_200600_302600_NS6detail15normal_iteratorINS8_7pointerIfNS8_11hip_rocprim9par_det_tENS8_11use_defaultESE_EEEENSA_INSB_IiSD_SE_SE_EEEEZNS1_13binary_searchIS3_S5_NSA_INS8_10device_ptrIfEEEESG_SI_NS1_16binary_search_opENS9_16wrapped_functionINS8_6system6detail7generic6detail18binary_search_lessEbEEEE10hipError_tPvRmT1_T2_T3_mmT4_T5_P12ihipStream_tbEUlRKfE_EESV_SZ_S10_mS11_S14_bEUlT_E_NS1_11comp_targetILNS1_3genE5ELNS1_11target_archE942ELNS1_3gpuE9ELNS1_3repE0EEENS1_30default_config_static_selectorELNS0_4arch9wavefront6targetE0EEEvSY_
; %bb.0:
	.section	.rodata,"a",@progbits
	.p2align	6, 0x0
	.amdhsa_kernel _ZN7rocprim17ROCPRIM_400000_NS6detail17trampoline_kernelINS0_14default_configENS1_29binary_search_config_selectorIfiEEZNS1_14transform_implILb0ES3_S5_N6thrust23THRUST_200600_302600_NS6detail15normal_iteratorINS8_7pointerIfNS8_11hip_rocprim9par_det_tENS8_11use_defaultESE_EEEENSA_INSB_IiSD_SE_SE_EEEEZNS1_13binary_searchIS3_S5_NSA_INS8_10device_ptrIfEEEESG_SI_NS1_16binary_search_opENS9_16wrapped_functionINS8_6system6detail7generic6detail18binary_search_lessEbEEEE10hipError_tPvRmT1_T2_T3_mmT4_T5_P12ihipStream_tbEUlRKfE_EESV_SZ_S10_mS11_S14_bEUlT_E_NS1_11comp_targetILNS1_3genE5ELNS1_11target_archE942ELNS1_3gpuE9ELNS1_3repE0EEENS1_30default_config_static_selectorELNS0_4arch9wavefront6targetE0EEEvSY_
		.amdhsa_group_segment_fixed_size 0
		.amdhsa_private_segment_fixed_size 0
		.amdhsa_kernarg_size 56
		.amdhsa_user_sgpr_count 6
		.amdhsa_user_sgpr_private_segment_buffer 1
		.amdhsa_user_sgpr_dispatch_ptr 0
		.amdhsa_user_sgpr_queue_ptr 0
		.amdhsa_user_sgpr_kernarg_segment_ptr 1
		.amdhsa_user_sgpr_dispatch_id 0
		.amdhsa_user_sgpr_flat_scratch_init 0
		.amdhsa_user_sgpr_private_segment_size 0
		.amdhsa_wavefront_size32 1
		.amdhsa_uses_dynamic_stack 0
		.amdhsa_system_sgpr_private_segment_wavefront_offset 0
		.amdhsa_system_sgpr_workgroup_id_x 1
		.amdhsa_system_sgpr_workgroup_id_y 0
		.amdhsa_system_sgpr_workgroup_id_z 0
		.amdhsa_system_sgpr_workgroup_info 0
		.amdhsa_system_vgpr_workitem_id 0
		.amdhsa_next_free_vgpr 1
		.amdhsa_next_free_sgpr 1
		.amdhsa_reserve_vcc 0
		.amdhsa_reserve_flat_scratch 0
		.amdhsa_float_round_mode_32 0
		.amdhsa_float_round_mode_16_64 0
		.amdhsa_float_denorm_mode_32 3
		.amdhsa_float_denorm_mode_16_64 3
		.amdhsa_dx10_clamp 1
		.amdhsa_ieee_mode 1
		.amdhsa_fp16_overflow 0
		.amdhsa_workgroup_processor_mode 1
		.amdhsa_memory_ordered 1
		.amdhsa_forward_progress 1
		.amdhsa_shared_vgpr_count 0
		.amdhsa_exception_fp_ieee_invalid_op 0
		.amdhsa_exception_fp_denorm_src 0
		.amdhsa_exception_fp_ieee_div_zero 0
		.amdhsa_exception_fp_ieee_overflow 0
		.amdhsa_exception_fp_ieee_underflow 0
		.amdhsa_exception_fp_ieee_inexact 0
		.amdhsa_exception_int_div_zero 0
	.end_amdhsa_kernel
	.section	.text._ZN7rocprim17ROCPRIM_400000_NS6detail17trampoline_kernelINS0_14default_configENS1_29binary_search_config_selectorIfiEEZNS1_14transform_implILb0ES3_S5_N6thrust23THRUST_200600_302600_NS6detail15normal_iteratorINS8_7pointerIfNS8_11hip_rocprim9par_det_tENS8_11use_defaultESE_EEEENSA_INSB_IiSD_SE_SE_EEEEZNS1_13binary_searchIS3_S5_NSA_INS8_10device_ptrIfEEEESG_SI_NS1_16binary_search_opENS9_16wrapped_functionINS8_6system6detail7generic6detail18binary_search_lessEbEEEE10hipError_tPvRmT1_T2_T3_mmT4_T5_P12ihipStream_tbEUlRKfE_EESV_SZ_S10_mS11_S14_bEUlT_E_NS1_11comp_targetILNS1_3genE5ELNS1_11target_archE942ELNS1_3gpuE9ELNS1_3repE0EEENS1_30default_config_static_selectorELNS0_4arch9wavefront6targetE0EEEvSY_,"axG",@progbits,_ZN7rocprim17ROCPRIM_400000_NS6detail17trampoline_kernelINS0_14default_configENS1_29binary_search_config_selectorIfiEEZNS1_14transform_implILb0ES3_S5_N6thrust23THRUST_200600_302600_NS6detail15normal_iteratorINS8_7pointerIfNS8_11hip_rocprim9par_det_tENS8_11use_defaultESE_EEEENSA_INSB_IiSD_SE_SE_EEEEZNS1_13binary_searchIS3_S5_NSA_INS8_10device_ptrIfEEEESG_SI_NS1_16binary_search_opENS9_16wrapped_functionINS8_6system6detail7generic6detail18binary_search_lessEbEEEE10hipError_tPvRmT1_T2_T3_mmT4_T5_P12ihipStream_tbEUlRKfE_EESV_SZ_S10_mS11_S14_bEUlT_E_NS1_11comp_targetILNS1_3genE5ELNS1_11target_archE942ELNS1_3gpuE9ELNS1_3repE0EEENS1_30default_config_static_selectorELNS0_4arch9wavefront6targetE0EEEvSY_,comdat
.Lfunc_end645:
	.size	_ZN7rocprim17ROCPRIM_400000_NS6detail17trampoline_kernelINS0_14default_configENS1_29binary_search_config_selectorIfiEEZNS1_14transform_implILb0ES3_S5_N6thrust23THRUST_200600_302600_NS6detail15normal_iteratorINS8_7pointerIfNS8_11hip_rocprim9par_det_tENS8_11use_defaultESE_EEEENSA_INSB_IiSD_SE_SE_EEEEZNS1_13binary_searchIS3_S5_NSA_INS8_10device_ptrIfEEEESG_SI_NS1_16binary_search_opENS9_16wrapped_functionINS8_6system6detail7generic6detail18binary_search_lessEbEEEE10hipError_tPvRmT1_T2_T3_mmT4_T5_P12ihipStream_tbEUlRKfE_EESV_SZ_S10_mS11_S14_bEUlT_E_NS1_11comp_targetILNS1_3genE5ELNS1_11target_archE942ELNS1_3gpuE9ELNS1_3repE0EEENS1_30default_config_static_selectorELNS0_4arch9wavefront6targetE0EEEvSY_, .Lfunc_end645-_ZN7rocprim17ROCPRIM_400000_NS6detail17trampoline_kernelINS0_14default_configENS1_29binary_search_config_selectorIfiEEZNS1_14transform_implILb0ES3_S5_N6thrust23THRUST_200600_302600_NS6detail15normal_iteratorINS8_7pointerIfNS8_11hip_rocprim9par_det_tENS8_11use_defaultESE_EEEENSA_INSB_IiSD_SE_SE_EEEEZNS1_13binary_searchIS3_S5_NSA_INS8_10device_ptrIfEEEESG_SI_NS1_16binary_search_opENS9_16wrapped_functionINS8_6system6detail7generic6detail18binary_search_lessEbEEEE10hipError_tPvRmT1_T2_T3_mmT4_T5_P12ihipStream_tbEUlRKfE_EESV_SZ_S10_mS11_S14_bEUlT_E_NS1_11comp_targetILNS1_3genE5ELNS1_11target_archE942ELNS1_3gpuE9ELNS1_3repE0EEENS1_30default_config_static_selectorELNS0_4arch9wavefront6targetE0EEEvSY_
                                        ; -- End function
	.set _ZN7rocprim17ROCPRIM_400000_NS6detail17trampoline_kernelINS0_14default_configENS1_29binary_search_config_selectorIfiEEZNS1_14transform_implILb0ES3_S5_N6thrust23THRUST_200600_302600_NS6detail15normal_iteratorINS8_7pointerIfNS8_11hip_rocprim9par_det_tENS8_11use_defaultESE_EEEENSA_INSB_IiSD_SE_SE_EEEEZNS1_13binary_searchIS3_S5_NSA_INS8_10device_ptrIfEEEESG_SI_NS1_16binary_search_opENS9_16wrapped_functionINS8_6system6detail7generic6detail18binary_search_lessEbEEEE10hipError_tPvRmT1_T2_T3_mmT4_T5_P12ihipStream_tbEUlRKfE_EESV_SZ_S10_mS11_S14_bEUlT_E_NS1_11comp_targetILNS1_3genE5ELNS1_11target_archE942ELNS1_3gpuE9ELNS1_3repE0EEENS1_30default_config_static_selectorELNS0_4arch9wavefront6targetE0EEEvSY_.num_vgpr, 0
	.set _ZN7rocprim17ROCPRIM_400000_NS6detail17trampoline_kernelINS0_14default_configENS1_29binary_search_config_selectorIfiEEZNS1_14transform_implILb0ES3_S5_N6thrust23THRUST_200600_302600_NS6detail15normal_iteratorINS8_7pointerIfNS8_11hip_rocprim9par_det_tENS8_11use_defaultESE_EEEENSA_INSB_IiSD_SE_SE_EEEEZNS1_13binary_searchIS3_S5_NSA_INS8_10device_ptrIfEEEESG_SI_NS1_16binary_search_opENS9_16wrapped_functionINS8_6system6detail7generic6detail18binary_search_lessEbEEEE10hipError_tPvRmT1_T2_T3_mmT4_T5_P12ihipStream_tbEUlRKfE_EESV_SZ_S10_mS11_S14_bEUlT_E_NS1_11comp_targetILNS1_3genE5ELNS1_11target_archE942ELNS1_3gpuE9ELNS1_3repE0EEENS1_30default_config_static_selectorELNS0_4arch9wavefront6targetE0EEEvSY_.num_agpr, 0
	.set _ZN7rocprim17ROCPRIM_400000_NS6detail17trampoline_kernelINS0_14default_configENS1_29binary_search_config_selectorIfiEEZNS1_14transform_implILb0ES3_S5_N6thrust23THRUST_200600_302600_NS6detail15normal_iteratorINS8_7pointerIfNS8_11hip_rocprim9par_det_tENS8_11use_defaultESE_EEEENSA_INSB_IiSD_SE_SE_EEEEZNS1_13binary_searchIS3_S5_NSA_INS8_10device_ptrIfEEEESG_SI_NS1_16binary_search_opENS9_16wrapped_functionINS8_6system6detail7generic6detail18binary_search_lessEbEEEE10hipError_tPvRmT1_T2_T3_mmT4_T5_P12ihipStream_tbEUlRKfE_EESV_SZ_S10_mS11_S14_bEUlT_E_NS1_11comp_targetILNS1_3genE5ELNS1_11target_archE942ELNS1_3gpuE9ELNS1_3repE0EEENS1_30default_config_static_selectorELNS0_4arch9wavefront6targetE0EEEvSY_.numbered_sgpr, 0
	.set _ZN7rocprim17ROCPRIM_400000_NS6detail17trampoline_kernelINS0_14default_configENS1_29binary_search_config_selectorIfiEEZNS1_14transform_implILb0ES3_S5_N6thrust23THRUST_200600_302600_NS6detail15normal_iteratorINS8_7pointerIfNS8_11hip_rocprim9par_det_tENS8_11use_defaultESE_EEEENSA_INSB_IiSD_SE_SE_EEEEZNS1_13binary_searchIS3_S5_NSA_INS8_10device_ptrIfEEEESG_SI_NS1_16binary_search_opENS9_16wrapped_functionINS8_6system6detail7generic6detail18binary_search_lessEbEEEE10hipError_tPvRmT1_T2_T3_mmT4_T5_P12ihipStream_tbEUlRKfE_EESV_SZ_S10_mS11_S14_bEUlT_E_NS1_11comp_targetILNS1_3genE5ELNS1_11target_archE942ELNS1_3gpuE9ELNS1_3repE0EEENS1_30default_config_static_selectorELNS0_4arch9wavefront6targetE0EEEvSY_.num_named_barrier, 0
	.set _ZN7rocprim17ROCPRIM_400000_NS6detail17trampoline_kernelINS0_14default_configENS1_29binary_search_config_selectorIfiEEZNS1_14transform_implILb0ES3_S5_N6thrust23THRUST_200600_302600_NS6detail15normal_iteratorINS8_7pointerIfNS8_11hip_rocprim9par_det_tENS8_11use_defaultESE_EEEENSA_INSB_IiSD_SE_SE_EEEEZNS1_13binary_searchIS3_S5_NSA_INS8_10device_ptrIfEEEESG_SI_NS1_16binary_search_opENS9_16wrapped_functionINS8_6system6detail7generic6detail18binary_search_lessEbEEEE10hipError_tPvRmT1_T2_T3_mmT4_T5_P12ihipStream_tbEUlRKfE_EESV_SZ_S10_mS11_S14_bEUlT_E_NS1_11comp_targetILNS1_3genE5ELNS1_11target_archE942ELNS1_3gpuE9ELNS1_3repE0EEENS1_30default_config_static_selectorELNS0_4arch9wavefront6targetE0EEEvSY_.private_seg_size, 0
	.set _ZN7rocprim17ROCPRIM_400000_NS6detail17trampoline_kernelINS0_14default_configENS1_29binary_search_config_selectorIfiEEZNS1_14transform_implILb0ES3_S5_N6thrust23THRUST_200600_302600_NS6detail15normal_iteratorINS8_7pointerIfNS8_11hip_rocprim9par_det_tENS8_11use_defaultESE_EEEENSA_INSB_IiSD_SE_SE_EEEEZNS1_13binary_searchIS3_S5_NSA_INS8_10device_ptrIfEEEESG_SI_NS1_16binary_search_opENS9_16wrapped_functionINS8_6system6detail7generic6detail18binary_search_lessEbEEEE10hipError_tPvRmT1_T2_T3_mmT4_T5_P12ihipStream_tbEUlRKfE_EESV_SZ_S10_mS11_S14_bEUlT_E_NS1_11comp_targetILNS1_3genE5ELNS1_11target_archE942ELNS1_3gpuE9ELNS1_3repE0EEENS1_30default_config_static_selectorELNS0_4arch9wavefront6targetE0EEEvSY_.uses_vcc, 0
	.set _ZN7rocprim17ROCPRIM_400000_NS6detail17trampoline_kernelINS0_14default_configENS1_29binary_search_config_selectorIfiEEZNS1_14transform_implILb0ES3_S5_N6thrust23THRUST_200600_302600_NS6detail15normal_iteratorINS8_7pointerIfNS8_11hip_rocprim9par_det_tENS8_11use_defaultESE_EEEENSA_INSB_IiSD_SE_SE_EEEEZNS1_13binary_searchIS3_S5_NSA_INS8_10device_ptrIfEEEESG_SI_NS1_16binary_search_opENS9_16wrapped_functionINS8_6system6detail7generic6detail18binary_search_lessEbEEEE10hipError_tPvRmT1_T2_T3_mmT4_T5_P12ihipStream_tbEUlRKfE_EESV_SZ_S10_mS11_S14_bEUlT_E_NS1_11comp_targetILNS1_3genE5ELNS1_11target_archE942ELNS1_3gpuE9ELNS1_3repE0EEENS1_30default_config_static_selectorELNS0_4arch9wavefront6targetE0EEEvSY_.uses_flat_scratch, 0
	.set _ZN7rocprim17ROCPRIM_400000_NS6detail17trampoline_kernelINS0_14default_configENS1_29binary_search_config_selectorIfiEEZNS1_14transform_implILb0ES3_S5_N6thrust23THRUST_200600_302600_NS6detail15normal_iteratorINS8_7pointerIfNS8_11hip_rocprim9par_det_tENS8_11use_defaultESE_EEEENSA_INSB_IiSD_SE_SE_EEEEZNS1_13binary_searchIS3_S5_NSA_INS8_10device_ptrIfEEEESG_SI_NS1_16binary_search_opENS9_16wrapped_functionINS8_6system6detail7generic6detail18binary_search_lessEbEEEE10hipError_tPvRmT1_T2_T3_mmT4_T5_P12ihipStream_tbEUlRKfE_EESV_SZ_S10_mS11_S14_bEUlT_E_NS1_11comp_targetILNS1_3genE5ELNS1_11target_archE942ELNS1_3gpuE9ELNS1_3repE0EEENS1_30default_config_static_selectorELNS0_4arch9wavefront6targetE0EEEvSY_.has_dyn_sized_stack, 0
	.set _ZN7rocprim17ROCPRIM_400000_NS6detail17trampoline_kernelINS0_14default_configENS1_29binary_search_config_selectorIfiEEZNS1_14transform_implILb0ES3_S5_N6thrust23THRUST_200600_302600_NS6detail15normal_iteratorINS8_7pointerIfNS8_11hip_rocprim9par_det_tENS8_11use_defaultESE_EEEENSA_INSB_IiSD_SE_SE_EEEEZNS1_13binary_searchIS3_S5_NSA_INS8_10device_ptrIfEEEESG_SI_NS1_16binary_search_opENS9_16wrapped_functionINS8_6system6detail7generic6detail18binary_search_lessEbEEEE10hipError_tPvRmT1_T2_T3_mmT4_T5_P12ihipStream_tbEUlRKfE_EESV_SZ_S10_mS11_S14_bEUlT_E_NS1_11comp_targetILNS1_3genE5ELNS1_11target_archE942ELNS1_3gpuE9ELNS1_3repE0EEENS1_30default_config_static_selectorELNS0_4arch9wavefront6targetE0EEEvSY_.has_recursion, 0
	.set _ZN7rocprim17ROCPRIM_400000_NS6detail17trampoline_kernelINS0_14default_configENS1_29binary_search_config_selectorIfiEEZNS1_14transform_implILb0ES3_S5_N6thrust23THRUST_200600_302600_NS6detail15normal_iteratorINS8_7pointerIfNS8_11hip_rocprim9par_det_tENS8_11use_defaultESE_EEEENSA_INSB_IiSD_SE_SE_EEEEZNS1_13binary_searchIS3_S5_NSA_INS8_10device_ptrIfEEEESG_SI_NS1_16binary_search_opENS9_16wrapped_functionINS8_6system6detail7generic6detail18binary_search_lessEbEEEE10hipError_tPvRmT1_T2_T3_mmT4_T5_P12ihipStream_tbEUlRKfE_EESV_SZ_S10_mS11_S14_bEUlT_E_NS1_11comp_targetILNS1_3genE5ELNS1_11target_archE942ELNS1_3gpuE9ELNS1_3repE0EEENS1_30default_config_static_selectorELNS0_4arch9wavefront6targetE0EEEvSY_.has_indirect_call, 0
	.section	.AMDGPU.csdata,"",@progbits
; Kernel info:
; codeLenInByte = 0
; TotalNumSgprs: 0
; NumVgprs: 0
; ScratchSize: 0
; MemoryBound: 0
; FloatMode: 240
; IeeeMode: 1
; LDSByteSize: 0 bytes/workgroup (compile time only)
; SGPRBlocks: 0
; VGPRBlocks: 0
; NumSGPRsForWavesPerEU: 1
; NumVGPRsForWavesPerEU: 1
; Occupancy: 16
; WaveLimiterHint : 0
; COMPUTE_PGM_RSRC2:SCRATCH_EN: 0
; COMPUTE_PGM_RSRC2:USER_SGPR: 6
; COMPUTE_PGM_RSRC2:TRAP_HANDLER: 0
; COMPUTE_PGM_RSRC2:TGID_X_EN: 1
; COMPUTE_PGM_RSRC2:TGID_Y_EN: 0
; COMPUTE_PGM_RSRC2:TGID_Z_EN: 0
; COMPUTE_PGM_RSRC2:TIDIG_COMP_CNT: 0
	.section	.text._ZN7rocprim17ROCPRIM_400000_NS6detail17trampoline_kernelINS0_14default_configENS1_29binary_search_config_selectorIfiEEZNS1_14transform_implILb0ES3_S5_N6thrust23THRUST_200600_302600_NS6detail15normal_iteratorINS8_7pointerIfNS8_11hip_rocprim9par_det_tENS8_11use_defaultESE_EEEENSA_INSB_IiSD_SE_SE_EEEEZNS1_13binary_searchIS3_S5_NSA_INS8_10device_ptrIfEEEESG_SI_NS1_16binary_search_opENS9_16wrapped_functionINS8_6system6detail7generic6detail18binary_search_lessEbEEEE10hipError_tPvRmT1_T2_T3_mmT4_T5_P12ihipStream_tbEUlRKfE_EESV_SZ_S10_mS11_S14_bEUlT_E_NS1_11comp_targetILNS1_3genE4ELNS1_11target_archE910ELNS1_3gpuE8ELNS1_3repE0EEENS1_30default_config_static_selectorELNS0_4arch9wavefront6targetE0EEEvSY_,"axG",@progbits,_ZN7rocprim17ROCPRIM_400000_NS6detail17trampoline_kernelINS0_14default_configENS1_29binary_search_config_selectorIfiEEZNS1_14transform_implILb0ES3_S5_N6thrust23THRUST_200600_302600_NS6detail15normal_iteratorINS8_7pointerIfNS8_11hip_rocprim9par_det_tENS8_11use_defaultESE_EEEENSA_INSB_IiSD_SE_SE_EEEEZNS1_13binary_searchIS3_S5_NSA_INS8_10device_ptrIfEEEESG_SI_NS1_16binary_search_opENS9_16wrapped_functionINS8_6system6detail7generic6detail18binary_search_lessEbEEEE10hipError_tPvRmT1_T2_T3_mmT4_T5_P12ihipStream_tbEUlRKfE_EESV_SZ_S10_mS11_S14_bEUlT_E_NS1_11comp_targetILNS1_3genE4ELNS1_11target_archE910ELNS1_3gpuE8ELNS1_3repE0EEENS1_30default_config_static_selectorELNS0_4arch9wavefront6targetE0EEEvSY_,comdat
	.protected	_ZN7rocprim17ROCPRIM_400000_NS6detail17trampoline_kernelINS0_14default_configENS1_29binary_search_config_selectorIfiEEZNS1_14transform_implILb0ES3_S5_N6thrust23THRUST_200600_302600_NS6detail15normal_iteratorINS8_7pointerIfNS8_11hip_rocprim9par_det_tENS8_11use_defaultESE_EEEENSA_INSB_IiSD_SE_SE_EEEEZNS1_13binary_searchIS3_S5_NSA_INS8_10device_ptrIfEEEESG_SI_NS1_16binary_search_opENS9_16wrapped_functionINS8_6system6detail7generic6detail18binary_search_lessEbEEEE10hipError_tPvRmT1_T2_T3_mmT4_T5_P12ihipStream_tbEUlRKfE_EESV_SZ_S10_mS11_S14_bEUlT_E_NS1_11comp_targetILNS1_3genE4ELNS1_11target_archE910ELNS1_3gpuE8ELNS1_3repE0EEENS1_30default_config_static_selectorELNS0_4arch9wavefront6targetE0EEEvSY_ ; -- Begin function _ZN7rocprim17ROCPRIM_400000_NS6detail17trampoline_kernelINS0_14default_configENS1_29binary_search_config_selectorIfiEEZNS1_14transform_implILb0ES3_S5_N6thrust23THRUST_200600_302600_NS6detail15normal_iteratorINS8_7pointerIfNS8_11hip_rocprim9par_det_tENS8_11use_defaultESE_EEEENSA_INSB_IiSD_SE_SE_EEEEZNS1_13binary_searchIS3_S5_NSA_INS8_10device_ptrIfEEEESG_SI_NS1_16binary_search_opENS9_16wrapped_functionINS8_6system6detail7generic6detail18binary_search_lessEbEEEE10hipError_tPvRmT1_T2_T3_mmT4_T5_P12ihipStream_tbEUlRKfE_EESV_SZ_S10_mS11_S14_bEUlT_E_NS1_11comp_targetILNS1_3genE4ELNS1_11target_archE910ELNS1_3gpuE8ELNS1_3repE0EEENS1_30default_config_static_selectorELNS0_4arch9wavefront6targetE0EEEvSY_
	.globl	_ZN7rocprim17ROCPRIM_400000_NS6detail17trampoline_kernelINS0_14default_configENS1_29binary_search_config_selectorIfiEEZNS1_14transform_implILb0ES3_S5_N6thrust23THRUST_200600_302600_NS6detail15normal_iteratorINS8_7pointerIfNS8_11hip_rocprim9par_det_tENS8_11use_defaultESE_EEEENSA_INSB_IiSD_SE_SE_EEEEZNS1_13binary_searchIS3_S5_NSA_INS8_10device_ptrIfEEEESG_SI_NS1_16binary_search_opENS9_16wrapped_functionINS8_6system6detail7generic6detail18binary_search_lessEbEEEE10hipError_tPvRmT1_T2_T3_mmT4_T5_P12ihipStream_tbEUlRKfE_EESV_SZ_S10_mS11_S14_bEUlT_E_NS1_11comp_targetILNS1_3genE4ELNS1_11target_archE910ELNS1_3gpuE8ELNS1_3repE0EEENS1_30default_config_static_selectorELNS0_4arch9wavefront6targetE0EEEvSY_
	.p2align	8
	.type	_ZN7rocprim17ROCPRIM_400000_NS6detail17trampoline_kernelINS0_14default_configENS1_29binary_search_config_selectorIfiEEZNS1_14transform_implILb0ES3_S5_N6thrust23THRUST_200600_302600_NS6detail15normal_iteratorINS8_7pointerIfNS8_11hip_rocprim9par_det_tENS8_11use_defaultESE_EEEENSA_INSB_IiSD_SE_SE_EEEEZNS1_13binary_searchIS3_S5_NSA_INS8_10device_ptrIfEEEESG_SI_NS1_16binary_search_opENS9_16wrapped_functionINS8_6system6detail7generic6detail18binary_search_lessEbEEEE10hipError_tPvRmT1_T2_T3_mmT4_T5_P12ihipStream_tbEUlRKfE_EESV_SZ_S10_mS11_S14_bEUlT_E_NS1_11comp_targetILNS1_3genE4ELNS1_11target_archE910ELNS1_3gpuE8ELNS1_3repE0EEENS1_30default_config_static_selectorELNS0_4arch9wavefront6targetE0EEEvSY_,@function
_ZN7rocprim17ROCPRIM_400000_NS6detail17trampoline_kernelINS0_14default_configENS1_29binary_search_config_selectorIfiEEZNS1_14transform_implILb0ES3_S5_N6thrust23THRUST_200600_302600_NS6detail15normal_iteratorINS8_7pointerIfNS8_11hip_rocprim9par_det_tENS8_11use_defaultESE_EEEENSA_INSB_IiSD_SE_SE_EEEEZNS1_13binary_searchIS3_S5_NSA_INS8_10device_ptrIfEEEESG_SI_NS1_16binary_search_opENS9_16wrapped_functionINS8_6system6detail7generic6detail18binary_search_lessEbEEEE10hipError_tPvRmT1_T2_T3_mmT4_T5_P12ihipStream_tbEUlRKfE_EESV_SZ_S10_mS11_S14_bEUlT_E_NS1_11comp_targetILNS1_3genE4ELNS1_11target_archE910ELNS1_3gpuE8ELNS1_3repE0EEENS1_30default_config_static_selectorELNS0_4arch9wavefront6targetE0EEEvSY_: ; @_ZN7rocprim17ROCPRIM_400000_NS6detail17trampoline_kernelINS0_14default_configENS1_29binary_search_config_selectorIfiEEZNS1_14transform_implILb0ES3_S5_N6thrust23THRUST_200600_302600_NS6detail15normal_iteratorINS8_7pointerIfNS8_11hip_rocprim9par_det_tENS8_11use_defaultESE_EEEENSA_INSB_IiSD_SE_SE_EEEEZNS1_13binary_searchIS3_S5_NSA_INS8_10device_ptrIfEEEESG_SI_NS1_16binary_search_opENS9_16wrapped_functionINS8_6system6detail7generic6detail18binary_search_lessEbEEEE10hipError_tPvRmT1_T2_T3_mmT4_T5_P12ihipStream_tbEUlRKfE_EESV_SZ_S10_mS11_S14_bEUlT_E_NS1_11comp_targetILNS1_3genE4ELNS1_11target_archE910ELNS1_3gpuE8ELNS1_3repE0EEENS1_30default_config_static_selectorELNS0_4arch9wavefront6targetE0EEEvSY_
; %bb.0:
	.section	.rodata,"a",@progbits
	.p2align	6, 0x0
	.amdhsa_kernel _ZN7rocprim17ROCPRIM_400000_NS6detail17trampoline_kernelINS0_14default_configENS1_29binary_search_config_selectorIfiEEZNS1_14transform_implILb0ES3_S5_N6thrust23THRUST_200600_302600_NS6detail15normal_iteratorINS8_7pointerIfNS8_11hip_rocprim9par_det_tENS8_11use_defaultESE_EEEENSA_INSB_IiSD_SE_SE_EEEEZNS1_13binary_searchIS3_S5_NSA_INS8_10device_ptrIfEEEESG_SI_NS1_16binary_search_opENS9_16wrapped_functionINS8_6system6detail7generic6detail18binary_search_lessEbEEEE10hipError_tPvRmT1_T2_T3_mmT4_T5_P12ihipStream_tbEUlRKfE_EESV_SZ_S10_mS11_S14_bEUlT_E_NS1_11comp_targetILNS1_3genE4ELNS1_11target_archE910ELNS1_3gpuE8ELNS1_3repE0EEENS1_30default_config_static_selectorELNS0_4arch9wavefront6targetE0EEEvSY_
		.amdhsa_group_segment_fixed_size 0
		.amdhsa_private_segment_fixed_size 0
		.amdhsa_kernarg_size 56
		.amdhsa_user_sgpr_count 6
		.amdhsa_user_sgpr_private_segment_buffer 1
		.amdhsa_user_sgpr_dispatch_ptr 0
		.amdhsa_user_sgpr_queue_ptr 0
		.amdhsa_user_sgpr_kernarg_segment_ptr 1
		.amdhsa_user_sgpr_dispatch_id 0
		.amdhsa_user_sgpr_flat_scratch_init 0
		.amdhsa_user_sgpr_private_segment_size 0
		.amdhsa_wavefront_size32 1
		.amdhsa_uses_dynamic_stack 0
		.amdhsa_system_sgpr_private_segment_wavefront_offset 0
		.amdhsa_system_sgpr_workgroup_id_x 1
		.amdhsa_system_sgpr_workgroup_id_y 0
		.amdhsa_system_sgpr_workgroup_id_z 0
		.amdhsa_system_sgpr_workgroup_info 0
		.amdhsa_system_vgpr_workitem_id 0
		.amdhsa_next_free_vgpr 1
		.amdhsa_next_free_sgpr 1
		.amdhsa_reserve_vcc 0
		.amdhsa_reserve_flat_scratch 0
		.amdhsa_float_round_mode_32 0
		.amdhsa_float_round_mode_16_64 0
		.amdhsa_float_denorm_mode_32 3
		.amdhsa_float_denorm_mode_16_64 3
		.amdhsa_dx10_clamp 1
		.amdhsa_ieee_mode 1
		.amdhsa_fp16_overflow 0
		.amdhsa_workgroup_processor_mode 1
		.amdhsa_memory_ordered 1
		.amdhsa_forward_progress 1
		.amdhsa_shared_vgpr_count 0
		.amdhsa_exception_fp_ieee_invalid_op 0
		.amdhsa_exception_fp_denorm_src 0
		.amdhsa_exception_fp_ieee_div_zero 0
		.amdhsa_exception_fp_ieee_overflow 0
		.amdhsa_exception_fp_ieee_underflow 0
		.amdhsa_exception_fp_ieee_inexact 0
		.amdhsa_exception_int_div_zero 0
	.end_amdhsa_kernel
	.section	.text._ZN7rocprim17ROCPRIM_400000_NS6detail17trampoline_kernelINS0_14default_configENS1_29binary_search_config_selectorIfiEEZNS1_14transform_implILb0ES3_S5_N6thrust23THRUST_200600_302600_NS6detail15normal_iteratorINS8_7pointerIfNS8_11hip_rocprim9par_det_tENS8_11use_defaultESE_EEEENSA_INSB_IiSD_SE_SE_EEEEZNS1_13binary_searchIS3_S5_NSA_INS8_10device_ptrIfEEEESG_SI_NS1_16binary_search_opENS9_16wrapped_functionINS8_6system6detail7generic6detail18binary_search_lessEbEEEE10hipError_tPvRmT1_T2_T3_mmT4_T5_P12ihipStream_tbEUlRKfE_EESV_SZ_S10_mS11_S14_bEUlT_E_NS1_11comp_targetILNS1_3genE4ELNS1_11target_archE910ELNS1_3gpuE8ELNS1_3repE0EEENS1_30default_config_static_selectorELNS0_4arch9wavefront6targetE0EEEvSY_,"axG",@progbits,_ZN7rocprim17ROCPRIM_400000_NS6detail17trampoline_kernelINS0_14default_configENS1_29binary_search_config_selectorIfiEEZNS1_14transform_implILb0ES3_S5_N6thrust23THRUST_200600_302600_NS6detail15normal_iteratorINS8_7pointerIfNS8_11hip_rocprim9par_det_tENS8_11use_defaultESE_EEEENSA_INSB_IiSD_SE_SE_EEEEZNS1_13binary_searchIS3_S5_NSA_INS8_10device_ptrIfEEEESG_SI_NS1_16binary_search_opENS9_16wrapped_functionINS8_6system6detail7generic6detail18binary_search_lessEbEEEE10hipError_tPvRmT1_T2_T3_mmT4_T5_P12ihipStream_tbEUlRKfE_EESV_SZ_S10_mS11_S14_bEUlT_E_NS1_11comp_targetILNS1_3genE4ELNS1_11target_archE910ELNS1_3gpuE8ELNS1_3repE0EEENS1_30default_config_static_selectorELNS0_4arch9wavefront6targetE0EEEvSY_,comdat
.Lfunc_end646:
	.size	_ZN7rocprim17ROCPRIM_400000_NS6detail17trampoline_kernelINS0_14default_configENS1_29binary_search_config_selectorIfiEEZNS1_14transform_implILb0ES3_S5_N6thrust23THRUST_200600_302600_NS6detail15normal_iteratorINS8_7pointerIfNS8_11hip_rocprim9par_det_tENS8_11use_defaultESE_EEEENSA_INSB_IiSD_SE_SE_EEEEZNS1_13binary_searchIS3_S5_NSA_INS8_10device_ptrIfEEEESG_SI_NS1_16binary_search_opENS9_16wrapped_functionINS8_6system6detail7generic6detail18binary_search_lessEbEEEE10hipError_tPvRmT1_T2_T3_mmT4_T5_P12ihipStream_tbEUlRKfE_EESV_SZ_S10_mS11_S14_bEUlT_E_NS1_11comp_targetILNS1_3genE4ELNS1_11target_archE910ELNS1_3gpuE8ELNS1_3repE0EEENS1_30default_config_static_selectorELNS0_4arch9wavefront6targetE0EEEvSY_, .Lfunc_end646-_ZN7rocprim17ROCPRIM_400000_NS6detail17trampoline_kernelINS0_14default_configENS1_29binary_search_config_selectorIfiEEZNS1_14transform_implILb0ES3_S5_N6thrust23THRUST_200600_302600_NS6detail15normal_iteratorINS8_7pointerIfNS8_11hip_rocprim9par_det_tENS8_11use_defaultESE_EEEENSA_INSB_IiSD_SE_SE_EEEEZNS1_13binary_searchIS3_S5_NSA_INS8_10device_ptrIfEEEESG_SI_NS1_16binary_search_opENS9_16wrapped_functionINS8_6system6detail7generic6detail18binary_search_lessEbEEEE10hipError_tPvRmT1_T2_T3_mmT4_T5_P12ihipStream_tbEUlRKfE_EESV_SZ_S10_mS11_S14_bEUlT_E_NS1_11comp_targetILNS1_3genE4ELNS1_11target_archE910ELNS1_3gpuE8ELNS1_3repE0EEENS1_30default_config_static_selectorELNS0_4arch9wavefront6targetE0EEEvSY_
                                        ; -- End function
	.set _ZN7rocprim17ROCPRIM_400000_NS6detail17trampoline_kernelINS0_14default_configENS1_29binary_search_config_selectorIfiEEZNS1_14transform_implILb0ES3_S5_N6thrust23THRUST_200600_302600_NS6detail15normal_iteratorINS8_7pointerIfNS8_11hip_rocprim9par_det_tENS8_11use_defaultESE_EEEENSA_INSB_IiSD_SE_SE_EEEEZNS1_13binary_searchIS3_S5_NSA_INS8_10device_ptrIfEEEESG_SI_NS1_16binary_search_opENS9_16wrapped_functionINS8_6system6detail7generic6detail18binary_search_lessEbEEEE10hipError_tPvRmT1_T2_T3_mmT4_T5_P12ihipStream_tbEUlRKfE_EESV_SZ_S10_mS11_S14_bEUlT_E_NS1_11comp_targetILNS1_3genE4ELNS1_11target_archE910ELNS1_3gpuE8ELNS1_3repE0EEENS1_30default_config_static_selectorELNS0_4arch9wavefront6targetE0EEEvSY_.num_vgpr, 0
	.set _ZN7rocprim17ROCPRIM_400000_NS6detail17trampoline_kernelINS0_14default_configENS1_29binary_search_config_selectorIfiEEZNS1_14transform_implILb0ES3_S5_N6thrust23THRUST_200600_302600_NS6detail15normal_iteratorINS8_7pointerIfNS8_11hip_rocprim9par_det_tENS8_11use_defaultESE_EEEENSA_INSB_IiSD_SE_SE_EEEEZNS1_13binary_searchIS3_S5_NSA_INS8_10device_ptrIfEEEESG_SI_NS1_16binary_search_opENS9_16wrapped_functionINS8_6system6detail7generic6detail18binary_search_lessEbEEEE10hipError_tPvRmT1_T2_T3_mmT4_T5_P12ihipStream_tbEUlRKfE_EESV_SZ_S10_mS11_S14_bEUlT_E_NS1_11comp_targetILNS1_3genE4ELNS1_11target_archE910ELNS1_3gpuE8ELNS1_3repE0EEENS1_30default_config_static_selectorELNS0_4arch9wavefront6targetE0EEEvSY_.num_agpr, 0
	.set _ZN7rocprim17ROCPRIM_400000_NS6detail17trampoline_kernelINS0_14default_configENS1_29binary_search_config_selectorIfiEEZNS1_14transform_implILb0ES3_S5_N6thrust23THRUST_200600_302600_NS6detail15normal_iteratorINS8_7pointerIfNS8_11hip_rocprim9par_det_tENS8_11use_defaultESE_EEEENSA_INSB_IiSD_SE_SE_EEEEZNS1_13binary_searchIS3_S5_NSA_INS8_10device_ptrIfEEEESG_SI_NS1_16binary_search_opENS9_16wrapped_functionINS8_6system6detail7generic6detail18binary_search_lessEbEEEE10hipError_tPvRmT1_T2_T3_mmT4_T5_P12ihipStream_tbEUlRKfE_EESV_SZ_S10_mS11_S14_bEUlT_E_NS1_11comp_targetILNS1_3genE4ELNS1_11target_archE910ELNS1_3gpuE8ELNS1_3repE0EEENS1_30default_config_static_selectorELNS0_4arch9wavefront6targetE0EEEvSY_.numbered_sgpr, 0
	.set _ZN7rocprim17ROCPRIM_400000_NS6detail17trampoline_kernelINS0_14default_configENS1_29binary_search_config_selectorIfiEEZNS1_14transform_implILb0ES3_S5_N6thrust23THRUST_200600_302600_NS6detail15normal_iteratorINS8_7pointerIfNS8_11hip_rocprim9par_det_tENS8_11use_defaultESE_EEEENSA_INSB_IiSD_SE_SE_EEEEZNS1_13binary_searchIS3_S5_NSA_INS8_10device_ptrIfEEEESG_SI_NS1_16binary_search_opENS9_16wrapped_functionINS8_6system6detail7generic6detail18binary_search_lessEbEEEE10hipError_tPvRmT1_T2_T3_mmT4_T5_P12ihipStream_tbEUlRKfE_EESV_SZ_S10_mS11_S14_bEUlT_E_NS1_11comp_targetILNS1_3genE4ELNS1_11target_archE910ELNS1_3gpuE8ELNS1_3repE0EEENS1_30default_config_static_selectorELNS0_4arch9wavefront6targetE0EEEvSY_.num_named_barrier, 0
	.set _ZN7rocprim17ROCPRIM_400000_NS6detail17trampoline_kernelINS0_14default_configENS1_29binary_search_config_selectorIfiEEZNS1_14transform_implILb0ES3_S5_N6thrust23THRUST_200600_302600_NS6detail15normal_iteratorINS8_7pointerIfNS8_11hip_rocprim9par_det_tENS8_11use_defaultESE_EEEENSA_INSB_IiSD_SE_SE_EEEEZNS1_13binary_searchIS3_S5_NSA_INS8_10device_ptrIfEEEESG_SI_NS1_16binary_search_opENS9_16wrapped_functionINS8_6system6detail7generic6detail18binary_search_lessEbEEEE10hipError_tPvRmT1_T2_T3_mmT4_T5_P12ihipStream_tbEUlRKfE_EESV_SZ_S10_mS11_S14_bEUlT_E_NS1_11comp_targetILNS1_3genE4ELNS1_11target_archE910ELNS1_3gpuE8ELNS1_3repE0EEENS1_30default_config_static_selectorELNS0_4arch9wavefront6targetE0EEEvSY_.private_seg_size, 0
	.set _ZN7rocprim17ROCPRIM_400000_NS6detail17trampoline_kernelINS0_14default_configENS1_29binary_search_config_selectorIfiEEZNS1_14transform_implILb0ES3_S5_N6thrust23THRUST_200600_302600_NS6detail15normal_iteratorINS8_7pointerIfNS8_11hip_rocprim9par_det_tENS8_11use_defaultESE_EEEENSA_INSB_IiSD_SE_SE_EEEEZNS1_13binary_searchIS3_S5_NSA_INS8_10device_ptrIfEEEESG_SI_NS1_16binary_search_opENS9_16wrapped_functionINS8_6system6detail7generic6detail18binary_search_lessEbEEEE10hipError_tPvRmT1_T2_T3_mmT4_T5_P12ihipStream_tbEUlRKfE_EESV_SZ_S10_mS11_S14_bEUlT_E_NS1_11comp_targetILNS1_3genE4ELNS1_11target_archE910ELNS1_3gpuE8ELNS1_3repE0EEENS1_30default_config_static_selectorELNS0_4arch9wavefront6targetE0EEEvSY_.uses_vcc, 0
	.set _ZN7rocprim17ROCPRIM_400000_NS6detail17trampoline_kernelINS0_14default_configENS1_29binary_search_config_selectorIfiEEZNS1_14transform_implILb0ES3_S5_N6thrust23THRUST_200600_302600_NS6detail15normal_iteratorINS8_7pointerIfNS8_11hip_rocprim9par_det_tENS8_11use_defaultESE_EEEENSA_INSB_IiSD_SE_SE_EEEEZNS1_13binary_searchIS3_S5_NSA_INS8_10device_ptrIfEEEESG_SI_NS1_16binary_search_opENS9_16wrapped_functionINS8_6system6detail7generic6detail18binary_search_lessEbEEEE10hipError_tPvRmT1_T2_T3_mmT4_T5_P12ihipStream_tbEUlRKfE_EESV_SZ_S10_mS11_S14_bEUlT_E_NS1_11comp_targetILNS1_3genE4ELNS1_11target_archE910ELNS1_3gpuE8ELNS1_3repE0EEENS1_30default_config_static_selectorELNS0_4arch9wavefront6targetE0EEEvSY_.uses_flat_scratch, 0
	.set _ZN7rocprim17ROCPRIM_400000_NS6detail17trampoline_kernelINS0_14default_configENS1_29binary_search_config_selectorIfiEEZNS1_14transform_implILb0ES3_S5_N6thrust23THRUST_200600_302600_NS6detail15normal_iteratorINS8_7pointerIfNS8_11hip_rocprim9par_det_tENS8_11use_defaultESE_EEEENSA_INSB_IiSD_SE_SE_EEEEZNS1_13binary_searchIS3_S5_NSA_INS8_10device_ptrIfEEEESG_SI_NS1_16binary_search_opENS9_16wrapped_functionINS8_6system6detail7generic6detail18binary_search_lessEbEEEE10hipError_tPvRmT1_T2_T3_mmT4_T5_P12ihipStream_tbEUlRKfE_EESV_SZ_S10_mS11_S14_bEUlT_E_NS1_11comp_targetILNS1_3genE4ELNS1_11target_archE910ELNS1_3gpuE8ELNS1_3repE0EEENS1_30default_config_static_selectorELNS0_4arch9wavefront6targetE0EEEvSY_.has_dyn_sized_stack, 0
	.set _ZN7rocprim17ROCPRIM_400000_NS6detail17trampoline_kernelINS0_14default_configENS1_29binary_search_config_selectorIfiEEZNS1_14transform_implILb0ES3_S5_N6thrust23THRUST_200600_302600_NS6detail15normal_iteratorINS8_7pointerIfNS8_11hip_rocprim9par_det_tENS8_11use_defaultESE_EEEENSA_INSB_IiSD_SE_SE_EEEEZNS1_13binary_searchIS3_S5_NSA_INS8_10device_ptrIfEEEESG_SI_NS1_16binary_search_opENS9_16wrapped_functionINS8_6system6detail7generic6detail18binary_search_lessEbEEEE10hipError_tPvRmT1_T2_T3_mmT4_T5_P12ihipStream_tbEUlRKfE_EESV_SZ_S10_mS11_S14_bEUlT_E_NS1_11comp_targetILNS1_3genE4ELNS1_11target_archE910ELNS1_3gpuE8ELNS1_3repE0EEENS1_30default_config_static_selectorELNS0_4arch9wavefront6targetE0EEEvSY_.has_recursion, 0
	.set _ZN7rocprim17ROCPRIM_400000_NS6detail17trampoline_kernelINS0_14default_configENS1_29binary_search_config_selectorIfiEEZNS1_14transform_implILb0ES3_S5_N6thrust23THRUST_200600_302600_NS6detail15normal_iteratorINS8_7pointerIfNS8_11hip_rocprim9par_det_tENS8_11use_defaultESE_EEEENSA_INSB_IiSD_SE_SE_EEEEZNS1_13binary_searchIS3_S5_NSA_INS8_10device_ptrIfEEEESG_SI_NS1_16binary_search_opENS9_16wrapped_functionINS8_6system6detail7generic6detail18binary_search_lessEbEEEE10hipError_tPvRmT1_T2_T3_mmT4_T5_P12ihipStream_tbEUlRKfE_EESV_SZ_S10_mS11_S14_bEUlT_E_NS1_11comp_targetILNS1_3genE4ELNS1_11target_archE910ELNS1_3gpuE8ELNS1_3repE0EEENS1_30default_config_static_selectorELNS0_4arch9wavefront6targetE0EEEvSY_.has_indirect_call, 0
	.section	.AMDGPU.csdata,"",@progbits
; Kernel info:
; codeLenInByte = 0
; TotalNumSgprs: 0
; NumVgprs: 0
; ScratchSize: 0
; MemoryBound: 0
; FloatMode: 240
; IeeeMode: 1
; LDSByteSize: 0 bytes/workgroup (compile time only)
; SGPRBlocks: 0
; VGPRBlocks: 0
; NumSGPRsForWavesPerEU: 1
; NumVGPRsForWavesPerEU: 1
; Occupancy: 16
; WaveLimiterHint : 0
; COMPUTE_PGM_RSRC2:SCRATCH_EN: 0
; COMPUTE_PGM_RSRC2:USER_SGPR: 6
; COMPUTE_PGM_RSRC2:TRAP_HANDLER: 0
; COMPUTE_PGM_RSRC2:TGID_X_EN: 1
; COMPUTE_PGM_RSRC2:TGID_Y_EN: 0
; COMPUTE_PGM_RSRC2:TGID_Z_EN: 0
; COMPUTE_PGM_RSRC2:TIDIG_COMP_CNT: 0
	.section	.text._ZN7rocprim17ROCPRIM_400000_NS6detail17trampoline_kernelINS0_14default_configENS1_29binary_search_config_selectorIfiEEZNS1_14transform_implILb0ES3_S5_N6thrust23THRUST_200600_302600_NS6detail15normal_iteratorINS8_7pointerIfNS8_11hip_rocprim9par_det_tENS8_11use_defaultESE_EEEENSA_INSB_IiSD_SE_SE_EEEEZNS1_13binary_searchIS3_S5_NSA_INS8_10device_ptrIfEEEESG_SI_NS1_16binary_search_opENS9_16wrapped_functionINS8_6system6detail7generic6detail18binary_search_lessEbEEEE10hipError_tPvRmT1_T2_T3_mmT4_T5_P12ihipStream_tbEUlRKfE_EESV_SZ_S10_mS11_S14_bEUlT_E_NS1_11comp_targetILNS1_3genE3ELNS1_11target_archE908ELNS1_3gpuE7ELNS1_3repE0EEENS1_30default_config_static_selectorELNS0_4arch9wavefront6targetE0EEEvSY_,"axG",@progbits,_ZN7rocprim17ROCPRIM_400000_NS6detail17trampoline_kernelINS0_14default_configENS1_29binary_search_config_selectorIfiEEZNS1_14transform_implILb0ES3_S5_N6thrust23THRUST_200600_302600_NS6detail15normal_iteratorINS8_7pointerIfNS8_11hip_rocprim9par_det_tENS8_11use_defaultESE_EEEENSA_INSB_IiSD_SE_SE_EEEEZNS1_13binary_searchIS3_S5_NSA_INS8_10device_ptrIfEEEESG_SI_NS1_16binary_search_opENS9_16wrapped_functionINS8_6system6detail7generic6detail18binary_search_lessEbEEEE10hipError_tPvRmT1_T2_T3_mmT4_T5_P12ihipStream_tbEUlRKfE_EESV_SZ_S10_mS11_S14_bEUlT_E_NS1_11comp_targetILNS1_3genE3ELNS1_11target_archE908ELNS1_3gpuE7ELNS1_3repE0EEENS1_30default_config_static_selectorELNS0_4arch9wavefront6targetE0EEEvSY_,comdat
	.protected	_ZN7rocprim17ROCPRIM_400000_NS6detail17trampoline_kernelINS0_14default_configENS1_29binary_search_config_selectorIfiEEZNS1_14transform_implILb0ES3_S5_N6thrust23THRUST_200600_302600_NS6detail15normal_iteratorINS8_7pointerIfNS8_11hip_rocprim9par_det_tENS8_11use_defaultESE_EEEENSA_INSB_IiSD_SE_SE_EEEEZNS1_13binary_searchIS3_S5_NSA_INS8_10device_ptrIfEEEESG_SI_NS1_16binary_search_opENS9_16wrapped_functionINS8_6system6detail7generic6detail18binary_search_lessEbEEEE10hipError_tPvRmT1_T2_T3_mmT4_T5_P12ihipStream_tbEUlRKfE_EESV_SZ_S10_mS11_S14_bEUlT_E_NS1_11comp_targetILNS1_3genE3ELNS1_11target_archE908ELNS1_3gpuE7ELNS1_3repE0EEENS1_30default_config_static_selectorELNS0_4arch9wavefront6targetE0EEEvSY_ ; -- Begin function _ZN7rocprim17ROCPRIM_400000_NS6detail17trampoline_kernelINS0_14default_configENS1_29binary_search_config_selectorIfiEEZNS1_14transform_implILb0ES3_S5_N6thrust23THRUST_200600_302600_NS6detail15normal_iteratorINS8_7pointerIfNS8_11hip_rocprim9par_det_tENS8_11use_defaultESE_EEEENSA_INSB_IiSD_SE_SE_EEEEZNS1_13binary_searchIS3_S5_NSA_INS8_10device_ptrIfEEEESG_SI_NS1_16binary_search_opENS9_16wrapped_functionINS8_6system6detail7generic6detail18binary_search_lessEbEEEE10hipError_tPvRmT1_T2_T3_mmT4_T5_P12ihipStream_tbEUlRKfE_EESV_SZ_S10_mS11_S14_bEUlT_E_NS1_11comp_targetILNS1_3genE3ELNS1_11target_archE908ELNS1_3gpuE7ELNS1_3repE0EEENS1_30default_config_static_selectorELNS0_4arch9wavefront6targetE0EEEvSY_
	.globl	_ZN7rocprim17ROCPRIM_400000_NS6detail17trampoline_kernelINS0_14default_configENS1_29binary_search_config_selectorIfiEEZNS1_14transform_implILb0ES3_S5_N6thrust23THRUST_200600_302600_NS6detail15normal_iteratorINS8_7pointerIfNS8_11hip_rocprim9par_det_tENS8_11use_defaultESE_EEEENSA_INSB_IiSD_SE_SE_EEEEZNS1_13binary_searchIS3_S5_NSA_INS8_10device_ptrIfEEEESG_SI_NS1_16binary_search_opENS9_16wrapped_functionINS8_6system6detail7generic6detail18binary_search_lessEbEEEE10hipError_tPvRmT1_T2_T3_mmT4_T5_P12ihipStream_tbEUlRKfE_EESV_SZ_S10_mS11_S14_bEUlT_E_NS1_11comp_targetILNS1_3genE3ELNS1_11target_archE908ELNS1_3gpuE7ELNS1_3repE0EEENS1_30default_config_static_selectorELNS0_4arch9wavefront6targetE0EEEvSY_
	.p2align	8
	.type	_ZN7rocprim17ROCPRIM_400000_NS6detail17trampoline_kernelINS0_14default_configENS1_29binary_search_config_selectorIfiEEZNS1_14transform_implILb0ES3_S5_N6thrust23THRUST_200600_302600_NS6detail15normal_iteratorINS8_7pointerIfNS8_11hip_rocprim9par_det_tENS8_11use_defaultESE_EEEENSA_INSB_IiSD_SE_SE_EEEEZNS1_13binary_searchIS3_S5_NSA_INS8_10device_ptrIfEEEESG_SI_NS1_16binary_search_opENS9_16wrapped_functionINS8_6system6detail7generic6detail18binary_search_lessEbEEEE10hipError_tPvRmT1_T2_T3_mmT4_T5_P12ihipStream_tbEUlRKfE_EESV_SZ_S10_mS11_S14_bEUlT_E_NS1_11comp_targetILNS1_3genE3ELNS1_11target_archE908ELNS1_3gpuE7ELNS1_3repE0EEENS1_30default_config_static_selectorELNS0_4arch9wavefront6targetE0EEEvSY_,@function
_ZN7rocprim17ROCPRIM_400000_NS6detail17trampoline_kernelINS0_14default_configENS1_29binary_search_config_selectorIfiEEZNS1_14transform_implILb0ES3_S5_N6thrust23THRUST_200600_302600_NS6detail15normal_iteratorINS8_7pointerIfNS8_11hip_rocprim9par_det_tENS8_11use_defaultESE_EEEENSA_INSB_IiSD_SE_SE_EEEEZNS1_13binary_searchIS3_S5_NSA_INS8_10device_ptrIfEEEESG_SI_NS1_16binary_search_opENS9_16wrapped_functionINS8_6system6detail7generic6detail18binary_search_lessEbEEEE10hipError_tPvRmT1_T2_T3_mmT4_T5_P12ihipStream_tbEUlRKfE_EESV_SZ_S10_mS11_S14_bEUlT_E_NS1_11comp_targetILNS1_3genE3ELNS1_11target_archE908ELNS1_3gpuE7ELNS1_3repE0EEENS1_30default_config_static_selectorELNS0_4arch9wavefront6targetE0EEEvSY_: ; @_ZN7rocprim17ROCPRIM_400000_NS6detail17trampoline_kernelINS0_14default_configENS1_29binary_search_config_selectorIfiEEZNS1_14transform_implILb0ES3_S5_N6thrust23THRUST_200600_302600_NS6detail15normal_iteratorINS8_7pointerIfNS8_11hip_rocprim9par_det_tENS8_11use_defaultESE_EEEENSA_INSB_IiSD_SE_SE_EEEEZNS1_13binary_searchIS3_S5_NSA_INS8_10device_ptrIfEEEESG_SI_NS1_16binary_search_opENS9_16wrapped_functionINS8_6system6detail7generic6detail18binary_search_lessEbEEEE10hipError_tPvRmT1_T2_T3_mmT4_T5_P12ihipStream_tbEUlRKfE_EESV_SZ_S10_mS11_S14_bEUlT_E_NS1_11comp_targetILNS1_3genE3ELNS1_11target_archE908ELNS1_3gpuE7ELNS1_3repE0EEENS1_30default_config_static_selectorELNS0_4arch9wavefront6targetE0EEEvSY_
; %bb.0:
	.section	.rodata,"a",@progbits
	.p2align	6, 0x0
	.amdhsa_kernel _ZN7rocprim17ROCPRIM_400000_NS6detail17trampoline_kernelINS0_14default_configENS1_29binary_search_config_selectorIfiEEZNS1_14transform_implILb0ES3_S5_N6thrust23THRUST_200600_302600_NS6detail15normal_iteratorINS8_7pointerIfNS8_11hip_rocprim9par_det_tENS8_11use_defaultESE_EEEENSA_INSB_IiSD_SE_SE_EEEEZNS1_13binary_searchIS3_S5_NSA_INS8_10device_ptrIfEEEESG_SI_NS1_16binary_search_opENS9_16wrapped_functionINS8_6system6detail7generic6detail18binary_search_lessEbEEEE10hipError_tPvRmT1_T2_T3_mmT4_T5_P12ihipStream_tbEUlRKfE_EESV_SZ_S10_mS11_S14_bEUlT_E_NS1_11comp_targetILNS1_3genE3ELNS1_11target_archE908ELNS1_3gpuE7ELNS1_3repE0EEENS1_30default_config_static_selectorELNS0_4arch9wavefront6targetE0EEEvSY_
		.amdhsa_group_segment_fixed_size 0
		.amdhsa_private_segment_fixed_size 0
		.amdhsa_kernarg_size 56
		.amdhsa_user_sgpr_count 6
		.amdhsa_user_sgpr_private_segment_buffer 1
		.amdhsa_user_sgpr_dispatch_ptr 0
		.amdhsa_user_sgpr_queue_ptr 0
		.amdhsa_user_sgpr_kernarg_segment_ptr 1
		.amdhsa_user_sgpr_dispatch_id 0
		.amdhsa_user_sgpr_flat_scratch_init 0
		.amdhsa_user_sgpr_private_segment_size 0
		.amdhsa_wavefront_size32 1
		.amdhsa_uses_dynamic_stack 0
		.amdhsa_system_sgpr_private_segment_wavefront_offset 0
		.amdhsa_system_sgpr_workgroup_id_x 1
		.amdhsa_system_sgpr_workgroup_id_y 0
		.amdhsa_system_sgpr_workgroup_id_z 0
		.amdhsa_system_sgpr_workgroup_info 0
		.amdhsa_system_vgpr_workitem_id 0
		.amdhsa_next_free_vgpr 1
		.amdhsa_next_free_sgpr 1
		.amdhsa_reserve_vcc 0
		.amdhsa_reserve_flat_scratch 0
		.amdhsa_float_round_mode_32 0
		.amdhsa_float_round_mode_16_64 0
		.amdhsa_float_denorm_mode_32 3
		.amdhsa_float_denorm_mode_16_64 3
		.amdhsa_dx10_clamp 1
		.amdhsa_ieee_mode 1
		.amdhsa_fp16_overflow 0
		.amdhsa_workgroup_processor_mode 1
		.amdhsa_memory_ordered 1
		.amdhsa_forward_progress 1
		.amdhsa_shared_vgpr_count 0
		.amdhsa_exception_fp_ieee_invalid_op 0
		.amdhsa_exception_fp_denorm_src 0
		.amdhsa_exception_fp_ieee_div_zero 0
		.amdhsa_exception_fp_ieee_overflow 0
		.amdhsa_exception_fp_ieee_underflow 0
		.amdhsa_exception_fp_ieee_inexact 0
		.amdhsa_exception_int_div_zero 0
	.end_amdhsa_kernel
	.section	.text._ZN7rocprim17ROCPRIM_400000_NS6detail17trampoline_kernelINS0_14default_configENS1_29binary_search_config_selectorIfiEEZNS1_14transform_implILb0ES3_S5_N6thrust23THRUST_200600_302600_NS6detail15normal_iteratorINS8_7pointerIfNS8_11hip_rocprim9par_det_tENS8_11use_defaultESE_EEEENSA_INSB_IiSD_SE_SE_EEEEZNS1_13binary_searchIS3_S5_NSA_INS8_10device_ptrIfEEEESG_SI_NS1_16binary_search_opENS9_16wrapped_functionINS8_6system6detail7generic6detail18binary_search_lessEbEEEE10hipError_tPvRmT1_T2_T3_mmT4_T5_P12ihipStream_tbEUlRKfE_EESV_SZ_S10_mS11_S14_bEUlT_E_NS1_11comp_targetILNS1_3genE3ELNS1_11target_archE908ELNS1_3gpuE7ELNS1_3repE0EEENS1_30default_config_static_selectorELNS0_4arch9wavefront6targetE0EEEvSY_,"axG",@progbits,_ZN7rocprim17ROCPRIM_400000_NS6detail17trampoline_kernelINS0_14default_configENS1_29binary_search_config_selectorIfiEEZNS1_14transform_implILb0ES3_S5_N6thrust23THRUST_200600_302600_NS6detail15normal_iteratorINS8_7pointerIfNS8_11hip_rocprim9par_det_tENS8_11use_defaultESE_EEEENSA_INSB_IiSD_SE_SE_EEEEZNS1_13binary_searchIS3_S5_NSA_INS8_10device_ptrIfEEEESG_SI_NS1_16binary_search_opENS9_16wrapped_functionINS8_6system6detail7generic6detail18binary_search_lessEbEEEE10hipError_tPvRmT1_T2_T3_mmT4_T5_P12ihipStream_tbEUlRKfE_EESV_SZ_S10_mS11_S14_bEUlT_E_NS1_11comp_targetILNS1_3genE3ELNS1_11target_archE908ELNS1_3gpuE7ELNS1_3repE0EEENS1_30default_config_static_selectorELNS0_4arch9wavefront6targetE0EEEvSY_,comdat
.Lfunc_end647:
	.size	_ZN7rocprim17ROCPRIM_400000_NS6detail17trampoline_kernelINS0_14default_configENS1_29binary_search_config_selectorIfiEEZNS1_14transform_implILb0ES3_S5_N6thrust23THRUST_200600_302600_NS6detail15normal_iteratorINS8_7pointerIfNS8_11hip_rocprim9par_det_tENS8_11use_defaultESE_EEEENSA_INSB_IiSD_SE_SE_EEEEZNS1_13binary_searchIS3_S5_NSA_INS8_10device_ptrIfEEEESG_SI_NS1_16binary_search_opENS9_16wrapped_functionINS8_6system6detail7generic6detail18binary_search_lessEbEEEE10hipError_tPvRmT1_T2_T3_mmT4_T5_P12ihipStream_tbEUlRKfE_EESV_SZ_S10_mS11_S14_bEUlT_E_NS1_11comp_targetILNS1_3genE3ELNS1_11target_archE908ELNS1_3gpuE7ELNS1_3repE0EEENS1_30default_config_static_selectorELNS0_4arch9wavefront6targetE0EEEvSY_, .Lfunc_end647-_ZN7rocprim17ROCPRIM_400000_NS6detail17trampoline_kernelINS0_14default_configENS1_29binary_search_config_selectorIfiEEZNS1_14transform_implILb0ES3_S5_N6thrust23THRUST_200600_302600_NS6detail15normal_iteratorINS8_7pointerIfNS8_11hip_rocprim9par_det_tENS8_11use_defaultESE_EEEENSA_INSB_IiSD_SE_SE_EEEEZNS1_13binary_searchIS3_S5_NSA_INS8_10device_ptrIfEEEESG_SI_NS1_16binary_search_opENS9_16wrapped_functionINS8_6system6detail7generic6detail18binary_search_lessEbEEEE10hipError_tPvRmT1_T2_T3_mmT4_T5_P12ihipStream_tbEUlRKfE_EESV_SZ_S10_mS11_S14_bEUlT_E_NS1_11comp_targetILNS1_3genE3ELNS1_11target_archE908ELNS1_3gpuE7ELNS1_3repE0EEENS1_30default_config_static_selectorELNS0_4arch9wavefront6targetE0EEEvSY_
                                        ; -- End function
	.set _ZN7rocprim17ROCPRIM_400000_NS6detail17trampoline_kernelINS0_14default_configENS1_29binary_search_config_selectorIfiEEZNS1_14transform_implILb0ES3_S5_N6thrust23THRUST_200600_302600_NS6detail15normal_iteratorINS8_7pointerIfNS8_11hip_rocprim9par_det_tENS8_11use_defaultESE_EEEENSA_INSB_IiSD_SE_SE_EEEEZNS1_13binary_searchIS3_S5_NSA_INS8_10device_ptrIfEEEESG_SI_NS1_16binary_search_opENS9_16wrapped_functionINS8_6system6detail7generic6detail18binary_search_lessEbEEEE10hipError_tPvRmT1_T2_T3_mmT4_T5_P12ihipStream_tbEUlRKfE_EESV_SZ_S10_mS11_S14_bEUlT_E_NS1_11comp_targetILNS1_3genE3ELNS1_11target_archE908ELNS1_3gpuE7ELNS1_3repE0EEENS1_30default_config_static_selectorELNS0_4arch9wavefront6targetE0EEEvSY_.num_vgpr, 0
	.set _ZN7rocprim17ROCPRIM_400000_NS6detail17trampoline_kernelINS0_14default_configENS1_29binary_search_config_selectorIfiEEZNS1_14transform_implILb0ES3_S5_N6thrust23THRUST_200600_302600_NS6detail15normal_iteratorINS8_7pointerIfNS8_11hip_rocprim9par_det_tENS8_11use_defaultESE_EEEENSA_INSB_IiSD_SE_SE_EEEEZNS1_13binary_searchIS3_S5_NSA_INS8_10device_ptrIfEEEESG_SI_NS1_16binary_search_opENS9_16wrapped_functionINS8_6system6detail7generic6detail18binary_search_lessEbEEEE10hipError_tPvRmT1_T2_T3_mmT4_T5_P12ihipStream_tbEUlRKfE_EESV_SZ_S10_mS11_S14_bEUlT_E_NS1_11comp_targetILNS1_3genE3ELNS1_11target_archE908ELNS1_3gpuE7ELNS1_3repE0EEENS1_30default_config_static_selectorELNS0_4arch9wavefront6targetE0EEEvSY_.num_agpr, 0
	.set _ZN7rocprim17ROCPRIM_400000_NS6detail17trampoline_kernelINS0_14default_configENS1_29binary_search_config_selectorIfiEEZNS1_14transform_implILb0ES3_S5_N6thrust23THRUST_200600_302600_NS6detail15normal_iteratorINS8_7pointerIfNS8_11hip_rocprim9par_det_tENS8_11use_defaultESE_EEEENSA_INSB_IiSD_SE_SE_EEEEZNS1_13binary_searchIS3_S5_NSA_INS8_10device_ptrIfEEEESG_SI_NS1_16binary_search_opENS9_16wrapped_functionINS8_6system6detail7generic6detail18binary_search_lessEbEEEE10hipError_tPvRmT1_T2_T3_mmT4_T5_P12ihipStream_tbEUlRKfE_EESV_SZ_S10_mS11_S14_bEUlT_E_NS1_11comp_targetILNS1_3genE3ELNS1_11target_archE908ELNS1_3gpuE7ELNS1_3repE0EEENS1_30default_config_static_selectorELNS0_4arch9wavefront6targetE0EEEvSY_.numbered_sgpr, 0
	.set _ZN7rocprim17ROCPRIM_400000_NS6detail17trampoline_kernelINS0_14default_configENS1_29binary_search_config_selectorIfiEEZNS1_14transform_implILb0ES3_S5_N6thrust23THRUST_200600_302600_NS6detail15normal_iteratorINS8_7pointerIfNS8_11hip_rocprim9par_det_tENS8_11use_defaultESE_EEEENSA_INSB_IiSD_SE_SE_EEEEZNS1_13binary_searchIS3_S5_NSA_INS8_10device_ptrIfEEEESG_SI_NS1_16binary_search_opENS9_16wrapped_functionINS8_6system6detail7generic6detail18binary_search_lessEbEEEE10hipError_tPvRmT1_T2_T3_mmT4_T5_P12ihipStream_tbEUlRKfE_EESV_SZ_S10_mS11_S14_bEUlT_E_NS1_11comp_targetILNS1_3genE3ELNS1_11target_archE908ELNS1_3gpuE7ELNS1_3repE0EEENS1_30default_config_static_selectorELNS0_4arch9wavefront6targetE0EEEvSY_.num_named_barrier, 0
	.set _ZN7rocprim17ROCPRIM_400000_NS6detail17trampoline_kernelINS0_14default_configENS1_29binary_search_config_selectorIfiEEZNS1_14transform_implILb0ES3_S5_N6thrust23THRUST_200600_302600_NS6detail15normal_iteratorINS8_7pointerIfNS8_11hip_rocprim9par_det_tENS8_11use_defaultESE_EEEENSA_INSB_IiSD_SE_SE_EEEEZNS1_13binary_searchIS3_S5_NSA_INS8_10device_ptrIfEEEESG_SI_NS1_16binary_search_opENS9_16wrapped_functionINS8_6system6detail7generic6detail18binary_search_lessEbEEEE10hipError_tPvRmT1_T2_T3_mmT4_T5_P12ihipStream_tbEUlRKfE_EESV_SZ_S10_mS11_S14_bEUlT_E_NS1_11comp_targetILNS1_3genE3ELNS1_11target_archE908ELNS1_3gpuE7ELNS1_3repE0EEENS1_30default_config_static_selectorELNS0_4arch9wavefront6targetE0EEEvSY_.private_seg_size, 0
	.set _ZN7rocprim17ROCPRIM_400000_NS6detail17trampoline_kernelINS0_14default_configENS1_29binary_search_config_selectorIfiEEZNS1_14transform_implILb0ES3_S5_N6thrust23THRUST_200600_302600_NS6detail15normal_iteratorINS8_7pointerIfNS8_11hip_rocprim9par_det_tENS8_11use_defaultESE_EEEENSA_INSB_IiSD_SE_SE_EEEEZNS1_13binary_searchIS3_S5_NSA_INS8_10device_ptrIfEEEESG_SI_NS1_16binary_search_opENS9_16wrapped_functionINS8_6system6detail7generic6detail18binary_search_lessEbEEEE10hipError_tPvRmT1_T2_T3_mmT4_T5_P12ihipStream_tbEUlRKfE_EESV_SZ_S10_mS11_S14_bEUlT_E_NS1_11comp_targetILNS1_3genE3ELNS1_11target_archE908ELNS1_3gpuE7ELNS1_3repE0EEENS1_30default_config_static_selectorELNS0_4arch9wavefront6targetE0EEEvSY_.uses_vcc, 0
	.set _ZN7rocprim17ROCPRIM_400000_NS6detail17trampoline_kernelINS0_14default_configENS1_29binary_search_config_selectorIfiEEZNS1_14transform_implILb0ES3_S5_N6thrust23THRUST_200600_302600_NS6detail15normal_iteratorINS8_7pointerIfNS8_11hip_rocprim9par_det_tENS8_11use_defaultESE_EEEENSA_INSB_IiSD_SE_SE_EEEEZNS1_13binary_searchIS3_S5_NSA_INS8_10device_ptrIfEEEESG_SI_NS1_16binary_search_opENS9_16wrapped_functionINS8_6system6detail7generic6detail18binary_search_lessEbEEEE10hipError_tPvRmT1_T2_T3_mmT4_T5_P12ihipStream_tbEUlRKfE_EESV_SZ_S10_mS11_S14_bEUlT_E_NS1_11comp_targetILNS1_3genE3ELNS1_11target_archE908ELNS1_3gpuE7ELNS1_3repE0EEENS1_30default_config_static_selectorELNS0_4arch9wavefront6targetE0EEEvSY_.uses_flat_scratch, 0
	.set _ZN7rocprim17ROCPRIM_400000_NS6detail17trampoline_kernelINS0_14default_configENS1_29binary_search_config_selectorIfiEEZNS1_14transform_implILb0ES3_S5_N6thrust23THRUST_200600_302600_NS6detail15normal_iteratorINS8_7pointerIfNS8_11hip_rocprim9par_det_tENS8_11use_defaultESE_EEEENSA_INSB_IiSD_SE_SE_EEEEZNS1_13binary_searchIS3_S5_NSA_INS8_10device_ptrIfEEEESG_SI_NS1_16binary_search_opENS9_16wrapped_functionINS8_6system6detail7generic6detail18binary_search_lessEbEEEE10hipError_tPvRmT1_T2_T3_mmT4_T5_P12ihipStream_tbEUlRKfE_EESV_SZ_S10_mS11_S14_bEUlT_E_NS1_11comp_targetILNS1_3genE3ELNS1_11target_archE908ELNS1_3gpuE7ELNS1_3repE0EEENS1_30default_config_static_selectorELNS0_4arch9wavefront6targetE0EEEvSY_.has_dyn_sized_stack, 0
	.set _ZN7rocprim17ROCPRIM_400000_NS6detail17trampoline_kernelINS0_14default_configENS1_29binary_search_config_selectorIfiEEZNS1_14transform_implILb0ES3_S5_N6thrust23THRUST_200600_302600_NS6detail15normal_iteratorINS8_7pointerIfNS8_11hip_rocprim9par_det_tENS8_11use_defaultESE_EEEENSA_INSB_IiSD_SE_SE_EEEEZNS1_13binary_searchIS3_S5_NSA_INS8_10device_ptrIfEEEESG_SI_NS1_16binary_search_opENS9_16wrapped_functionINS8_6system6detail7generic6detail18binary_search_lessEbEEEE10hipError_tPvRmT1_T2_T3_mmT4_T5_P12ihipStream_tbEUlRKfE_EESV_SZ_S10_mS11_S14_bEUlT_E_NS1_11comp_targetILNS1_3genE3ELNS1_11target_archE908ELNS1_3gpuE7ELNS1_3repE0EEENS1_30default_config_static_selectorELNS0_4arch9wavefront6targetE0EEEvSY_.has_recursion, 0
	.set _ZN7rocprim17ROCPRIM_400000_NS6detail17trampoline_kernelINS0_14default_configENS1_29binary_search_config_selectorIfiEEZNS1_14transform_implILb0ES3_S5_N6thrust23THRUST_200600_302600_NS6detail15normal_iteratorINS8_7pointerIfNS8_11hip_rocprim9par_det_tENS8_11use_defaultESE_EEEENSA_INSB_IiSD_SE_SE_EEEEZNS1_13binary_searchIS3_S5_NSA_INS8_10device_ptrIfEEEESG_SI_NS1_16binary_search_opENS9_16wrapped_functionINS8_6system6detail7generic6detail18binary_search_lessEbEEEE10hipError_tPvRmT1_T2_T3_mmT4_T5_P12ihipStream_tbEUlRKfE_EESV_SZ_S10_mS11_S14_bEUlT_E_NS1_11comp_targetILNS1_3genE3ELNS1_11target_archE908ELNS1_3gpuE7ELNS1_3repE0EEENS1_30default_config_static_selectorELNS0_4arch9wavefront6targetE0EEEvSY_.has_indirect_call, 0
	.section	.AMDGPU.csdata,"",@progbits
; Kernel info:
; codeLenInByte = 0
; TotalNumSgprs: 0
; NumVgprs: 0
; ScratchSize: 0
; MemoryBound: 0
; FloatMode: 240
; IeeeMode: 1
; LDSByteSize: 0 bytes/workgroup (compile time only)
; SGPRBlocks: 0
; VGPRBlocks: 0
; NumSGPRsForWavesPerEU: 1
; NumVGPRsForWavesPerEU: 1
; Occupancy: 16
; WaveLimiterHint : 0
; COMPUTE_PGM_RSRC2:SCRATCH_EN: 0
; COMPUTE_PGM_RSRC2:USER_SGPR: 6
; COMPUTE_PGM_RSRC2:TRAP_HANDLER: 0
; COMPUTE_PGM_RSRC2:TGID_X_EN: 1
; COMPUTE_PGM_RSRC2:TGID_Y_EN: 0
; COMPUTE_PGM_RSRC2:TGID_Z_EN: 0
; COMPUTE_PGM_RSRC2:TIDIG_COMP_CNT: 0
	.section	.text._ZN7rocprim17ROCPRIM_400000_NS6detail17trampoline_kernelINS0_14default_configENS1_29binary_search_config_selectorIfiEEZNS1_14transform_implILb0ES3_S5_N6thrust23THRUST_200600_302600_NS6detail15normal_iteratorINS8_7pointerIfNS8_11hip_rocprim9par_det_tENS8_11use_defaultESE_EEEENSA_INSB_IiSD_SE_SE_EEEEZNS1_13binary_searchIS3_S5_NSA_INS8_10device_ptrIfEEEESG_SI_NS1_16binary_search_opENS9_16wrapped_functionINS8_6system6detail7generic6detail18binary_search_lessEbEEEE10hipError_tPvRmT1_T2_T3_mmT4_T5_P12ihipStream_tbEUlRKfE_EESV_SZ_S10_mS11_S14_bEUlT_E_NS1_11comp_targetILNS1_3genE2ELNS1_11target_archE906ELNS1_3gpuE6ELNS1_3repE0EEENS1_30default_config_static_selectorELNS0_4arch9wavefront6targetE0EEEvSY_,"axG",@progbits,_ZN7rocprim17ROCPRIM_400000_NS6detail17trampoline_kernelINS0_14default_configENS1_29binary_search_config_selectorIfiEEZNS1_14transform_implILb0ES3_S5_N6thrust23THRUST_200600_302600_NS6detail15normal_iteratorINS8_7pointerIfNS8_11hip_rocprim9par_det_tENS8_11use_defaultESE_EEEENSA_INSB_IiSD_SE_SE_EEEEZNS1_13binary_searchIS3_S5_NSA_INS8_10device_ptrIfEEEESG_SI_NS1_16binary_search_opENS9_16wrapped_functionINS8_6system6detail7generic6detail18binary_search_lessEbEEEE10hipError_tPvRmT1_T2_T3_mmT4_T5_P12ihipStream_tbEUlRKfE_EESV_SZ_S10_mS11_S14_bEUlT_E_NS1_11comp_targetILNS1_3genE2ELNS1_11target_archE906ELNS1_3gpuE6ELNS1_3repE0EEENS1_30default_config_static_selectorELNS0_4arch9wavefront6targetE0EEEvSY_,comdat
	.protected	_ZN7rocprim17ROCPRIM_400000_NS6detail17trampoline_kernelINS0_14default_configENS1_29binary_search_config_selectorIfiEEZNS1_14transform_implILb0ES3_S5_N6thrust23THRUST_200600_302600_NS6detail15normal_iteratorINS8_7pointerIfNS8_11hip_rocprim9par_det_tENS8_11use_defaultESE_EEEENSA_INSB_IiSD_SE_SE_EEEEZNS1_13binary_searchIS3_S5_NSA_INS8_10device_ptrIfEEEESG_SI_NS1_16binary_search_opENS9_16wrapped_functionINS8_6system6detail7generic6detail18binary_search_lessEbEEEE10hipError_tPvRmT1_T2_T3_mmT4_T5_P12ihipStream_tbEUlRKfE_EESV_SZ_S10_mS11_S14_bEUlT_E_NS1_11comp_targetILNS1_3genE2ELNS1_11target_archE906ELNS1_3gpuE6ELNS1_3repE0EEENS1_30default_config_static_selectorELNS0_4arch9wavefront6targetE0EEEvSY_ ; -- Begin function _ZN7rocprim17ROCPRIM_400000_NS6detail17trampoline_kernelINS0_14default_configENS1_29binary_search_config_selectorIfiEEZNS1_14transform_implILb0ES3_S5_N6thrust23THRUST_200600_302600_NS6detail15normal_iteratorINS8_7pointerIfNS8_11hip_rocprim9par_det_tENS8_11use_defaultESE_EEEENSA_INSB_IiSD_SE_SE_EEEEZNS1_13binary_searchIS3_S5_NSA_INS8_10device_ptrIfEEEESG_SI_NS1_16binary_search_opENS9_16wrapped_functionINS8_6system6detail7generic6detail18binary_search_lessEbEEEE10hipError_tPvRmT1_T2_T3_mmT4_T5_P12ihipStream_tbEUlRKfE_EESV_SZ_S10_mS11_S14_bEUlT_E_NS1_11comp_targetILNS1_3genE2ELNS1_11target_archE906ELNS1_3gpuE6ELNS1_3repE0EEENS1_30default_config_static_selectorELNS0_4arch9wavefront6targetE0EEEvSY_
	.globl	_ZN7rocprim17ROCPRIM_400000_NS6detail17trampoline_kernelINS0_14default_configENS1_29binary_search_config_selectorIfiEEZNS1_14transform_implILb0ES3_S5_N6thrust23THRUST_200600_302600_NS6detail15normal_iteratorINS8_7pointerIfNS8_11hip_rocprim9par_det_tENS8_11use_defaultESE_EEEENSA_INSB_IiSD_SE_SE_EEEEZNS1_13binary_searchIS3_S5_NSA_INS8_10device_ptrIfEEEESG_SI_NS1_16binary_search_opENS9_16wrapped_functionINS8_6system6detail7generic6detail18binary_search_lessEbEEEE10hipError_tPvRmT1_T2_T3_mmT4_T5_P12ihipStream_tbEUlRKfE_EESV_SZ_S10_mS11_S14_bEUlT_E_NS1_11comp_targetILNS1_3genE2ELNS1_11target_archE906ELNS1_3gpuE6ELNS1_3repE0EEENS1_30default_config_static_selectorELNS0_4arch9wavefront6targetE0EEEvSY_
	.p2align	8
	.type	_ZN7rocprim17ROCPRIM_400000_NS6detail17trampoline_kernelINS0_14default_configENS1_29binary_search_config_selectorIfiEEZNS1_14transform_implILb0ES3_S5_N6thrust23THRUST_200600_302600_NS6detail15normal_iteratorINS8_7pointerIfNS8_11hip_rocprim9par_det_tENS8_11use_defaultESE_EEEENSA_INSB_IiSD_SE_SE_EEEEZNS1_13binary_searchIS3_S5_NSA_INS8_10device_ptrIfEEEESG_SI_NS1_16binary_search_opENS9_16wrapped_functionINS8_6system6detail7generic6detail18binary_search_lessEbEEEE10hipError_tPvRmT1_T2_T3_mmT4_T5_P12ihipStream_tbEUlRKfE_EESV_SZ_S10_mS11_S14_bEUlT_E_NS1_11comp_targetILNS1_3genE2ELNS1_11target_archE906ELNS1_3gpuE6ELNS1_3repE0EEENS1_30default_config_static_selectorELNS0_4arch9wavefront6targetE0EEEvSY_,@function
_ZN7rocprim17ROCPRIM_400000_NS6detail17trampoline_kernelINS0_14default_configENS1_29binary_search_config_selectorIfiEEZNS1_14transform_implILb0ES3_S5_N6thrust23THRUST_200600_302600_NS6detail15normal_iteratorINS8_7pointerIfNS8_11hip_rocprim9par_det_tENS8_11use_defaultESE_EEEENSA_INSB_IiSD_SE_SE_EEEEZNS1_13binary_searchIS3_S5_NSA_INS8_10device_ptrIfEEEESG_SI_NS1_16binary_search_opENS9_16wrapped_functionINS8_6system6detail7generic6detail18binary_search_lessEbEEEE10hipError_tPvRmT1_T2_T3_mmT4_T5_P12ihipStream_tbEUlRKfE_EESV_SZ_S10_mS11_S14_bEUlT_E_NS1_11comp_targetILNS1_3genE2ELNS1_11target_archE906ELNS1_3gpuE6ELNS1_3repE0EEENS1_30default_config_static_selectorELNS0_4arch9wavefront6targetE0EEEvSY_: ; @_ZN7rocprim17ROCPRIM_400000_NS6detail17trampoline_kernelINS0_14default_configENS1_29binary_search_config_selectorIfiEEZNS1_14transform_implILb0ES3_S5_N6thrust23THRUST_200600_302600_NS6detail15normal_iteratorINS8_7pointerIfNS8_11hip_rocprim9par_det_tENS8_11use_defaultESE_EEEENSA_INSB_IiSD_SE_SE_EEEEZNS1_13binary_searchIS3_S5_NSA_INS8_10device_ptrIfEEEESG_SI_NS1_16binary_search_opENS9_16wrapped_functionINS8_6system6detail7generic6detail18binary_search_lessEbEEEE10hipError_tPvRmT1_T2_T3_mmT4_T5_P12ihipStream_tbEUlRKfE_EESV_SZ_S10_mS11_S14_bEUlT_E_NS1_11comp_targetILNS1_3genE2ELNS1_11target_archE906ELNS1_3gpuE6ELNS1_3repE0EEENS1_30default_config_static_selectorELNS0_4arch9wavefront6targetE0EEEvSY_
; %bb.0:
	.section	.rodata,"a",@progbits
	.p2align	6, 0x0
	.amdhsa_kernel _ZN7rocprim17ROCPRIM_400000_NS6detail17trampoline_kernelINS0_14default_configENS1_29binary_search_config_selectorIfiEEZNS1_14transform_implILb0ES3_S5_N6thrust23THRUST_200600_302600_NS6detail15normal_iteratorINS8_7pointerIfNS8_11hip_rocprim9par_det_tENS8_11use_defaultESE_EEEENSA_INSB_IiSD_SE_SE_EEEEZNS1_13binary_searchIS3_S5_NSA_INS8_10device_ptrIfEEEESG_SI_NS1_16binary_search_opENS9_16wrapped_functionINS8_6system6detail7generic6detail18binary_search_lessEbEEEE10hipError_tPvRmT1_T2_T3_mmT4_T5_P12ihipStream_tbEUlRKfE_EESV_SZ_S10_mS11_S14_bEUlT_E_NS1_11comp_targetILNS1_3genE2ELNS1_11target_archE906ELNS1_3gpuE6ELNS1_3repE0EEENS1_30default_config_static_selectorELNS0_4arch9wavefront6targetE0EEEvSY_
		.amdhsa_group_segment_fixed_size 0
		.amdhsa_private_segment_fixed_size 0
		.amdhsa_kernarg_size 56
		.amdhsa_user_sgpr_count 6
		.amdhsa_user_sgpr_private_segment_buffer 1
		.amdhsa_user_sgpr_dispatch_ptr 0
		.amdhsa_user_sgpr_queue_ptr 0
		.amdhsa_user_sgpr_kernarg_segment_ptr 1
		.amdhsa_user_sgpr_dispatch_id 0
		.amdhsa_user_sgpr_flat_scratch_init 0
		.amdhsa_user_sgpr_private_segment_size 0
		.amdhsa_wavefront_size32 1
		.amdhsa_uses_dynamic_stack 0
		.amdhsa_system_sgpr_private_segment_wavefront_offset 0
		.amdhsa_system_sgpr_workgroup_id_x 1
		.amdhsa_system_sgpr_workgroup_id_y 0
		.amdhsa_system_sgpr_workgroup_id_z 0
		.amdhsa_system_sgpr_workgroup_info 0
		.amdhsa_system_vgpr_workitem_id 0
		.amdhsa_next_free_vgpr 1
		.amdhsa_next_free_sgpr 1
		.amdhsa_reserve_vcc 0
		.amdhsa_reserve_flat_scratch 0
		.amdhsa_float_round_mode_32 0
		.amdhsa_float_round_mode_16_64 0
		.amdhsa_float_denorm_mode_32 3
		.amdhsa_float_denorm_mode_16_64 3
		.amdhsa_dx10_clamp 1
		.amdhsa_ieee_mode 1
		.amdhsa_fp16_overflow 0
		.amdhsa_workgroup_processor_mode 1
		.amdhsa_memory_ordered 1
		.amdhsa_forward_progress 1
		.amdhsa_shared_vgpr_count 0
		.amdhsa_exception_fp_ieee_invalid_op 0
		.amdhsa_exception_fp_denorm_src 0
		.amdhsa_exception_fp_ieee_div_zero 0
		.amdhsa_exception_fp_ieee_overflow 0
		.amdhsa_exception_fp_ieee_underflow 0
		.amdhsa_exception_fp_ieee_inexact 0
		.amdhsa_exception_int_div_zero 0
	.end_amdhsa_kernel
	.section	.text._ZN7rocprim17ROCPRIM_400000_NS6detail17trampoline_kernelINS0_14default_configENS1_29binary_search_config_selectorIfiEEZNS1_14transform_implILb0ES3_S5_N6thrust23THRUST_200600_302600_NS6detail15normal_iteratorINS8_7pointerIfNS8_11hip_rocprim9par_det_tENS8_11use_defaultESE_EEEENSA_INSB_IiSD_SE_SE_EEEEZNS1_13binary_searchIS3_S5_NSA_INS8_10device_ptrIfEEEESG_SI_NS1_16binary_search_opENS9_16wrapped_functionINS8_6system6detail7generic6detail18binary_search_lessEbEEEE10hipError_tPvRmT1_T2_T3_mmT4_T5_P12ihipStream_tbEUlRKfE_EESV_SZ_S10_mS11_S14_bEUlT_E_NS1_11comp_targetILNS1_3genE2ELNS1_11target_archE906ELNS1_3gpuE6ELNS1_3repE0EEENS1_30default_config_static_selectorELNS0_4arch9wavefront6targetE0EEEvSY_,"axG",@progbits,_ZN7rocprim17ROCPRIM_400000_NS6detail17trampoline_kernelINS0_14default_configENS1_29binary_search_config_selectorIfiEEZNS1_14transform_implILb0ES3_S5_N6thrust23THRUST_200600_302600_NS6detail15normal_iteratorINS8_7pointerIfNS8_11hip_rocprim9par_det_tENS8_11use_defaultESE_EEEENSA_INSB_IiSD_SE_SE_EEEEZNS1_13binary_searchIS3_S5_NSA_INS8_10device_ptrIfEEEESG_SI_NS1_16binary_search_opENS9_16wrapped_functionINS8_6system6detail7generic6detail18binary_search_lessEbEEEE10hipError_tPvRmT1_T2_T3_mmT4_T5_P12ihipStream_tbEUlRKfE_EESV_SZ_S10_mS11_S14_bEUlT_E_NS1_11comp_targetILNS1_3genE2ELNS1_11target_archE906ELNS1_3gpuE6ELNS1_3repE0EEENS1_30default_config_static_selectorELNS0_4arch9wavefront6targetE0EEEvSY_,comdat
.Lfunc_end648:
	.size	_ZN7rocprim17ROCPRIM_400000_NS6detail17trampoline_kernelINS0_14default_configENS1_29binary_search_config_selectorIfiEEZNS1_14transform_implILb0ES3_S5_N6thrust23THRUST_200600_302600_NS6detail15normal_iteratorINS8_7pointerIfNS8_11hip_rocprim9par_det_tENS8_11use_defaultESE_EEEENSA_INSB_IiSD_SE_SE_EEEEZNS1_13binary_searchIS3_S5_NSA_INS8_10device_ptrIfEEEESG_SI_NS1_16binary_search_opENS9_16wrapped_functionINS8_6system6detail7generic6detail18binary_search_lessEbEEEE10hipError_tPvRmT1_T2_T3_mmT4_T5_P12ihipStream_tbEUlRKfE_EESV_SZ_S10_mS11_S14_bEUlT_E_NS1_11comp_targetILNS1_3genE2ELNS1_11target_archE906ELNS1_3gpuE6ELNS1_3repE0EEENS1_30default_config_static_selectorELNS0_4arch9wavefront6targetE0EEEvSY_, .Lfunc_end648-_ZN7rocprim17ROCPRIM_400000_NS6detail17trampoline_kernelINS0_14default_configENS1_29binary_search_config_selectorIfiEEZNS1_14transform_implILb0ES3_S5_N6thrust23THRUST_200600_302600_NS6detail15normal_iteratorINS8_7pointerIfNS8_11hip_rocprim9par_det_tENS8_11use_defaultESE_EEEENSA_INSB_IiSD_SE_SE_EEEEZNS1_13binary_searchIS3_S5_NSA_INS8_10device_ptrIfEEEESG_SI_NS1_16binary_search_opENS9_16wrapped_functionINS8_6system6detail7generic6detail18binary_search_lessEbEEEE10hipError_tPvRmT1_T2_T3_mmT4_T5_P12ihipStream_tbEUlRKfE_EESV_SZ_S10_mS11_S14_bEUlT_E_NS1_11comp_targetILNS1_3genE2ELNS1_11target_archE906ELNS1_3gpuE6ELNS1_3repE0EEENS1_30default_config_static_selectorELNS0_4arch9wavefront6targetE0EEEvSY_
                                        ; -- End function
	.set _ZN7rocprim17ROCPRIM_400000_NS6detail17trampoline_kernelINS0_14default_configENS1_29binary_search_config_selectorIfiEEZNS1_14transform_implILb0ES3_S5_N6thrust23THRUST_200600_302600_NS6detail15normal_iteratorINS8_7pointerIfNS8_11hip_rocprim9par_det_tENS8_11use_defaultESE_EEEENSA_INSB_IiSD_SE_SE_EEEEZNS1_13binary_searchIS3_S5_NSA_INS8_10device_ptrIfEEEESG_SI_NS1_16binary_search_opENS9_16wrapped_functionINS8_6system6detail7generic6detail18binary_search_lessEbEEEE10hipError_tPvRmT1_T2_T3_mmT4_T5_P12ihipStream_tbEUlRKfE_EESV_SZ_S10_mS11_S14_bEUlT_E_NS1_11comp_targetILNS1_3genE2ELNS1_11target_archE906ELNS1_3gpuE6ELNS1_3repE0EEENS1_30default_config_static_selectorELNS0_4arch9wavefront6targetE0EEEvSY_.num_vgpr, 0
	.set _ZN7rocprim17ROCPRIM_400000_NS6detail17trampoline_kernelINS0_14default_configENS1_29binary_search_config_selectorIfiEEZNS1_14transform_implILb0ES3_S5_N6thrust23THRUST_200600_302600_NS6detail15normal_iteratorINS8_7pointerIfNS8_11hip_rocprim9par_det_tENS8_11use_defaultESE_EEEENSA_INSB_IiSD_SE_SE_EEEEZNS1_13binary_searchIS3_S5_NSA_INS8_10device_ptrIfEEEESG_SI_NS1_16binary_search_opENS9_16wrapped_functionINS8_6system6detail7generic6detail18binary_search_lessEbEEEE10hipError_tPvRmT1_T2_T3_mmT4_T5_P12ihipStream_tbEUlRKfE_EESV_SZ_S10_mS11_S14_bEUlT_E_NS1_11comp_targetILNS1_3genE2ELNS1_11target_archE906ELNS1_3gpuE6ELNS1_3repE0EEENS1_30default_config_static_selectorELNS0_4arch9wavefront6targetE0EEEvSY_.num_agpr, 0
	.set _ZN7rocprim17ROCPRIM_400000_NS6detail17trampoline_kernelINS0_14default_configENS1_29binary_search_config_selectorIfiEEZNS1_14transform_implILb0ES3_S5_N6thrust23THRUST_200600_302600_NS6detail15normal_iteratorINS8_7pointerIfNS8_11hip_rocprim9par_det_tENS8_11use_defaultESE_EEEENSA_INSB_IiSD_SE_SE_EEEEZNS1_13binary_searchIS3_S5_NSA_INS8_10device_ptrIfEEEESG_SI_NS1_16binary_search_opENS9_16wrapped_functionINS8_6system6detail7generic6detail18binary_search_lessEbEEEE10hipError_tPvRmT1_T2_T3_mmT4_T5_P12ihipStream_tbEUlRKfE_EESV_SZ_S10_mS11_S14_bEUlT_E_NS1_11comp_targetILNS1_3genE2ELNS1_11target_archE906ELNS1_3gpuE6ELNS1_3repE0EEENS1_30default_config_static_selectorELNS0_4arch9wavefront6targetE0EEEvSY_.numbered_sgpr, 0
	.set _ZN7rocprim17ROCPRIM_400000_NS6detail17trampoline_kernelINS0_14default_configENS1_29binary_search_config_selectorIfiEEZNS1_14transform_implILb0ES3_S5_N6thrust23THRUST_200600_302600_NS6detail15normal_iteratorINS8_7pointerIfNS8_11hip_rocprim9par_det_tENS8_11use_defaultESE_EEEENSA_INSB_IiSD_SE_SE_EEEEZNS1_13binary_searchIS3_S5_NSA_INS8_10device_ptrIfEEEESG_SI_NS1_16binary_search_opENS9_16wrapped_functionINS8_6system6detail7generic6detail18binary_search_lessEbEEEE10hipError_tPvRmT1_T2_T3_mmT4_T5_P12ihipStream_tbEUlRKfE_EESV_SZ_S10_mS11_S14_bEUlT_E_NS1_11comp_targetILNS1_3genE2ELNS1_11target_archE906ELNS1_3gpuE6ELNS1_3repE0EEENS1_30default_config_static_selectorELNS0_4arch9wavefront6targetE0EEEvSY_.num_named_barrier, 0
	.set _ZN7rocprim17ROCPRIM_400000_NS6detail17trampoline_kernelINS0_14default_configENS1_29binary_search_config_selectorIfiEEZNS1_14transform_implILb0ES3_S5_N6thrust23THRUST_200600_302600_NS6detail15normal_iteratorINS8_7pointerIfNS8_11hip_rocprim9par_det_tENS8_11use_defaultESE_EEEENSA_INSB_IiSD_SE_SE_EEEEZNS1_13binary_searchIS3_S5_NSA_INS8_10device_ptrIfEEEESG_SI_NS1_16binary_search_opENS9_16wrapped_functionINS8_6system6detail7generic6detail18binary_search_lessEbEEEE10hipError_tPvRmT1_T2_T3_mmT4_T5_P12ihipStream_tbEUlRKfE_EESV_SZ_S10_mS11_S14_bEUlT_E_NS1_11comp_targetILNS1_3genE2ELNS1_11target_archE906ELNS1_3gpuE6ELNS1_3repE0EEENS1_30default_config_static_selectorELNS0_4arch9wavefront6targetE0EEEvSY_.private_seg_size, 0
	.set _ZN7rocprim17ROCPRIM_400000_NS6detail17trampoline_kernelINS0_14default_configENS1_29binary_search_config_selectorIfiEEZNS1_14transform_implILb0ES3_S5_N6thrust23THRUST_200600_302600_NS6detail15normal_iteratorINS8_7pointerIfNS8_11hip_rocprim9par_det_tENS8_11use_defaultESE_EEEENSA_INSB_IiSD_SE_SE_EEEEZNS1_13binary_searchIS3_S5_NSA_INS8_10device_ptrIfEEEESG_SI_NS1_16binary_search_opENS9_16wrapped_functionINS8_6system6detail7generic6detail18binary_search_lessEbEEEE10hipError_tPvRmT1_T2_T3_mmT4_T5_P12ihipStream_tbEUlRKfE_EESV_SZ_S10_mS11_S14_bEUlT_E_NS1_11comp_targetILNS1_3genE2ELNS1_11target_archE906ELNS1_3gpuE6ELNS1_3repE0EEENS1_30default_config_static_selectorELNS0_4arch9wavefront6targetE0EEEvSY_.uses_vcc, 0
	.set _ZN7rocprim17ROCPRIM_400000_NS6detail17trampoline_kernelINS0_14default_configENS1_29binary_search_config_selectorIfiEEZNS1_14transform_implILb0ES3_S5_N6thrust23THRUST_200600_302600_NS6detail15normal_iteratorINS8_7pointerIfNS8_11hip_rocprim9par_det_tENS8_11use_defaultESE_EEEENSA_INSB_IiSD_SE_SE_EEEEZNS1_13binary_searchIS3_S5_NSA_INS8_10device_ptrIfEEEESG_SI_NS1_16binary_search_opENS9_16wrapped_functionINS8_6system6detail7generic6detail18binary_search_lessEbEEEE10hipError_tPvRmT1_T2_T3_mmT4_T5_P12ihipStream_tbEUlRKfE_EESV_SZ_S10_mS11_S14_bEUlT_E_NS1_11comp_targetILNS1_3genE2ELNS1_11target_archE906ELNS1_3gpuE6ELNS1_3repE0EEENS1_30default_config_static_selectorELNS0_4arch9wavefront6targetE0EEEvSY_.uses_flat_scratch, 0
	.set _ZN7rocprim17ROCPRIM_400000_NS6detail17trampoline_kernelINS0_14default_configENS1_29binary_search_config_selectorIfiEEZNS1_14transform_implILb0ES3_S5_N6thrust23THRUST_200600_302600_NS6detail15normal_iteratorINS8_7pointerIfNS8_11hip_rocprim9par_det_tENS8_11use_defaultESE_EEEENSA_INSB_IiSD_SE_SE_EEEEZNS1_13binary_searchIS3_S5_NSA_INS8_10device_ptrIfEEEESG_SI_NS1_16binary_search_opENS9_16wrapped_functionINS8_6system6detail7generic6detail18binary_search_lessEbEEEE10hipError_tPvRmT1_T2_T3_mmT4_T5_P12ihipStream_tbEUlRKfE_EESV_SZ_S10_mS11_S14_bEUlT_E_NS1_11comp_targetILNS1_3genE2ELNS1_11target_archE906ELNS1_3gpuE6ELNS1_3repE0EEENS1_30default_config_static_selectorELNS0_4arch9wavefront6targetE0EEEvSY_.has_dyn_sized_stack, 0
	.set _ZN7rocprim17ROCPRIM_400000_NS6detail17trampoline_kernelINS0_14default_configENS1_29binary_search_config_selectorIfiEEZNS1_14transform_implILb0ES3_S5_N6thrust23THRUST_200600_302600_NS6detail15normal_iteratorINS8_7pointerIfNS8_11hip_rocprim9par_det_tENS8_11use_defaultESE_EEEENSA_INSB_IiSD_SE_SE_EEEEZNS1_13binary_searchIS3_S5_NSA_INS8_10device_ptrIfEEEESG_SI_NS1_16binary_search_opENS9_16wrapped_functionINS8_6system6detail7generic6detail18binary_search_lessEbEEEE10hipError_tPvRmT1_T2_T3_mmT4_T5_P12ihipStream_tbEUlRKfE_EESV_SZ_S10_mS11_S14_bEUlT_E_NS1_11comp_targetILNS1_3genE2ELNS1_11target_archE906ELNS1_3gpuE6ELNS1_3repE0EEENS1_30default_config_static_selectorELNS0_4arch9wavefront6targetE0EEEvSY_.has_recursion, 0
	.set _ZN7rocprim17ROCPRIM_400000_NS6detail17trampoline_kernelINS0_14default_configENS1_29binary_search_config_selectorIfiEEZNS1_14transform_implILb0ES3_S5_N6thrust23THRUST_200600_302600_NS6detail15normal_iteratorINS8_7pointerIfNS8_11hip_rocprim9par_det_tENS8_11use_defaultESE_EEEENSA_INSB_IiSD_SE_SE_EEEEZNS1_13binary_searchIS3_S5_NSA_INS8_10device_ptrIfEEEESG_SI_NS1_16binary_search_opENS9_16wrapped_functionINS8_6system6detail7generic6detail18binary_search_lessEbEEEE10hipError_tPvRmT1_T2_T3_mmT4_T5_P12ihipStream_tbEUlRKfE_EESV_SZ_S10_mS11_S14_bEUlT_E_NS1_11comp_targetILNS1_3genE2ELNS1_11target_archE906ELNS1_3gpuE6ELNS1_3repE0EEENS1_30default_config_static_selectorELNS0_4arch9wavefront6targetE0EEEvSY_.has_indirect_call, 0
	.section	.AMDGPU.csdata,"",@progbits
; Kernel info:
; codeLenInByte = 0
; TotalNumSgprs: 0
; NumVgprs: 0
; ScratchSize: 0
; MemoryBound: 0
; FloatMode: 240
; IeeeMode: 1
; LDSByteSize: 0 bytes/workgroup (compile time only)
; SGPRBlocks: 0
; VGPRBlocks: 0
; NumSGPRsForWavesPerEU: 1
; NumVGPRsForWavesPerEU: 1
; Occupancy: 16
; WaveLimiterHint : 0
; COMPUTE_PGM_RSRC2:SCRATCH_EN: 0
; COMPUTE_PGM_RSRC2:USER_SGPR: 6
; COMPUTE_PGM_RSRC2:TRAP_HANDLER: 0
; COMPUTE_PGM_RSRC2:TGID_X_EN: 1
; COMPUTE_PGM_RSRC2:TGID_Y_EN: 0
; COMPUTE_PGM_RSRC2:TGID_Z_EN: 0
; COMPUTE_PGM_RSRC2:TIDIG_COMP_CNT: 0
	.section	.text._ZN7rocprim17ROCPRIM_400000_NS6detail17trampoline_kernelINS0_14default_configENS1_29binary_search_config_selectorIfiEEZNS1_14transform_implILb0ES3_S5_N6thrust23THRUST_200600_302600_NS6detail15normal_iteratorINS8_7pointerIfNS8_11hip_rocprim9par_det_tENS8_11use_defaultESE_EEEENSA_INSB_IiSD_SE_SE_EEEEZNS1_13binary_searchIS3_S5_NSA_INS8_10device_ptrIfEEEESG_SI_NS1_16binary_search_opENS9_16wrapped_functionINS8_6system6detail7generic6detail18binary_search_lessEbEEEE10hipError_tPvRmT1_T2_T3_mmT4_T5_P12ihipStream_tbEUlRKfE_EESV_SZ_S10_mS11_S14_bEUlT_E_NS1_11comp_targetILNS1_3genE10ELNS1_11target_archE1201ELNS1_3gpuE5ELNS1_3repE0EEENS1_30default_config_static_selectorELNS0_4arch9wavefront6targetE0EEEvSY_,"axG",@progbits,_ZN7rocprim17ROCPRIM_400000_NS6detail17trampoline_kernelINS0_14default_configENS1_29binary_search_config_selectorIfiEEZNS1_14transform_implILb0ES3_S5_N6thrust23THRUST_200600_302600_NS6detail15normal_iteratorINS8_7pointerIfNS8_11hip_rocprim9par_det_tENS8_11use_defaultESE_EEEENSA_INSB_IiSD_SE_SE_EEEEZNS1_13binary_searchIS3_S5_NSA_INS8_10device_ptrIfEEEESG_SI_NS1_16binary_search_opENS9_16wrapped_functionINS8_6system6detail7generic6detail18binary_search_lessEbEEEE10hipError_tPvRmT1_T2_T3_mmT4_T5_P12ihipStream_tbEUlRKfE_EESV_SZ_S10_mS11_S14_bEUlT_E_NS1_11comp_targetILNS1_3genE10ELNS1_11target_archE1201ELNS1_3gpuE5ELNS1_3repE0EEENS1_30default_config_static_selectorELNS0_4arch9wavefront6targetE0EEEvSY_,comdat
	.protected	_ZN7rocprim17ROCPRIM_400000_NS6detail17trampoline_kernelINS0_14default_configENS1_29binary_search_config_selectorIfiEEZNS1_14transform_implILb0ES3_S5_N6thrust23THRUST_200600_302600_NS6detail15normal_iteratorINS8_7pointerIfNS8_11hip_rocprim9par_det_tENS8_11use_defaultESE_EEEENSA_INSB_IiSD_SE_SE_EEEEZNS1_13binary_searchIS3_S5_NSA_INS8_10device_ptrIfEEEESG_SI_NS1_16binary_search_opENS9_16wrapped_functionINS8_6system6detail7generic6detail18binary_search_lessEbEEEE10hipError_tPvRmT1_T2_T3_mmT4_T5_P12ihipStream_tbEUlRKfE_EESV_SZ_S10_mS11_S14_bEUlT_E_NS1_11comp_targetILNS1_3genE10ELNS1_11target_archE1201ELNS1_3gpuE5ELNS1_3repE0EEENS1_30default_config_static_selectorELNS0_4arch9wavefront6targetE0EEEvSY_ ; -- Begin function _ZN7rocprim17ROCPRIM_400000_NS6detail17trampoline_kernelINS0_14default_configENS1_29binary_search_config_selectorIfiEEZNS1_14transform_implILb0ES3_S5_N6thrust23THRUST_200600_302600_NS6detail15normal_iteratorINS8_7pointerIfNS8_11hip_rocprim9par_det_tENS8_11use_defaultESE_EEEENSA_INSB_IiSD_SE_SE_EEEEZNS1_13binary_searchIS3_S5_NSA_INS8_10device_ptrIfEEEESG_SI_NS1_16binary_search_opENS9_16wrapped_functionINS8_6system6detail7generic6detail18binary_search_lessEbEEEE10hipError_tPvRmT1_T2_T3_mmT4_T5_P12ihipStream_tbEUlRKfE_EESV_SZ_S10_mS11_S14_bEUlT_E_NS1_11comp_targetILNS1_3genE10ELNS1_11target_archE1201ELNS1_3gpuE5ELNS1_3repE0EEENS1_30default_config_static_selectorELNS0_4arch9wavefront6targetE0EEEvSY_
	.globl	_ZN7rocprim17ROCPRIM_400000_NS6detail17trampoline_kernelINS0_14default_configENS1_29binary_search_config_selectorIfiEEZNS1_14transform_implILb0ES3_S5_N6thrust23THRUST_200600_302600_NS6detail15normal_iteratorINS8_7pointerIfNS8_11hip_rocprim9par_det_tENS8_11use_defaultESE_EEEENSA_INSB_IiSD_SE_SE_EEEEZNS1_13binary_searchIS3_S5_NSA_INS8_10device_ptrIfEEEESG_SI_NS1_16binary_search_opENS9_16wrapped_functionINS8_6system6detail7generic6detail18binary_search_lessEbEEEE10hipError_tPvRmT1_T2_T3_mmT4_T5_P12ihipStream_tbEUlRKfE_EESV_SZ_S10_mS11_S14_bEUlT_E_NS1_11comp_targetILNS1_3genE10ELNS1_11target_archE1201ELNS1_3gpuE5ELNS1_3repE0EEENS1_30default_config_static_selectorELNS0_4arch9wavefront6targetE0EEEvSY_
	.p2align	8
	.type	_ZN7rocprim17ROCPRIM_400000_NS6detail17trampoline_kernelINS0_14default_configENS1_29binary_search_config_selectorIfiEEZNS1_14transform_implILb0ES3_S5_N6thrust23THRUST_200600_302600_NS6detail15normal_iteratorINS8_7pointerIfNS8_11hip_rocprim9par_det_tENS8_11use_defaultESE_EEEENSA_INSB_IiSD_SE_SE_EEEEZNS1_13binary_searchIS3_S5_NSA_INS8_10device_ptrIfEEEESG_SI_NS1_16binary_search_opENS9_16wrapped_functionINS8_6system6detail7generic6detail18binary_search_lessEbEEEE10hipError_tPvRmT1_T2_T3_mmT4_T5_P12ihipStream_tbEUlRKfE_EESV_SZ_S10_mS11_S14_bEUlT_E_NS1_11comp_targetILNS1_3genE10ELNS1_11target_archE1201ELNS1_3gpuE5ELNS1_3repE0EEENS1_30default_config_static_selectorELNS0_4arch9wavefront6targetE0EEEvSY_,@function
_ZN7rocprim17ROCPRIM_400000_NS6detail17trampoline_kernelINS0_14default_configENS1_29binary_search_config_selectorIfiEEZNS1_14transform_implILb0ES3_S5_N6thrust23THRUST_200600_302600_NS6detail15normal_iteratorINS8_7pointerIfNS8_11hip_rocprim9par_det_tENS8_11use_defaultESE_EEEENSA_INSB_IiSD_SE_SE_EEEEZNS1_13binary_searchIS3_S5_NSA_INS8_10device_ptrIfEEEESG_SI_NS1_16binary_search_opENS9_16wrapped_functionINS8_6system6detail7generic6detail18binary_search_lessEbEEEE10hipError_tPvRmT1_T2_T3_mmT4_T5_P12ihipStream_tbEUlRKfE_EESV_SZ_S10_mS11_S14_bEUlT_E_NS1_11comp_targetILNS1_3genE10ELNS1_11target_archE1201ELNS1_3gpuE5ELNS1_3repE0EEENS1_30default_config_static_selectorELNS0_4arch9wavefront6targetE0EEEvSY_: ; @_ZN7rocprim17ROCPRIM_400000_NS6detail17trampoline_kernelINS0_14default_configENS1_29binary_search_config_selectorIfiEEZNS1_14transform_implILb0ES3_S5_N6thrust23THRUST_200600_302600_NS6detail15normal_iteratorINS8_7pointerIfNS8_11hip_rocprim9par_det_tENS8_11use_defaultESE_EEEENSA_INSB_IiSD_SE_SE_EEEEZNS1_13binary_searchIS3_S5_NSA_INS8_10device_ptrIfEEEESG_SI_NS1_16binary_search_opENS9_16wrapped_functionINS8_6system6detail7generic6detail18binary_search_lessEbEEEE10hipError_tPvRmT1_T2_T3_mmT4_T5_P12ihipStream_tbEUlRKfE_EESV_SZ_S10_mS11_S14_bEUlT_E_NS1_11comp_targetILNS1_3genE10ELNS1_11target_archE1201ELNS1_3gpuE5ELNS1_3repE0EEENS1_30default_config_static_selectorELNS0_4arch9wavefront6targetE0EEEvSY_
; %bb.0:
	.section	.rodata,"a",@progbits
	.p2align	6, 0x0
	.amdhsa_kernel _ZN7rocprim17ROCPRIM_400000_NS6detail17trampoline_kernelINS0_14default_configENS1_29binary_search_config_selectorIfiEEZNS1_14transform_implILb0ES3_S5_N6thrust23THRUST_200600_302600_NS6detail15normal_iteratorINS8_7pointerIfNS8_11hip_rocprim9par_det_tENS8_11use_defaultESE_EEEENSA_INSB_IiSD_SE_SE_EEEEZNS1_13binary_searchIS3_S5_NSA_INS8_10device_ptrIfEEEESG_SI_NS1_16binary_search_opENS9_16wrapped_functionINS8_6system6detail7generic6detail18binary_search_lessEbEEEE10hipError_tPvRmT1_T2_T3_mmT4_T5_P12ihipStream_tbEUlRKfE_EESV_SZ_S10_mS11_S14_bEUlT_E_NS1_11comp_targetILNS1_3genE10ELNS1_11target_archE1201ELNS1_3gpuE5ELNS1_3repE0EEENS1_30default_config_static_selectorELNS0_4arch9wavefront6targetE0EEEvSY_
		.amdhsa_group_segment_fixed_size 0
		.amdhsa_private_segment_fixed_size 0
		.amdhsa_kernarg_size 56
		.amdhsa_user_sgpr_count 6
		.amdhsa_user_sgpr_private_segment_buffer 1
		.amdhsa_user_sgpr_dispatch_ptr 0
		.amdhsa_user_sgpr_queue_ptr 0
		.amdhsa_user_sgpr_kernarg_segment_ptr 1
		.amdhsa_user_sgpr_dispatch_id 0
		.amdhsa_user_sgpr_flat_scratch_init 0
		.amdhsa_user_sgpr_private_segment_size 0
		.amdhsa_wavefront_size32 1
		.amdhsa_uses_dynamic_stack 0
		.amdhsa_system_sgpr_private_segment_wavefront_offset 0
		.amdhsa_system_sgpr_workgroup_id_x 1
		.amdhsa_system_sgpr_workgroup_id_y 0
		.amdhsa_system_sgpr_workgroup_id_z 0
		.amdhsa_system_sgpr_workgroup_info 0
		.amdhsa_system_vgpr_workitem_id 0
		.amdhsa_next_free_vgpr 1
		.amdhsa_next_free_sgpr 1
		.amdhsa_reserve_vcc 0
		.amdhsa_reserve_flat_scratch 0
		.amdhsa_float_round_mode_32 0
		.amdhsa_float_round_mode_16_64 0
		.amdhsa_float_denorm_mode_32 3
		.amdhsa_float_denorm_mode_16_64 3
		.amdhsa_dx10_clamp 1
		.amdhsa_ieee_mode 1
		.amdhsa_fp16_overflow 0
		.amdhsa_workgroup_processor_mode 1
		.amdhsa_memory_ordered 1
		.amdhsa_forward_progress 1
		.amdhsa_shared_vgpr_count 0
		.amdhsa_exception_fp_ieee_invalid_op 0
		.amdhsa_exception_fp_denorm_src 0
		.amdhsa_exception_fp_ieee_div_zero 0
		.amdhsa_exception_fp_ieee_overflow 0
		.amdhsa_exception_fp_ieee_underflow 0
		.amdhsa_exception_fp_ieee_inexact 0
		.amdhsa_exception_int_div_zero 0
	.end_amdhsa_kernel
	.section	.text._ZN7rocprim17ROCPRIM_400000_NS6detail17trampoline_kernelINS0_14default_configENS1_29binary_search_config_selectorIfiEEZNS1_14transform_implILb0ES3_S5_N6thrust23THRUST_200600_302600_NS6detail15normal_iteratorINS8_7pointerIfNS8_11hip_rocprim9par_det_tENS8_11use_defaultESE_EEEENSA_INSB_IiSD_SE_SE_EEEEZNS1_13binary_searchIS3_S5_NSA_INS8_10device_ptrIfEEEESG_SI_NS1_16binary_search_opENS9_16wrapped_functionINS8_6system6detail7generic6detail18binary_search_lessEbEEEE10hipError_tPvRmT1_T2_T3_mmT4_T5_P12ihipStream_tbEUlRKfE_EESV_SZ_S10_mS11_S14_bEUlT_E_NS1_11comp_targetILNS1_3genE10ELNS1_11target_archE1201ELNS1_3gpuE5ELNS1_3repE0EEENS1_30default_config_static_selectorELNS0_4arch9wavefront6targetE0EEEvSY_,"axG",@progbits,_ZN7rocprim17ROCPRIM_400000_NS6detail17trampoline_kernelINS0_14default_configENS1_29binary_search_config_selectorIfiEEZNS1_14transform_implILb0ES3_S5_N6thrust23THRUST_200600_302600_NS6detail15normal_iteratorINS8_7pointerIfNS8_11hip_rocprim9par_det_tENS8_11use_defaultESE_EEEENSA_INSB_IiSD_SE_SE_EEEEZNS1_13binary_searchIS3_S5_NSA_INS8_10device_ptrIfEEEESG_SI_NS1_16binary_search_opENS9_16wrapped_functionINS8_6system6detail7generic6detail18binary_search_lessEbEEEE10hipError_tPvRmT1_T2_T3_mmT4_T5_P12ihipStream_tbEUlRKfE_EESV_SZ_S10_mS11_S14_bEUlT_E_NS1_11comp_targetILNS1_3genE10ELNS1_11target_archE1201ELNS1_3gpuE5ELNS1_3repE0EEENS1_30default_config_static_selectorELNS0_4arch9wavefront6targetE0EEEvSY_,comdat
.Lfunc_end649:
	.size	_ZN7rocprim17ROCPRIM_400000_NS6detail17trampoline_kernelINS0_14default_configENS1_29binary_search_config_selectorIfiEEZNS1_14transform_implILb0ES3_S5_N6thrust23THRUST_200600_302600_NS6detail15normal_iteratorINS8_7pointerIfNS8_11hip_rocprim9par_det_tENS8_11use_defaultESE_EEEENSA_INSB_IiSD_SE_SE_EEEEZNS1_13binary_searchIS3_S5_NSA_INS8_10device_ptrIfEEEESG_SI_NS1_16binary_search_opENS9_16wrapped_functionINS8_6system6detail7generic6detail18binary_search_lessEbEEEE10hipError_tPvRmT1_T2_T3_mmT4_T5_P12ihipStream_tbEUlRKfE_EESV_SZ_S10_mS11_S14_bEUlT_E_NS1_11comp_targetILNS1_3genE10ELNS1_11target_archE1201ELNS1_3gpuE5ELNS1_3repE0EEENS1_30default_config_static_selectorELNS0_4arch9wavefront6targetE0EEEvSY_, .Lfunc_end649-_ZN7rocprim17ROCPRIM_400000_NS6detail17trampoline_kernelINS0_14default_configENS1_29binary_search_config_selectorIfiEEZNS1_14transform_implILb0ES3_S5_N6thrust23THRUST_200600_302600_NS6detail15normal_iteratorINS8_7pointerIfNS8_11hip_rocprim9par_det_tENS8_11use_defaultESE_EEEENSA_INSB_IiSD_SE_SE_EEEEZNS1_13binary_searchIS3_S5_NSA_INS8_10device_ptrIfEEEESG_SI_NS1_16binary_search_opENS9_16wrapped_functionINS8_6system6detail7generic6detail18binary_search_lessEbEEEE10hipError_tPvRmT1_T2_T3_mmT4_T5_P12ihipStream_tbEUlRKfE_EESV_SZ_S10_mS11_S14_bEUlT_E_NS1_11comp_targetILNS1_3genE10ELNS1_11target_archE1201ELNS1_3gpuE5ELNS1_3repE0EEENS1_30default_config_static_selectorELNS0_4arch9wavefront6targetE0EEEvSY_
                                        ; -- End function
	.set _ZN7rocprim17ROCPRIM_400000_NS6detail17trampoline_kernelINS0_14default_configENS1_29binary_search_config_selectorIfiEEZNS1_14transform_implILb0ES3_S5_N6thrust23THRUST_200600_302600_NS6detail15normal_iteratorINS8_7pointerIfNS8_11hip_rocprim9par_det_tENS8_11use_defaultESE_EEEENSA_INSB_IiSD_SE_SE_EEEEZNS1_13binary_searchIS3_S5_NSA_INS8_10device_ptrIfEEEESG_SI_NS1_16binary_search_opENS9_16wrapped_functionINS8_6system6detail7generic6detail18binary_search_lessEbEEEE10hipError_tPvRmT1_T2_T3_mmT4_T5_P12ihipStream_tbEUlRKfE_EESV_SZ_S10_mS11_S14_bEUlT_E_NS1_11comp_targetILNS1_3genE10ELNS1_11target_archE1201ELNS1_3gpuE5ELNS1_3repE0EEENS1_30default_config_static_selectorELNS0_4arch9wavefront6targetE0EEEvSY_.num_vgpr, 0
	.set _ZN7rocprim17ROCPRIM_400000_NS6detail17trampoline_kernelINS0_14default_configENS1_29binary_search_config_selectorIfiEEZNS1_14transform_implILb0ES3_S5_N6thrust23THRUST_200600_302600_NS6detail15normal_iteratorINS8_7pointerIfNS8_11hip_rocprim9par_det_tENS8_11use_defaultESE_EEEENSA_INSB_IiSD_SE_SE_EEEEZNS1_13binary_searchIS3_S5_NSA_INS8_10device_ptrIfEEEESG_SI_NS1_16binary_search_opENS9_16wrapped_functionINS8_6system6detail7generic6detail18binary_search_lessEbEEEE10hipError_tPvRmT1_T2_T3_mmT4_T5_P12ihipStream_tbEUlRKfE_EESV_SZ_S10_mS11_S14_bEUlT_E_NS1_11comp_targetILNS1_3genE10ELNS1_11target_archE1201ELNS1_3gpuE5ELNS1_3repE0EEENS1_30default_config_static_selectorELNS0_4arch9wavefront6targetE0EEEvSY_.num_agpr, 0
	.set _ZN7rocprim17ROCPRIM_400000_NS6detail17trampoline_kernelINS0_14default_configENS1_29binary_search_config_selectorIfiEEZNS1_14transform_implILb0ES3_S5_N6thrust23THRUST_200600_302600_NS6detail15normal_iteratorINS8_7pointerIfNS8_11hip_rocprim9par_det_tENS8_11use_defaultESE_EEEENSA_INSB_IiSD_SE_SE_EEEEZNS1_13binary_searchIS3_S5_NSA_INS8_10device_ptrIfEEEESG_SI_NS1_16binary_search_opENS9_16wrapped_functionINS8_6system6detail7generic6detail18binary_search_lessEbEEEE10hipError_tPvRmT1_T2_T3_mmT4_T5_P12ihipStream_tbEUlRKfE_EESV_SZ_S10_mS11_S14_bEUlT_E_NS1_11comp_targetILNS1_3genE10ELNS1_11target_archE1201ELNS1_3gpuE5ELNS1_3repE0EEENS1_30default_config_static_selectorELNS0_4arch9wavefront6targetE0EEEvSY_.numbered_sgpr, 0
	.set _ZN7rocprim17ROCPRIM_400000_NS6detail17trampoline_kernelINS0_14default_configENS1_29binary_search_config_selectorIfiEEZNS1_14transform_implILb0ES3_S5_N6thrust23THRUST_200600_302600_NS6detail15normal_iteratorINS8_7pointerIfNS8_11hip_rocprim9par_det_tENS8_11use_defaultESE_EEEENSA_INSB_IiSD_SE_SE_EEEEZNS1_13binary_searchIS3_S5_NSA_INS8_10device_ptrIfEEEESG_SI_NS1_16binary_search_opENS9_16wrapped_functionINS8_6system6detail7generic6detail18binary_search_lessEbEEEE10hipError_tPvRmT1_T2_T3_mmT4_T5_P12ihipStream_tbEUlRKfE_EESV_SZ_S10_mS11_S14_bEUlT_E_NS1_11comp_targetILNS1_3genE10ELNS1_11target_archE1201ELNS1_3gpuE5ELNS1_3repE0EEENS1_30default_config_static_selectorELNS0_4arch9wavefront6targetE0EEEvSY_.num_named_barrier, 0
	.set _ZN7rocprim17ROCPRIM_400000_NS6detail17trampoline_kernelINS0_14default_configENS1_29binary_search_config_selectorIfiEEZNS1_14transform_implILb0ES3_S5_N6thrust23THRUST_200600_302600_NS6detail15normal_iteratorINS8_7pointerIfNS8_11hip_rocprim9par_det_tENS8_11use_defaultESE_EEEENSA_INSB_IiSD_SE_SE_EEEEZNS1_13binary_searchIS3_S5_NSA_INS8_10device_ptrIfEEEESG_SI_NS1_16binary_search_opENS9_16wrapped_functionINS8_6system6detail7generic6detail18binary_search_lessEbEEEE10hipError_tPvRmT1_T2_T3_mmT4_T5_P12ihipStream_tbEUlRKfE_EESV_SZ_S10_mS11_S14_bEUlT_E_NS1_11comp_targetILNS1_3genE10ELNS1_11target_archE1201ELNS1_3gpuE5ELNS1_3repE0EEENS1_30default_config_static_selectorELNS0_4arch9wavefront6targetE0EEEvSY_.private_seg_size, 0
	.set _ZN7rocprim17ROCPRIM_400000_NS6detail17trampoline_kernelINS0_14default_configENS1_29binary_search_config_selectorIfiEEZNS1_14transform_implILb0ES3_S5_N6thrust23THRUST_200600_302600_NS6detail15normal_iteratorINS8_7pointerIfNS8_11hip_rocprim9par_det_tENS8_11use_defaultESE_EEEENSA_INSB_IiSD_SE_SE_EEEEZNS1_13binary_searchIS3_S5_NSA_INS8_10device_ptrIfEEEESG_SI_NS1_16binary_search_opENS9_16wrapped_functionINS8_6system6detail7generic6detail18binary_search_lessEbEEEE10hipError_tPvRmT1_T2_T3_mmT4_T5_P12ihipStream_tbEUlRKfE_EESV_SZ_S10_mS11_S14_bEUlT_E_NS1_11comp_targetILNS1_3genE10ELNS1_11target_archE1201ELNS1_3gpuE5ELNS1_3repE0EEENS1_30default_config_static_selectorELNS0_4arch9wavefront6targetE0EEEvSY_.uses_vcc, 0
	.set _ZN7rocprim17ROCPRIM_400000_NS6detail17trampoline_kernelINS0_14default_configENS1_29binary_search_config_selectorIfiEEZNS1_14transform_implILb0ES3_S5_N6thrust23THRUST_200600_302600_NS6detail15normal_iteratorINS8_7pointerIfNS8_11hip_rocprim9par_det_tENS8_11use_defaultESE_EEEENSA_INSB_IiSD_SE_SE_EEEEZNS1_13binary_searchIS3_S5_NSA_INS8_10device_ptrIfEEEESG_SI_NS1_16binary_search_opENS9_16wrapped_functionINS8_6system6detail7generic6detail18binary_search_lessEbEEEE10hipError_tPvRmT1_T2_T3_mmT4_T5_P12ihipStream_tbEUlRKfE_EESV_SZ_S10_mS11_S14_bEUlT_E_NS1_11comp_targetILNS1_3genE10ELNS1_11target_archE1201ELNS1_3gpuE5ELNS1_3repE0EEENS1_30default_config_static_selectorELNS0_4arch9wavefront6targetE0EEEvSY_.uses_flat_scratch, 0
	.set _ZN7rocprim17ROCPRIM_400000_NS6detail17trampoline_kernelINS0_14default_configENS1_29binary_search_config_selectorIfiEEZNS1_14transform_implILb0ES3_S5_N6thrust23THRUST_200600_302600_NS6detail15normal_iteratorINS8_7pointerIfNS8_11hip_rocprim9par_det_tENS8_11use_defaultESE_EEEENSA_INSB_IiSD_SE_SE_EEEEZNS1_13binary_searchIS3_S5_NSA_INS8_10device_ptrIfEEEESG_SI_NS1_16binary_search_opENS9_16wrapped_functionINS8_6system6detail7generic6detail18binary_search_lessEbEEEE10hipError_tPvRmT1_T2_T3_mmT4_T5_P12ihipStream_tbEUlRKfE_EESV_SZ_S10_mS11_S14_bEUlT_E_NS1_11comp_targetILNS1_3genE10ELNS1_11target_archE1201ELNS1_3gpuE5ELNS1_3repE0EEENS1_30default_config_static_selectorELNS0_4arch9wavefront6targetE0EEEvSY_.has_dyn_sized_stack, 0
	.set _ZN7rocprim17ROCPRIM_400000_NS6detail17trampoline_kernelINS0_14default_configENS1_29binary_search_config_selectorIfiEEZNS1_14transform_implILb0ES3_S5_N6thrust23THRUST_200600_302600_NS6detail15normal_iteratorINS8_7pointerIfNS8_11hip_rocprim9par_det_tENS8_11use_defaultESE_EEEENSA_INSB_IiSD_SE_SE_EEEEZNS1_13binary_searchIS3_S5_NSA_INS8_10device_ptrIfEEEESG_SI_NS1_16binary_search_opENS9_16wrapped_functionINS8_6system6detail7generic6detail18binary_search_lessEbEEEE10hipError_tPvRmT1_T2_T3_mmT4_T5_P12ihipStream_tbEUlRKfE_EESV_SZ_S10_mS11_S14_bEUlT_E_NS1_11comp_targetILNS1_3genE10ELNS1_11target_archE1201ELNS1_3gpuE5ELNS1_3repE0EEENS1_30default_config_static_selectorELNS0_4arch9wavefront6targetE0EEEvSY_.has_recursion, 0
	.set _ZN7rocprim17ROCPRIM_400000_NS6detail17trampoline_kernelINS0_14default_configENS1_29binary_search_config_selectorIfiEEZNS1_14transform_implILb0ES3_S5_N6thrust23THRUST_200600_302600_NS6detail15normal_iteratorINS8_7pointerIfNS8_11hip_rocprim9par_det_tENS8_11use_defaultESE_EEEENSA_INSB_IiSD_SE_SE_EEEEZNS1_13binary_searchIS3_S5_NSA_INS8_10device_ptrIfEEEESG_SI_NS1_16binary_search_opENS9_16wrapped_functionINS8_6system6detail7generic6detail18binary_search_lessEbEEEE10hipError_tPvRmT1_T2_T3_mmT4_T5_P12ihipStream_tbEUlRKfE_EESV_SZ_S10_mS11_S14_bEUlT_E_NS1_11comp_targetILNS1_3genE10ELNS1_11target_archE1201ELNS1_3gpuE5ELNS1_3repE0EEENS1_30default_config_static_selectorELNS0_4arch9wavefront6targetE0EEEvSY_.has_indirect_call, 0
	.section	.AMDGPU.csdata,"",@progbits
; Kernel info:
; codeLenInByte = 0
; TotalNumSgprs: 0
; NumVgprs: 0
; ScratchSize: 0
; MemoryBound: 0
; FloatMode: 240
; IeeeMode: 1
; LDSByteSize: 0 bytes/workgroup (compile time only)
; SGPRBlocks: 0
; VGPRBlocks: 0
; NumSGPRsForWavesPerEU: 1
; NumVGPRsForWavesPerEU: 1
; Occupancy: 16
; WaveLimiterHint : 0
; COMPUTE_PGM_RSRC2:SCRATCH_EN: 0
; COMPUTE_PGM_RSRC2:USER_SGPR: 6
; COMPUTE_PGM_RSRC2:TRAP_HANDLER: 0
; COMPUTE_PGM_RSRC2:TGID_X_EN: 1
; COMPUTE_PGM_RSRC2:TGID_Y_EN: 0
; COMPUTE_PGM_RSRC2:TGID_Z_EN: 0
; COMPUTE_PGM_RSRC2:TIDIG_COMP_CNT: 0
	.section	.text._ZN7rocprim17ROCPRIM_400000_NS6detail17trampoline_kernelINS0_14default_configENS1_29binary_search_config_selectorIfiEEZNS1_14transform_implILb0ES3_S5_N6thrust23THRUST_200600_302600_NS6detail15normal_iteratorINS8_7pointerIfNS8_11hip_rocprim9par_det_tENS8_11use_defaultESE_EEEENSA_INSB_IiSD_SE_SE_EEEEZNS1_13binary_searchIS3_S5_NSA_INS8_10device_ptrIfEEEESG_SI_NS1_16binary_search_opENS9_16wrapped_functionINS8_6system6detail7generic6detail18binary_search_lessEbEEEE10hipError_tPvRmT1_T2_T3_mmT4_T5_P12ihipStream_tbEUlRKfE_EESV_SZ_S10_mS11_S14_bEUlT_E_NS1_11comp_targetILNS1_3genE10ELNS1_11target_archE1200ELNS1_3gpuE4ELNS1_3repE0EEENS1_30default_config_static_selectorELNS0_4arch9wavefront6targetE0EEEvSY_,"axG",@progbits,_ZN7rocprim17ROCPRIM_400000_NS6detail17trampoline_kernelINS0_14default_configENS1_29binary_search_config_selectorIfiEEZNS1_14transform_implILb0ES3_S5_N6thrust23THRUST_200600_302600_NS6detail15normal_iteratorINS8_7pointerIfNS8_11hip_rocprim9par_det_tENS8_11use_defaultESE_EEEENSA_INSB_IiSD_SE_SE_EEEEZNS1_13binary_searchIS3_S5_NSA_INS8_10device_ptrIfEEEESG_SI_NS1_16binary_search_opENS9_16wrapped_functionINS8_6system6detail7generic6detail18binary_search_lessEbEEEE10hipError_tPvRmT1_T2_T3_mmT4_T5_P12ihipStream_tbEUlRKfE_EESV_SZ_S10_mS11_S14_bEUlT_E_NS1_11comp_targetILNS1_3genE10ELNS1_11target_archE1200ELNS1_3gpuE4ELNS1_3repE0EEENS1_30default_config_static_selectorELNS0_4arch9wavefront6targetE0EEEvSY_,comdat
	.protected	_ZN7rocprim17ROCPRIM_400000_NS6detail17trampoline_kernelINS0_14default_configENS1_29binary_search_config_selectorIfiEEZNS1_14transform_implILb0ES3_S5_N6thrust23THRUST_200600_302600_NS6detail15normal_iteratorINS8_7pointerIfNS8_11hip_rocprim9par_det_tENS8_11use_defaultESE_EEEENSA_INSB_IiSD_SE_SE_EEEEZNS1_13binary_searchIS3_S5_NSA_INS8_10device_ptrIfEEEESG_SI_NS1_16binary_search_opENS9_16wrapped_functionINS8_6system6detail7generic6detail18binary_search_lessEbEEEE10hipError_tPvRmT1_T2_T3_mmT4_T5_P12ihipStream_tbEUlRKfE_EESV_SZ_S10_mS11_S14_bEUlT_E_NS1_11comp_targetILNS1_3genE10ELNS1_11target_archE1200ELNS1_3gpuE4ELNS1_3repE0EEENS1_30default_config_static_selectorELNS0_4arch9wavefront6targetE0EEEvSY_ ; -- Begin function _ZN7rocprim17ROCPRIM_400000_NS6detail17trampoline_kernelINS0_14default_configENS1_29binary_search_config_selectorIfiEEZNS1_14transform_implILb0ES3_S5_N6thrust23THRUST_200600_302600_NS6detail15normal_iteratorINS8_7pointerIfNS8_11hip_rocprim9par_det_tENS8_11use_defaultESE_EEEENSA_INSB_IiSD_SE_SE_EEEEZNS1_13binary_searchIS3_S5_NSA_INS8_10device_ptrIfEEEESG_SI_NS1_16binary_search_opENS9_16wrapped_functionINS8_6system6detail7generic6detail18binary_search_lessEbEEEE10hipError_tPvRmT1_T2_T3_mmT4_T5_P12ihipStream_tbEUlRKfE_EESV_SZ_S10_mS11_S14_bEUlT_E_NS1_11comp_targetILNS1_3genE10ELNS1_11target_archE1200ELNS1_3gpuE4ELNS1_3repE0EEENS1_30default_config_static_selectorELNS0_4arch9wavefront6targetE0EEEvSY_
	.globl	_ZN7rocprim17ROCPRIM_400000_NS6detail17trampoline_kernelINS0_14default_configENS1_29binary_search_config_selectorIfiEEZNS1_14transform_implILb0ES3_S5_N6thrust23THRUST_200600_302600_NS6detail15normal_iteratorINS8_7pointerIfNS8_11hip_rocprim9par_det_tENS8_11use_defaultESE_EEEENSA_INSB_IiSD_SE_SE_EEEEZNS1_13binary_searchIS3_S5_NSA_INS8_10device_ptrIfEEEESG_SI_NS1_16binary_search_opENS9_16wrapped_functionINS8_6system6detail7generic6detail18binary_search_lessEbEEEE10hipError_tPvRmT1_T2_T3_mmT4_T5_P12ihipStream_tbEUlRKfE_EESV_SZ_S10_mS11_S14_bEUlT_E_NS1_11comp_targetILNS1_3genE10ELNS1_11target_archE1200ELNS1_3gpuE4ELNS1_3repE0EEENS1_30default_config_static_selectorELNS0_4arch9wavefront6targetE0EEEvSY_
	.p2align	8
	.type	_ZN7rocprim17ROCPRIM_400000_NS6detail17trampoline_kernelINS0_14default_configENS1_29binary_search_config_selectorIfiEEZNS1_14transform_implILb0ES3_S5_N6thrust23THRUST_200600_302600_NS6detail15normal_iteratorINS8_7pointerIfNS8_11hip_rocprim9par_det_tENS8_11use_defaultESE_EEEENSA_INSB_IiSD_SE_SE_EEEEZNS1_13binary_searchIS3_S5_NSA_INS8_10device_ptrIfEEEESG_SI_NS1_16binary_search_opENS9_16wrapped_functionINS8_6system6detail7generic6detail18binary_search_lessEbEEEE10hipError_tPvRmT1_T2_T3_mmT4_T5_P12ihipStream_tbEUlRKfE_EESV_SZ_S10_mS11_S14_bEUlT_E_NS1_11comp_targetILNS1_3genE10ELNS1_11target_archE1200ELNS1_3gpuE4ELNS1_3repE0EEENS1_30default_config_static_selectorELNS0_4arch9wavefront6targetE0EEEvSY_,@function
_ZN7rocprim17ROCPRIM_400000_NS6detail17trampoline_kernelINS0_14default_configENS1_29binary_search_config_selectorIfiEEZNS1_14transform_implILb0ES3_S5_N6thrust23THRUST_200600_302600_NS6detail15normal_iteratorINS8_7pointerIfNS8_11hip_rocprim9par_det_tENS8_11use_defaultESE_EEEENSA_INSB_IiSD_SE_SE_EEEEZNS1_13binary_searchIS3_S5_NSA_INS8_10device_ptrIfEEEESG_SI_NS1_16binary_search_opENS9_16wrapped_functionINS8_6system6detail7generic6detail18binary_search_lessEbEEEE10hipError_tPvRmT1_T2_T3_mmT4_T5_P12ihipStream_tbEUlRKfE_EESV_SZ_S10_mS11_S14_bEUlT_E_NS1_11comp_targetILNS1_3genE10ELNS1_11target_archE1200ELNS1_3gpuE4ELNS1_3repE0EEENS1_30default_config_static_selectorELNS0_4arch9wavefront6targetE0EEEvSY_: ; @_ZN7rocprim17ROCPRIM_400000_NS6detail17trampoline_kernelINS0_14default_configENS1_29binary_search_config_selectorIfiEEZNS1_14transform_implILb0ES3_S5_N6thrust23THRUST_200600_302600_NS6detail15normal_iteratorINS8_7pointerIfNS8_11hip_rocprim9par_det_tENS8_11use_defaultESE_EEEENSA_INSB_IiSD_SE_SE_EEEEZNS1_13binary_searchIS3_S5_NSA_INS8_10device_ptrIfEEEESG_SI_NS1_16binary_search_opENS9_16wrapped_functionINS8_6system6detail7generic6detail18binary_search_lessEbEEEE10hipError_tPvRmT1_T2_T3_mmT4_T5_P12ihipStream_tbEUlRKfE_EESV_SZ_S10_mS11_S14_bEUlT_E_NS1_11comp_targetILNS1_3genE10ELNS1_11target_archE1200ELNS1_3gpuE4ELNS1_3repE0EEENS1_30default_config_static_selectorELNS0_4arch9wavefront6targetE0EEEvSY_
; %bb.0:
	.section	.rodata,"a",@progbits
	.p2align	6, 0x0
	.amdhsa_kernel _ZN7rocprim17ROCPRIM_400000_NS6detail17trampoline_kernelINS0_14default_configENS1_29binary_search_config_selectorIfiEEZNS1_14transform_implILb0ES3_S5_N6thrust23THRUST_200600_302600_NS6detail15normal_iteratorINS8_7pointerIfNS8_11hip_rocprim9par_det_tENS8_11use_defaultESE_EEEENSA_INSB_IiSD_SE_SE_EEEEZNS1_13binary_searchIS3_S5_NSA_INS8_10device_ptrIfEEEESG_SI_NS1_16binary_search_opENS9_16wrapped_functionINS8_6system6detail7generic6detail18binary_search_lessEbEEEE10hipError_tPvRmT1_T2_T3_mmT4_T5_P12ihipStream_tbEUlRKfE_EESV_SZ_S10_mS11_S14_bEUlT_E_NS1_11comp_targetILNS1_3genE10ELNS1_11target_archE1200ELNS1_3gpuE4ELNS1_3repE0EEENS1_30default_config_static_selectorELNS0_4arch9wavefront6targetE0EEEvSY_
		.amdhsa_group_segment_fixed_size 0
		.amdhsa_private_segment_fixed_size 0
		.amdhsa_kernarg_size 56
		.amdhsa_user_sgpr_count 6
		.amdhsa_user_sgpr_private_segment_buffer 1
		.amdhsa_user_sgpr_dispatch_ptr 0
		.amdhsa_user_sgpr_queue_ptr 0
		.amdhsa_user_sgpr_kernarg_segment_ptr 1
		.amdhsa_user_sgpr_dispatch_id 0
		.amdhsa_user_sgpr_flat_scratch_init 0
		.amdhsa_user_sgpr_private_segment_size 0
		.amdhsa_wavefront_size32 1
		.amdhsa_uses_dynamic_stack 0
		.amdhsa_system_sgpr_private_segment_wavefront_offset 0
		.amdhsa_system_sgpr_workgroup_id_x 1
		.amdhsa_system_sgpr_workgroup_id_y 0
		.amdhsa_system_sgpr_workgroup_id_z 0
		.amdhsa_system_sgpr_workgroup_info 0
		.amdhsa_system_vgpr_workitem_id 0
		.amdhsa_next_free_vgpr 1
		.amdhsa_next_free_sgpr 1
		.amdhsa_reserve_vcc 0
		.amdhsa_reserve_flat_scratch 0
		.amdhsa_float_round_mode_32 0
		.amdhsa_float_round_mode_16_64 0
		.amdhsa_float_denorm_mode_32 3
		.amdhsa_float_denorm_mode_16_64 3
		.amdhsa_dx10_clamp 1
		.amdhsa_ieee_mode 1
		.amdhsa_fp16_overflow 0
		.amdhsa_workgroup_processor_mode 1
		.amdhsa_memory_ordered 1
		.amdhsa_forward_progress 1
		.amdhsa_shared_vgpr_count 0
		.amdhsa_exception_fp_ieee_invalid_op 0
		.amdhsa_exception_fp_denorm_src 0
		.amdhsa_exception_fp_ieee_div_zero 0
		.amdhsa_exception_fp_ieee_overflow 0
		.amdhsa_exception_fp_ieee_underflow 0
		.amdhsa_exception_fp_ieee_inexact 0
		.amdhsa_exception_int_div_zero 0
	.end_amdhsa_kernel
	.section	.text._ZN7rocprim17ROCPRIM_400000_NS6detail17trampoline_kernelINS0_14default_configENS1_29binary_search_config_selectorIfiEEZNS1_14transform_implILb0ES3_S5_N6thrust23THRUST_200600_302600_NS6detail15normal_iteratorINS8_7pointerIfNS8_11hip_rocprim9par_det_tENS8_11use_defaultESE_EEEENSA_INSB_IiSD_SE_SE_EEEEZNS1_13binary_searchIS3_S5_NSA_INS8_10device_ptrIfEEEESG_SI_NS1_16binary_search_opENS9_16wrapped_functionINS8_6system6detail7generic6detail18binary_search_lessEbEEEE10hipError_tPvRmT1_T2_T3_mmT4_T5_P12ihipStream_tbEUlRKfE_EESV_SZ_S10_mS11_S14_bEUlT_E_NS1_11comp_targetILNS1_3genE10ELNS1_11target_archE1200ELNS1_3gpuE4ELNS1_3repE0EEENS1_30default_config_static_selectorELNS0_4arch9wavefront6targetE0EEEvSY_,"axG",@progbits,_ZN7rocprim17ROCPRIM_400000_NS6detail17trampoline_kernelINS0_14default_configENS1_29binary_search_config_selectorIfiEEZNS1_14transform_implILb0ES3_S5_N6thrust23THRUST_200600_302600_NS6detail15normal_iteratorINS8_7pointerIfNS8_11hip_rocprim9par_det_tENS8_11use_defaultESE_EEEENSA_INSB_IiSD_SE_SE_EEEEZNS1_13binary_searchIS3_S5_NSA_INS8_10device_ptrIfEEEESG_SI_NS1_16binary_search_opENS9_16wrapped_functionINS8_6system6detail7generic6detail18binary_search_lessEbEEEE10hipError_tPvRmT1_T2_T3_mmT4_T5_P12ihipStream_tbEUlRKfE_EESV_SZ_S10_mS11_S14_bEUlT_E_NS1_11comp_targetILNS1_3genE10ELNS1_11target_archE1200ELNS1_3gpuE4ELNS1_3repE0EEENS1_30default_config_static_selectorELNS0_4arch9wavefront6targetE0EEEvSY_,comdat
.Lfunc_end650:
	.size	_ZN7rocprim17ROCPRIM_400000_NS6detail17trampoline_kernelINS0_14default_configENS1_29binary_search_config_selectorIfiEEZNS1_14transform_implILb0ES3_S5_N6thrust23THRUST_200600_302600_NS6detail15normal_iteratorINS8_7pointerIfNS8_11hip_rocprim9par_det_tENS8_11use_defaultESE_EEEENSA_INSB_IiSD_SE_SE_EEEEZNS1_13binary_searchIS3_S5_NSA_INS8_10device_ptrIfEEEESG_SI_NS1_16binary_search_opENS9_16wrapped_functionINS8_6system6detail7generic6detail18binary_search_lessEbEEEE10hipError_tPvRmT1_T2_T3_mmT4_T5_P12ihipStream_tbEUlRKfE_EESV_SZ_S10_mS11_S14_bEUlT_E_NS1_11comp_targetILNS1_3genE10ELNS1_11target_archE1200ELNS1_3gpuE4ELNS1_3repE0EEENS1_30default_config_static_selectorELNS0_4arch9wavefront6targetE0EEEvSY_, .Lfunc_end650-_ZN7rocprim17ROCPRIM_400000_NS6detail17trampoline_kernelINS0_14default_configENS1_29binary_search_config_selectorIfiEEZNS1_14transform_implILb0ES3_S5_N6thrust23THRUST_200600_302600_NS6detail15normal_iteratorINS8_7pointerIfNS8_11hip_rocprim9par_det_tENS8_11use_defaultESE_EEEENSA_INSB_IiSD_SE_SE_EEEEZNS1_13binary_searchIS3_S5_NSA_INS8_10device_ptrIfEEEESG_SI_NS1_16binary_search_opENS9_16wrapped_functionINS8_6system6detail7generic6detail18binary_search_lessEbEEEE10hipError_tPvRmT1_T2_T3_mmT4_T5_P12ihipStream_tbEUlRKfE_EESV_SZ_S10_mS11_S14_bEUlT_E_NS1_11comp_targetILNS1_3genE10ELNS1_11target_archE1200ELNS1_3gpuE4ELNS1_3repE0EEENS1_30default_config_static_selectorELNS0_4arch9wavefront6targetE0EEEvSY_
                                        ; -- End function
	.set _ZN7rocprim17ROCPRIM_400000_NS6detail17trampoline_kernelINS0_14default_configENS1_29binary_search_config_selectorIfiEEZNS1_14transform_implILb0ES3_S5_N6thrust23THRUST_200600_302600_NS6detail15normal_iteratorINS8_7pointerIfNS8_11hip_rocprim9par_det_tENS8_11use_defaultESE_EEEENSA_INSB_IiSD_SE_SE_EEEEZNS1_13binary_searchIS3_S5_NSA_INS8_10device_ptrIfEEEESG_SI_NS1_16binary_search_opENS9_16wrapped_functionINS8_6system6detail7generic6detail18binary_search_lessEbEEEE10hipError_tPvRmT1_T2_T3_mmT4_T5_P12ihipStream_tbEUlRKfE_EESV_SZ_S10_mS11_S14_bEUlT_E_NS1_11comp_targetILNS1_3genE10ELNS1_11target_archE1200ELNS1_3gpuE4ELNS1_3repE0EEENS1_30default_config_static_selectorELNS0_4arch9wavefront6targetE0EEEvSY_.num_vgpr, 0
	.set _ZN7rocprim17ROCPRIM_400000_NS6detail17trampoline_kernelINS0_14default_configENS1_29binary_search_config_selectorIfiEEZNS1_14transform_implILb0ES3_S5_N6thrust23THRUST_200600_302600_NS6detail15normal_iteratorINS8_7pointerIfNS8_11hip_rocprim9par_det_tENS8_11use_defaultESE_EEEENSA_INSB_IiSD_SE_SE_EEEEZNS1_13binary_searchIS3_S5_NSA_INS8_10device_ptrIfEEEESG_SI_NS1_16binary_search_opENS9_16wrapped_functionINS8_6system6detail7generic6detail18binary_search_lessEbEEEE10hipError_tPvRmT1_T2_T3_mmT4_T5_P12ihipStream_tbEUlRKfE_EESV_SZ_S10_mS11_S14_bEUlT_E_NS1_11comp_targetILNS1_3genE10ELNS1_11target_archE1200ELNS1_3gpuE4ELNS1_3repE0EEENS1_30default_config_static_selectorELNS0_4arch9wavefront6targetE0EEEvSY_.num_agpr, 0
	.set _ZN7rocprim17ROCPRIM_400000_NS6detail17trampoline_kernelINS0_14default_configENS1_29binary_search_config_selectorIfiEEZNS1_14transform_implILb0ES3_S5_N6thrust23THRUST_200600_302600_NS6detail15normal_iteratorINS8_7pointerIfNS8_11hip_rocprim9par_det_tENS8_11use_defaultESE_EEEENSA_INSB_IiSD_SE_SE_EEEEZNS1_13binary_searchIS3_S5_NSA_INS8_10device_ptrIfEEEESG_SI_NS1_16binary_search_opENS9_16wrapped_functionINS8_6system6detail7generic6detail18binary_search_lessEbEEEE10hipError_tPvRmT1_T2_T3_mmT4_T5_P12ihipStream_tbEUlRKfE_EESV_SZ_S10_mS11_S14_bEUlT_E_NS1_11comp_targetILNS1_3genE10ELNS1_11target_archE1200ELNS1_3gpuE4ELNS1_3repE0EEENS1_30default_config_static_selectorELNS0_4arch9wavefront6targetE0EEEvSY_.numbered_sgpr, 0
	.set _ZN7rocprim17ROCPRIM_400000_NS6detail17trampoline_kernelINS0_14default_configENS1_29binary_search_config_selectorIfiEEZNS1_14transform_implILb0ES3_S5_N6thrust23THRUST_200600_302600_NS6detail15normal_iteratorINS8_7pointerIfNS8_11hip_rocprim9par_det_tENS8_11use_defaultESE_EEEENSA_INSB_IiSD_SE_SE_EEEEZNS1_13binary_searchIS3_S5_NSA_INS8_10device_ptrIfEEEESG_SI_NS1_16binary_search_opENS9_16wrapped_functionINS8_6system6detail7generic6detail18binary_search_lessEbEEEE10hipError_tPvRmT1_T2_T3_mmT4_T5_P12ihipStream_tbEUlRKfE_EESV_SZ_S10_mS11_S14_bEUlT_E_NS1_11comp_targetILNS1_3genE10ELNS1_11target_archE1200ELNS1_3gpuE4ELNS1_3repE0EEENS1_30default_config_static_selectorELNS0_4arch9wavefront6targetE0EEEvSY_.num_named_barrier, 0
	.set _ZN7rocprim17ROCPRIM_400000_NS6detail17trampoline_kernelINS0_14default_configENS1_29binary_search_config_selectorIfiEEZNS1_14transform_implILb0ES3_S5_N6thrust23THRUST_200600_302600_NS6detail15normal_iteratorINS8_7pointerIfNS8_11hip_rocprim9par_det_tENS8_11use_defaultESE_EEEENSA_INSB_IiSD_SE_SE_EEEEZNS1_13binary_searchIS3_S5_NSA_INS8_10device_ptrIfEEEESG_SI_NS1_16binary_search_opENS9_16wrapped_functionINS8_6system6detail7generic6detail18binary_search_lessEbEEEE10hipError_tPvRmT1_T2_T3_mmT4_T5_P12ihipStream_tbEUlRKfE_EESV_SZ_S10_mS11_S14_bEUlT_E_NS1_11comp_targetILNS1_3genE10ELNS1_11target_archE1200ELNS1_3gpuE4ELNS1_3repE0EEENS1_30default_config_static_selectorELNS0_4arch9wavefront6targetE0EEEvSY_.private_seg_size, 0
	.set _ZN7rocprim17ROCPRIM_400000_NS6detail17trampoline_kernelINS0_14default_configENS1_29binary_search_config_selectorIfiEEZNS1_14transform_implILb0ES3_S5_N6thrust23THRUST_200600_302600_NS6detail15normal_iteratorINS8_7pointerIfNS8_11hip_rocprim9par_det_tENS8_11use_defaultESE_EEEENSA_INSB_IiSD_SE_SE_EEEEZNS1_13binary_searchIS3_S5_NSA_INS8_10device_ptrIfEEEESG_SI_NS1_16binary_search_opENS9_16wrapped_functionINS8_6system6detail7generic6detail18binary_search_lessEbEEEE10hipError_tPvRmT1_T2_T3_mmT4_T5_P12ihipStream_tbEUlRKfE_EESV_SZ_S10_mS11_S14_bEUlT_E_NS1_11comp_targetILNS1_3genE10ELNS1_11target_archE1200ELNS1_3gpuE4ELNS1_3repE0EEENS1_30default_config_static_selectorELNS0_4arch9wavefront6targetE0EEEvSY_.uses_vcc, 0
	.set _ZN7rocprim17ROCPRIM_400000_NS6detail17trampoline_kernelINS0_14default_configENS1_29binary_search_config_selectorIfiEEZNS1_14transform_implILb0ES3_S5_N6thrust23THRUST_200600_302600_NS6detail15normal_iteratorINS8_7pointerIfNS8_11hip_rocprim9par_det_tENS8_11use_defaultESE_EEEENSA_INSB_IiSD_SE_SE_EEEEZNS1_13binary_searchIS3_S5_NSA_INS8_10device_ptrIfEEEESG_SI_NS1_16binary_search_opENS9_16wrapped_functionINS8_6system6detail7generic6detail18binary_search_lessEbEEEE10hipError_tPvRmT1_T2_T3_mmT4_T5_P12ihipStream_tbEUlRKfE_EESV_SZ_S10_mS11_S14_bEUlT_E_NS1_11comp_targetILNS1_3genE10ELNS1_11target_archE1200ELNS1_3gpuE4ELNS1_3repE0EEENS1_30default_config_static_selectorELNS0_4arch9wavefront6targetE0EEEvSY_.uses_flat_scratch, 0
	.set _ZN7rocprim17ROCPRIM_400000_NS6detail17trampoline_kernelINS0_14default_configENS1_29binary_search_config_selectorIfiEEZNS1_14transform_implILb0ES3_S5_N6thrust23THRUST_200600_302600_NS6detail15normal_iteratorINS8_7pointerIfNS8_11hip_rocprim9par_det_tENS8_11use_defaultESE_EEEENSA_INSB_IiSD_SE_SE_EEEEZNS1_13binary_searchIS3_S5_NSA_INS8_10device_ptrIfEEEESG_SI_NS1_16binary_search_opENS9_16wrapped_functionINS8_6system6detail7generic6detail18binary_search_lessEbEEEE10hipError_tPvRmT1_T2_T3_mmT4_T5_P12ihipStream_tbEUlRKfE_EESV_SZ_S10_mS11_S14_bEUlT_E_NS1_11comp_targetILNS1_3genE10ELNS1_11target_archE1200ELNS1_3gpuE4ELNS1_3repE0EEENS1_30default_config_static_selectorELNS0_4arch9wavefront6targetE0EEEvSY_.has_dyn_sized_stack, 0
	.set _ZN7rocprim17ROCPRIM_400000_NS6detail17trampoline_kernelINS0_14default_configENS1_29binary_search_config_selectorIfiEEZNS1_14transform_implILb0ES3_S5_N6thrust23THRUST_200600_302600_NS6detail15normal_iteratorINS8_7pointerIfNS8_11hip_rocprim9par_det_tENS8_11use_defaultESE_EEEENSA_INSB_IiSD_SE_SE_EEEEZNS1_13binary_searchIS3_S5_NSA_INS8_10device_ptrIfEEEESG_SI_NS1_16binary_search_opENS9_16wrapped_functionINS8_6system6detail7generic6detail18binary_search_lessEbEEEE10hipError_tPvRmT1_T2_T3_mmT4_T5_P12ihipStream_tbEUlRKfE_EESV_SZ_S10_mS11_S14_bEUlT_E_NS1_11comp_targetILNS1_3genE10ELNS1_11target_archE1200ELNS1_3gpuE4ELNS1_3repE0EEENS1_30default_config_static_selectorELNS0_4arch9wavefront6targetE0EEEvSY_.has_recursion, 0
	.set _ZN7rocprim17ROCPRIM_400000_NS6detail17trampoline_kernelINS0_14default_configENS1_29binary_search_config_selectorIfiEEZNS1_14transform_implILb0ES3_S5_N6thrust23THRUST_200600_302600_NS6detail15normal_iteratorINS8_7pointerIfNS8_11hip_rocprim9par_det_tENS8_11use_defaultESE_EEEENSA_INSB_IiSD_SE_SE_EEEEZNS1_13binary_searchIS3_S5_NSA_INS8_10device_ptrIfEEEESG_SI_NS1_16binary_search_opENS9_16wrapped_functionINS8_6system6detail7generic6detail18binary_search_lessEbEEEE10hipError_tPvRmT1_T2_T3_mmT4_T5_P12ihipStream_tbEUlRKfE_EESV_SZ_S10_mS11_S14_bEUlT_E_NS1_11comp_targetILNS1_3genE10ELNS1_11target_archE1200ELNS1_3gpuE4ELNS1_3repE0EEENS1_30default_config_static_selectorELNS0_4arch9wavefront6targetE0EEEvSY_.has_indirect_call, 0
	.section	.AMDGPU.csdata,"",@progbits
; Kernel info:
; codeLenInByte = 0
; TotalNumSgprs: 0
; NumVgprs: 0
; ScratchSize: 0
; MemoryBound: 0
; FloatMode: 240
; IeeeMode: 1
; LDSByteSize: 0 bytes/workgroup (compile time only)
; SGPRBlocks: 0
; VGPRBlocks: 0
; NumSGPRsForWavesPerEU: 1
; NumVGPRsForWavesPerEU: 1
; Occupancy: 16
; WaveLimiterHint : 0
; COMPUTE_PGM_RSRC2:SCRATCH_EN: 0
; COMPUTE_PGM_RSRC2:USER_SGPR: 6
; COMPUTE_PGM_RSRC2:TRAP_HANDLER: 0
; COMPUTE_PGM_RSRC2:TGID_X_EN: 1
; COMPUTE_PGM_RSRC2:TGID_Y_EN: 0
; COMPUTE_PGM_RSRC2:TGID_Z_EN: 0
; COMPUTE_PGM_RSRC2:TIDIG_COMP_CNT: 0
	.section	.text._ZN7rocprim17ROCPRIM_400000_NS6detail17trampoline_kernelINS0_14default_configENS1_29binary_search_config_selectorIfiEEZNS1_14transform_implILb0ES3_S5_N6thrust23THRUST_200600_302600_NS6detail15normal_iteratorINS8_7pointerIfNS8_11hip_rocprim9par_det_tENS8_11use_defaultESE_EEEENSA_INSB_IiSD_SE_SE_EEEEZNS1_13binary_searchIS3_S5_NSA_INS8_10device_ptrIfEEEESG_SI_NS1_16binary_search_opENS9_16wrapped_functionINS8_6system6detail7generic6detail18binary_search_lessEbEEEE10hipError_tPvRmT1_T2_T3_mmT4_T5_P12ihipStream_tbEUlRKfE_EESV_SZ_S10_mS11_S14_bEUlT_E_NS1_11comp_targetILNS1_3genE9ELNS1_11target_archE1100ELNS1_3gpuE3ELNS1_3repE0EEENS1_30default_config_static_selectorELNS0_4arch9wavefront6targetE0EEEvSY_,"axG",@progbits,_ZN7rocprim17ROCPRIM_400000_NS6detail17trampoline_kernelINS0_14default_configENS1_29binary_search_config_selectorIfiEEZNS1_14transform_implILb0ES3_S5_N6thrust23THRUST_200600_302600_NS6detail15normal_iteratorINS8_7pointerIfNS8_11hip_rocprim9par_det_tENS8_11use_defaultESE_EEEENSA_INSB_IiSD_SE_SE_EEEEZNS1_13binary_searchIS3_S5_NSA_INS8_10device_ptrIfEEEESG_SI_NS1_16binary_search_opENS9_16wrapped_functionINS8_6system6detail7generic6detail18binary_search_lessEbEEEE10hipError_tPvRmT1_T2_T3_mmT4_T5_P12ihipStream_tbEUlRKfE_EESV_SZ_S10_mS11_S14_bEUlT_E_NS1_11comp_targetILNS1_3genE9ELNS1_11target_archE1100ELNS1_3gpuE3ELNS1_3repE0EEENS1_30default_config_static_selectorELNS0_4arch9wavefront6targetE0EEEvSY_,comdat
	.protected	_ZN7rocprim17ROCPRIM_400000_NS6detail17trampoline_kernelINS0_14default_configENS1_29binary_search_config_selectorIfiEEZNS1_14transform_implILb0ES3_S5_N6thrust23THRUST_200600_302600_NS6detail15normal_iteratorINS8_7pointerIfNS8_11hip_rocprim9par_det_tENS8_11use_defaultESE_EEEENSA_INSB_IiSD_SE_SE_EEEEZNS1_13binary_searchIS3_S5_NSA_INS8_10device_ptrIfEEEESG_SI_NS1_16binary_search_opENS9_16wrapped_functionINS8_6system6detail7generic6detail18binary_search_lessEbEEEE10hipError_tPvRmT1_T2_T3_mmT4_T5_P12ihipStream_tbEUlRKfE_EESV_SZ_S10_mS11_S14_bEUlT_E_NS1_11comp_targetILNS1_3genE9ELNS1_11target_archE1100ELNS1_3gpuE3ELNS1_3repE0EEENS1_30default_config_static_selectorELNS0_4arch9wavefront6targetE0EEEvSY_ ; -- Begin function _ZN7rocprim17ROCPRIM_400000_NS6detail17trampoline_kernelINS0_14default_configENS1_29binary_search_config_selectorIfiEEZNS1_14transform_implILb0ES3_S5_N6thrust23THRUST_200600_302600_NS6detail15normal_iteratorINS8_7pointerIfNS8_11hip_rocprim9par_det_tENS8_11use_defaultESE_EEEENSA_INSB_IiSD_SE_SE_EEEEZNS1_13binary_searchIS3_S5_NSA_INS8_10device_ptrIfEEEESG_SI_NS1_16binary_search_opENS9_16wrapped_functionINS8_6system6detail7generic6detail18binary_search_lessEbEEEE10hipError_tPvRmT1_T2_T3_mmT4_T5_P12ihipStream_tbEUlRKfE_EESV_SZ_S10_mS11_S14_bEUlT_E_NS1_11comp_targetILNS1_3genE9ELNS1_11target_archE1100ELNS1_3gpuE3ELNS1_3repE0EEENS1_30default_config_static_selectorELNS0_4arch9wavefront6targetE0EEEvSY_
	.globl	_ZN7rocprim17ROCPRIM_400000_NS6detail17trampoline_kernelINS0_14default_configENS1_29binary_search_config_selectorIfiEEZNS1_14transform_implILb0ES3_S5_N6thrust23THRUST_200600_302600_NS6detail15normal_iteratorINS8_7pointerIfNS8_11hip_rocprim9par_det_tENS8_11use_defaultESE_EEEENSA_INSB_IiSD_SE_SE_EEEEZNS1_13binary_searchIS3_S5_NSA_INS8_10device_ptrIfEEEESG_SI_NS1_16binary_search_opENS9_16wrapped_functionINS8_6system6detail7generic6detail18binary_search_lessEbEEEE10hipError_tPvRmT1_T2_T3_mmT4_T5_P12ihipStream_tbEUlRKfE_EESV_SZ_S10_mS11_S14_bEUlT_E_NS1_11comp_targetILNS1_3genE9ELNS1_11target_archE1100ELNS1_3gpuE3ELNS1_3repE0EEENS1_30default_config_static_selectorELNS0_4arch9wavefront6targetE0EEEvSY_
	.p2align	8
	.type	_ZN7rocprim17ROCPRIM_400000_NS6detail17trampoline_kernelINS0_14default_configENS1_29binary_search_config_selectorIfiEEZNS1_14transform_implILb0ES3_S5_N6thrust23THRUST_200600_302600_NS6detail15normal_iteratorINS8_7pointerIfNS8_11hip_rocprim9par_det_tENS8_11use_defaultESE_EEEENSA_INSB_IiSD_SE_SE_EEEEZNS1_13binary_searchIS3_S5_NSA_INS8_10device_ptrIfEEEESG_SI_NS1_16binary_search_opENS9_16wrapped_functionINS8_6system6detail7generic6detail18binary_search_lessEbEEEE10hipError_tPvRmT1_T2_T3_mmT4_T5_P12ihipStream_tbEUlRKfE_EESV_SZ_S10_mS11_S14_bEUlT_E_NS1_11comp_targetILNS1_3genE9ELNS1_11target_archE1100ELNS1_3gpuE3ELNS1_3repE0EEENS1_30default_config_static_selectorELNS0_4arch9wavefront6targetE0EEEvSY_,@function
_ZN7rocprim17ROCPRIM_400000_NS6detail17trampoline_kernelINS0_14default_configENS1_29binary_search_config_selectorIfiEEZNS1_14transform_implILb0ES3_S5_N6thrust23THRUST_200600_302600_NS6detail15normal_iteratorINS8_7pointerIfNS8_11hip_rocprim9par_det_tENS8_11use_defaultESE_EEEENSA_INSB_IiSD_SE_SE_EEEEZNS1_13binary_searchIS3_S5_NSA_INS8_10device_ptrIfEEEESG_SI_NS1_16binary_search_opENS9_16wrapped_functionINS8_6system6detail7generic6detail18binary_search_lessEbEEEE10hipError_tPvRmT1_T2_T3_mmT4_T5_P12ihipStream_tbEUlRKfE_EESV_SZ_S10_mS11_S14_bEUlT_E_NS1_11comp_targetILNS1_3genE9ELNS1_11target_archE1100ELNS1_3gpuE3ELNS1_3repE0EEENS1_30default_config_static_selectorELNS0_4arch9wavefront6targetE0EEEvSY_: ; @_ZN7rocprim17ROCPRIM_400000_NS6detail17trampoline_kernelINS0_14default_configENS1_29binary_search_config_selectorIfiEEZNS1_14transform_implILb0ES3_S5_N6thrust23THRUST_200600_302600_NS6detail15normal_iteratorINS8_7pointerIfNS8_11hip_rocprim9par_det_tENS8_11use_defaultESE_EEEENSA_INSB_IiSD_SE_SE_EEEEZNS1_13binary_searchIS3_S5_NSA_INS8_10device_ptrIfEEEESG_SI_NS1_16binary_search_opENS9_16wrapped_functionINS8_6system6detail7generic6detail18binary_search_lessEbEEEE10hipError_tPvRmT1_T2_T3_mmT4_T5_P12ihipStream_tbEUlRKfE_EESV_SZ_S10_mS11_S14_bEUlT_E_NS1_11comp_targetILNS1_3genE9ELNS1_11target_archE1100ELNS1_3gpuE3ELNS1_3repE0EEENS1_30default_config_static_selectorELNS0_4arch9wavefront6targetE0EEEvSY_
; %bb.0:
	.section	.rodata,"a",@progbits
	.p2align	6, 0x0
	.amdhsa_kernel _ZN7rocprim17ROCPRIM_400000_NS6detail17trampoline_kernelINS0_14default_configENS1_29binary_search_config_selectorIfiEEZNS1_14transform_implILb0ES3_S5_N6thrust23THRUST_200600_302600_NS6detail15normal_iteratorINS8_7pointerIfNS8_11hip_rocprim9par_det_tENS8_11use_defaultESE_EEEENSA_INSB_IiSD_SE_SE_EEEEZNS1_13binary_searchIS3_S5_NSA_INS8_10device_ptrIfEEEESG_SI_NS1_16binary_search_opENS9_16wrapped_functionINS8_6system6detail7generic6detail18binary_search_lessEbEEEE10hipError_tPvRmT1_T2_T3_mmT4_T5_P12ihipStream_tbEUlRKfE_EESV_SZ_S10_mS11_S14_bEUlT_E_NS1_11comp_targetILNS1_3genE9ELNS1_11target_archE1100ELNS1_3gpuE3ELNS1_3repE0EEENS1_30default_config_static_selectorELNS0_4arch9wavefront6targetE0EEEvSY_
		.amdhsa_group_segment_fixed_size 0
		.amdhsa_private_segment_fixed_size 0
		.amdhsa_kernarg_size 56
		.amdhsa_user_sgpr_count 6
		.amdhsa_user_sgpr_private_segment_buffer 1
		.amdhsa_user_sgpr_dispatch_ptr 0
		.amdhsa_user_sgpr_queue_ptr 0
		.amdhsa_user_sgpr_kernarg_segment_ptr 1
		.amdhsa_user_sgpr_dispatch_id 0
		.amdhsa_user_sgpr_flat_scratch_init 0
		.amdhsa_user_sgpr_private_segment_size 0
		.amdhsa_wavefront_size32 1
		.amdhsa_uses_dynamic_stack 0
		.amdhsa_system_sgpr_private_segment_wavefront_offset 0
		.amdhsa_system_sgpr_workgroup_id_x 1
		.amdhsa_system_sgpr_workgroup_id_y 0
		.amdhsa_system_sgpr_workgroup_id_z 0
		.amdhsa_system_sgpr_workgroup_info 0
		.amdhsa_system_vgpr_workitem_id 0
		.amdhsa_next_free_vgpr 1
		.amdhsa_next_free_sgpr 1
		.amdhsa_reserve_vcc 0
		.amdhsa_reserve_flat_scratch 0
		.amdhsa_float_round_mode_32 0
		.amdhsa_float_round_mode_16_64 0
		.amdhsa_float_denorm_mode_32 3
		.amdhsa_float_denorm_mode_16_64 3
		.amdhsa_dx10_clamp 1
		.amdhsa_ieee_mode 1
		.amdhsa_fp16_overflow 0
		.amdhsa_workgroup_processor_mode 1
		.amdhsa_memory_ordered 1
		.amdhsa_forward_progress 1
		.amdhsa_shared_vgpr_count 0
		.amdhsa_exception_fp_ieee_invalid_op 0
		.amdhsa_exception_fp_denorm_src 0
		.amdhsa_exception_fp_ieee_div_zero 0
		.amdhsa_exception_fp_ieee_overflow 0
		.amdhsa_exception_fp_ieee_underflow 0
		.amdhsa_exception_fp_ieee_inexact 0
		.amdhsa_exception_int_div_zero 0
	.end_amdhsa_kernel
	.section	.text._ZN7rocprim17ROCPRIM_400000_NS6detail17trampoline_kernelINS0_14default_configENS1_29binary_search_config_selectorIfiEEZNS1_14transform_implILb0ES3_S5_N6thrust23THRUST_200600_302600_NS6detail15normal_iteratorINS8_7pointerIfNS8_11hip_rocprim9par_det_tENS8_11use_defaultESE_EEEENSA_INSB_IiSD_SE_SE_EEEEZNS1_13binary_searchIS3_S5_NSA_INS8_10device_ptrIfEEEESG_SI_NS1_16binary_search_opENS9_16wrapped_functionINS8_6system6detail7generic6detail18binary_search_lessEbEEEE10hipError_tPvRmT1_T2_T3_mmT4_T5_P12ihipStream_tbEUlRKfE_EESV_SZ_S10_mS11_S14_bEUlT_E_NS1_11comp_targetILNS1_3genE9ELNS1_11target_archE1100ELNS1_3gpuE3ELNS1_3repE0EEENS1_30default_config_static_selectorELNS0_4arch9wavefront6targetE0EEEvSY_,"axG",@progbits,_ZN7rocprim17ROCPRIM_400000_NS6detail17trampoline_kernelINS0_14default_configENS1_29binary_search_config_selectorIfiEEZNS1_14transform_implILb0ES3_S5_N6thrust23THRUST_200600_302600_NS6detail15normal_iteratorINS8_7pointerIfNS8_11hip_rocprim9par_det_tENS8_11use_defaultESE_EEEENSA_INSB_IiSD_SE_SE_EEEEZNS1_13binary_searchIS3_S5_NSA_INS8_10device_ptrIfEEEESG_SI_NS1_16binary_search_opENS9_16wrapped_functionINS8_6system6detail7generic6detail18binary_search_lessEbEEEE10hipError_tPvRmT1_T2_T3_mmT4_T5_P12ihipStream_tbEUlRKfE_EESV_SZ_S10_mS11_S14_bEUlT_E_NS1_11comp_targetILNS1_3genE9ELNS1_11target_archE1100ELNS1_3gpuE3ELNS1_3repE0EEENS1_30default_config_static_selectorELNS0_4arch9wavefront6targetE0EEEvSY_,comdat
.Lfunc_end651:
	.size	_ZN7rocprim17ROCPRIM_400000_NS6detail17trampoline_kernelINS0_14default_configENS1_29binary_search_config_selectorIfiEEZNS1_14transform_implILb0ES3_S5_N6thrust23THRUST_200600_302600_NS6detail15normal_iteratorINS8_7pointerIfNS8_11hip_rocprim9par_det_tENS8_11use_defaultESE_EEEENSA_INSB_IiSD_SE_SE_EEEEZNS1_13binary_searchIS3_S5_NSA_INS8_10device_ptrIfEEEESG_SI_NS1_16binary_search_opENS9_16wrapped_functionINS8_6system6detail7generic6detail18binary_search_lessEbEEEE10hipError_tPvRmT1_T2_T3_mmT4_T5_P12ihipStream_tbEUlRKfE_EESV_SZ_S10_mS11_S14_bEUlT_E_NS1_11comp_targetILNS1_3genE9ELNS1_11target_archE1100ELNS1_3gpuE3ELNS1_3repE0EEENS1_30default_config_static_selectorELNS0_4arch9wavefront6targetE0EEEvSY_, .Lfunc_end651-_ZN7rocprim17ROCPRIM_400000_NS6detail17trampoline_kernelINS0_14default_configENS1_29binary_search_config_selectorIfiEEZNS1_14transform_implILb0ES3_S5_N6thrust23THRUST_200600_302600_NS6detail15normal_iteratorINS8_7pointerIfNS8_11hip_rocprim9par_det_tENS8_11use_defaultESE_EEEENSA_INSB_IiSD_SE_SE_EEEEZNS1_13binary_searchIS3_S5_NSA_INS8_10device_ptrIfEEEESG_SI_NS1_16binary_search_opENS9_16wrapped_functionINS8_6system6detail7generic6detail18binary_search_lessEbEEEE10hipError_tPvRmT1_T2_T3_mmT4_T5_P12ihipStream_tbEUlRKfE_EESV_SZ_S10_mS11_S14_bEUlT_E_NS1_11comp_targetILNS1_3genE9ELNS1_11target_archE1100ELNS1_3gpuE3ELNS1_3repE0EEENS1_30default_config_static_selectorELNS0_4arch9wavefront6targetE0EEEvSY_
                                        ; -- End function
	.set _ZN7rocprim17ROCPRIM_400000_NS6detail17trampoline_kernelINS0_14default_configENS1_29binary_search_config_selectorIfiEEZNS1_14transform_implILb0ES3_S5_N6thrust23THRUST_200600_302600_NS6detail15normal_iteratorINS8_7pointerIfNS8_11hip_rocprim9par_det_tENS8_11use_defaultESE_EEEENSA_INSB_IiSD_SE_SE_EEEEZNS1_13binary_searchIS3_S5_NSA_INS8_10device_ptrIfEEEESG_SI_NS1_16binary_search_opENS9_16wrapped_functionINS8_6system6detail7generic6detail18binary_search_lessEbEEEE10hipError_tPvRmT1_T2_T3_mmT4_T5_P12ihipStream_tbEUlRKfE_EESV_SZ_S10_mS11_S14_bEUlT_E_NS1_11comp_targetILNS1_3genE9ELNS1_11target_archE1100ELNS1_3gpuE3ELNS1_3repE0EEENS1_30default_config_static_selectorELNS0_4arch9wavefront6targetE0EEEvSY_.num_vgpr, 0
	.set _ZN7rocprim17ROCPRIM_400000_NS6detail17trampoline_kernelINS0_14default_configENS1_29binary_search_config_selectorIfiEEZNS1_14transform_implILb0ES3_S5_N6thrust23THRUST_200600_302600_NS6detail15normal_iteratorINS8_7pointerIfNS8_11hip_rocprim9par_det_tENS8_11use_defaultESE_EEEENSA_INSB_IiSD_SE_SE_EEEEZNS1_13binary_searchIS3_S5_NSA_INS8_10device_ptrIfEEEESG_SI_NS1_16binary_search_opENS9_16wrapped_functionINS8_6system6detail7generic6detail18binary_search_lessEbEEEE10hipError_tPvRmT1_T2_T3_mmT4_T5_P12ihipStream_tbEUlRKfE_EESV_SZ_S10_mS11_S14_bEUlT_E_NS1_11comp_targetILNS1_3genE9ELNS1_11target_archE1100ELNS1_3gpuE3ELNS1_3repE0EEENS1_30default_config_static_selectorELNS0_4arch9wavefront6targetE0EEEvSY_.num_agpr, 0
	.set _ZN7rocprim17ROCPRIM_400000_NS6detail17trampoline_kernelINS0_14default_configENS1_29binary_search_config_selectorIfiEEZNS1_14transform_implILb0ES3_S5_N6thrust23THRUST_200600_302600_NS6detail15normal_iteratorINS8_7pointerIfNS8_11hip_rocprim9par_det_tENS8_11use_defaultESE_EEEENSA_INSB_IiSD_SE_SE_EEEEZNS1_13binary_searchIS3_S5_NSA_INS8_10device_ptrIfEEEESG_SI_NS1_16binary_search_opENS9_16wrapped_functionINS8_6system6detail7generic6detail18binary_search_lessEbEEEE10hipError_tPvRmT1_T2_T3_mmT4_T5_P12ihipStream_tbEUlRKfE_EESV_SZ_S10_mS11_S14_bEUlT_E_NS1_11comp_targetILNS1_3genE9ELNS1_11target_archE1100ELNS1_3gpuE3ELNS1_3repE0EEENS1_30default_config_static_selectorELNS0_4arch9wavefront6targetE0EEEvSY_.numbered_sgpr, 0
	.set _ZN7rocprim17ROCPRIM_400000_NS6detail17trampoline_kernelINS0_14default_configENS1_29binary_search_config_selectorIfiEEZNS1_14transform_implILb0ES3_S5_N6thrust23THRUST_200600_302600_NS6detail15normal_iteratorINS8_7pointerIfNS8_11hip_rocprim9par_det_tENS8_11use_defaultESE_EEEENSA_INSB_IiSD_SE_SE_EEEEZNS1_13binary_searchIS3_S5_NSA_INS8_10device_ptrIfEEEESG_SI_NS1_16binary_search_opENS9_16wrapped_functionINS8_6system6detail7generic6detail18binary_search_lessEbEEEE10hipError_tPvRmT1_T2_T3_mmT4_T5_P12ihipStream_tbEUlRKfE_EESV_SZ_S10_mS11_S14_bEUlT_E_NS1_11comp_targetILNS1_3genE9ELNS1_11target_archE1100ELNS1_3gpuE3ELNS1_3repE0EEENS1_30default_config_static_selectorELNS0_4arch9wavefront6targetE0EEEvSY_.num_named_barrier, 0
	.set _ZN7rocprim17ROCPRIM_400000_NS6detail17trampoline_kernelINS0_14default_configENS1_29binary_search_config_selectorIfiEEZNS1_14transform_implILb0ES3_S5_N6thrust23THRUST_200600_302600_NS6detail15normal_iteratorINS8_7pointerIfNS8_11hip_rocprim9par_det_tENS8_11use_defaultESE_EEEENSA_INSB_IiSD_SE_SE_EEEEZNS1_13binary_searchIS3_S5_NSA_INS8_10device_ptrIfEEEESG_SI_NS1_16binary_search_opENS9_16wrapped_functionINS8_6system6detail7generic6detail18binary_search_lessEbEEEE10hipError_tPvRmT1_T2_T3_mmT4_T5_P12ihipStream_tbEUlRKfE_EESV_SZ_S10_mS11_S14_bEUlT_E_NS1_11comp_targetILNS1_3genE9ELNS1_11target_archE1100ELNS1_3gpuE3ELNS1_3repE0EEENS1_30default_config_static_selectorELNS0_4arch9wavefront6targetE0EEEvSY_.private_seg_size, 0
	.set _ZN7rocprim17ROCPRIM_400000_NS6detail17trampoline_kernelINS0_14default_configENS1_29binary_search_config_selectorIfiEEZNS1_14transform_implILb0ES3_S5_N6thrust23THRUST_200600_302600_NS6detail15normal_iteratorINS8_7pointerIfNS8_11hip_rocprim9par_det_tENS8_11use_defaultESE_EEEENSA_INSB_IiSD_SE_SE_EEEEZNS1_13binary_searchIS3_S5_NSA_INS8_10device_ptrIfEEEESG_SI_NS1_16binary_search_opENS9_16wrapped_functionINS8_6system6detail7generic6detail18binary_search_lessEbEEEE10hipError_tPvRmT1_T2_T3_mmT4_T5_P12ihipStream_tbEUlRKfE_EESV_SZ_S10_mS11_S14_bEUlT_E_NS1_11comp_targetILNS1_3genE9ELNS1_11target_archE1100ELNS1_3gpuE3ELNS1_3repE0EEENS1_30default_config_static_selectorELNS0_4arch9wavefront6targetE0EEEvSY_.uses_vcc, 0
	.set _ZN7rocprim17ROCPRIM_400000_NS6detail17trampoline_kernelINS0_14default_configENS1_29binary_search_config_selectorIfiEEZNS1_14transform_implILb0ES3_S5_N6thrust23THRUST_200600_302600_NS6detail15normal_iteratorINS8_7pointerIfNS8_11hip_rocprim9par_det_tENS8_11use_defaultESE_EEEENSA_INSB_IiSD_SE_SE_EEEEZNS1_13binary_searchIS3_S5_NSA_INS8_10device_ptrIfEEEESG_SI_NS1_16binary_search_opENS9_16wrapped_functionINS8_6system6detail7generic6detail18binary_search_lessEbEEEE10hipError_tPvRmT1_T2_T3_mmT4_T5_P12ihipStream_tbEUlRKfE_EESV_SZ_S10_mS11_S14_bEUlT_E_NS1_11comp_targetILNS1_3genE9ELNS1_11target_archE1100ELNS1_3gpuE3ELNS1_3repE0EEENS1_30default_config_static_selectorELNS0_4arch9wavefront6targetE0EEEvSY_.uses_flat_scratch, 0
	.set _ZN7rocprim17ROCPRIM_400000_NS6detail17trampoline_kernelINS0_14default_configENS1_29binary_search_config_selectorIfiEEZNS1_14transform_implILb0ES3_S5_N6thrust23THRUST_200600_302600_NS6detail15normal_iteratorINS8_7pointerIfNS8_11hip_rocprim9par_det_tENS8_11use_defaultESE_EEEENSA_INSB_IiSD_SE_SE_EEEEZNS1_13binary_searchIS3_S5_NSA_INS8_10device_ptrIfEEEESG_SI_NS1_16binary_search_opENS9_16wrapped_functionINS8_6system6detail7generic6detail18binary_search_lessEbEEEE10hipError_tPvRmT1_T2_T3_mmT4_T5_P12ihipStream_tbEUlRKfE_EESV_SZ_S10_mS11_S14_bEUlT_E_NS1_11comp_targetILNS1_3genE9ELNS1_11target_archE1100ELNS1_3gpuE3ELNS1_3repE0EEENS1_30default_config_static_selectorELNS0_4arch9wavefront6targetE0EEEvSY_.has_dyn_sized_stack, 0
	.set _ZN7rocprim17ROCPRIM_400000_NS6detail17trampoline_kernelINS0_14default_configENS1_29binary_search_config_selectorIfiEEZNS1_14transform_implILb0ES3_S5_N6thrust23THRUST_200600_302600_NS6detail15normal_iteratorINS8_7pointerIfNS8_11hip_rocprim9par_det_tENS8_11use_defaultESE_EEEENSA_INSB_IiSD_SE_SE_EEEEZNS1_13binary_searchIS3_S5_NSA_INS8_10device_ptrIfEEEESG_SI_NS1_16binary_search_opENS9_16wrapped_functionINS8_6system6detail7generic6detail18binary_search_lessEbEEEE10hipError_tPvRmT1_T2_T3_mmT4_T5_P12ihipStream_tbEUlRKfE_EESV_SZ_S10_mS11_S14_bEUlT_E_NS1_11comp_targetILNS1_3genE9ELNS1_11target_archE1100ELNS1_3gpuE3ELNS1_3repE0EEENS1_30default_config_static_selectorELNS0_4arch9wavefront6targetE0EEEvSY_.has_recursion, 0
	.set _ZN7rocprim17ROCPRIM_400000_NS6detail17trampoline_kernelINS0_14default_configENS1_29binary_search_config_selectorIfiEEZNS1_14transform_implILb0ES3_S5_N6thrust23THRUST_200600_302600_NS6detail15normal_iteratorINS8_7pointerIfNS8_11hip_rocprim9par_det_tENS8_11use_defaultESE_EEEENSA_INSB_IiSD_SE_SE_EEEEZNS1_13binary_searchIS3_S5_NSA_INS8_10device_ptrIfEEEESG_SI_NS1_16binary_search_opENS9_16wrapped_functionINS8_6system6detail7generic6detail18binary_search_lessEbEEEE10hipError_tPvRmT1_T2_T3_mmT4_T5_P12ihipStream_tbEUlRKfE_EESV_SZ_S10_mS11_S14_bEUlT_E_NS1_11comp_targetILNS1_3genE9ELNS1_11target_archE1100ELNS1_3gpuE3ELNS1_3repE0EEENS1_30default_config_static_selectorELNS0_4arch9wavefront6targetE0EEEvSY_.has_indirect_call, 0
	.section	.AMDGPU.csdata,"",@progbits
; Kernel info:
; codeLenInByte = 0
; TotalNumSgprs: 0
; NumVgprs: 0
; ScratchSize: 0
; MemoryBound: 0
; FloatMode: 240
; IeeeMode: 1
; LDSByteSize: 0 bytes/workgroup (compile time only)
; SGPRBlocks: 0
; VGPRBlocks: 0
; NumSGPRsForWavesPerEU: 1
; NumVGPRsForWavesPerEU: 1
; Occupancy: 16
; WaveLimiterHint : 0
; COMPUTE_PGM_RSRC2:SCRATCH_EN: 0
; COMPUTE_PGM_RSRC2:USER_SGPR: 6
; COMPUTE_PGM_RSRC2:TRAP_HANDLER: 0
; COMPUTE_PGM_RSRC2:TGID_X_EN: 1
; COMPUTE_PGM_RSRC2:TGID_Y_EN: 0
; COMPUTE_PGM_RSRC2:TGID_Z_EN: 0
; COMPUTE_PGM_RSRC2:TIDIG_COMP_CNT: 0
	.section	.text._ZN7rocprim17ROCPRIM_400000_NS6detail17trampoline_kernelINS0_14default_configENS1_29binary_search_config_selectorIfiEEZNS1_14transform_implILb0ES3_S5_N6thrust23THRUST_200600_302600_NS6detail15normal_iteratorINS8_7pointerIfNS8_11hip_rocprim9par_det_tENS8_11use_defaultESE_EEEENSA_INSB_IiSD_SE_SE_EEEEZNS1_13binary_searchIS3_S5_NSA_INS8_10device_ptrIfEEEESG_SI_NS1_16binary_search_opENS9_16wrapped_functionINS8_6system6detail7generic6detail18binary_search_lessEbEEEE10hipError_tPvRmT1_T2_T3_mmT4_T5_P12ihipStream_tbEUlRKfE_EESV_SZ_S10_mS11_S14_bEUlT_E_NS1_11comp_targetILNS1_3genE8ELNS1_11target_archE1030ELNS1_3gpuE2ELNS1_3repE0EEENS1_30default_config_static_selectorELNS0_4arch9wavefront6targetE0EEEvSY_,"axG",@progbits,_ZN7rocprim17ROCPRIM_400000_NS6detail17trampoline_kernelINS0_14default_configENS1_29binary_search_config_selectorIfiEEZNS1_14transform_implILb0ES3_S5_N6thrust23THRUST_200600_302600_NS6detail15normal_iteratorINS8_7pointerIfNS8_11hip_rocprim9par_det_tENS8_11use_defaultESE_EEEENSA_INSB_IiSD_SE_SE_EEEEZNS1_13binary_searchIS3_S5_NSA_INS8_10device_ptrIfEEEESG_SI_NS1_16binary_search_opENS9_16wrapped_functionINS8_6system6detail7generic6detail18binary_search_lessEbEEEE10hipError_tPvRmT1_T2_T3_mmT4_T5_P12ihipStream_tbEUlRKfE_EESV_SZ_S10_mS11_S14_bEUlT_E_NS1_11comp_targetILNS1_3genE8ELNS1_11target_archE1030ELNS1_3gpuE2ELNS1_3repE0EEENS1_30default_config_static_selectorELNS0_4arch9wavefront6targetE0EEEvSY_,comdat
	.protected	_ZN7rocprim17ROCPRIM_400000_NS6detail17trampoline_kernelINS0_14default_configENS1_29binary_search_config_selectorIfiEEZNS1_14transform_implILb0ES3_S5_N6thrust23THRUST_200600_302600_NS6detail15normal_iteratorINS8_7pointerIfNS8_11hip_rocprim9par_det_tENS8_11use_defaultESE_EEEENSA_INSB_IiSD_SE_SE_EEEEZNS1_13binary_searchIS3_S5_NSA_INS8_10device_ptrIfEEEESG_SI_NS1_16binary_search_opENS9_16wrapped_functionINS8_6system6detail7generic6detail18binary_search_lessEbEEEE10hipError_tPvRmT1_T2_T3_mmT4_T5_P12ihipStream_tbEUlRKfE_EESV_SZ_S10_mS11_S14_bEUlT_E_NS1_11comp_targetILNS1_3genE8ELNS1_11target_archE1030ELNS1_3gpuE2ELNS1_3repE0EEENS1_30default_config_static_selectorELNS0_4arch9wavefront6targetE0EEEvSY_ ; -- Begin function _ZN7rocprim17ROCPRIM_400000_NS6detail17trampoline_kernelINS0_14default_configENS1_29binary_search_config_selectorIfiEEZNS1_14transform_implILb0ES3_S5_N6thrust23THRUST_200600_302600_NS6detail15normal_iteratorINS8_7pointerIfNS8_11hip_rocprim9par_det_tENS8_11use_defaultESE_EEEENSA_INSB_IiSD_SE_SE_EEEEZNS1_13binary_searchIS3_S5_NSA_INS8_10device_ptrIfEEEESG_SI_NS1_16binary_search_opENS9_16wrapped_functionINS8_6system6detail7generic6detail18binary_search_lessEbEEEE10hipError_tPvRmT1_T2_T3_mmT4_T5_P12ihipStream_tbEUlRKfE_EESV_SZ_S10_mS11_S14_bEUlT_E_NS1_11comp_targetILNS1_3genE8ELNS1_11target_archE1030ELNS1_3gpuE2ELNS1_3repE0EEENS1_30default_config_static_selectorELNS0_4arch9wavefront6targetE0EEEvSY_
	.globl	_ZN7rocprim17ROCPRIM_400000_NS6detail17trampoline_kernelINS0_14default_configENS1_29binary_search_config_selectorIfiEEZNS1_14transform_implILb0ES3_S5_N6thrust23THRUST_200600_302600_NS6detail15normal_iteratorINS8_7pointerIfNS8_11hip_rocprim9par_det_tENS8_11use_defaultESE_EEEENSA_INSB_IiSD_SE_SE_EEEEZNS1_13binary_searchIS3_S5_NSA_INS8_10device_ptrIfEEEESG_SI_NS1_16binary_search_opENS9_16wrapped_functionINS8_6system6detail7generic6detail18binary_search_lessEbEEEE10hipError_tPvRmT1_T2_T3_mmT4_T5_P12ihipStream_tbEUlRKfE_EESV_SZ_S10_mS11_S14_bEUlT_E_NS1_11comp_targetILNS1_3genE8ELNS1_11target_archE1030ELNS1_3gpuE2ELNS1_3repE0EEENS1_30default_config_static_selectorELNS0_4arch9wavefront6targetE0EEEvSY_
	.p2align	8
	.type	_ZN7rocprim17ROCPRIM_400000_NS6detail17trampoline_kernelINS0_14default_configENS1_29binary_search_config_selectorIfiEEZNS1_14transform_implILb0ES3_S5_N6thrust23THRUST_200600_302600_NS6detail15normal_iteratorINS8_7pointerIfNS8_11hip_rocprim9par_det_tENS8_11use_defaultESE_EEEENSA_INSB_IiSD_SE_SE_EEEEZNS1_13binary_searchIS3_S5_NSA_INS8_10device_ptrIfEEEESG_SI_NS1_16binary_search_opENS9_16wrapped_functionINS8_6system6detail7generic6detail18binary_search_lessEbEEEE10hipError_tPvRmT1_T2_T3_mmT4_T5_P12ihipStream_tbEUlRKfE_EESV_SZ_S10_mS11_S14_bEUlT_E_NS1_11comp_targetILNS1_3genE8ELNS1_11target_archE1030ELNS1_3gpuE2ELNS1_3repE0EEENS1_30default_config_static_selectorELNS0_4arch9wavefront6targetE0EEEvSY_,@function
_ZN7rocprim17ROCPRIM_400000_NS6detail17trampoline_kernelINS0_14default_configENS1_29binary_search_config_selectorIfiEEZNS1_14transform_implILb0ES3_S5_N6thrust23THRUST_200600_302600_NS6detail15normal_iteratorINS8_7pointerIfNS8_11hip_rocprim9par_det_tENS8_11use_defaultESE_EEEENSA_INSB_IiSD_SE_SE_EEEEZNS1_13binary_searchIS3_S5_NSA_INS8_10device_ptrIfEEEESG_SI_NS1_16binary_search_opENS9_16wrapped_functionINS8_6system6detail7generic6detail18binary_search_lessEbEEEE10hipError_tPvRmT1_T2_T3_mmT4_T5_P12ihipStream_tbEUlRKfE_EESV_SZ_S10_mS11_S14_bEUlT_E_NS1_11comp_targetILNS1_3genE8ELNS1_11target_archE1030ELNS1_3gpuE2ELNS1_3repE0EEENS1_30default_config_static_selectorELNS0_4arch9wavefront6targetE0EEEvSY_: ; @_ZN7rocprim17ROCPRIM_400000_NS6detail17trampoline_kernelINS0_14default_configENS1_29binary_search_config_selectorIfiEEZNS1_14transform_implILb0ES3_S5_N6thrust23THRUST_200600_302600_NS6detail15normal_iteratorINS8_7pointerIfNS8_11hip_rocprim9par_det_tENS8_11use_defaultESE_EEEENSA_INSB_IiSD_SE_SE_EEEEZNS1_13binary_searchIS3_S5_NSA_INS8_10device_ptrIfEEEESG_SI_NS1_16binary_search_opENS9_16wrapped_functionINS8_6system6detail7generic6detail18binary_search_lessEbEEEE10hipError_tPvRmT1_T2_T3_mmT4_T5_P12ihipStream_tbEUlRKfE_EESV_SZ_S10_mS11_S14_bEUlT_E_NS1_11comp_targetILNS1_3genE8ELNS1_11target_archE1030ELNS1_3gpuE2ELNS1_3repE0EEENS1_30default_config_static_selectorELNS0_4arch9wavefront6targetE0EEEvSY_
; %bb.0:
	s_clause 0x3
	s_load_dwordx4 s[16:19], s[4:5], 0x0
	s_load_dword s3, s[4:5], 0x38
	s_load_dwordx2 s[0:1], s[4:5], 0x28
	s_load_dwordx4 s[8:11], s[4:5], 0x18
	s_waitcnt lgkmcnt(0)
	s_lshl_b64 s[12:13], s[18:19], 2
	s_add_u32 s14, s16, s12
	s_addc_u32 s15, s17, s13
	s_add_i32 s7, s3, -1
	s_lshl_b32 s2, s6, 8
	s_mov_b32 s3, 0
	s_cmp_lg_u32 s6, s7
	s_mov_b32 s16, -1
	s_cbranch_scc0 .LBB652_6
; %bb.1:
	v_lshlrev_b32_e32 v1, 2, v0
	s_lshl_b64 s[6:7], s[2:3], 2
	s_add_u32 s6, s14, s6
	s_addc_u32 s7, s15, s7
	v_add_co_u32 v1, s6, s6, v1
	v_add_co_ci_u32_e64 v2, null, s7, 0, s6
	s_cmp_eq_u64 s[0:1], 0
	flat_load_dword v6, v[1:2]
	v_mov_b32_e32 v2, 0
	v_mov_b32_e32 v1, 0
	;; [unrolled: 1-line block ×3, first 2 shown]
	s_cbranch_scc1 .LBB652_5
; %bb.2:
	v_mov_b32_e32 v5, s1
	v_mov_b32_e32 v4, s0
	s_mov_b32 s6, 0
	s_inst_prefetch 0x1
	.p2align	6
.LBB652_3:                              ; =>This Inner Loop Header: Depth=1
	v_sub_co_u32 v7, vcc_lo, v4, v2
	v_sub_co_ci_u32_e64 v8, null, v5, v3, vcc_lo
	v_lshrrev_b64 v[9:10], 1, v[7:8]
	v_lshrrev_b64 v[7:8], 6, v[7:8]
	v_add_co_u32 v9, vcc_lo, v9, v2
	v_add_co_ci_u32_e64 v10, null, v10, v3, vcc_lo
	v_add_co_u32 v7, vcc_lo, v9, v7
	v_add_co_ci_u32_e64 v8, null, v10, v8, vcc_lo
	v_lshlrev_b64 v[9:10], 2, v[7:8]
	v_add_co_u32 v9, vcc_lo, s10, v9
	v_add_co_ci_u32_e64 v10, null, s11, v10, vcc_lo
	global_load_dword v9, v[9:10], off
	v_add_co_u32 v10, vcc_lo, v7, 1
	v_add_co_ci_u32_e64 v11, null, 0, v8, vcc_lo
	s_waitcnt vmcnt(0) lgkmcnt(0)
	v_cmp_lt_f32_e32 vcc_lo, v9, v6
	v_cndmask_b32_e32 v5, v8, v5, vcc_lo
	v_cndmask_b32_e32 v4, v7, v4, vcc_lo
	v_cndmask_b32_e32 v3, v3, v11, vcc_lo
	v_cndmask_b32_e32 v2, v2, v10, vcc_lo
	v_cmp_ge_u64_e32 vcc_lo, v[2:3], v[4:5]
	s_or_b32 s6, vcc_lo, s6
	s_andn2_b32 exec_lo, exec_lo, s6
	s_cbranch_execnz .LBB652_3
; %bb.4:
	s_inst_prefetch 0x2
	s_or_b32 exec_lo, exec_lo, s6
.LBB652_5:
	v_cmp_eq_u64_e64 s6, s[0:1], v[2:3]
	v_cmp_ne_u64_e64 s7, s[0:1], v[2:3]
	s_branch .LBB652_14
.LBB652_6:
	s_mov_b32 s7, s3
	s_mov_b32 s6, s3
                                        ; implicit-def: $vgpr6
                                        ; implicit-def: $vgpr2_vgpr3
	s_and_b32 vcc_lo, exec_lo, s16
	s_cbranch_vccz .LBB652_14
; %bb.7:
	s_load_dword s4, s[4:5], 0x10
                                        ; implicit-def: $vgpr6
                                        ; implicit-def: $vgpr2_vgpr3
	s_waitcnt lgkmcnt(0)
	s_sub_i32 s4, s4, s2
	v_cmp_gt_u32_e32 vcc_lo, s4, v0
	s_and_saveexec_b32 s4, vcc_lo
	s_cbranch_execz .LBB652_13
; %bb.8:
	v_lshlrev_b32_e32 v1, 2, v0
	s_lshl_b64 s[16:17], s[2:3], 2
	s_add_u32 s5, s14, s16
	s_addc_u32 s14, s15, s17
	v_add_co_u32 v1, s5, s5, v1
	v_add_co_ci_u32_e64 v2, null, s14, 0, s5
	s_cmp_eq_u64 s[0:1], 0
	s_waitcnt vmcnt(0)
	flat_load_dword v6, v[1:2]
	v_mov_b32_e32 v2, 0
	v_mov_b32_e32 v1, 0
	;; [unrolled: 1-line block ×3, first 2 shown]
	s_cbranch_scc1 .LBB652_12
; %bb.9:
	v_mov_b32_e32 v5, s1
	v_mov_b32_e32 v4, s0
	s_mov_b32 s5, 0
	s_inst_prefetch 0x1
	.p2align	6
.LBB652_10:                             ; =>This Inner Loop Header: Depth=1
	v_sub_co_u32 v7, vcc_lo, v4, v2
	v_sub_co_ci_u32_e64 v8, null, v5, v3, vcc_lo
	v_lshrrev_b64 v[9:10], 1, v[7:8]
	v_lshrrev_b64 v[7:8], 6, v[7:8]
	v_add_co_u32 v9, vcc_lo, v9, v2
	v_add_co_ci_u32_e64 v10, null, v10, v3, vcc_lo
	v_add_co_u32 v7, vcc_lo, v9, v7
	v_add_co_ci_u32_e64 v8, null, v10, v8, vcc_lo
	v_lshlrev_b64 v[9:10], 2, v[7:8]
	v_add_co_u32 v9, vcc_lo, s10, v9
	v_add_co_ci_u32_e64 v10, null, s11, v10, vcc_lo
	global_load_dword v9, v[9:10], off
	v_add_co_u32 v10, vcc_lo, v7, 1
	v_add_co_ci_u32_e64 v11, null, 0, v8, vcc_lo
	s_waitcnt vmcnt(0) lgkmcnt(0)
	v_cmp_lt_f32_e32 vcc_lo, v9, v6
	v_cndmask_b32_e32 v5, v8, v5, vcc_lo
	v_cndmask_b32_e32 v4, v7, v4, vcc_lo
	;; [unrolled: 1-line block ×4, first 2 shown]
	v_cmp_ge_u64_e32 vcc_lo, v[2:3], v[4:5]
	s_or_b32 s5, vcc_lo, s5
	s_andn2_b32 exec_lo, exec_lo, s5
	s_cbranch_execnz .LBB652_10
; %bb.11:
	s_inst_prefetch 0x2
	s_or_b32 exec_lo, exec_lo, s5
.LBB652_12:
	v_cmp_eq_u64_e32 vcc_lo, s[0:1], v[2:3]
	v_cmp_ne_u64_e64 s0, s[0:1], v[2:3]
	s_andn2_b32 s1, s6, exec_lo
	s_andn2_b32 s5, s7, exec_lo
	s_and_b32 s6, vcc_lo, exec_lo
	s_and_b32 s0, s0, exec_lo
	s_or_b32 s6, s1, s6
	s_or_b32 s7, s5, s0
.LBB652_13:
	s_or_b32 exec_lo, exec_lo, s4
.LBB652_14:
	v_mov_b32_e32 v4, 0
	s_and_saveexec_b32 s0, s7
	s_cbranch_execnz .LBB652_17
; %bb.15:
	s_or_b32 exec_lo, exec_lo, s0
	s_and_saveexec_b32 s0, s6
	s_cbranch_execnz .LBB652_18
.LBB652_16:
	s_endpgm
.LBB652_17:
	v_lshlrev_b64 v[2:3], 2, v[2:3]
	s_or_b32 s6, s6, exec_lo
	v_add_co_u32 v2, vcc_lo, s10, v2
	v_add_co_ci_u32_e64 v3, null, s11, v3, vcc_lo
	global_load_dword v2, v[2:3], off
	s_waitcnt vmcnt(0) lgkmcnt(0)
	v_cmp_nlt_f32_e32 vcc_lo, v6, v2
	v_cndmask_b32_e64 v4, 0, 1, vcc_lo
	s_or_b32 exec_lo, exec_lo, s0
	s_and_saveexec_b32 s0, s6
	s_cbranch_execz .LBB652_16
.LBB652_18:
	v_lshlrev_b64 v[0:1], 2, v[0:1]
	s_add_u32 s4, s8, s12
	s_addc_u32 s5, s9, s13
	s_lshl_b64 s[0:1], s[2:3], 2
	s_add_u32 s0, s4, s0
	s_addc_u32 s1, s5, s1
	v_add_co_u32 v0, vcc_lo, s0, v0
	v_add_co_ci_u32_e64 v1, null, s1, v1, vcc_lo
	flat_store_dword v[0:1], v4
	s_endpgm
	.section	.rodata,"a",@progbits
	.p2align	6, 0x0
	.amdhsa_kernel _ZN7rocprim17ROCPRIM_400000_NS6detail17trampoline_kernelINS0_14default_configENS1_29binary_search_config_selectorIfiEEZNS1_14transform_implILb0ES3_S5_N6thrust23THRUST_200600_302600_NS6detail15normal_iteratorINS8_7pointerIfNS8_11hip_rocprim9par_det_tENS8_11use_defaultESE_EEEENSA_INSB_IiSD_SE_SE_EEEEZNS1_13binary_searchIS3_S5_NSA_INS8_10device_ptrIfEEEESG_SI_NS1_16binary_search_opENS9_16wrapped_functionINS8_6system6detail7generic6detail18binary_search_lessEbEEEE10hipError_tPvRmT1_T2_T3_mmT4_T5_P12ihipStream_tbEUlRKfE_EESV_SZ_S10_mS11_S14_bEUlT_E_NS1_11comp_targetILNS1_3genE8ELNS1_11target_archE1030ELNS1_3gpuE2ELNS1_3repE0EEENS1_30default_config_static_selectorELNS0_4arch9wavefront6targetE0EEEvSY_
		.amdhsa_group_segment_fixed_size 0
		.amdhsa_private_segment_fixed_size 0
		.amdhsa_kernarg_size 312
		.amdhsa_user_sgpr_count 6
		.amdhsa_user_sgpr_private_segment_buffer 1
		.amdhsa_user_sgpr_dispatch_ptr 0
		.amdhsa_user_sgpr_queue_ptr 0
		.amdhsa_user_sgpr_kernarg_segment_ptr 1
		.amdhsa_user_sgpr_dispatch_id 0
		.amdhsa_user_sgpr_flat_scratch_init 0
		.amdhsa_user_sgpr_private_segment_size 0
		.amdhsa_wavefront_size32 1
		.amdhsa_uses_dynamic_stack 0
		.amdhsa_system_sgpr_private_segment_wavefront_offset 0
		.amdhsa_system_sgpr_workgroup_id_x 1
		.amdhsa_system_sgpr_workgroup_id_y 0
		.amdhsa_system_sgpr_workgroup_id_z 0
		.amdhsa_system_sgpr_workgroup_info 0
		.amdhsa_system_vgpr_workitem_id 0
		.amdhsa_next_free_vgpr 12
		.amdhsa_next_free_sgpr 20
		.amdhsa_reserve_vcc 1
		.amdhsa_reserve_flat_scratch 0
		.amdhsa_float_round_mode_32 0
		.amdhsa_float_round_mode_16_64 0
		.amdhsa_float_denorm_mode_32 3
		.amdhsa_float_denorm_mode_16_64 3
		.amdhsa_dx10_clamp 1
		.amdhsa_ieee_mode 1
		.amdhsa_fp16_overflow 0
		.amdhsa_workgroup_processor_mode 1
		.amdhsa_memory_ordered 1
		.amdhsa_forward_progress 1
		.amdhsa_shared_vgpr_count 0
		.amdhsa_exception_fp_ieee_invalid_op 0
		.amdhsa_exception_fp_denorm_src 0
		.amdhsa_exception_fp_ieee_div_zero 0
		.amdhsa_exception_fp_ieee_overflow 0
		.amdhsa_exception_fp_ieee_underflow 0
		.amdhsa_exception_fp_ieee_inexact 0
		.amdhsa_exception_int_div_zero 0
	.end_amdhsa_kernel
	.section	.text._ZN7rocprim17ROCPRIM_400000_NS6detail17trampoline_kernelINS0_14default_configENS1_29binary_search_config_selectorIfiEEZNS1_14transform_implILb0ES3_S5_N6thrust23THRUST_200600_302600_NS6detail15normal_iteratorINS8_7pointerIfNS8_11hip_rocprim9par_det_tENS8_11use_defaultESE_EEEENSA_INSB_IiSD_SE_SE_EEEEZNS1_13binary_searchIS3_S5_NSA_INS8_10device_ptrIfEEEESG_SI_NS1_16binary_search_opENS9_16wrapped_functionINS8_6system6detail7generic6detail18binary_search_lessEbEEEE10hipError_tPvRmT1_T2_T3_mmT4_T5_P12ihipStream_tbEUlRKfE_EESV_SZ_S10_mS11_S14_bEUlT_E_NS1_11comp_targetILNS1_3genE8ELNS1_11target_archE1030ELNS1_3gpuE2ELNS1_3repE0EEENS1_30default_config_static_selectorELNS0_4arch9wavefront6targetE0EEEvSY_,"axG",@progbits,_ZN7rocprim17ROCPRIM_400000_NS6detail17trampoline_kernelINS0_14default_configENS1_29binary_search_config_selectorIfiEEZNS1_14transform_implILb0ES3_S5_N6thrust23THRUST_200600_302600_NS6detail15normal_iteratorINS8_7pointerIfNS8_11hip_rocprim9par_det_tENS8_11use_defaultESE_EEEENSA_INSB_IiSD_SE_SE_EEEEZNS1_13binary_searchIS3_S5_NSA_INS8_10device_ptrIfEEEESG_SI_NS1_16binary_search_opENS9_16wrapped_functionINS8_6system6detail7generic6detail18binary_search_lessEbEEEE10hipError_tPvRmT1_T2_T3_mmT4_T5_P12ihipStream_tbEUlRKfE_EESV_SZ_S10_mS11_S14_bEUlT_E_NS1_11comp_targetILNS1_3genE8ELNS1_11target_archE1030ELNS1_3gpuE2ELNS1_3repE0EEENS1_30default_config_static_selectorELNS0_4arch9wavefront6targetE0EEEvSY_,comdat
.Lfunc_end652:
	.size	_ZN7rocprim17ROCPRIM_400000_NS6detail17trampoline_kernelINS0_14default_configENS1_29binary_search_config_selectorIfiEEZNS1_14transform_implILb0ES3_S5_N6thrust23THRUST_200600_302600_NS6detail15normal_iteratorINS8_7pointerIfNS8_11hip_rocprim9par_det_tENS8_11use_defaultESE_EEEENSA_INSB_IiSD_SE_SE_EEEEZNS1_13binary_searchIS3_S5_NSA_INS8_10device_ptrIfEEEESG_SI_NS1_16binary_search_opENS9_16wrapped_functionINS8_6system6detail7generic6detail18binary_search_lessEbEEEE10hipError_tPvRmT1_T2_T3_mmT4_T5_P12ihipStream_tbEUlRKfE_EESV_SZ_S10_mS11_S14_bEUlT_E_NS1_11comp_targetILNS1_3genE8ELNS1_11target_archE1030ELNS1_3gpuE2ELNS1_3repE0EEENS1_30default_config_static_selectorELNS0_4arch9wavefront6targetE0EEEvSY_, .Lfunc_end652-_ZN7rocprim17ROCPRIM_400000_NS6detail17trampoline_kernelINS0_14default_configENS1_29binary_search_config_selectorIfiEEZNS1_14transform_implILb0ES3_S5_N6thrust23THRUST_200600_302600_NS6detail15normal_iteratorINS8_7pointerIfNS8_11hip_rocprim9par_det_tENS8_11use_defaultESE_EEEENSA_INSB_IiSD_SE_SE_EEEEZNS1_13binary_searchIS3_S5_NSA_INS8_10device_ptrIfEEEESG_SI_NS1_16binary_search_opENS9_16wrapped_functionINS8_6system6detail7generic6detail18binary_search_lessEbEEEE10hipError_tPvRmT1_T2_T3_mmT4_T5_P12ihipStream_tbEUlRKfE_EESV_SZ_S10_mS11_S14_bEUlT_E_NS1_11comp_targetILNS1_3genE8ELNS1_11target_archE1030ELNS1_3gpuE2ELNS1_3repE0EEENS1_30default_config_static_selectorELNS0_4arch9wavefront6targetE0EEEvSY_
                                        ; -- End function
	.set _ZN7rocprim17ROCPRIM_400000_NS6detail17trampoline_kernelINS0_14default_configENS1_29binary_search_config_selectorIfiEEZNS1_14transform_implILb0ES3_S5_N6thrust23THRUST_200600_302600_NS6detail15normal_iteratorINS8_7pointerIfNS8_11hip_rocprim9par_det_tENS8_11use_defaultESE_EEEENSA_INSB_IiSD_SE_SE_EEEEZNS1_13binary_searchIS3_S5_NSA_INS8_10device_ptrIfEEEESG_SI_NS1_16binary_search_opENS9_16wrapped_functionINS8_6system6detail7generic6detail18binary_search_lessEbEEEE10hipError_tPvRmT1_T2_T3_mmT4_T5_P12ihipStream_tbEUlRKfE_EESV_SZ_S10_mS11_S14_bEUlT_E_NS1_11comp_targetILNS1_3genE8ELNS1_11target_archE1030ELNS1_3gpuE2ELNS1_3repE0EEENS1_30default_config_static_selectorELNS0_4arch9wavefront6targetE0EEEvSY_.num_vgpr, 12
	.set _ZN7rocprim17ROCPRIM_400000_NS6detail17trampoline_kernelINS0_14default_configENS1_29binary_search_config_selectorIfiEEZNS1_14transform_implILb0ES3_S5_N6thrust23THRUST_200600_302600_NS6detail15normal_iteratorINS8_7pointerIfNS8_11hip_rocprim9par_det_tENS8_11use_defaultESE_EEEENSA_INSB_IiSD_SE_SE_EEEEZNS1_13binary_searchIS3_S5_NSA_INS8_10device_ptrIfEEEESG_SI_NS1_16binary_search_opENS9_16wrapped_functionINS8_6system6detail7generic6detail18binary_search_lessEbEEEE10hipError_tPvRmT1_T2_T3_mmT4_T5_P12ihipStream_tbEUlRKfE_EESV_SZ_S10_mS11_S14_bEUlT_E_NS1_11comp_targetILNS1_3genE8ELNS1_11target_archE1030ELNS1_3gpuE2ELNS1_3repE0EEENS1_30default_config_static_selectorELNS0_4arch9wavefront6targetE0EEEvSY_.num_agpr, 0
	.set _ZN7rocprim17ROCPRIM_400000_NS6detail17trampoline_kernelINS0_14default_configENS1_29binary_search_config_selectorIfiEEZNS1_14transform_implILb0ES3_S5_N6thrust23THRUST_200600_302600_NS6detail15normal_iteratorINS8_7pointerIfNS8_11hip_rocprim9par_det_tENS8_11use_defaultESE_EEEENSA_INSB_IiSD_SE_SE_EEEEZNS1_13binary_searchIS3_S5_NSA_INS8_10device_ptrIfEEEESG_SI_NS1_16binary_search_opENS9_16wrapped_functionINS8_6system6detail7generic6detail18binary_search_lessEbEEEE10hipError_tPvRmT1_T2_T3_mmT4_T5_P12ihipStream_tbEUlRKfE_EESV_SZ_S10_mS11_S14_bEUlT_E_NS1_11comp_targetILNS1_3genE8ELNS1_11target_archE1030ELNS1_3gpuE2ELNS1_3repE0EEENS1_30default_config_static_selectorELNS0_4arch9wavefront6targetE0EEEvSY_.numbered_sgpr, 20
	.set _ZN7rocprim17ROCPRIM_400000_NS6detail17trampoline_kernelINS0_14default_configENS1_29binary_search_config_selectorIfiEEZNS1_14transform_implILb0ES3_S5_N6thrust23THRUST_200600_302600_NS6detail15normal_iteratorINS8_7pointerIfNS8_11hip_rocprim9par_det_tENS8_11use_defaultESE_EEEENSA_INSB_IiSD_SE_SE_EEEEZNS1_13binary_searchIS3_S5_NSA_INS8_10device_ptrIfEEEESG_SI_NS1_16binary_search_opENS9_16wrapped_functionINS8_6system6detail7generic6detail18binary_search_lessEbEEEE10hipError_tPvRmT1_T2_T3_mmT4_T5_P12ihipStream_tbEUlRKfE_EESV_SZ_S10_mS11_S14_bEUlT_E_NS1_11comp_targetILNS1_3genE8ELNS1_11target_archE1030ELNS1_3gpuE2ELNS1_3repE0EEENS1_30default_config_static_selectorELNS0_4arch9wavefront6targetE0EEEvSY_.num_named_barrier, 0
	.set _ZN7rocprim17ROCPRIM_400000_NS6detail17trampoline_kernelINS0_14default_configENS1_29binary_search_config_selectorIfiEEZNS1_14transform_implILb0ES3_S5_N6thrust23THRUST_200600_302600_NS6detail15normal_iteratorINS8_7pointerIfNS8_11hip_rocprim9par_det_tENS8_11use_defaultESE_EEEENSA_INSB_IiSD_SE_SE_EEEEZNS1_13binary_searchIS3_S5_NSA_INS8_10device_ptrIfEEEESG_SI_NS1_16binary_search_opENS9_16wrapped_functionINS8_6system6detail7generic6detail18binary_search_lessEbEEEE10hipError_tPvRmT1_T2_T3_mmT4_T5_P12ihipStream_tbEUlRKfE_EESV_SZ_S10_mS11_S14_bEUlT_E_NS1_11comp_targetILNS1_3genE8ELNS1_11target_archE1030ELNS1_3gpuE2ELNS1_3repE0EEENS1_30default_config_static_selectorELNS0_4arch9wavefront6targetE0EEEvSY_.private_seg_size, 0
	.set _ZN7rocprim17ROCPRIM_400000_NS6detail17trampoline_kernelINS0_14default_configENS1_29binary_search_config_selectorIfiEEZNS1_14transform_implILb0ES3_S5_N6thrust23THRUST_200600_302600_NS6detail15normal_iteratorINS8_7pointerIfNS8_11hip_rocprim9par_det_tENS8_11use_defaultESE_EEEENSA_INSB_IiSD_SE_SE_EEEEZNS1_13binary_searchIS3_S5_NSA_INS8_10device_ptrIfEEEESG_SI_NS1_16binary_search_opENS9_16wrapped_functionINS8_6system6detail7generic6detail18binary_search_lessEbEEEE10hipError_tPvRmT1_T2_T3_mmT4_T5_P12ihipStream_tbEUlRKfE_EESV_SZ_S10_mS11_S14_bEUlT_E_NS1_11comp_targetILNS1_3genE8ELNS1_11target_archE1030ELNS1_3gpuE2ELNS1_3repE0EEENS1_30default_config_static_selectorELNS0_4arch9wavefront6targetE0EEEvSY_.uses_vcc, 1
	.set _ZN7rocprim17ROCPRIM_400000_NS6detail17trampoline_kernelINS0_14default_configENS1_29binary_search_config_selectorIfiEEZNS1_14transform_implILb0ES3_S5_N6thrust23THRUST_200600_302600_NS6detail15normal_iteratorINS8_7pointerIfNS8_11hip_rocprim9par_det_tENS8_11use_defaultESE_EEEENSA_INSB_IiSD_SE_SE_EEEEZNS1_13binary_searchIS3_S5_NSA_INS8_10device_ptrIfEEEESG_SI_NS1_16binary_search_opENS9_16wrapped_functionINS8_6system6detail7generic6detail18binary_search_lessEbEEEE10hipError_tPvRmT1_T2_T3_mmT4_T5_P12ihipStream_tbEUlRKfE_EESV_SZ_S10_mS11_S14_bEUlT_E_NS1_11comp_targetILNS1_3genE8ELNS1_11target_archE1030ELNS1_3gpuE2ELNS1_3repE0EEENS1_30default_config_static_selectorELNS0_4arch9wavefront6targetE0EEEvSY_.uses_flat_scratch, 0
	.set _ZN7rocprim17ROCPRIM_400000_NS6detail17trampoline_kernelINS0_14default_configENS1_29binary_search_config_selectorIfiEEZNS1_14transform_implILb0ES3_S5_N6thrust23THRUST_200600_302600_NS6detail15normal_iteratorINS8_7pointerIfNS8_11hip_rocprim9par_det_tENS8_11use_defaultESE_EEEENSA_INSB_IiSD_SE_SE_EEEEZNS1_13binary_searchIS3_S5_NSA_INS8_10device_ptrIfEEEESG_SI_NS1_16binary_search_opENS9_16wrapped_functionINS8_6system6detail7generic6detail18binary_search_lessEbEEEE10hipError_tPvRmT1_T2_T3_mmT4_T5_P12ihipStream_tbEUlRKfE_EESV_SZ_S10_mS11_S14_bEUlT_E_NS1_11comp_targetILNS1_3genE8ELNS1_11target_archE1030ELNS1_3gpuE2ELNS1_3repE0EEENS1_30default_config_static_selectorELNS0_4arch9wavefront6targetE0EEEvSY_.has_dyn_sized_stack, 0
	.set _ZN7rocprim17ROCPRIM_400000_NS6detail17trampoline_kernelINS0_14default_configENS1_29binary_search_config_selectorIfiEEZNS1_14transform_implILb0ES3_S5_N6thrust23THRUST_200600_302600_NS6detail15normal_iteratorINS8_7pointerIfNS8_11hip_rocprim9par_det_tENS8_11use_defaultESE_EEEENSA_INSB_IiSD_SE_SE_EEEEZNS1_13binary_searchIS3_S5_NSA_INS8_10device_ptrIfEEEESG_SI_NS1_16binary_search_opENS9_16wrapped_functionINS8_6system6detail7generic6detail18binary_search_lessEbEEEE10hipError_tPvRmT1_T2_T3_mmT4_T5_P12ihipStream_tbEUlRKfE_EESV_SZ_S10_mS11_S14_bEUlT_E_NS1_11comp_targetILNS1_3genE8ELNS1_11target_archE1030ELNS1_3gpuE2ELNS1_3repE0EEENS1_30default_config_static_selectorELNS0_4arch9wavefront6targetE0EEEvSY_.has_recursion, 0
	.set _ZN7rocprim17ROCPRIM_400000_NS6detail17trampoline_kernelINS0_14default_configENS1_29binary_search_config_selectorIfiEEZNS1_14transform_implILb0ES3_S5_N6thrust23THRUST_200600_302600_NS6detail15normal_iteratorINS8_7pointerIfNS8_11hip_rocprim9par_det_tENS8_11use_defaultESE_EEEENSA_INSB_IiSD_SE_SE_EEEEZNS1_13binary_searchIS3_S5_NSA_INS8_10device_ptrIfEEEESG_SI_NS1_16binary_search_opENS9_16wrapped_functionINS8_6system6detail7generic6detail18binary_search_lessEbEEEE10hipError_tPvRmT1_T2_T3_mmT4_T5_P12ihipStream_tbEUlRKfE_EESV_SZ_S10_mS11_S14_bEUlT_E_NS1_11comp_targetILNS1_3genE8ELNS1_11target_archE1030ELNS1_3gpuE2ELNS1_3repE0EEENS1_30default_config_static_selectorELNS0_4arch9wavefront6targetE0EEEvSY_.has_indirect_call, 0
	.section	.AMDGPU.csdata,"",@progbits
; Kernel info:
; codeLenInByte = 860
; TotalNumSgprs: 22
; NumVgprs: 12
; ScratchSize: 0
; MemoryBound: 0
; FloatMode: 240
; IeeeMode: 1
; LDSByteSize: 0 bytes/workgroup (compile time only)
; SGPRBlocks: 0
; VGPRBlocks: 1
; NumSGPRsForWavesPerEU: 22
; NumVGPRsForWavesPerEU: 12
; Occupancy: 16
; WaveLimiterHint : 0
; COMPUTE_PGM_RSRC2:SCRATCH_EN: 0
; COMPUTE_PGM_RSRC2:USER_SGPR: 6
; COMPUTE_PGM_RSRC2:TRAP_HANDLER: 0
; COMPUTE_PGM_RSRC2:TGID_X_EN: 1
; COMPUTE_PGM_RSRC2:TGID_Y_EN: 0
; COMPUTE_PGM_RSRC2:TGID_Z_EN: 0
; COMPUTE_PGM_RSRC2:TIDIG_COMP_CNT: 0
	.section	.text._ZN7rocprim17ROCPRIM_400000_NS6detail17trampoline_kernelINS0_14default_configENS1_29binary_search_config_selectorIfiEEZNS1_14transform_implILb0ES3_S5_N6thrust23THRUST_200600_302600_NS6detail15normal_iteratorINS8_7pointerIfNS8_11hip_rocprim5par_tENS8_11use_defaultESE_EEEENSA_INSB_IiSD_SE_SE_EEEEZNS1_13binary_searchIS3_S5_NSA_INS8_10device_ptrIfEEEESG_SI_NS1_16binary_search_opENS9_16wrapped_functionINS8_6system6detail7generic6detail18binary_search_lessEbEEEE10hipError_tPvRmT1_T2_T3_mmT4_T5_P12ihipStream_tbEUlRKfE_EESV_SZ_S10_mS11_S14_bEUlT_E_NS1_11comp_targetILNS1_3genE0ELNS1_11target_archE4294967295ELNS1_3gpuE0ELNS1_3repE0EEENS1_30default_config_static_selectorELNS0_4arch9wavefront6targetE0EEEvSY_,"axG",@progbits,_ZN7rocprim17ROCPRIM_400000_NS6detail17trampoline_kernelINS0_14default_configENS1_29binary_search_config_selectorIfiEEZNS1_14transform_implILb0ES3_S5_N6thrust23THRUST_200600_302600_NS6detail15normal_iteratorINS8_7pointerIfNS8_11hip_rocprim5par_tENS8_11use_defaultESE_EEEENSA_INSB_IiSD_SE_SE_EEEEZNS1_13binary_searchIS3_S5_NSA_INS8_10device_ptrIfEEEESG_SI_NS1_16binary_search_opENS9_16wrapped_functionINS8_6system6detail7generic6detail18binary_search_lessEbEEEE10hipError_tPvRmT1_T2_T3_mmT4_T5_P12ihipStream_tbEUlRKfE_EESV_SZ_S10_mS11_S14_bEUlT_E_NS1_11comp_targetILNS1_3genE0ELNS1_11target_archE4294967295ELNS1_3gpuE0ELNS1_3repE0EEENS1_30default_config_static_selectorELNS0_4arch9wavefront6targetE0EEEvSY_,comdat
	.protected	_ZN7rocprim17ROCPRIM_400000_NS6detail17trampoline_kernelINS0_14default_configENS1_29binary_search_config_selectorIfiEEZNS1_14transform_implILb0ES3_S5_N6thrust23THRUST_200600_302600_NS6detail15normal_iteratorINS8_7pointerIfNS8_11hip_rocprim5par_tENS8_11use_defaultESE_EEEENSA_INSB_IiSD_SE_SE_EEEEZNS1_13binary_searchIS3_S5_NSA_INS8_10device_ptrIfEEEESG_SI_NS1_16binary_search_opENS9_16wrapped_functionINS8_6system6detail7generic6detail18binary_search_lessEbEEEE10hipError_tPvRmT1_T2_T3_mmT4_T5_P12ihipStream_tbEUlRKfE_EESV_SZ_S10_mS11_S14_bEUlT_E_NS1_11comp_targetILNS1_3genE0ELNS1_11target_archE4294967295ELNS1_3gpuE0ELNS1_3repE0EEENS1_30default_config_static_selectorELNS0_4arch9wavefront6targetE0EEEvSY_ ; -- Begin function _ZN7rocprim17ROCPRIM_400000_NS6detail17trampoline_kernelINS0_14default_configENS1_29binary_search_config_selectorIfiEEZNS1_14transform_implILb0ES3_S5_N6thrust23THRUST_200600_302600_NS6detail15normal_iteratorINS8_7pointerIfNS8_11hip_rocprim5par_tENS8_11use_defaultESE_EEEENSA_INSB_IiSD_SE_SE_EEEEZNS1_13binary_searchIS3_S5_NSA_INS8_10device_ptrIfEEEESG_SI_NS1_16binary_search_opENS9_16wrapped_functionINS8_6system6detail7generic6detail18binary_search_lessEbEEEE10hipError_tPvRmT1_T2_T3_mmT4_T5_P12ihipStream_tbEUlRKfE_EESV_SZ_S10_mS11_S14_bEUlT_E_NS1_11comp_targetILNS1_3genE0ELNS1_11target_archE4294967295ELNS1_3gpuE0ELNS1_3repE0EEENS1_30default_config_static_selectorELNS0_4arch9wavefront6targetE0EEEvSY_
	.globl	_ZN7rocprim17ROCPRIM_400000_NS6detail17trampoline_kernelINS0_14default_configENS1_29binary_search_config_selectorIfiEEZNS1_14transform_implILb0ES3_S5_N6thrust23THRUST_200600_302600_NS6detail15normal_iteratorINS8_7pointerIfNS8_11hip_rocprim5par_tENS8_11use_defaultESE_EEEENSA_INSB_IiSD_SE_SE_EEEEZNS1_13binary_searchIS3_S5_NSA_INS8_10device_ptrIfEEEESG_SI_NS1_16binary_search_opENS9_16wrapped_functionINS8_6system6detail7generic6detail18binary_search_lessEbEEEE10hipError_tPvRmT1_T2_T3_mmT4_T5_P12ihipStream_tbEUlRKfE_EESV_SZ_S10_mS11_S14_bEUlT_E_NS1_11comp_targetILNS1_3genE0ELNS1_11target_archE4294967295ELNS1_3gpuE0ELNS1_3repE0EEENS1_30default_config_static_selectorELNS0_4arch9wavefront6targetE0EEEvSY_
	.p2align	8
	.type	_ZN7rocprim17ROCPRIM_400000_NS6detail17trampoline_kernelINS0_14default_configENS1_29binary_search_config_selectorIfiEEZNS1_14transform_implILb0ES3_S5_N6thrust23THRUST_200600_302600_NS6detail15normal_iteratorINS8_7pointerIfNS8_11hip_rocprim5par_tENS8_11use_defaultESE_EEEENSA_INSB_IiSD_SE_SE_EEEEZNS1_13binary_searchIS3_S5_NSA_INS8_10device_ptrIfEEEESG_SI_NS1_16binary_search_opENS9_16wrapped_functionINS8_6system6detail7generic6detail18binary_search_lessEbEEEE10hipError_tPvRmT1_T2_T3_mmT4_T5_P12ihipStream_tbEUlRKfE_EESV_SZ_S10_mS11_S14_bEUlT_E_NS1_11comp_targetILNS1_3genE0ELNS1_11target_archE4294967295ELNS1_3gpuE0ELNS1_3repE0EEENS1_30default_config_static_selectorELNS0_4arch9wavefront6targetE0EEEvSY_,@function
_ZN7rocprim17ROCPRIM_400000_NS6detail17trampoline_kernelINS0_14default_configENS1_29binary_search_config_selectorIfiEEZNS1_14transform_implILb0ES3_S5_N6thrust23THRUST_200600_302600_NS6detail15normal_iteratorINS8_7pointerIfNS8_11hip_rocprim5par_tENS8_11use_defaultESE_EEEENSA_INSB_IiSD_SE_SE_EEEEZNS1_13binary_searchIS3_S5_NSA_INS8_10device_ptrIfEEEESG_SI_NS1_16binary_search_opENS9_16wrapped_functionINS8_6system6detail7generic6detail18binary_search_lessEbEEEE10hipError_tPvRmT1_T2_T3_mmT4_T5_P12ihipStream_tbEUlRKfE_EESV_SZ_S10_mS11_S14_bEUlT_E_NS1_11comp_targetILNS1_3genE0ELNS1_11target_archE4294967295ELNS1_3gpuE0ELNS1_3repE0EEENS1_30default_config_static_selectorELNS0_4arch9wavefront6targetE0EEEvSY_: ; @_ZN7rocprim17ROCPRIM_400000_NS6detail17trampoline_kernelINS0_14default_configENS1_29binary_search_config_selectorIfiEEZNS1_14transform_implILb0ES3_S5_N6thrust23THRUST_200600_302600_NS6detail15normal_iteratorINS8_7pointerIfNS8_11hip_rocprim5par_tENS8_11use_defaultESE_EEEENSA_INSB_IiSD_SE_SE_EEEEZNS1_13binary_searchIS3_S5_NSA_INS8_10device_ptrIfEEEESG_SI_NS1_16binary_search_opENS9_16wrapped_functionINS8_6system6detail7generic6detail18binary_search_lessEbEEEE10hipError_tPvRmT1_T2_T3_mmT4_T5_P12ihipStream_tbEUlRKfE_EESV_SZ_S10_mS11_S14_bEUlT_E_NS1_11comp_targetILNS1_3genE0ELNS1_11target_archE4294967295ELNS1_3gpuE0ELNS1_3repE0EEENS1_30default_config_static_selectorELNS0_4arch9wavefront6targetE0EEEvSY_
; %bb.0:
	.section	.rodata,"a",@progbits
	.p2align	6, 0x0
	.amdhsa_kernel _ZN7rocprim17ROCPRIM_400000_NS6detail17trampoline_kernelINS0_14default_configENS1_29binary_search_config_selectorIfiEEZNS1_14transform_implILb0ES3_S5_N6thrust23THRUST_200600_302600_NS6detail15normal_iteratorINS8_7pointerIfNS8_11hip_rocprim5par_tENS8_11use_defaultESE_EEEENSA_INSB_IiSD_SE_SE_EEEEZNS1_13binary_searchIS3_S5_NSA_INS8_10device_ptrIfEEEESG_SI_NS1_16binary_search_opENS9_16wrapped_functionINS8_6system6detail7generic6detail18binary_search_lessEbEEEE10hipError_tPvRmT1_T2_T3_mmT4_T5_P12ihipStream_tbEUlRKfE_EESV_SZ_S10_mS11_S14_bEUlT_E_NS1_11comp_targetILNS1_3genE0ELNS1_11target_archE4294967295ELNS1_3gpuE0ELNS1_3repE0EEENS1_30default_config_static_selectorELNS0_4arch9wavefront6targetE0EEEvSY_
		.amdhsa_group_segment_fixed_size 0
		.amdhsa_private_segment_fixed_size 0
		.amdhsa_kernarg_size 56
		.amdhsa_user_sgpr_count 6
		.amdhsa_user_sgpr_private_segment_buffer 1
		.amdhsa_user_sgpr_dispatch_ptr 0
		.amdhsa_user_sgpr_queue_ptr 0
		.amdhsa_user_sgpr_kernarg_segment_ptr 1
		.amdhsa_user_sgpr_dispatch_id 0
		.amdhsa_user_sgpr_flat_scratch_init 0
		.amdhsa_user_sgpr_private_segment_size 0
		.amdhsa_wavefront_size32 1
		.amdhsa_uses_dynamic_stack 0
		.amdhsa_system_sgpr_private_segment_wavefront_offset 0
		.amdhsa_system_sgpr_workgroup_id_x 1
		.amdhsa_system_sgpr_workgroup_id_y 0
		.amdhsa_system_sgpr_workgroup_id_z 0
		.amdhsa_system_sgpr_workgroup_info 0
		.amdhsa_system_vgpr_workitem_id 0
		.amdhsa_next_free_vgpr 1
		.amdhsa_next_free_sgpr 1
		.amdhsa_reserve_vcc 0
		.amdhsa_reserve_flat_scratch 0
		.amdhsa_float_round_mode_32 0
		.amdhsa_float_round_mode_16_64 0
		.amdhsa_float_denorm_mode_32 3
		.amdhsa_float_denorm_mode_16_64 3
		.amdhsa_dx10_clamp 1
		.amdhsa_ieee_mode 1
		.amdhsa_fp16_overflow 0
		.amdhsa_workgroup_processor_mode 1
		.amdhsa_memory_ordered 1
		.amdhsa_forward_progress 1
		.amdhsa_shared_vgpr_count 0
		.amdhsa_exception_fp_ieee_invalid_op 0
		.amdhsa_exception_fp_denorm_src 0
		.amdhsa_exception_fp_ieee_div_zero 0
		.amdhsa_exception_fp_ieee_overflow 0
		.amdhsa_exception_fp_ieee_underflow 0
		.amdhsa_exception_fp_ieee_inexact 0
		.amdhsa_exception_int_div_zero 0
	.end_amdhsa_kernel
	.section	.text._ZN7rocprim17ROCPRIM_400000_NS6detail17trampoline_kernelINS0_14default_configENS1_29binary_search_config_selectorIfiEEZNS1_14transform_implILb0ES3_S5_N6thrust23THRUST_200600_302600_NS6detail15normal_iteratorINS8_7pointerIfNS8_11hip_rocprim5par_tENS8_11use_defaultESE_EEEENSA_INSB_IiSD_SE_SE_EEEEZNS1_13binary_searchIS3_S5_NSA_INS8_10device_ptrIfEEEESG_SI_NS1_16binary_search_opENS9_16wrapped_functionINS8_6system6detail7generic6detail18binary_search_lessEbEEEE10hipError_tPvRmT1_T2_T3_mmT4_T5_P12ihipStream_tbEUlRKfE_EESV_SZ_S10_mS11_S14_bEUlT_E_NS1_11comp_targetILNS1_3genE0ELNS1_11target_archE4294967295ELNS1_3gpuE0ELNS1_3repE0EEENS1_30default_config_static_selectorELNS0_4arch9wavefront6targetE0EEEvSY_,"axG",@progbits,_ZN7rocprim17ROCPRIM_400000_NS6detail17trampoline_kernelINS0_14default_configENS1_29binary_search_config_selectorIfiEEZNS1_14transform_implILb0ES3_S5_N6thrust23THRUST_200600_302600_NS6detail15normal_iteratorINS8_7pointerIfNS8_11hip_rocprim5par_tENS8_11use_defaultESE_EEEENSA_INSB_IiSD_SE_SE_EEEEZNS1_13binary_searchIS3_S5_NSA_INS8_10device_ptrIfEEEESG_SI_NS1_16binary_search_opENS9_16wrapped_functionINS8_6system6detail7generic6detail18binary_search_lessEbEEEE10hipError_tPvRmT1_T2_T3_mmT4_T5_P12ihipStream_tbEUlRKfE_EESV_SZ_S10_mS11_S14_bEUlT_E_NS1_11comp_targetILNS1_3genE0ELNS1_11target_archE4294967295ELNS1_3gpuE0ELNS1_3repE0EEENS1_30default_config_static_selectorELNS0_4arch9wavefront6targetE0EEEvSY_,comdat
.Lfunc_end653:
	.size	_ZN7rocprim17ROCPRIM_400000_NS6detail17trampoline_kernelINS0_14default_configENS1_29binary_search_config_selectorIfiEEZNS1_14transform_implILb0ES3_S5_N6thrust23THRUST_200600_302600_NS6detail15normal_iteratorINS8_7pointerIfNS8_11hip_rocprim5par_tENS8_11use_defaultESE_EEEENSA_INSB_IiSD_SE_SE_EEEEZNS1_13binary_searchIS3_S5_NSA_INS8_10device_ptrIfEEEESG_SI_NS1_16binary_search_opENS9_16wrapped_functionINS8_6system6detail7generic6detail18binary_search_lessEbEEEE10hipError_tPvRmT1_T2_T3_mmT4_T5_P12ihipStream_tbEUlRKfE_EESV_SZ_S10_mS11_S14_bEUlT_E_NS1_11comp_targetILNS1_3genE0ELNS1_11target_archE4294967295ELNS1_3gpuE0ELNS1_3repE0EEENS1_30default_config_static_selectorELNS0_4arch9wavefront6targetE0EEEvSY_, .Lfunc_end653-_ZN7rocprim17ROCPRIM_400000_NS6detail17trampoline_kernelINS0_14default_configENS1_29binary_search_config_selectorIfiEEZNS1_14transform_implILb0ES3_S5_N6thrust23THRUST_200600_302600_NS6detail15normal_iteratorINS8_7pointerIfNS8_11hip_rocprim5par_tENS8_11use_defaultESE_EEEENSA_INSB_IiSD_SE_SE_EEEEZNS1_13binary_searchIS3_S5_NSA_INS8_10device_ptrIfEEEESG_SI_NS1_16binary_search_opENS9_16wrapped_functionINS8_6system6detail7generic6detail18binary_search_lessEbEEEE10hipError_tPvRmT1_T2_T3_mmT4_T5_P12ihipStream_tbEUlRKfE_EESV_SZ_S10_mS11_S14_bEUlT_E_NS1_11comp_targetILNS1_3genE0ELNS1_11target_archE4294967295ELNS1_3gpuE0ELNS1_3repE0EEENS1_30default_config_static_selectorELNS0_4arch9wavefront6targetE0EEEvSY_
                                        ; -- End function
	.set _ZN7rocprim17ROCPRIM_400000_NS6detail17trampoline_kernelINS0_14default_configENS1_29binary_search_config_selectorIfiEEZNS1_14transform_implILb0ES3_S5_N6thrust23THRUST_200600_302600_NS6detail15normal_iteratorINS8_7pointerIfNS8_11hip_rocprim5par_tENS8_11use_defaultESE_EEEENSA_INSB_IiSD_SE_SE_EEEEZNS1_13binary_searchIS3_S5_NSA_INS8_10device_ptrIfEEEESG_SI_NS1_16binary_search_opENS9_16wrapped_functionINS8_6system6detail7generic6detail18binary_search_lessEbEEEE10hipError_tPvRmT1_T2_T3_mmT4_T5_P12ihipStream_tbEUlRKfE_EESV_SZ_S10_mS11_S14_bEUlT_E_NS1_11comp_targetILNS1_3genE0ELNS1_11target_archE4294967295ELNS1_3gpuE0ELNS1_3repE0EEENS1_30default_config_static_selectorELNS0_4arch9wavefront6targetE0EEEvSY_.num_vgpr, 0
	.set _ZN7rocprim17ROCPRIM_400000_NS6detail17trampoline_kernelINS0_14default_configENS1_29binary_search_config_selectorIfiEEZNS1_14transform_implILb0ES3_S5_N6thrust23THRUST_200600_302600_NS6detail15normal_iteratorINS8_7pointerIfNS8_11hip_rocprim5par_tENS8_11use_defaultESE_EEEENSA_INSB_IiSD_SE_SE_EEEEZNS1_13binary_searchIS3_S5_NSA_INS8_10device_ptrIfEEEESG_SI_NS1_16binary_search_opENS9_16wrapped_functionINS8_6system6detail7generic6detail18binary_search_lessEbEEEE10hipError_tPvRmT1_T2_T3_mmT4_T5_P12ihipStream_tbEUlRKfE_EESV_SZ_S10_mS11_S14_bEUlT_E_NS1_11comp_targetILNS1_3genE0ELNS1_11target_archE4294967295ELNS1_3gpuE0ELNS1_3repE0EEENS1_30default_config_static_selectorELNS0_4arch9wavefront6targetE0EEEvSY_.num_agpr, 0
	.set _ZN7rocprim17ROCPRIM_400000_NS6detail17trampoline_kernelINS0_14default_configENS1_29binary_search_config_selectorIfiEEZNS1_14transform_implILb0ES3_S5_N6thrust23THRUST_200600_302600_NS6detail15normal_iteratorINS8_7pointerIfNS8_11hip_rocprim5par_tENS8_11use_defaultESE_EEEENSA_INSB_IiSD_SE_SE_EEEEZNS1_13binary_searchIS3_S5_NSA_INS8_10device_ptrIfEEEESG_SI_NS1_16binary_search_opENS9_16wrapped_functionINS8_6system6detail7generic6detail18binary_search_lessEbEEEE10hipError_tPvRmT1_T2_T3_mmT4_T5_P12ihipStream_tbEUlRKfE_EESV_SZ_S10_mS11_S14_bEUlT_E_NS1_11comp_targetILNS1_3genE0ELNS1_11target_archE4294967295ELNS1_3gpuE0ELNS1_3repE0EEENS1_30default_config_static_selectorELNS0_4arch9wavefront6targetE0EEEvSY_.numbered_sgpr, 0
	.set _ZN7rocprim17ROCPRIM_400000_NS6detail17trampoline_kernelINS0_14default_configENS1_29binary_search_config_selectorIfiEEZNS1_14transform_implILb0ES3_S5_N6thrust23THRUST_200600_302600_NS6detail15normal_iteratorINS8_7pointerIfNS8_11hip_rocprim5par_tENS8_11use_defaultESE_EEEENSA_INSB_IiSD_SE_SE_EEEEZNS1_13binary_searchIS3_S5_NSA_INS8_10device_ptrIfEEEESG_SI_NS1_16binary_search_opENS9_16wrapped_functionINS8_6system6detail7generic6detail18binary_search_lessEbEEEE10hipError_tPvRmT1_T2_T3_mmT4_T5_P12ihipStream_tbEUlRKfE_EESV_SZ_S10_mS11_S14_bEUlT_E_NS1_11comp_targetILNS1_3genE0ELNS1_11target_archE4294967295ELNS1_3gpuE0ELNS1_3repE0EEENS1_30default_config_static_selectorELNS0_4arch9wavefront6targetE0EEEvSY_.num_named_barrier, 0
	.set _ZN7rocprim17ROCPRIM_400000_NS6detail17trampoline_kernelINS0_14default_configENS1_29binary_search_config_selectorIfiEEZNS1_14transform_implILb0ES3_S5_N6thrust23THRUST_200600_302600_NS6detail15normal_iteratorINS8_7pointerIfNS8_11hip_rocprim5par_tENS8_11use_defaultESE_EEEENSA_INSB_IiSD_SE_SE_EEEEZNS1_13binary_searchIS3_S5_NSA_INS8_10device_ptrIfEEEESG_SI_NS1_16binary_search_opENS9_16wrapped_functionINS8_6system6detail7generic6detail18binary_search_lessEbEEEE10hipError_tPvRmT1_T2_T3_mmT4_T5_P12ihipStream_tbEUlRKfE_EESV_SZ_S10_mS11_S14_bEUlT_E_NS1_11comp_targetILNS1_3genE0ELNS1_11target_archE4294967295ELNS1_3gpuE0ELNS1_3repE0EEENS1_30default_config_static_selectorELNS0_4arch9wavefront6targetE0EEEvSY_.private_seg_size, 0
	.set _ZN7rocprim17ROCPRIM_400000_NS6detail17trampoline_kernelINS0_14default_configENS1_29binary_search_config_selectorIfiEEZNS1_14transform_implILb0ES3_S5_N6thrust23THRUST_200600_302600_NS6detail15normal_iteratorINS8_7pointerIfNS8_11hip_rocprim5par_tENS8_11use_defaultESE_EEEENSA_INSB_IiSD_SE_SE_EEEEZNS1_13binary_searchIS3_S5_NSA_INS8_10device_ptrIfEEEESG_SI_NS1_16binary_search_opENS9_16wrapped_functionINS8_6system6detail7generic6detail18binary_search_lessEbEEEE10hipError_tPvRmT1_T2_T3_mmT4_T5_P12ihipStream_tbEUlRKfE_EESV_SZ_S10_mS11_S14_bEUlT_E_NS1_11comp_targetILNS1_3genE0ELNS1_11target_archE4294967295ELNS1_3gpuE0ELNS1_3repE0EEENS1_30default_config_static_selectorELNS0_4arch9wavefront6targetE0EEEvSY_.uses_vcc, 0
	.set _ZN7rocprim17ROCPRIM_400000_NS6detail17trampoline_kernelINS0_14default_configENS1_29binary_search_config_selectorIfiEEZNS1_14transform_implILb0ES3_S5_N6thrust23THRUST_200600_302600_NS6detail15normal_iteratorINS8_7pointerIfNS8_11hip_rocprim5par_tENS8_11use_defaultESE_EEEENSA_INSB_IiSD_SE_SE_EEEEZNS1_13binary_searchIS3_S5_NSA_INS8_10device_ptrIfEEEESG_SI_NS1_16binary_search_opENS9_16wrapped_functionINS8_6system6detail7generic6detail18binary_search_lessEbEEEE10hipError_tPvRmT1_T2_T3_mmT4_T5_P12ihipStream_tbEUlRKfE_EESV_SZ_S10_mS11_S14_bEUlT_E_NS1_11comp_targetILNS1_3genE0ELNS1_11target_archE4294967295ELNS1_3gpuE0ELNS1_3repE0EEENS1_30default_config_static_selectorELNS0_4arch9wavefront6targetE0EEEvSY_.uses_flat_scratch, 0
	.set _ZN7rocprim17ROCPRIM_400000_NS6detail17trampoline_kernelINS0_14default_configENS1_29binary_search_config_selectorIfiEEZNS1_14transform_implILb0ES3_S5_N6thrust23THRUST_200600_302600_NS6detail15normal_iteratorINS8_7pointerIfNS8_11hip_rocprim5par_tENS8_11use_defaultESE_EEEENSA_INSB_IiSD_SE_SE_EEEEZNS1_13binary_searchIS3_S5_NSA_INS8_10device_ptrIfEEEESG_SI_NS1_16binary_search_opENS9_16wrapped_functionINS8_6system6detail7generic6detail18binary_search_lessEbEEEE10hipError_tPvRmT1_T2_T3_mmT4_T5_P12ihipStream_tbEUlRKfE_EESV_SZ_S10_mS11_S14_bEUlT_E_NS1_11comp_targetILNS1_3genE0ELNS1_11target_archE4294967295ELNS1_3gpuE0ELNS1_3repE0EEENS1_30default_config_static_selectorELNS0_4arch9wavefront6targetE0EEEvSY_.has_dyn_sized_stack, 0
	.set _ZN7rocprim17ROCPRIM_400000_NS6detail17trampoline_kernelINS0_14default_configENS1_29binary_search_config_selectorIfiEEZNS1_14transform_implILb0ES3_S5_N6thrust23THRUST_200600_302600_NS6detail15normal_iteratorINS8_7pointerIfNS8_11hip_rocprim5par_tENS8_11use_defaultESE_EEEENSA_INSB_IiSD_SE_SE_EEEEZNS1_13binary_searchIS3_S5_NSA_INS8_10device_ptrIfEEEESG_SI_NS1_16binary_search_opENS9_16wrapped_functionINS8_6system6detail7generic6detail18binary_search_lessEbEEEE10hipError_tPvRmT1_T2_T3_mmT4_T5_P12ihipStream_tbEUlRKfE_EESV_SZ_S10_mS11_S14_bEUlT_E_NS1_11comp_targetILNS1_3genE0ELNS1_11target_archE4294967295ELNS1_3gpuE0ELNS1_3repE0EEENS1_30default_config_static_selectorELNS0_4arch9wavefront6targetE0EEEvSY_.has_recursion, 0
	.set _ZN7rocprim17ROCPRIM_400000_NS6detail17trampoline_kernelINS0_14default_configENS1_29binary_search_config_selectorIfiEEZNS1_14transform_implILb0ES3_S5_N6thrust23THRUST_200600_302600_NS6detail15normal_iteratorINS8_7pointerIfNS8_11hip_rocprim5par_tENS8_11use_defaultESE_EEEENSA_INSB_IiSD_SE_SE_EEEEZNS1_13binary_searchIS3_S5_NSA_INS8_10device_ptrIfEEEESG_SI_NS1_16binary_search_opENS9_16wrapped_functionINS8_6system6detail7generic6detail18binary_search_lessEbEEEE10hipError_tPvRmT1_T2_T3_mmT4_T5_P12ihipStream_tbEUlRKfE_EESV_SZ_S10_mS11_S14_bEUlT_E_NS1_11comp_targetILNS1_3genE0ELNS1_11target_archE4294967295ELNS1_3gpuE0ELNS1_3repE0EEENS1_30default_config_static_selectorELNS0_4arch9wavefront6targetE0EEEvSY_.has_indirect_call, 0
	.section	.AMDGPU.csdata,"",@progbits
; Kernel info:
; codeLenInByte = 0
; TotalNumSgprs: 0
; NumVgprs: 0
; ScratchSize: 0
; MemoryBound: 0
; FloatMode: 240
; IeeeMode: 1
; LDSByteSize: 0 bytes/workgroup (compile time only)
; SGPRBlocks: 0
; VGPRBlocks: 0
; NumSGPRsForWavesPerEU: 1
; NumVGPRsForWavesPerEU: 1
; Occupancy: 16
; WaveLimiterHint : 0
; COMPUTE_PGM_RSRC2:SCRATCH_EN: 0
; COMPUTE_PGM_RSRC2:USER_SGPR: 6
; COMPUTE_PGM_RSRC2:TRAP_HANDLER: 0
; COMPUTE_PGM_RSRC2:TGID_X_EN: 1
; COMPUTE_PGM_RSRC2:TGID_Y_EN: 0
; COMPUTE_PGM_RSRC2:TGID_Z_EN: 0
; COMPUTE_PGM_RSRC2:TIDIG_COMP_CNT: 0
	.section	.text._ZN7rocprim17ROCPRIM_400000_NS6detail17trampoline_kernelINS0_14default_configENS1_29binary_search_config_selectorIfiEEZNS1_14transform_implILb0ES3_S5_N6thrust23THRUST_200600_302600_NS6detail15normal_iteratorINS8_7pointerIfNS8_11hip_rocprim5par_tENS8_11use_defaultESE_EEEENSA_INSB_IiSD_SE_SE_EEEEZNS1_13binary_searchIS3_S5_NSA_INS8_10device_ptrIfEEEESG_SI_NS1_16binary_search_opENS9_16wrapped_functionINS8_6system6detail7generic6detail18binary_search_lessEbEEEE10hipError_tPvRmT1_T2_T3_mmT4_T5_P12ihipStream_tbEUlRKfE_EESV_SZ_S10_mS11_S14_bEUlT_E_NS1_11comp_targetILNS1_3genE5ELNS1_11target_archE942ELNS1_3gpuE9ELNS1_3repE0EEENS1_30default_config_static_selectorELNS0_4arch9wavefront6targetE0EEEvSY_,"axG",@progbits,_ZN7rocprim17ROCPRIM_400000_NS6detail17trampoline_kernelINS0_14default_configENS1_29binary_search_config_selectorIfiEEZNS1_14transform_implILb0ES3_S5_N6thrust23THRUST_200600_302600_NS6detail15normal_iteratorINS8_7pointerIfNS8_11hip_rocprim5par_tENS8_11use_defaultESE_EEEENSA_INSB_IiSD_SE_SE_EEEEZNS1_13binary_searchIS3_S5_NSA_INS8_10device_ptrIfEEEESG_SI_NS1_16binary_search_opENS9_16wrapped_functionINS8_6system6detail7generic6detail18binary_search_lessEbEEEE10hipError_tPvRmT1_T2_T3_mmT4_T5_P12ihipStream_tbEUlRKfE_EESV_SZ_S10_mS11_S14_bEUlT_E_NS1_11comp_targetILNS1_3genE5ELNS1_11target_archE942ELNS1_3gpuE9ELNS1_3repE0EEENS1_30default_config_static_selectorELNS0_4arch9wavefront6targetE0EEEvSY_,comdat
	.protected	_ZN7rocprim17ROCPRIM_400000_NS6detail17trampoline_kernelINS0_14default_configENS1_29binary_search_config_selectorIfiEEZNS1_14transform_implILb0ES3_S5_N6thrust23THRUST_200600_302600_NS6detail15normal_iteratorINS8_7pointerIfNS8_11hip_rocprim5par_tENS8_11use_defaultESE_EEEENSA_INSB_IiSD_SE_SE_EEEEZNS1_13binary_searchIS3_S5_NSA_INS8_10device_ptrIfEEEESG_SI_NS1_16binary_search_opENS9_16wrapped_functionINS8_6system6detail7generic6detail18binary_search_lessEbEEEE10hipError_tPvRmT1_T2_T3_mmT4_T5_P12ihipStream_tbEUlRKfE_EESV_SZ_S10_mS11_S14_bEUlT_E_NS1_11comp_targetILNS1_3genE5ELNS1_11target_archE942ELNS1_3gpuE9ELNS1_3repE0EEENS1_30default_config_static_selectorELNS0_4arch9wavefront6targetE0EEEvSY_ ; -- Begin function _ZN7rocprim17ROCPRIM_400000_NS6detail17trampoline_kernelINS0_14default_configENS1_29binary_search_config_selectorIfiEEZNS1_14transform_implILb0ES3_S5_N6thrust23THRUST_200600_302600_NS6detail15normal_iteratorINS8_7pointerIfNS8_11hip_rocprim5par_tENS8_11use_defaultESE_EEEENSA_INSB_IiSD_SE_SE_EEEEZNS1_13binary_searchIS3_S5_NSA_INS8_10device_ptrIfEEEESG_SI_NS1_16binary_search_opENS9_16wrapped_functionINS8_6system6detail7generic6detail18binary_search_lessEbEEEE10hipError_tPvRmT1_T2_T3_mmT4_T5_P12ihipStream_tbEUlRKfE_EESV_SZ_S10_mS11_S14_bEUlT_E_NS1_11comp_targetILNS1_3genE5ELNS1_11target_archE942ELNS1_3gpuE9ELNS1_3repE0EEENS1_30default_config_static_selectorELNS0_4arch9wavefront6targetE0EEEvSY_
	.globl	_ZN7rocprim17ROCPRIM_400000_NS6detail17trampoline_kernelINS0_14default_configENS1_29binary_search_config_selectorIfiEEZNS1_14transform_implILb0ES3_S5_N6thrust23THRUST_200600_302600_NS6detail15normal_iteratorINS8_7pointerIfNS8_11hip_rocprim5par_tENS8_11use_defaultESE_EEEENSA_INSB_IiSD_SE_SE_EEEEZNS1_13binary_searchIS3_S5_NSA_INS8_10device_ptrIfEEEESG_SI_NS1_16binary_search_opENS9_16wrapped_functionINS8_6system6detail7generic6detail18binary_search_lessEbEEEE10hipError_tPvRmT1_T2_T3_mmT4_T5_P12ihipStream_tbEUlRKfE_EESV_SZ_S10_mS11_S14_bEUlT_E_NS1_11comp_targetILNS1_3genE5ELNS1_11target_archE942ELNS1_3gpuE9ELNS1_3repE0EEENS1_30default_config_static_selectorELNS0_4arch9wavefront6targetE0EEEvSY_
	.p2align	8
	.type	_ZN7rocprim17ROCPRIM_400000_NS6detail17trampoline_kernelINS0_14default_configENS1_29binary_search_config_selectorIfiEEZNS1_14transform_implILb0ES3_S5_N6thrust23THRUST_200600_302600_NS6detail15normal_iteratorINS8_7pointerIfNS8_11hip_rocprim5par_tENS8_11use_defaultESE_EEEENSA_INSB_IiSD_SE_SE_EEEEZNS1_13binary_searchIS3_S5_NSA_INS8_10device_ptrIfEEEESG_SI_NS1_16binary_search_opENS9_16wrapped_functionINS8_6system6detail7generic6detail18binary_search_lessEbEEEE10hipError_tPvRmT1_T2_T3_mmT4_T5_P12ihipStream_tbEUlRKfE_EESV_SZ_S10_mS11_S14_bEUlT_E_NS1_11comp_targetILNS1_3genE5ELNS1_11target_archE942ELNS1_3gpuE9ELNS1_3repE0EEENS1_30default_config_static_selectorELNS0_4arch9wavefront6targetE0EEEvSY_,@function
_ZN7rocprim17ROCPRIM_400000_NS6detail17trampoline_kernelINS0_14default_configENS1_29binary_search_config_selectorIfiEEZNS1_14transform_implILb0ES3_S5_N6thrust23THRUST_200600_302600_NS6detail15normal_iteratorINS8_7pointerIfNS8_11hip_rocprim5par_tENS8_11use_defaultESE_EEEENSA_INSB_IiSD_SE_SE_EEEEZNS1_13binary_searchIS3_S5_NSA_INS8_10device_ptrIfEEEESG_SI_NS1_16binary_search_opENS9_16wrapped_functionINS8_6system6detail7generic6detail18binary_search_lessEbEEEE10hipError_tPvRmT1_T2_T3_mmT4_T5_P12ihipStream_tbEUlRKfE_EESV_SZ_S10_mS11_S14_bEUlT_E_NS1_11comp_targetILNS1_3genE5ELNS1_11target_archE942ELNS1_3gpuE9ELNS1_3repE0EEENS1_30default_config_static_selectorELNS0_4arch9wavefront6targetE0EEEvSY_: ; @_ZN7rocprim17ROCPRIM_400000_NS6detail17trampoline_kernelINS0_14default_configENS1_29binary_search_config_selectorIfiEEZNS1_14transform_implILb0ES3_S5_N6thrust23THRUST_200600_302600_NS6detail15normal_iteratorINS8_7pointerIfNS8_11hip_rocprim5par_tENS8_11use_defaultESE_EEEENSA_INSB_IiSD_SE_SE_EEEEZNS1_13binary_searchIS3_S5_NSA_INS8_10device_ptrIfEEEESG_SI_NS1_16binary_search_opENS9_16wrapped_functionINS8_6system6detail7generic6detail18binary_search_lessEbEEEE10hipError_tPvRmT1_T2_T3_mmT4_T5_P12ihipStream_tbEUlRKfE_EESV_SZ_S10_mS11_S14_bEUlT_E_NS1_11comp_targetILNS1_3genE5ELNS1_11target_archE942ELNS1_3gpuE9ELNS1_3repE0EEENS1_30default_config_static_selectorELNS0_4arch9wavefront6targetE0EEEvSY_
; %bb.0:
	.section	.rodata,"a",@progbits
	.p2align	6, 0x0
	.amdhsa_kernel _ZN7rocprim17ROCPRIM_400000_NS6detail17trampoline_kernelINS0_14default_configENS1_29binary_search_config_selectorIfiEEZNS1_14transform_implILb0ES3_S5_N6thrust23THRUST_200600_302600_NS6detail15normal_iteratorINS8_7pointerIfNS8_11hip_rocprim5par_tENS8_11use_defaultESE_EEEENSA_INSB_IiSD_SE_SE_EEEEZNS1_13binary_searchIS3_S5_NSA_INS8_10device_ptrIfEEEESG_SI_NS1_16binary_search_opENS9_16wrapped_functionINS8_6system6detail7generic6detail18binary_search_lessEbEEEE10hipError_tPvRmT1_T2_T3_mmT4_T5_P12ihipStream_tbEUlRKfE_EESV_SZ_S10_mS11_S14_bEUlT_E_NS1_11comp_targetILNS1_3genE5ELNS1_11target_archE942ELNS1_3gpuE9ELNS1_3repE0EEENS1_30default_config_static_selectorELNS0_4arch9wavefront6targetE0EEEvSY_
		.amdhsa_group_segment_fixed_size 0
		.amdhsa_private_segment_fixed_size 0
		.amdhsa_kernarg_size 56
		.amdhsa_user_sgpr_count 6
		.amdhsa_user_sgpr_private_segment_buffer 1
		.amdhsa_user_sgpr_dispatch_ptr 0
		.amdhsa_user_sgpr_queue_ptr 0
		.amdhsa_user_sgpr_kernarg_segment_ptr 1
		.amdhsa_user_sgpr_dispatch_id 0
		.amdhsa_user_sgpr_flat_scratch_init 0
		.amdhsa_user_sgpr_private_segment_size 0
		.amdhsa_wavefront_size32 1
		.amdhsa_uses_dynamic_stack 0
		.amdhsa_system_sgpr_private_segment_wavefront_offset 0
		.amdhsa_system_sgpr_workgroup_id_x 1
		.amdhsa_system_sgpr_workgroup_id_y 0
		.amdhsa_system_sgpr_workgroup_id_z 0
		.amdhsa_system_sgpr_workgroup_info 0
		.amdhsa_system_vgpr_workitem_id 0
		.amdhsa_next_free_vgpr 1
		.amdhsa_next_free_sgpr 1
		.amdhsa_reserve_vcc 0
		.amdhsa_reserve_flat_scratch 0
		.amdhsa_float_round_mode_32 0
		.amdhsa_float_round_mode_16_64 0
		.amdhsa_float_denorm_mode_32 3
		.amdhsa_float_denorm_mode_16_64 3
		.amdhsa_dx10_clamp 1
		.amdhsa_ieee_mode 1
		.amdhsa_fp16_overflow 0
		.amdhsa_workgroup_processor_mode 1
		.amdhsa_memory_ordered 1
		.amdhsa_forward_progress 1
		.amdhsa_shared_vgpr_count 0
		.amdhsa_exception_fp_ieee_invalid_op 0
		.amdhsa_exception_fp_denorm_src 0
		.amdhsa_exception_fp_ieee_div_zero 0
		.amdhsa_exception_fp_ieee_overflow 0
		.amdhsa_exception_fp_ieee_underflow 0
		.amdhsa_exception_fp_ieee_inexact 0
		.amdhsa_exception_int_div_zero 0
	.end_amdhsa_kernel
	.section	.text._ZN7rocprim17ROCPRIM_400000_NS6detail17trampoline_kernelINS0_14default_configENS1_29binary_search_config_selectorIfiEEZNS1_14transform_implILb0ES3_S5_N6thrust23THRUST_200600_302600_NS6detail15normal_iteratorINS8_7pointerIfNS8_11hip_rocprim5par_tENS8_11use_defaultESE_EEEENSA_INSB_IiSD_SE_SE_EEEEZNS1_13binary_searchIS3_S5_NSA_INS8_10device_ptrIfEEEESG_SI_NS1_16binary_search_opENS9_16wrapped_functionINS8_6system6detail7generic6detail18binary_search_lessEbEEEE10hipError_tPvRmT1_T2_T3_mmT4_T5_P12ihipStream_tbEUlRKfE_EESV_SZ_S10_mS11_S14_bEUlT_E_NS1_11comp_targetILNS1_3genE5ELNS1_11target_archE942ELNS1_3gpuE9ELNS1_3repE0EEENS1_30default_config_static_selectorELNS0_4arch9wavefront6targetE0EEEvSY_,"axG",@progbits,_ZN7rocprim17ROCPRIM_400000_NS6detail17trampoline_kernelINS0_14default_configENS1_29binary_search_config_selectorIfiEEZNS1_14transform_implILb0ES3_S5_N6thrust23THRUST_200600_302600_NS6detail15normal_iteratorINS8_7pointerIfNS8_11hip_rocprim5par_tENS8_11use_defaultESE_EEEENSA_INSB_IiSD_SE_SE_EEEEZNS1_13binary_searchIS3_S5_NSA_INS8_10device_ptrIfEEEESG_SI_NS1_16binary_search_opENS9_16wrapped_functionINS8_6system6detail7generic6detail18binary_search_lessEbEEEE10hipError_tPvRmT1_T2_T3_mmT4_T5_P12ihipStream_tbEUlRKfE_EESV_SZ_S10_mS11_S14_bEUlT_E_NS1_11comp_targetILNS1_3genE5ELNS1_11target_archE942ELNS1_3gpuE9ELNS1_3repE0EEENS1_30default_config_static_selectorELNS0_4arch9wavefront6targetE0EEEvSY_,comdat
.Lfunc_end654:
	.size	_ZN7rocprim17ROCPRIM_400000_NS6detail17trampoline_kernelINS0_14default_configENS1_29binary_search_config_selectorIfiEEZNS1_14transform_implILb0ES3_S5_N6thrust23THRUST_200600_302600_NS6detail15normal_iteratorINS8_7pointerIfNS8_11hip_rocprim5par_tENS8_11use_defaultESE_EEEENSA_INSB_IiSD_SE_SE_EEEEZNS1_13binary_searchIS3_S5_NSA_INS8_10device_ptrIfEEEESG_SI_NS1_16binary_search_opENS9_16wrapped_functionINS8_6system6detail7generic6detail18binary_search_lessEbEEEE10hipError_tPvRmT1_T2_T3_mmT4_T5_P12ihipStream_tbEUlRKfE_EESV_SZ_S10_mS11_S14_bEUlT_E_NS1_11comp_targetILNS1_3genE5ELNS1_11target_archE942ELNS1_3gpuE9ELNS1_3repE0EEENS1_30default_config_static_selectorELNS0_4arch9wavefront6targetE0EEEvSY_, .Lfunc_end654-_ZN7rocprim17ROCPRIM_400000_NS6detail17trampoline_kernelINS0_14default_configENS1_29binary_search_config_selectorIfiEEZNS1_14transform_implILb0ES3_S5_N6thrust23THRUST_200600_302600_NS6detail15normal_iteratorINS8_7pointerIfNS8_11hip_rocprim5par_tENS8_11use_defaultESE_EEEENSA_INSB_IiSD_SE_SE_EEEEZNS1_13binary_searchIS3_S5_NSA_INS8_10device_ptrIfEEEESG_SI_NS1_16binary_search_opENS9_16wrapped_functionINS8_6system6detail7generic6detail18binary_search_lessEbEEEE10hipError_tPvRmT1_T2_T3_mmT4_T5_P12ihipStream_tbEUlRKfE_EESV_SZ_S10_mS11_S14_bEUlT_E_NS1_11comp_targetILNS1_3genE5ELNS1_11target_archE942ELNS1_3gpuE9ELNS1_3repE0EEENS1_30default_config_static_selectorELNS0_4arch9wavefront6targetE0EEEvSY_
                                        ; -- End function
	.set _ZN7rocprim17ROCPRIM_400000_NS6detail17trampoline_kernelINS0_14default_configENS1_29binary_search_config_selectorIfiEEZNS1_14transform_implILb0ES3_S5_N6thrust23THRUST_200600_302600_NS6detail15normal_iteratorINS8_7pointerIfNS8_11hip_rocprim5par_tENS8_11use_defaultESE_EEEENSA_INSB_IiSD_SE_SE_EEEEZNS1_13binary_searchIS3_S5_NSA_INS8_10device_ptrIfEEEESG_SI_NS1_16binary_search_opENS9_16wrapped_functionINS8_6system6detail7generic6detail18binary_search_lessEbEEEE10hipError_tPvRmT1_T2_T3_mmT4_T5_P12ihipStream_tbEUlRKfE_EESV_SZ_S10_mS11_S14_bEUlT_E_NS1_11comp_targetILNS1_3genE5ELNS1_11target_archE942ELNS1_3gpuE9ELNS1_3repE0EEENS1_30default_config_static_selectorELNS0_4arch9wavefront6targetE0EEEvSY_.num_vgpr, 0
	.set _ZN7rocprim17ROCPRIM_400000_NS6detail17trampoline_kernelINS0_14default_configENS1_29binary_search_config_selectorIfiEEZNS1_14transform_implILb0ES3_S5_N6thrust23THRUST_200600_302600_NS6detail15normal_iteratorINS8_7pointerIfNS8_11hip_rocprim5par_tENS8_11use_defaultESE_EEEENSA_INSB_IiSD_SE_SE_EEEEZNS1_13binary_searchIS3_S5_NSA_INS8_10device_ptrIfEEEESG_SI_NS1_16binary_search_opENS9_16wrapped_functionINS8_6system6detail7generic6detail18binary_search_lessEbEEEE10hipError_tPvRmT1_T2_T3_mmT4_T5_P12ihipStream_tbEUlRKfE_EESV_SZ_S10_mS11_S14_bEUlT_E_NS1_11comp_targetILNS1_3genE5ELNS1_11target_archE942ELNS1_3gpuE9ELNS1_3repE0EEENS1_30default_config_static_selectorELNS0_4arch9wavefront6targetE0EEEvSY_.num_agpr, 0
	.set _ZN7rocprim17ROCPRIM_400000_NS6detail17trampoline_kernelINS0_14default_configENS1_29binary_search_config_selectorIfiEEZNS1_14transform_implILb0ES3_S5_N6thrust23THRUST_200600_302600_NS6detail15normal_iteratorINS8_7pointerIfNS8_11hip_rocprim5par_tENS8_11use_defaultESE_EEEENSA_INSB_IiSD_SE_SE_EEEEZNS1_13binary_searchIS3_S5_NSA_INS8_10device_ptrIfEEEESG_SI_NS1_16binary_search_opENS9_16wrapped_functionINS8_6system6detail7generic6detail18binary_search_lessEbEEEE10hipError_tPvRmT1_T2_T3_mmT4_T5_P12ihipStream_tbEUlRKfE_EESV_SZ_S10_mS11_S14_bEUlT_E_NS1_11comp_targetILNS1_3genE5ELNS1_11target_archE942ELNS1_3gpuE9ELNS1_3repE0EEENS1_30default_config_static_selectorELNS0_4arch9wavefront6targetE0EEEvSY_.numbered_sgpr, 0
	.set _ZN7rocprim17ROCPRIM_400000_NS6detail17trampoline_kernelINS0_14default_configENS1_29binary_search_config_selectorIfiEEZNS1_14transform_implILb0ES3_S5_N6thrust23THRUST_200600_302600_NS6detail15normal_iteratorINS8_7pointerIfNS8_11hip_rocprim5par_tENS8_11use_defaultESE_EEEENSA_INSB_IiSD_SE_SE_EEEEZNS1_13binary_searchIS3_S5_NSA_INS8_10device_ptrIfEEEESG_SI_NS1_16binary_search_opENS9_16wrapped_functionINS8_6system6detail7generic6detail18binary_search_lessEbEEEE10hipError_tPvRmT1_T2_T3_mmT4_T5_P12ihipStream_tbEUlRKfE_EESV_SZ_S10_mS11_S14_bEUlT_E_NS1_11comp_targetILNS1_3genE5ELNS1_11target_archE942ELNS1_3gpuE9ELNS1_3repE0EEENS1_30default_config_static_selectorELNS0_4arch9wavefront6targetE0EEEvSY_.num_named_barrier, 0
	.set _ZN7rocprim17ROCPRIM_400000_NS6detail17trampoline_kernelINS0_14default_configENS1_29binary_search_config_selectorIfiEEZNS1_14transform_implILb0ES3_S5_N6thrust23THRUST_200600_302600_NS6detail15normal_iteratorINS8_7pointerIfNS8_11hip_rocprim5par_tENS8_11use_defaultESE_EEEENSA_INSB_IiSD_SE_SE_EEEEZNS1_13binary_searchIS3_S5_NSA_INS8_10device_ptrIfEEEESG_SI_NS1_16binary_search_opENS9_16wrapped_functionINS8_6system6detail7generic6detail18binary_search_lessEbEEEE10hipError_tPvRmT1_T2_T3_mmT4_T5_P12ihipStream_tbEUlRKfE_EESV_SZ_S10_mS11_S14_bEUlT_E_NS1_11comp_targetILNS1_3genE5ELNS1_11target_archE942ELNS1_3gpuE9ELNS1_3repE0EEENS1_30default_config_static_selectorELNS0_4arch9wavefront6targetE0EEEvSY_.private_seg_size, 0
	.set _ZN7rocprim17ROCPRIM_400000_NS6detail17trampoline_kernelINS0_14default_configENS1_29binary_search_config_selectorIfiEEZNS1_14transform_implILb0ES3_S5_N6thrust23THRUST_200600_302600_NS6detail15normal_iteratorINS8_7pointerIfNS8_11hip_rocprim5par_tENS8_11use_defaultESE_EEEENSA_INSB_IiSD_SE_SE_EEEEZNS1_13binary_searchIS3_S5_NSA_INS8_10device_ptrIfEEEESG_SI_NS1_16binary_search_opENS9_16wrapped_functionINS8_6system6detail7generic6detail18binary_search_lessEbEEEE10hipError_tPvRmT1_T2_T3_mmT4_T5_P12ihipStream_tbEUlRKfE_EESV_SZ_S10_mS11_S14_bEUlT_E_NS1_11comp_targetILNS1_3genE5ELNS1_11target_archE942ELNS1_3gpuE9ELNS1_3repE0EEENS1_30default_config_static_selectorELNS0_4arch9wavefront6targetE0EEEvSY_.uses_vcc, 0
	.set _ZN7rocprim17ROCPRIM_400000_NS6detail17trampoline_kernelINS0_14default_configENS1_29binary_search_config_selectorIfiEEZNS1_14transform_implILb0ES3_S5_N6thrust23THRUST_200600_302600_NS6detail15normal_iteratorINS8_7pointerIfNS8_11hip_rocprim5par_tENS8_11use_defaultESE_EEEENSA_INSB_IiSD_SE_SE_EEEEZNS1_13binary_searchIS3_S5_NSA_INS8_10device_ptrIfEEEESG_SI_NS1_16binary_search_opENS9_16wrapped_functionINS8_6system6detail7generic6detail18binary_search_lessEbEEEE10hipError_tPvRmT1_T2_T3_mmT4_T5_P12ihipStream_tbEUlRKfE_EESV_SZ_S10_mS11_S14_bEUlT_E_NS1_11comp_targetILNS1_3genE5ELNS1_11target_archE942ELNS1_3gpuE9ELNS1_3repE0EEENS1_30default_config_static_selectorELNS0_4arch9wavefront6targetE0EEEvSY_.uses_flat_scratch, 0
	.set _ZN7rocprim17ROCPRIM_400000_NS6detail17trampoline_kernelINS0_14default_configENS1_29binary_search_config_selectorIfiEEZNS1_14transform_implILb0ES3_S5_N6thrust23THRUST_200600_302600_NS6detail15normal_iteratorINS8_7pointerIfNS8_11hip_rocprim5par_tENS8_11use_defaultESE_EEEENSA_INSB_IiSD_SE_SE_EEEEZNS1_13binary_searchIS3_S5_NSA_INS8_10device_ptrIfEEEESG_SI_NS1_16binary_search_opENS9_16wrapped_functionINS8_6system6detail7generic6detail18binary_search_lessEbEEEE10hipError_tPvRmT1_T2_T3_mmT4_T5_P12ihipStream_tbEUlRKfE_EESV_SZ_S10_mS11_S14_bEUlT_E_NS1_11comp_targetILNS1_3genE5ELNS1_11target_archE942ELNS1_3gpuE9ELNS1_3repE0EEENS1_30default_config_static_selectorELNS0_4arch9wavefront6targetE0EEEvSY_.has_dyn_sized_stack, 0
	.set _ZN7rocprim17ROCPRIM_400000_NS6detail17trampoline_kernelINS0_14default_configENS1_29binary_search_config_selectorIfiEEZNS1_14transform_implILb0ES3_S5_N6thrust23THRUST_200600_302600_NS6detail15normal_iteratorINS8_7pointerIfNS8_11hip_rocprim5par_tENS8_11use_defaultESE_EEEENSA_INSB_IiSD_SE_SE_EEEEZNS1_13binary_searchIS3_S5_NSA_INS8_10device_ptrIfEEEESG_SI_NS1_16binary_search_opENS9_16wrapped_functionINS8_6system6detail7generic6detail18binary_search_lessEbEEEE10hipError_tPvRmT1_T2_T3_mmT4_T5_P12ihipStream_tbEUlRKfE_EESV_SZ_S10_mS11_S14_bEUlT_E_NS1_11comp_targetILNS1_3genE5ELNS1_11target_archE942ELNS1_3gpuE9ELNS1_3repE0EEENS1_30default_config_static_selectorELNS0_4arch9wavefront6targetE0EEEvSY_.has_recursion, 0
	.set _ZN7rocprim17ROCPRIM_400000_NS6detail17trampoline_kernelINS0_14default_configENS1_29binary_search_config_selectorIfiEEZNS1_14transform_implILb0ES3_S5_N6thrust23THRUST_200600_302600_NS6detail15normal_iteratorINS8_7pointerIfNS8_11hip_rocprim5par_tENS8_11use_defaultESE_EEEENSA_INSB_IiSD_SE_SE_EEEEZNS1_13binary_searchIS3_S5_NSA_INS8_10device_ptrIfEEEESG_SI_NS1_16binary_search_opENS9_16wrapped_functionINS8_6system6detail7generic6detail18binary_search_lessEbEEEE10hipError_tPvRmT1_T2_T3_mmT4_T5_P12ihipStream_tbEUlRKfE_EESV_SZ_S10_mS11_S14_bEUlT_E_NS1_11comp_targetILNS1_3genE5ELNS1_11target_archE942ELNS1_3gpuE9ELNS1_3repE0EEENS1_30default_config_static_selectorELNS0_4arch9wavefront6targetE0EEEvSY_.has_indirect_call, 0
	.section	.AMDGPU.csdata,"",@progbits
; Kernel info:
; codeLenInByte = 0
; TotalNumSgprs: 0
; NumVgprs: 0
; ScratchSize: 0
; MemoryBound: 0
; FloatMode: 240
; IeeeMode: 1
; LDSByteSize: 0 bytes/workgroup (compile time only)
; SGPRBlocks: 0
; VGPRBlocks: 0
; NumSGPRsForWavesPerEU: 1
; NumVGPRsForWavesPerEU: 1
; Occupancy: 16
; WaveLimiterHint : 0
; COMPUTE_PGM_RSRC2:SCRATCH_EN: 0
; COMPUTE_PGM_RSRC2:USER_SGPR: 6
; COMPUTE_PGM_RSRC2:TRAP_HANDLER: 0
; COMPUTE_PGM_RSRC2:TGID_X_EN: 1
; COMPUTE_PGM_RSRC2:TGID_Y_EN: 0
; COMPUTE_PGM_RSRC2:TGID_Z_EN: 0
; COMPUTE_PGM_RSRC2:TIDIG_COMP_CNT: 0
	.section	.text._ZN7rocprim17ROCPRIM_400000_NS6detail17trampoline_kernelINS0_14default_configENS1_29binary_search_config_selectorIfiEEZNS1_14transform_implILb0ES3_S5_N6thrust23THRUST_200600_302600_NS6detail15normal_iteratorINS8_7pointerIfNS8_11hip_rocprim5par_tENS8_11use_defaultESE_EEEENSA_INSB_IiSD_SE_SE_EEEEZNS1_13binary_searchIS3_S5_NSA_INS8_10device_ptrIfEEEESG_SI_NS1_16binary_search_opENS9_16wrapped_functionINS8_6system6detail7generic6detail18binary_search_lessEbEEEE10hipError_tPvRmT1_T2_T3_mmT4_T5_P12ihipStream_tbEUlRKfE_EESV_SZ_S10_mS11_S14_bEUlT_E_NS1_11comp_targetILNS1_3genE4ELNS1_11target_archE910ELNS1_3gpuE8ELNS1_3repE0EEENS1_30default_config_static_selectorELNS0_4arch9wavefront6targetE0EEEvSY_,"axG",@progbits,_ZN7rocprim17ROCPRIM_400000_NS6detail17trampoline_kernelINS0_14default_configENS1_29binary_search_config_selectorIfiEEZNS1_14transform_implILb0ES3_S5_N6thrust23THRUST_200600_302600_NS6detail15normal_iteratorINS8_7pointerIfNS8_11hip_rocprim5par_tENS8_11use_defaultESE_EEEENSA_INSB_IiSD_SE_SE_EEEEZNS1_13binary_searchIS3_S5_NSA_INS8_10device_ptrIfEEEESG_SI_NS1_16binary_search_opENS9_16wrapped_functionINS8_6system6detail7generic6detail18binary_search_lessEbEEEE10hipError_tPvRmT1_T2_T3_mmT4_T5_P12ihipStream_tbEUlRKfE_EESV_SZ_S10_mS11_S14_bEUlT_E_NS1_11comp_targetILNS1_3genE4ELNS1_11target_archE910ELNS1_3gpuE8ELNS1_3repE0EEENS1_30default_config_static_selectorELNS0_4arch9wavefront6targetE0EEEvSY_,comdat
	.protected	_ZN7rocprim17ROCPRIM_400000_NS6detail17trampoline_kernelINS0_14default_configENS1_29binary_search_config_selectorIfiEEZNS1_14transform_implILb0ES3_S5_N6thrust23THRUST_200600_302600_NS6detail15normal_iteratorINS8_7pointerIfNS8_11hip_rocprim5par_tENS8_11use_defaultESE_EEEENSA_INSB_IiSD_SE_SE_EEEEZNS1_13binary_searchIS3_S5_NSA_INS8_10device_ptrIfEEEESG_SI_NS1_16binary_search_opENS9_16wrapped_functionINS8_6system6detail7generic6detail18binary_search_lessEbEEEE10hipError_tPvRmT1_T2_T3_mmT4_T5_P12ihipStream_tbEUlRKfE_EESV_SZ_S10_mS11_S14_bEUlT_E_NS1_11comp_targetILNS1_3genE4ELNS1_11target_archE910ELNS1_3gpuE8ELNS1_3repE0EEENS1_30default_config_static_selectorELNS0_4arch9wavefront6targetE0EEEvSY_ ; -- Begin function _ZN7rocprim17ROCPRIM_400000_NS6detail17trampoline_kernelINS0_14default_configENS1_29binary_search_config_selectorIfiEEZNS1_14transform_implILb0ES3_S5_N6thrust23THRUST_200600_302600_NS6detail15normal_iteratorINS8_7pointerIfNS8_11hip_rocprim5par_tENS8_11use_defaultESE_EEEENSA_INSB_IiSD_SE_SE_EEEEZNS1_13binary_searchIS3_S5_NSA_INS8_10device_ptrIfEEEESG_SI_NS1_16binary_search_opENS9_16wrapped_functionINS8_6system6detail7generic6detail18binary_search_lessEbEEEE10hipError_tPvRmT1_T2_T3_mmT4_T5_P12ihipStream_tbEUlRKfE_EESV_SZ_S10_mS11_S14_bEUlT_E_NS1_11comp_targetILNS1_3genE4ELNS1_11target_archE910ELNS1_3gpuE8ELNS1_3repE0EEENS1_30default_config_static_selectorELNS0_4arch9wavefront6targetE0EEEvSY_
	.globl	_ZN7rocprim17ROCPRIM_400000_NS6detail17trampoline_kernelINS0_14default_configENS1_29binary_search_config_selectorIfiEEZNS1_14transform_implILb0ES3_S5_N6thrust23THRUST_200600_302600_NS6detail15normal_iteratorINS8_7pointerIfNS8_11hip_rocprim5par_tENS8_11use_defaultESE_EEEENSA_INSB_IiSD_SE_SE_EEEEZNS1_13binary_searchIS3_S5_NSA_INS8_10device_ptrIfEEEESG_SI_NS1_16binary_search_opENS9_16wrapped_functionINS8_6system6detail7generic6detail18binary_search_lessEbEEEE10hipError_tPvRmT1_T2_T3_mmT4_T5_P12ihipStream_tbEUlRKfE_EESV_SZ_S10_mS11_S14_bEUlT_E_NS1_11comp_targetILNS1_3genE4ELNS1_11target_archE910ELNS1_3gpuE8ELNS1_3repE0EEENS1_30default_config_static_selectorELNS0_4arch9wavefront6targetE0EEEvSY_
	.p2align	8
	.type	_ZN7rocprim17ROCPRIM_400000_NS6detail17trampoline_kernelINS0_14default_configENS1_29binary_search_config_selectorIfiEEZNS1_14transform_implILb0ES3_S5_N6thrust23THRUST_200600_302600_NS6detail15normal_iteratorINS8_7pointerIfNS8_11hip_rocprim5par_tENS8_11use_defaultESE_EEEENSA_INSB_IiSD_SE_SE_EEEEZNS1_13binary_searchIS3_S5_NSA_INS8_10device_ptrIfEEEESG_SI_NS1_16binary_search_opENS9_16wrapped_functionINS8_6system6detail7generic6detail18binary_search_lessEbEEEE10hipError_tPvRmT1_T2_T3_mmT4_T5_P12ihipStream_tbEUlRKfE_EESV_SZ_S10_mS11_S14_bEUlT_E_NS1_11comp_targetILNS1_3genE4ELNS1_11target_archE910ELNS1_3gpuE8ELNS1_3repE0EEENS1_30default_config_static_selectorELNS0_4arch9wavefront6targetE0EEEvSY_,@function
_ZN7rocprim17ROCPRIM_400000_NS6detail17trampoline_kernelINS0_14default_configENS1_29binary_search_config_selectorIfiEEZNS1_14transform_implILb0ES3_S5_N6thrust23THRUST_200600_302600_NS6detail15normal_iteratorINS8_7pointerIfNS8_11hip_rocprim5par_tENS8_11use_defaultESE_EEEENSA_INSB_IiSD_SE_SE_EEEEZNS1_13binary_searchIS3_S5_NSA_INS8_10device_ptrIfEEEESG_SI_NS1_16binary_search_opENS9_16wrapped_functionINS8_6system6detail7generic6detail18binary_search_lessEbEEEE10hipError_tPvRmT1_T2_T3_mmT4_T5_P12ihipStream_tbEUlRKfE_EESV_SZ_S10_mS11_S14_bEUlT_E_NS1_11comp_targetILNS1_3genE4ELNS1_11target_archE910ELNS1_3gpuE8ELNS1_3repE0EEENS1_30default_config_static_selectorELNS0_4arch9wavefront6targetE0EEEvSY_: ; @_ZN7rocprim17ROCPRIM_400000_NS6detail17trampoline_kernelINS0_14default_configENS1_29binary_search_config_selectorIfiEEZNS1_14transform_implILb0ES3_S5_N6thrust23THRUST_200600_302600_NS6detail15normal_iteratorINS8_7pointerIfNS8_11hip_rocprim5par_tENS8_11use_defaultESE_EEEENSA_INSB_IiSD_SE_SE_EEEEZNS1_13binary_searchIS3_S5_NSA_INS8_10device_ptrIfEEEESG_SI_NS1_16binary_search_opENS9_16wrapped_functionINS8_6system6detail7generic6detail18binary_search_lessEbEEEE10hipError_tPvRmT1_T2_T3_mmT4_T5_P12ihipStream_tbEUlRKfE_EESV_SZ_S10_mS11_S14_bEUlT_E_NS1_11comp_targetILNS1_3genE4ELNS1_11target_archE910ELNS1_3gpuE8ELNS1_3repE0EEENS1_30default_config_static_selectorELNS0_4arch9wavefront6targetE0EEEvSY_
; %bb.0:
	.section	.rodata,"a",@progbits
	.p2align	6, 0x0
	.amdhsa_kernel _ZN7rocprim17ROCPRIM_400000_NS6detail17trampoline_kernelINS0_14default_configENS1_29binary_search_config_selectorIfiEEZNS1_14transform_implILb0ES3_S5_N6thrust23THRUST_200600_302600_NS6detail15normal_iteratorINS8_7pointerIfNS8_11hip_rocprim5par_tENS8_11use_defaultESE_EEEENSA_INSB_IiSD_SE_SE_EEEEZNS1_13binary_searchIS3_S5_NSA_INS8_10device_ptrIfEEEESG_SI_NS1_16binary_search_opENS9_16wrapped_functionINS8_6system6detail7generic6detail18binary_search_lessEbEEEE10hipError_tPvRmT1_T2_T3_mmT4_T5_P12ihipStream_tbEUlRKfE_EESV_SZ_S10_mS11_S14_bEUlT_E_NS1_11comp_targetILNS1_3genE4ELNS1_11target_archE910ELNS1_3gpuE8ELNS1_3repE0EEENS1_30default_config_static_selectorELNS0_4arch9wavefront6targetE0EEEvSY_
		.amdhsa_group_segment_fixed_size 0
		.amdhsa_private_segment_fixed_size 0
		.amdhsa_kernarg_size 56
		.amdhsa_user_sgpr_count 6
		.amdhsa_user_sgpr_private_segment_buffer 1
		.amdhsa_user_sgpr_dispatch_ptr 0
		.amdhsa_user_sgpr_queue_ptr 0
		.amdhsa_user_sgpr_kernarg_segment_ptr 1
		.amdhsa_user_sgpr_dispatch_id 0
		.amdhsa_user_sgpr_flat_scratch_init 0
		.amdhsa_user_sgpr_private_segment_size 0
		.amdhsa_wavefront_size32 1
		.amdhsa_uses_dynamic_stack 0
		.amdhsa_system_sgpr_private_segment_wavefront_offset 0
		.amdhsa_system_sgpr_workgroup_id_x 1
		.amdhsa_system_sgpr_workgroup_id_y 0
		.amdhsa_system_sgpr_workgroup_id_z 0
		.amdhsa_system_sgpr_workgroup_info 0
		.amdhsa_system_vgpr_workitem_id 0
		.amdhsa_next_free_vgpr 1
		.amdhsa_next_free_sgpr 1
		.amdhsa_reserve_vcc 0
		.amdhsa_reserve_flat_scratch 0
		.amdhsa_float_round_mode_32 0
		.amdhsa_float_round_mode_16_64 0
		.amdhsa_float_denorm_mode_32 3
		.amdhsa_float_denorm_mode_16_64 3
		.amdhsa_dx10_clamp 1
		.amdhsa_ieee_mode 1
		.amdhsa_fp16_overflow 0
		.amdhsa_workgroup_processor_mode 1
		.amdhsa_memory_ordered 1
		.amdhsa_forward_progress 1
		.amdhsa_shared_vgpr_count 0
		.amdhsa_exception_fp_ieee_invalid_op 0
		.amdhsa_exception_fp_denorm_src 0
		.amdhsa_exception_fp_ieee_div_zero 0
		.amdhsa_exception_fp_ieee_overflow 0
		.amdhsa_exception_fp_ieee_underflow 0
		.amdhsa_exception_fp_ieee_inexact 0
		.amdhsa_exception_int_div_zero 0
	.end_amdhsa_kernel
	.section	.text._ZN7rocprim17ROCPRIM_400000_NS6detail17trampoline_kernelINS0_14default_configENS1_29binary_search_config_selectorIfiEEZNS1_14transform_implILb0ES3_S5_N6thrust23THRUST_200600_302600_NS6detail15normal_iteratorINS8_7pointerIfNS8_11hip_rocprim5par_tENS8_11use_defaultESE_EEEENSA_INSB_IiSD_SE_SE_EEEEZNS1_13binary_searchIS3_S5_NSA_INS8_10device_ptrIfEEEESG_SI_NS1_16binary_search_opENS9_16wrapped_functionINS8_6system6detail7generic6detail18binary_search_lessEbEEEE10hipError_tPvRmT1_T2_T3_mmT4_T5_P12ihipStream_tbEUlRKfE_EESV_SZ_S10_mS11_S14_bEUlT_E_NS1_11comp_targetILNS1_3genE4ELNS1_11target_archE910ELNS1_3gpuE8ELNS1_3repE0EEENS1_30default_config_static_selectorELNS0_4arch9wavefront6targetE0EEEvSY_,"axG",@progbits,_ZN7rocprim17ROCPRIM_400000_NS6detail17trampoline_kernelINS0_14default_configENS1_29binary_search_config_selectorIfiEEZNS1_14transform_implILb0ES3_S5_N6thrust23THRUST_200600_302600_NS6detail15normal_iteratorINS8_7pointerIfNS8_11hip_rocprim5par_tENS8_11use_defaultESE_EEEENSA_INSB_IiSD_SE_SE_EEEEZNS1_13binary_searchIS3_S5_NSA_INS8_10device_ptrIfEEEESG_SI_NS1_16binary_search_opENS9_16wrapped_functionINS8_6system6detail7generic6detail18binary_search_lessEbEEEE10hipError_tPvRmT1_T2_T3_mmT4_T5_P12ihipStream_tbEUlRKfE_EESV_SZ_S10_mS11_S14_bEUlT_E_NS1_11comp_targetILNS1_3genE4ELNS1_11target_archE910ELNS1_3gpuE8ELNS1_3repE0EEENS1_30default_config_static_selectorELNS0_4arch9wavefront6targetE0EEEvSY_,comdat
.Lfunc_end655:
	.size	_ZN7rocprim17ROCPRIM_400000_NS6detail17trampoline_kernelINS0_14default_configENS1_29binary_search_config_selectorIfiEEZNS1_14transform_implILb0ES3_S5_N6thrust23THRUST_200600_302600_NS6detail15normal_iteratorINS8_7pointerIfNS8_11hip_rocprim5par_tENS8_11use_defaultESE_EEEENSA_INSB_IiSD_SE_SE_EEEEZNS1_13binary_searchIS3_S5_NSA_INS8_10device_ptrIfEEEESG_SI_NS1_16binary_search_opENS9_16wrapped_functionINS8_6system6detail7generic6detail18binary_search_lessEbEEEE10hipError_tPvRmT1_T2_T3_mmT4_T5_P12ihipStream_tbEUlRKfE_EESV_SZ_S10_mS11_S14_bEUlT_E_NS1_11comp_targetILNS1_3genE4ELNS1_11target_archE910ELNS1_3gpuE8ELNS1_3repE0EEENS1_30default_config_static_selectorELNS0_4arch9wavefront6targetE0EEEvSY_, .Lfunc_end655-_ZN7rocprim17ROCPRIM_400000_NS6detail17trampoline_kernelINS0_14default_configENS1_29binary_search_config_selectorIfiEEZNS1_14transform_implILb0ES3_S5_N6thrust23THRUST_200600_302600_NS6detail15normal_iteratorINS8_7pointerIfNS8_11hip_rocprim5par_tENS8_11use_defaultESE_EEEENSA_INSB_IiSD_SE_SE_EEEEZNS1_13binary_searchIS3_S5_NSA_INS8_10device_ptrIfEEEESG_SI_NS1_16binary_search_opENS9_16wrapped_functionINS8_6system6detail7generic6detail18binary_search_lessEbEEEE10hipError_tPvRmT1_T2_T3_mmT4_T5_P12ihipStream_tbEUlRKfE_EESV_SZ_S10_mS11_S14_bEUlT_E_NS1_11comp_targetILNS1_3genE4ELNS1_11target_archE910ELNS1_3gpuE8ELNS1_3repE0EEENS1_30default_config_static_selectorELNS0_4arch9wavefront6targetE0EEEvSY_
                                        ; -- End function
	.set _ZN7rocprim17ROCPRIM_400000_NS6detail17trampoline_kernelINS0_14default_configENS1_29binary_search_config_selectorIfiEEZNS1_14transform_implILb0ES3_S5_N6thrust23THRUST_200600_302600_NS6detail15normal_iteratorINS8_7pointerIfNS8_11hip_rocprim5par_tENS8_11use_defaultESE_EEEENSA_INSB_IiSD_SE_SE_EEEEZNS1_13binary_searchIS3_S5_NSA_INS8_10device_ptrIfEEEESG_SI_NS1_16binary_search_opENS9_16wrapped_functionINS8_6system6detail7generic6detail18binary_search_lessEbEEEE10hipError_tPvRmT1_T2_T3_mmT4_T5_P12ihipStream_tbEUlRKfE_EESV_SZ_S10_mS11_S14_bEUlT_E_NS1_11comp_targetILNS1_3genE4ELNS1_11target_archE910ELNS1_3gpuE8ELNS1_3repE0EEENS1_30default_config_static_selectorELNS0_4arch9wavefront6targetE0EEEvSY_.num_vgpr, 0
	.set _ZN7rocprim17ROCPRIM_400000_NS6detail17trampoline_kernelINS0_14default_configENS1_29binary_search_config_selectorIfiEEZNS1_14transform_implILb0ES3_S5_N6thrust23THRUST_200600_302600_NS6detail15normal_iteratorINS8_7pointerIfNS8_11hip_rocprim5par_tENS8_11use_defaultESE_EEEENSA_INSB_IiSD_SE_SE_EEEEZNS1_13binary_searchIS3_S5_NSA_INS8_10device_ptrIfEEEESG_SI_NS1_16binary_search_opENS9_16wrapped_functionINS8_6system6detail7generic6detail18binary_search_lessEbEEEE10hipError_tPvRmT1_T2_T3_mmT4_T5_P12ihipStream_tbEUlRKfE_EESV_SZ_S10_mS11_S14_bEUlT_E_NS1_11comp_targetILNS1_3genE4ELNS1_11target_archE910ELNS1_3gpuE8ELNS1_3repE0EEENS1_30default_config_static_selectorELNS0_4arch9wavefront6targetE0EEEvSY_.num_agpr, 0
	.set _ZN7rocprim17ROCPRIM_400000_NS6detail17trampoline_kernelINS0_14default_configENS1_29binary_search_config_selectorIfiEEZNS1_14transform_implILb0ES3_S5_N6thrust23THRUST_200600_302600_NS6detail15normal_iteratorINS8_7pointerIfNS8_11hip_rocprim5par_tENS8_11use_defaultESE_EEEENSA_INSB_IiSD_SE_SE_EEEEZNS1_13binary_searchIS3_S5_NSA_INS8_10device_ptrIfEEEESG_SI_NS1_16binary_search_opENS9_16wrapped_functionINS8_6system6detail7generic6detail18binary_search_lessEbEEEE10hipError_tPvRmT1_T2_T3_mmT4_T5_P12ihipStream_tbEUlRKfE_EESV_SZ_S10_mS11_S14_bEUlT_E_NS1_11comp_targetILNS1_3genE4ELNS1_11target_archE910ELNS1_3gpuE8ELNS1_3repE0EEENS1_30default_config_static_selectorELNS0_4arch9wavefront6targetE0EEEvSY_.numbered_sgpr, 0
	.set _ZN7rocprim17ROCPRIM_400000_NS6detail17trampoline_kernelINS0_14default_configENS1_29binary_search_config_selectorIfiEEZNS1_14transform_implILb0ES3_S5_N6thrust23THRUST_200600_302600_NS6detail15normal_iteratorINS8_7pointerIfNS8_11hip_rocprim5par_tENS8_11use_defaultESE_EEEENSA_INSB_IiSD_SE_SE_EEEEZNS1_13binary_searchIS3_S5_NSA_INS8_10device_ptrIfEEEESG_SI_NS1_16binary_search_opENS9_16wrapped_functionINS8_6system6detail7generic6detail18binary_search_lessEbEEEE10hipError_tPvRmT1_T2_T3_mmT4_T5_P12ihipStream_tbEUlRKfE_EESV_SZ_S10_mS11_S14_bEUlT_E_NS1_11comp_targetILNS1_3genE4ELNS1_11target_archE910ELNS1_3gpuE8ELNS1_3repE0EEENS1_30default_config_static_selectorELNS0_4arch9wavefront6targetE0EEEvSY_.num_named_barrier, 0
	.set _ZN7rocprim17ROCPRIM_400000_NS6detail17trampoline_kernelINS0_14default_configENS1_29binary_search_config_selectorIfiEEZNS1_14transform_implILb0ES3_S5_N6thrust23THRUST_200600_302600_NS6detail15normal_iteratorINS8_7pointerIfNS8_11hip_rocprim5par_tENS8_11use_defaultESE_EEEENSA_INSB_IiSD_SE_SE_EEEEZNS1_13binary_searchIS3_S5_NSA_INS8_10device_ptrIfEEEESG_SI_NS1_16binary_search_opENS9_16wrapped_functionINS8_6system6detail7generic6detail18binary_search_lessEbEEEE10hipError_tPvRmT1_T2_T3_mmT4_T5_P12ihipStream_tbEUlRKfE_EESV_SZ_S10_mS11_S14_bEUlT_E_NS1_11comp_targetILNS1_3genE4ELNS1_11target_archE910ELNS1_3gpuE8ELNS1_3repE0EEENS1_30default_config_static_selectorELNS0_4arch9wavefront6targetE0EEEvSY_.private_seg_size, 0
	.set _ZN7rocprim17ROCPRIM_400000_NS6detail17trampoline_kernelINS0_14default_configENS1_29binary_search_config_selectorIfiEEZNS1_14transform_implILb0ES3_S5_N6thrust23THRUST_200600_302600_NS6detail15normal_iteratorINS8_7pointerIfNS8_11hip_rocprim5par_tENS8_11use_defaultESE_EEEENSA_INSB_IiSD_SE_SE_EEEEZNS1_13binary_searchIS3_S5_NSA_INS8_10device_ptrIfEEEESG_SI_NS1_16binary_search_opENS9_16wrapped_functionINS8_6system6detail7generic6detail18binary_search_lessEbEEEE10hipError_tPvRmT1_T2_T3_mmT4_T5_P12ihipStream_tbEUlRKfE_EESV_SZ_S10_mS11_S14_bEUlT_E_NS1_11comp_targetILNS1_3genE4ELNS1_11target_archE910ELNS1_3gpuE8ELNS1_3repE0EEENS1_30default_config_static_selectorELNS0_4arch9wavefront6targetE0EEEvSY_.uses_vcc, 0
	.set _ZN7rocprim17ROCPRIM_400000_NS6detail17trampoline_kernelINS0_14default_configENS1_29binary_search_config_selectorIfiEEZNS1_14transform_implILb0ES3_S5_N6thrust23THRUST_200600_302600_NS6detail15normal_iteratorINS8_7pointerIfNS8_11hip_rocprim5par_tENS8_11use_defaultESE_EEEENSA_INSB_IiSD_SE_SE_EEEEZNS1_13binary_searchIS3_S5_NSA_INS8_10device_ptrIfEEEESG_SI_NS1_16binary_search_opENS9_16wrapped_functionINS8_6system6detail7generic6detail18binary_search_lessEbEEEE10hipError_tPvRmT1_T2_T3_mmT4_T5_P12ihipStream_tbEUlRKfE_EESV_SZ_S10_mS11_S14_bEUlT_E_NS1_11comp_targetILNS1_3genE4ELNS1_11target_archE910ELNS1_3gpuE8ELNS1_3repE0EEENS1_30default_config_static_selectorELNS0_4arch9wavefront6targetE0EEEvSY_.uses_flat_scratch, 0
	.set _ZN7rocprim17ROCPRIM_400000_NS6detail17trampoline_kernelINS0_14default_configENS1_29binary_search_config_selectorIfiEEZNS1_14transform_implILb0ES3_S5_N6thrust23THRUST_200600_302600_NS6detail15normal_iteratorINS8_7pointerIfNS8_11hip_rocprim5par_tENS8_11use_defaultESE_EEEENSA_INSB_IiSD_SE_SE_EEEEZNS1_13binary_searchIS3_S5_NSA_INS8_10device_ptrIfEEEESG_SI_NS1_16binary_search_opENS9_16wrapped_functionINS8_6system6detail7generic6detail18binary_search_lessEbEEEE10hipError_tPvRmT1_T2_T3_mmT4_T5_P12ihipStream_tbEUlRKfE_EESV_SZ_S10_mS11_S14_bEUlT_E_NS1_11comp_targetILNS1_3genE4ELNS1_11target_archE910ELNS1_3gpuE8ELNS1_3repE0EEENS1_30default_config_static_selectorELNS0_4arch9wavefront6targetE0EEEvSY_.has_dyn_sized_stack, 0
	.set _ZN7rocprim17ROCPRIM_400000_NS6detail17trampoline_kernelINS0_14default_configENS1_29binary_search_config_selectorIfiEEZNS1_14transform_implILb0ES3_S5_N6thrust23THRUST_200600_302600_NS6detail15normal_iteratorINS8_7pointerIfNS8_11hip_rocprim5par_tENS8_11use_defaultESE_EEEENSA_INSB_IiSD_SE_SE_EEEEZNS1_13binary_searchIS3_S5_NSA_INS8_10device_ptrIfEEEESG_SI_NS1_16binary_search_opENS9_16wrapped_functionINS8_6system6detail7generic6detail18binary_search_lessEbEEEE10hipError_tPvRmT1_T2_T3_mmT4_T5_P12ihipStream_tbEUlRKfE_EESV_SZ_S10_mS11_S14_bEUlT_E_NS1_11comp_targetILNS1_3genE4ELNS1_11target_archE910ELNS1_3gpuE8ELNS1_3repE0EEENS1_30default_config_static_selectorELNS0_4arch9wavefront6targetE0EEEvSY_.has_recursion, 0
	.set _ZN7rocprim17ROCPRIM_400000_NS6detail17trampoline_kernelINS0_14default_configENS1_29binary_search_config_selectorIfiEEZNS1_14transform_implILb0ES3_S5_N6thrust23THRUST_200600_302600_NS6detail15normal_iteratorINS8_7pointerIfNS8_11hip_rocprim5par_tENS8_11use_defaultESE_EEEENSA_INSB_IiSD_SE_SE_EEEEZNS1_13binary_searchIS3_S5_NSA_INS8_10device_ptrIfEEEESG_SI_NS1_16binary_search_opENS9_16wrapped_functionINS8_6system6detail7generic6detail18binary_search_lessEbEEEE10hipError_tPvRmT1_T2_T3_mmT4_T5_P12ihipStream_tbEUlRKfE_EESV_SZ_S10_mS11_S14_bEUlT_E_NS1_11comp_targetILNS1_3genE4ELNS1_11target_archE910ELNS1_3gpuE8ELNS1_3repE0EEENS1_30default_config_static_selectorELNS0_4arch9wavefront6targetE0EEEvSY_.has_indirect_call, 0
	.section	.AMDGPU.csdata,"",@progbits
; Kernel info:
; codeLenInByte = 0
; TotalNumSgprs: 0
; NumVgprs: 0
; ScratchSize: 0
; MemoryBound: 0
; FloatMode: 240
; IeeeMode: 1
; LDSByteSize: 0 bytes/workgroup (compile time only)
; SGPRBlocks: 0
; VGPRBlocks: 0
; NumSGPRsForWavesPerEU: 1
; NumVGPRsForWavesPerEU: 1
; Occupancy: 16
; WaveLimiterHint : 0
; COMPUTE_PGM_RSRC2:SCRATCH_EN: 0
; COMPUTE_PGM_RSRC2:USER_SGPR: 6
; COMPUTE_PGM_RSRC2:TRAP_HANDLER: 0
; COMPUTE_PGM_RSRC2:TGID_X_EN: 1
; COMPUTE_PGM_RSRC2:TGID_Y_EN: 0
; COMPUTE_PGM_RSRC2:TGID_Z_EN: 0
; COMPUTE_PGM_RSRC2:TIDIG_COMP_CNT: 0
	.section	.text._ZN7rocprim17ROCPRIM_400000_NS6detail17trampoline_kernelINS0_14default_configENS1_29binary_search_config_selectorIfiEEZNS1_14transform_implILb0ES3_S5_N6thrust23THRUST_200600_302600_NS6detail15normal_iteratorINS8_7pointerIfNS8_11hip_rocprim5par_tENS8_11use_defaultESE_EEEENSA_INSB_IiSD_SE_SE_EEEEZNS1_13binary_searchIS3_S5_NSA_INS8_10device_ptrIfEEEESG_SI_NS1_16binary_search_opENS9_16wrapped_functionINS8_6system6detail7generic6detail18binary_search_lessEbEEEE10hipError_tPvRmT1_T2_T3_mmT4_T5_P12ihipStream_tbEUlRKfE_EESV_SZ_S10_mS11_S14_bEUlT_E_NS1_11comp_targetILNS1_3genE3ELNS1_11target_archE908ELNS1_3gpuE7ELNS1_3repE0EEENS1_30default_config_static_selectorELNS0_4arch9wavefront6targetE0EEEvSY_,"axG",@progbits,_ZN7rocprim17ROCPRIM_400000_NS6detail17trampoline_kernelINS0_14default_configENS1_29binary_search_config_selectorIfiEEZNS1_14transform_implILb0ES3_S5_N6thrust23THRUST_200600_302600_NS6detail15normal_iteratorINS8_7pointerIfNS8_11hip_rocprim5par_tENS8_11use_defaultESE_EEEENSA_INSB_IiSD_SE_SE_EEEEZNS1_13binary_searchIS3_S5_NSA_INS8_10device_ptrIfEEEESG_SI_NS1_16binary_search_opENS9_16wrapped_functionINS8_6system6detail7generic6detail18binary_search_lessEbEEEE10hipError_tPvRmT1_T2_T3_mmT4_T5_P12ihipStream_tbEUlRKfE_EESV_SZ_S10_mS11_S14_bEUlT_E_NS1_11comp_targetILNS1_3genE3ELNS1_11target_archE908ELNS1_3gpuE7ELNS1_3repE0EEENS1_30default_config_static_selectorELNS0_4arch9wavefront6targetE0EEEvSY_,comdat
	.protected	_ZN7rocprim17ROCPRIM_400000_NS6detail17trampoline_kernelINS0_14default_configENS1_29binary_search_config_selectorIfiEEZNS1_14transform_implILb0ES3_S5_N6thrust23THRUST_200600_302600_NS6detail15normal_iteratorINS8_7pointerIfNS8_11hip_rocprim5par_tENS8_11use_defaultESE_EEEENSA_INSB_IiSD_SE_SE_EEEEZNS1_13binary_searchIS3_S5_NSA_INS8_10device_ptrIfEEEESG_SI_NS1_16binary_search_opENS9_16wrapped_functionINS8_6system6detail7generic6detail18binary_search_lessEbEEEE10hipError_tPvRmT1_T2_T3_mmT4_T5_P12ihipStream_tbEUlRKfE_EESV_SZ_S10_mS11_S14_bEUlT_E_NS1_11comp_targetILNS1_3genE3ELNS1_11target_archE908ELNS1_3gpuE7ELNS1_3repE0EEENS1_30default_config_static_selectorELNS0_4arch9wavefront6targetE0EEEvSY_ ; -- Begin function _ZN7rocprim17ROCPRIM_400000_NS6detail17trampoline_kernelINS0_14default_configENS1_29binary_search_config_selectorIfiEEZNS1_14transform_implILb0ES3_S5_N6thrust23THRUST_200600_302600_NS6detail15normal_iteratorINS8_7pointerIfNS8_11hip_rocprim5par_tENS8_11use_defaultESE_EEEENSA_INSB_IiSD_SE_SE_EEEEZNS1_13binary_searchIS3_S5_NSA_INS8_10device_ptrIfEEEESG_SI_NS1_16binary_search_opENS9_16wrapped_functionINS8_6system6detail7generic6detail18binary_search_lessEbEEEE10hipError_tPvRmT1_T2_T3_mmT4_T5_P12ihipStream_tbEUlRKfE_EESV_SZ_S10_mS11_S14_bEUlT_E_NS1_11comp_targetILNS1_3genE3ELNS1_11target_archE908ELNS1_3gpuE7ELNS1_3repE0EEENS1_30default_config_static_selectorELNS0_4arch9wavefront6targetE0EEEvSY_
	.globl	_ZN7rocprim17ROCPRIM_400000_NS6detail17trampoline_kernelINS0_14default_configENS1_29binary_search_config_selectorIfiEEZNS1_14transform_implILb0ES3_S5_N6thrust23THRUST_200600_302600_NS6detail15normal_iteratorINS8_7pointerIfNS8_11hip_rocprim5par_tENS8_11use_defaultESE_EEEENSA_INSB_IiSD_SE_SE_EEEEZNS1_13binary_searchIS3_S5_NSA_INS8_10device_ptrIfEEEESG_SI_NS1_16binary_search_opENS9_16wrapped_functionINS8_6system6detail7generic6detail18binary_search_lessEbEEEE10hipError_tPvRmT1_T2_T3_mmT4_T5_P12ihipStream_tbEUlRKfE_EESV_SZ_S10_mS11_S14_bEUlT_E_NS1_11comp_targetILNS1_3genE3ELNS1_11target_archE908ELNS1_3gpuE7ELNS1_3repE0EEENS1_30default_config_static_selectorELNS0_4arch9wavefront6targetE0EEEvSY_
	.p2align	8
	.type	_ZN7rocprim17ROCPRIM_400000_NS6detail17trampoline_kernelINS0_14default_configENS1_29binary_search_config_selectorIfiEEZNS1_14transform_implILb0ES3_S5_N6thrust23THRUST_200600_302600_NS6detail15normal_iteratorINS8_7pointerIfNS8_11hip_rocprim5par_tENS8_11use_defaultESE_EEEENSA_INSB_IiSD_SE_SE_EEEEZNS1_13binary_searchIS3_S5_NSA_INS8_10device_ptrIfEEEESG_SI_NS1_16binary_search_opENS9_16wrapped_functionINS8_6system6detail7generic6detail18binary_search_lessEbEEEE10hipError_tPvRmT1_T2_T3_mmT4_T5_P12ihipStream_tbEUlRKfE_EESV_SZ_S10_mS11_S14_bEUlT_E_NS1_11comp_targetILNS1_3genE3ELNS1_11target_archE908ELNS1_3gpuE7ELNS1_3repE0EEENS1_30default_config_static_selectorELNS0_4arch9wavefront6targetE0EEEvSY_,@function
_ZN7rocprim17ROCPRIM_400000_NS6detail17trampoline_kernelINS0_14default_configENS1_29binary_search_config_selectorIfiEEZNS1_14transform_implILb0ES3_S5_N6thrust23THRUST_200600_302600_NS6detail15normal_iteratorINS8_7pointerIfNS8_11hip_rocprim5par_tENS8_11use_defaultESE_EEEENSA_INSB_IiSD_SE_SE_EEEEZNS1_13binary_searchIS3_S5_NSA_INS8_10device_ptrIfEEEESG_SI_NS1_16binary_search_opENS9_16wrapped_functionINS8_6system6detail7generic6detail18binary_search_lessEbEEEE10hipError_tPvRmT1_T2_T3_mmT4_T5_P12ihipStream_tbEUlRKfE_EESV_SZ_S10_mS11_S14_bEUlT_E_NS1_11comp_targetILNS1_3genE3ELNS1_11target_archE908ELNS1_3gpuE7ELNS1_3repE0EEENS1_30default_config_static_selectorELNS0_4arch9wavefront6targetE0EEEvSY_: ; @_ZN7rocprim17ROCPRIM_400000_NS6detail17trampoline_kernelINS0_14default_configENS1_29binary_search_config_selectorIfiEEZNS1_14transform_implILb0ES3_S5_N6thrust23THRUST_200600_302600_NS6detail15normal_iteratorINS8_7pointerIfNS8_11hip_rocprim5par_tENS8_11use_defaultESE_EEEENSA_INSB_IiSD_SE_SE_EEEEZNS1_13binary_searchIS3_S5_NSA_INS8_10device_ptrIfEEEESG_SI_NS1_16binary_search_opENS9_16wrapped_functionINS8_6system6detail7generic6detail18binary_search_lessEbEEEE10hipError_tPvRmT1_T2_T3_mmT4_T5_P12ihipStream_tbEUlRKfE_EESV_SZ_S10_mS11_S14_bEUlT_E_NS1_11comp_targetILNS1_3genE3ELNS1_11target_archE908ELNS1_3gpuE7ELNS1_3repE0EEENS1_30default_config_static_selectorELNS0_4arch9wavefront6targetE0EEEvSY_
; %bb.0:
	.section	.rodata,"a",@progbits
	.p2align	6, 0x0
	.amdhsa_kernel _ZN7rocprim17ROCPRIM_400000_NS6detail17trampoline_kernelINS0_14default_configENS1_29binary_search_config_selectorIfiEEZNS1_14transform_implILb0ES3_S5_N6thrust23THRUST_200600_302600_NS6detail15normal_iteratorINS8_7pointerIfNS8_11hip_rocprim5par_tENS8_11use_defaultESE_EEEENSA_INSB_IiSD_SE_SE_EEEEZNS1_13binary_searchIS3_S5_NSA_INS8_10device_ptrIfEEEESG_SI_NS1_16binary_search_opENS9_16wrapped_functionINS8_6system6detail7generic6detail18binary_search_lessEbEEEE10hipError_tPvRmT1_T2_T3_mmT4_T5_P12ihipStream_tbEUlRKfE_EESV_SZ_S10_mS11_S14_bEUlT_E_NS1_11comp_targetILNS1_3genE3ELNS1_11target_archE908ELNS1_3gpuE7ELNS1_3repE0EEENS1_30default_config_static_selectorELNS0_4arch9wavefront6targetE0EEEvSY_
		.amdhsa_group_segment_fixed_size 0
		.amdhsa_private_segment_fixed_size 0
		.amdhsa_kernarg_size 56
		.amdhsa_user_sgpr_count 6
		.amdhsa_user_sgpr_private_segment_buffer 1
		.amdhsa_user_sgpr_dispatch_ptr 0
		.amdhsa_user_sgpr_queue_ptr 0
		.amdhsa_user_sgpr_kernarg_segment_ptr 1
		.amdhsa_user_sgpr_dispatch_id 0
		.amdhsa_user_sgpr_flat_scratch_init 0
		.amdhsa_user_sgpr_private_segment_size 0
		.amdhsa_wavefront_size32 1
		.amdhsa_uses_dynamic_stack 0
		.amdhsa_system_sgpr_private_segment_wavefront_offset 0
		.amdhsa_system_sgpr_workgroup_id_x 1
		.amdhsa_system_sgpr_workgroup_id_y 0
		.amdhsa_system_sgpr_workgroup_id_z 0
		.amdhsa_system_sgpr_workgroup_info 0
		.amdhsa_system_vgpr_workitem_id 0
		.amdhsa_next_free_vgpr 1
		.amdhsa_next_free_sgpr 1
		.amdhsa_reserve_vcc 0
		.amdhsa_reserve_flat_scratch 0
		.amdhsa_float_round_mode_32 0
		.amdhsa_float_round_mode_16_64 0
		.amdhsa_float_denorm_mode_32 3
		.amdhsa_float_denorm_mode_16_64 3
		.amdhsa_dx10_clamp 1
		.amdhsa_ieee_mode 1
		.amdhsa_fp16_overflow 0
		.amdhsa_workgroup_processor_mode 1
		.amdhsa_memory_ordered 1
		.amdhsa_forward_progress 1
		.amdhsa_shared_vgpr_count 0
		.amdhsa_exception_fp_ieee_invalid_op 0
		.amdhsa_exception_fp_denorm_src 0
		.amdhsa_exception_fp_ieee_div_zero 0
		.amdhsa_exception_fp_ieee_overflow 0
		.amdhsa_exception_fp_ieee_underflow 0
		.amdhsa_exception_fp_ieee_inexact 0
		.amdhsa_exception_int_div_zero 0
	.end_amdhsa_kernel
	.section	.text._ZN7rocprim17ROCPRIM_400000_NS6detail17trampoline_kernelINS0_14default_configENS1_29binary_search_config_selectorIfiEEZNS1_14transform_implILb0ES3_S5_N6thrust23THRUST_200600_302600_NS6detail15normal_iteratorINS8_7pointerIfNS8_11hip_rocprim5par_tENS8_11use_defaultESE_EEEENSA_INSB_IiSD_SE_SE_EEEEZNS1_13binary_searchIS3_S5_NSA_INS8_10device_ptrIfEEEESG_SI_NS1_16binary_search_opENS9_16wrapped_functionINS8_6system6detail7generic6detail18binary_search_lessEbEEEE10hipError_tPvRmT1_T2_T3_mmT4_T5_P12ihipStream_tbEUlRKfE_EESV_SZ_S10_mS11_S14_bEUlT_E_NS1_11comp_targetILNS1_3genE3ELNS1_11target_archE908ELNS1_3gpuE7ELNS1_3repE0EEENS1_30default_config_static_selectorELNS0_4arch9wavefront6targetE0EEEvSY_,"axG",@progbits,_ZN7rocprim17ROCPRIM_400000_NS6detail17trampoline_kernelINS0_14default_configENS1_29binary_search_config_selectorIfiEEZNS1_14transform_implILb0ES3_S5_N6thrust23THRUST_200600_302600_NS6detail15normal_iteratorINS8_7pointerIfNS8_11hip_rocprim5par_tENS8_11use_defaultESE_EEEENSA_INSB_IiSD_SE_SE_EEEEZNS1_13binary_searchIS3_S5_NSA_INS8_10device_ptrIfEEEESG_SI_NS1_16binary_search_opENS9_16wrapped_functionINS8_6system6detail7generic6detail18binary_search_lessEbEEEE10hipError_tPvRmT1_T2_T3_mmT4_T5_P12ihipStream_tbEUlRKfE_EESV_SZ_S10_mS11_S14_bEUlT_E_NS1_11comp_targetILNS1_3genE3ELNS1_11target_archE908ELNS1_3gpuE7ELNS1_3repE0EEENS1_30default_config_static_selectorELNS0_4arch9wavefront6targetE0EEEvSY_,comdat
.Lfunc_end656:
	.size	_ZN7rocprim17ROCPRIM_400000_NS6detail17trampoline_kernelINS0_14default_configENS1_29binary_search_config_selectorIfiEEZNS1_14transform_implILb0ES3_S5_N6thrust23THRUST_200600_302600_NS6detail15normal_iteratorINS8_7pointerIfNS8_11hip_rocprim5par_tENS8_11use_defaultESE_EEEENSA_INSB_IiSD_SE_SE_EEEEZNS1_13binary_searchIS3_S5_NSA_INS8_10device_ptrIfEEEESG_SI_NS1_16binary_search_opENS9_16wrapped_functionINS8_6system6detail7generic6detail18binary_search_lessEbEEEE10hipError_tPvRmT1_T2_T3_mmT4_T5_P12ihipStream_tbEUlRKfE_EESV_SZ_S10_mS11_S14_bEUlT_E_NS1_11comp_targetILNS1_3genE3ELNS1_11target_archE908ELNS1_3gpuE7ELNS1_3repE0EEENS1_30default_config_static_selectorELNS0_4arch9wavefront6targetE0EEEvSY_, .Lfunc_end656-_ZN7rocprim17ROCPRIM_400000_NS6detail17trampoline_kernelINS0_14default_configENS1_29binary_search_config_selectorIfiEEZNS1_14transform_implILb0ES3_S5_N6thrust23THRUST_200600_302600_NS6detail15normal_iteratorINS8_7pointerIfNS8_11hip_rocprim5par_tENS8_11use_defaultESE_EEEENSA_INSB_IiSD_SE_SE_EEEEZNS1_13binary_searchIS3_S5_NSA_INS8_10device_ptrIfEEEESG_SI_NS1_16binary_search_opENS9_16wrapped_functionINS8_6system6detail7generic6detail18binary_search_lessEbEEEE10hipError_tPvRmT1_T2_T3_mmT4_T5_P12ihipStream_tbEUlRKfE_EESV_SZ_S10_mS11_S14_bEUlT_E_NS1_11comp_targetILNS1_3genE3ELNS1_11target_archE908ELNS1_3gpuE7ELNS1_3repE0EEENS1_30default_config_static_selectorELNS0_4arch9wavefront6targetE0EEEvSY_
                                        ; -- End function
	.set _ZN7rocprim17ROCPRIM_400000_NS6detail17trampoline_kernelINS0_14default_configENS1_29binary_search_config_selectorIfiEEZNS1_14transform_implILb0ES3_S5_N6thrust23THRUST_200600_302600_NS6detail15normal_iteratorINS8_7pointerIfNS8_11hip_rocprim5par_tENS8_11use_defaultESE_EEEENSA_INSB_IiSD_SE_SE_EEEEZNS1_13binary_searchIS3_S5_NSA_INS8_10device_ptrIfEEEESG_SI_NS1_16binary_search_opENS9_16wrapped_functionINS8_6system6detail7generic6detail18binary_search_lessEbEEEE10hipError_tPvRmT1_T2_T3_mmT4_T5_P12ihipStream_tbEUlRKfE_EESV_SZ_S10_mS11_S14_bEUlT_E_NS1_11comp_targetILNS1_3genE3ELNS1_11target_archE908ELNS1_3gpuE7ELNS1_3repE0EEENS1_30default_config_static_selectorELNS0_4arch9wavefront6targetE0EEEvSY_.num_vgpr, 0
	.set _ZN7rocprim17ROCPRIM_400000_NS6detail17trampoline_kernelINS0_14default_configENS1_29binary_search_config_selectorIfiEEZNS1_14transform_implILb0ES3_S5_N6thrust23THRUST_200600_302600_NS6detail15normal_iteratorINS8_7pointerIfNS8_11hip_rocprim5par_tENS8_11use_defaultESE_EEEENSA_INSB_IiSD_SE_SE_EEEEZNS1_13binary_searchIS3_S5_NSA_INS8_10device_ptrIfEEEESG_SI_NS1_16binary_search_opENS9_16wrapped_functionINS8_6system6detail7generic6detail18binary_search_lessEbEEEE10hipError_tPvRmT1_T2_T3_mmT4_T5_P12ihipStream_tbEUlRKfE_EESV_SZ_S10_mS11_S14_bEUlT_E_NS1_11comp_targetILNS1_3genE3ELNS1_11target_archE908ELNS1_3gpuE7ELNS1_3repE0EEENS1_30default_config_static_selectorELNS0_4arch9wavefront6targetE0EEEvSY_.num_agpr, 0
	.set _ZN7rocprim17ROCPRIM_400000_NS6detail17trampoline_kernelINS0_14default_configENS1_29binary_search_config_selectorIfiEEZNS1_14transform_implILb0ES3_S5_N6thrust23THRUST_200600_302600_NS6detail15normal_iteratorINS8_7pointerIfNS8_11hip_rocprim5par_tENS8_11use_defaultESE_EEEENSA_INSB_IiSD_SE_SE_EEEEZNS1_13binary_searchIS3_S5_NSA_INS8_10device_ptrIfEEEESG_SI_NS1_16binary_search_opENS9_16wrapped_functionINS8_6system6detail7generic6detail18binary_search_lessEbEEEE10hipError_tPvRmT1_T2_T3_mmT4_T5_P12ihipStream_tbEUlRKfE_EESV_SZ_S10_mS11_S14_bEUlT_E_NS1_11comp_targetILNS1_3genE3ELNS1_11target_archE908ELNS1_3gpuE7ELNS1_3repE0EEENS1_30default_config_static_selectorELNS0_4arch9wavefront6targetE0EEEvSY_.numbered_sgpr, 0
	.set _ZN7rocprim17ROCPRIM_400000_NS6detail17trampoline_kernelINS0_14default_configENS1_29binary_search_config_selectorIfiEEZNS1_14transform_implILb0ES3_S5_N6thrust23THRUST_200600_302600_NS6detail15normal_iteratorINS8_7pointerIfNS8_11hip_rocprim5par_tENS8_11use_defaultESE_EEEENSA_INSB_IiSD_SE_SE_EEEEZNS1_13binary_searchIS3_S5_NSA_INS8_10device_ptrIfEEEESG_SI_NS1_16binary_search_opENS9_16wrapped_functionINS8_6system6detail7generic6detail18binary_search_lessEbEEEE10hipError_tPvRmT1_T2_T3_mmT4_T5_P12ihipStream_tbEUlRKfE_EESV_SZ_S10_mS11_S14_bEUlT_E_NS1_11comp_targetILNS1_3genE3ELNS1_11target_archE908ELNS1_3gpuE7ELNS1_3repE0EEENS1_30default_config_static_selectorELNS0_4arch9wavefront6targetE0EEEvSY_.num_named_barrier, 0
	.set _ZN7rocprim17ROCPRIM_400000_NS6detail17trampoline_kernelINS0_14default_configENS1_29binary_search_config_selectorIfiEEZNS1_14transform_implILb0ES3_S5_N6thrust23THRUST_200600_302600_NS6detail15normal_iteratorINS8_7pointerIfNS8_11hip_rocprim5par_tENS8_11use_defaultESE_EEEENSA_INSB_IiSD_SE_SE_EEEEZNS1_13binary_searchIS3_S5_NSA_INS8_10device_ptrIfEEEESG_SI_NS1_16binary_search_opENS9_16wrapped_functionINS8_6system6detail7generic6detail18binary_search_lessEbEEEE10hipError_tPvRmT1_T2_T3_mmT4_T5_P12ihipStream_tbEUlRKfE_EESV_SZ_S10_mS11_S14_bEUlT_E_NS1_11comp_targetILNS1_3genE3ELNS1_11target_archE908ELNS1_3gpuE7ELNS1_3repE0EEENS1_30default_config_static_selectorELNS0_4arch9wavefront6targetE0EEEvSY_.private_seg_size, 0
	.set _ZN7rocprim17ROCPRIM_400000_NS6detail17trampoline_kernelINS0_14default_configENS1_29binary_search_config_selectorIfiEEZNS1_14transform_implILb0ES3_S5_N6thrust23THRUST_200600_302600_NS6detail15normal_iteratorINS8_7pointerIfNS8_11hip_rocprim5par_tENS8_11use_defaultESE_EEEENSA_INSB_IiSD_SE_SE_EEEEZNS1_13binary_searchIS3_S5_NSA_INS8_10device_ptrIfEEEESG_SI_NS1_16binary_search_opENS9_16wrapped_functionINS8_6system6detail7generic6detail18binary_search_lessEbEEEE10hipError_tPvRmT1_T2_T3_mmT4_T5_P12ihipStream_tbEUlRKfE_EESV_SZ_S10_mS11_S14_bEUlT_E_NS1_11comp_targetILNS1_3genE3ELNS1_11target_archE908ELNS1_3gpuE7ELNS1_3repE0EEENS1_30default_config_static_selectorELNS0_4arch9wavefront6targetE0EEEvSY_.uses_vcc, 0
	.set _ZN7rocprim17ROCPRIM_400000_NS6detail17trampoline_kernelINS0_14default_configENS1_29binary_search_config_selectorIfiEEZNS1_14transform_implILb0ES3_S5_N6thrust23THRUST_200600_302600_NS6detail15normal_iteratorINS8_7pointerIfNS8_11hip_rocprim5par_tENS8_11use_defaultESE_EEEENSA_INSB_IiSD_SE_SE_EEEEZNS1_13binary_searchIS3_S5_NSA_INS8_10device_ptrIfEEEESG_SI_NS1_16binary_search_opENS9_16wrapped_functionINS8_6system6detail7generic6detail18binary_search_lessEbEEEE10hipError_tPvRmT1_T2_T3_mmT4_T5_P12ihipStream_tbEUlRKfE_EESV_SZ_S10_mS11_S14_bEUlT_E_NS1_11comp_targetILNS1_3genE3ELNS1_11target_archE908ELNS1_3gpuE7ELNS1_3repE0EEENS1_30default_config_static_selectorELNS0_4arch9wavefront6targetE0EEEvSY_.uses_flat_scratch, 0
	.set _ZN7rocprim17ROCPRIM_400000_NS6detail17trampoline_kernelINS0_14default_configENS1_29binary_search_config_selectorIfiEEZNS1_14transform_implILb0ES3_S5_N6thrust23THRUST_200600_302600_NS6detail15normal_iteratorINS8_7pointerIfNS8_11hip_rocprim5par_tENS8_11use_defaultESE_EEEENSA_INSB_IiSD_SE_SE_EEEEZNS1_13binary_searchIS3_S5_NSA_INS8_10device_ptrIfEEEESG_SI_NS1_16binary_search_opENS9_16wrapped_functionINS8_6system6detail7generic6detail18binary_search_lessEbEEEE10hipError_tPvRmT1_T2_T3_mmT4_T5_P12ihipStream_tbEUlRKfE_EESV_SZ_S10_mS11_S14_bEUlT_E_NS1_11comp_targetILNS1_3genE3ELNS1_11target_archE908ELNS1_3gpuE7ELNS1_3repE0EEENS1_30default_config_static_selectorELNS0_4arch9wavefront6targetE0EEEvSY_.has_dyn_sized_stack, 0
	.set _ZN7rocprim17ROCPRIM_400000_NS6detail17trampoline_kernelINS0_14default_configENS1_29binary_search_config_selectorIfiEEZNS1_14transform_implILb0ES3_S5_N6thrust23THRUST_200600_302600_NS6detail15normal_iteratorINS8_7pointerIfNS8_11hip_rocprim5par_tENS8_11use_defaultESE_EEEENSA_INSB_IiSD_SE_SE_EEEEZNS1_13binary_searchIS3_S5_NSA_INS8_10device_ptrIfEEEESG_SI_NS1_16binary_search_opENS9_16wrapped_functionINS8_6system6detail7generic6detail18binary_search_lessEbEEEE10hipError_tPvRmT1_T2_T3_mmT4_T5_P12ihipStream_tbEUlRKfE_EESV_SZ_S10_mS11_S14_bEUlT_E_NS1_11comp_targetILNS1_3genE3ELNS1_11target_archE908ELNS1_3gpuE7ELNS1_3repE0EEENS1_30default_config_static_selectorELNS0_4arch9wavefront6targetE0EEEvSY_.has_recursion, 0
	.set _ZN7rocprim17ROCPRIM_400000_NS6detail17trampoline_kernelINS0_14default_configENS1_29binary_search_config_selectorIfiEEZNS1_14transform_implILb0ES3_S5_N6thrust23THRUST_200600_302600_NS6detail15normal_iteratorINS8_7pointerIfNS8_11hip_rocprim5par_tENS8_11use_defaultESE_EEEENSA_INSB_IiSD_SE_SE_EEEEZNS1_13binary_searchIS3_S5_NSA_INS8_10device_ptrIfEEEESG_SI_NS1_16binary_search_opENS9_16wrapped_functionINS8_6system6detail7generic6detail18binary_search_lessEbEEEE10hipError_tPvRmT1_T2_T3_mmT4_T5_P12ihipStream_tbEUlRKfE_EESV_SZ_S10_mS11_S14_bEUlT_E_NS1_11comp_targetILNS1_3genE3ELNS1_11target_archE908ELNS1_3gpuE7ELNS1_3repE0EEENS1_30default_config_static_selectorELNS0_4arch9wavefront6targetE0EEEvSY_.has_indirect_call, 0
	.section	.AMDGPU.csdata,"",@progbits
; Kernel info:
; codeLenInByte = 0
; TotalNumSgprs: 0
; NumVgprs: 0
; ScratchSize: 0
; MemoryBound: 0
; FloatMode: 240
; IeeeMode: 1
; LDSByteSize: 0 bytes/workgroup (compile time only)
; SGPRBlocks: 0
; VGPRBlocks: 0
; NumSGPRsForWavesPerEU: 1
; NumVGPRsForWavesPerEU: 1
; Occupancy: 16
; WaveLimiterHint : 0
; COMPUTE_PGM_RSRC2:SCRATCH_EN: 0
; COMPUTE_PGM_RSRC2:USER_SGPR: 6
; COMPUTE_PGM_RSRC2:TRAP_HANDLER: 0
; COMPUTE_PGM_RSRC2:TGID_X_EN: 1
; COMPUTE_PGM_RSRC2:TGID_Y_EN: 0
; COMPUTE_PGM_RSRC2:TGID_Z_EN: 0
; COMPUTE_PGM_RSRC2:TIDIG_COMP_CNT: 0
	.section	.text._ZN7rocprim17ROCPRIM_400000_NS6detail17trampoline_kernelINS0_14default_configENS1_29binary_search_config_selectorIfiEEZNS1_14transform_implILb0ES3_S5_N6thrust23THRUST_200600_302600_NS6detail15normal_iteratorINS8_7pointerIfNS8_11hip_rocprim5par_tENS8_11use_defaultESE_EEEENSA_INSB_IiSD_SE_SE_EEEEZNS1_13binary_searchIS3_S5_NSA_INS8_10device_ptrIfEEEESG_SI_NS1_16binary_search_opENS9_16wrapped_functionINS8_6system6detail7generic6detail18binary_search_lessEbEEEE10hipError_tPvRmT1_T2_T3_mmT4_T5_P12ihipStream_tbEUlRKfE_EESV_SZ_S10_mS11_S14_bEUlT_E_NS1_11comp_targetILNS1_3genE2ELNS1_11target_archE906ELNS1_3gpuE6ELNS1_3repE0EEENS1_30default_config_static_selectorELNS0_4arch9wavefront6targetE0EEEvSY_,"axG",@progbits,_ZN7rocprim17ROCPRIM_400000_NS6detail17trampoline_kernelINS0_14default_configENS1_29binary_search_config_selectorIfiEEZNS1_14transform_implILb0ES3_S5_N6thrust23THRUST_200600_302600_NS6detail15normal_iteratorINS8_7pointerIfNS8_11hip_rocprim5par_tENS8_11use_defaultESE_EEEENSA_INSB_IiSD_SE_SE_EEEEZNS1_13binary_searchIS3_S5_NSA_INS8_10device_ptrIfEEEESG_SI_NS1_16binary_search_opENS9_16wrapped_functionINS8_6system6detail7generic6detail18binary_search_lessEbEEEE10hipError_tPvRmT1_T2_T3_mmT4_T5_P12ihipStream_tbEUlRKfE_EESV_SZ_S10_mS11_S14_bEUlT_E_NS1_11comp_targetILNS1_3genE2ELNS1_11target_archE906ELNS1_3gpuE6ELNS1_3repE0EEENS1_30default_config_static_selectorELNS0_4arch9wavefront6targetE0EEEvSY_,comdat
	.protected	_ZN7rocprim17ROCPRIM_400000_NS6detail17trampoline_kernelINS0_14default_configENS1_29binary_search_config_selectorIfiEEZNS1_14transform_implILb0ES3_S5_N6thrust23THRUST_200600_302600_NS6detail15normal_iteratorINS8_7pointerIfNS8_11hip_rocprim5par_tENS8_11use_defaultESE_EEEENSA_INSB_IiSD_SE_SE_EEEEZNS1_13binary_searchIS3_S5_NSA_INS8_10device_ptrIfEEEESG_SI_NS1_16binary_search_opENS9_16wrapped_functionINS8_6system6detail7generic6detail18binary_search_lessEbEEEE10hipError_tPvRmT1_T2_T3_mmT4_T5_P12ihipStream_tbEUlRKfE_EESV_SZ_S10_mS11_S14_bEUlT_E_NS1_11comp_targetILNS1_3genE2ELNS1_11target_archE906ELNS1_3gpuE6ELNS1_3repE0EEENS1_30default_config_static_selectorELNS0_4arch9wavefront6targetE0EEEvSY_ ; -- Begin function _ZN7rocprim17ROCPRIM_400000_NS6detail17trampoline_kernelINS0_14default_configENS1_29binary_search_config_selectorIfiEEZNS1_14transform_implILb0ES3_S5_N6thrust23THRUST_200600_302600_NS6detail15normal_iteratorINS8_7pointerIfNS8_11hip_rocprim5par_tENS8_11use_defaultESE_EEEENSA_INSB_IiSD_SE_SE_EEEEZNS1_13binary_searchIS3_S5_NSA_INS8_10device_ptrIfEEEESG_SI_NS1_16binary_search_opENS9_16wrapped_functionINS8_6system6detail7generic6detail18binary_search_lessEbEEEE10hipError_tPvRmT1_T2_T3_mmT4_T5_P12ihipStream_tbEUlRKfE_EESV_SZ_S10_mS11_S14_bEUlT_E_NS1_11comp_targetILNS1_3genE2ELNS1_11target_archE906ELNS1_3gpuE6ELNS1_3repE0EEENS1_30default_config_static_selectorELNS0_4arch9wavefront6targetE0EEEvSY_
	.globl	_ZN7rocprim17ROCPRIM_400000_NS6detail17trampoline_kernelINS0_14default_configENS1_29binary_search_config_selectorIfiEEZNS1_14transform_implILb0ES3_S5_N6thrust23THRUST_200600_302600_NS6detail15normal_iteratorINS8_7pointerIfNS8_11hip_rocprim5par_tENS8_11use_defaultESE_EEEENSA_INSB_IiSD_SE_SE_EEEEZNS1_13binary_searchIS3_S5_NSA_INS8_10device_ptrIfEEEESG_SI_NS1_16binary_search_opENS9_16wrapped_functionINS8_6system6detail7generic6detail18binary_search_lessEbEEEE10hipError_tPvRmT1_T2_T3_mmT4_T5_P12ihipStream_tbEUlRKfE_EESV_SZ_S10_mS11_S14_bEUlT_E_NS1_11comp_targetILNS1_3genE2ELNS1_11target_archE906ELNS1_3gpuE6ELNS1_3repE0EEENS1_30default_config_static_selectorELNS0_4arch9wavefront6targetE0EEEvSY_
	.p2align	8
	.type	_ZN7rocprim17ROCPRIM_400000_NS6detail17trampoline_kernelINS0_14default_configENS1_29binary_search_config_selectorIfiEEZNS1_14transform_implILb0ES3_S5_N6thrust23THRUST_200600_302600_NS6detail15normal_iteratorINS8_7pointerIfNS8_11hip_rocprim5par_tENS8_11use_defaultESE_EEEENSA_INSB_IiSD_SE_SE_EEEEZNS1_13binary_searchIS3_S5_NSA_INS8_10device_ptrIfEEEESG_SI_NS1_16binary_search_opENS9_16wrapped_functionINS8_6system6detail7generic6detail18binary_search_lessEbEEEE10hipError_tPvRmT1_T2_T3_mmT4_T5_P12ihipStream_tbEUlRKfE_EESV_SZ_S10_mS11_S14_bEUlT_E_NS1_11comp_targetILNS1_3genE2ELNS1_11target_archE906ELNS1_3gpuE6ELNS1_3repE0EEENS1_30default_config_static_selectorELNS0_4arch9wavefront6targetE0EEEvSY_,@function
_ZN7rocprim17ROCPRIM_400000_NS6detail17trampoline_kernelINS0_14default_configENS1_29binary_search_config_selectorIfiEEZNS1_14transform_implILb0ES3_S5_N6thrust23THRUST_200600_302600_NS6detail15normal_iteratorINS8_7pointerIfNS8_11hip_rocprim5par_tENS8_11use_defaultESE_EEEENSA_INSB_IiSD_SE_SE_EEEEZNS1_13binary_searchIS3_S5_NSA_INS8_10device_ptrIfEEEESG_SI_NS1_16binary_search_opENS9_16wrapped_functionINS8_6system6detail7generic6detail18binary_search_lessEbEEEE10hipError_tPvRmT1_T2_T3_mmT4_T5_P12ihipStream_tbEUlRKfE_EESV_SZ_S10_mS11_S14_bEUlT_E_NS1_11comp_targetILNS1_3genE2ELNS1_11target_archE906ELNS1_3gpuE6ELNS1_3repE0EEENS1_30default_config_static_selectorELNS0_4arch9wavefront6targetE0EEEvSY_: ; @_ZN7rocprim17ROCPRIM_400000_NS6detail17trampoline_kernelINS0_14default_configENS1_29binary_search_config_selectorIfiEEZNS1_14transform_implILb0ES3_S5_N6thrust23THRUST_200600_302600_NS6detail15normal_iteratorINS8_7pointerIfNS8_11hip_rocprim5par_tENS8_11use_defaultESE_EEEENSA_INSB_IiSD_SE_SE_EEEEZNS1_13binary_searchIS3_S5_NSA_INS8_10device_ptrIfEEEESG_SI_NS1_16binary_search_opENS9_16wrapped_functionINS8_6system6detail7generic6detail18binary_search_lessEbEEEE10hipError_tPvRmT1_T2_T3_mmT4_T5_P12ihipStream_tbEUlRKfE_EESV_SZ_S10_mS11_S14_bEUlT_E_NS1_11comp_targetILNS1_3genE2ELNS1_11target_archE906ELNS1_3gpuE6ELNS1_3repE0EEENS1_30default_config_static_selectorELNS0_4arch9wavefront6targetE0EEEvSY_
; %bb.0:
	.section	.rodata,"a",@progbits
	.p2align	6, 0x0
	.amdhsa_kernel _ZN7rocprim17ROCPRIM_400000_NS6detail17trampoline_kernelINS0_14default_configENS1_29binary_search_config_selectorIfiEEZNS1_14transform_implILb0ES3_S5_N6thrust23THRUST_200600_302600_NS6detail15normal_iteratorINS8_7pointerIfNS8_11hip_rocprim5par_tENS8_11use_defaultESE_EEEENSA_INSB_IiSD_SE_SE_EEEEZNS1_13binary_searchIS3_S5_NSA_INS8_10device_ptrIfEEEESG_SI_NS1_16binary_search_opENS9_16wrapped_functionINS8_6system6detail7generic6detail18binary_search_lessEbEEEE10hipError_tPvRmT1_T2_T3_mmT4_T5_P12ihipStream_tbEUlRKfE_EESV_SZ_S10_mS11_S14_bEUlT_E_NS1_11comp_targetILNS1_3genE2ELNS1_11target_archE906ELNS1_3gpuE6ELNS1_3repE0EEENS1_30default_config_static_selectorELNS0_4arch9wavefront6targetE0EEEvSY_
		.amdhsa_group_segment_fixed_size 0
		.amdhsa_private_segment_fixed_size 0
		.amdhsa_kernarg_size 56
		.amdhsa_user_sgpr_count 6
		.amdhsa_user_sgpr_private_segment_buffer 1
		.amdhsa_user_sgpr_dispatch_ptr 0
		.amdhsa_user_sgpr_queue_ptr 0
		.amdhsa_user_sgpr_kernarg_segment_ptr 1
		.amdhsa_user_sgpr_dispatch_id 0
		.amdhsa_user_sgpr_flat_scratch_init 0
		.amdhsa_user_sgpr_private_segment_size 0
		.amdhsa_wavefront_size32 1
		.amdhsa_uses_dynamic_stack 0
		.amdhsa_system_sgpr_private_segment_wavefront_offset 0
		.amdhsa_system_sgpr_workgroup_id_x 1
		.amdhsa_system_sgpr_workgroup_id_y 0
		.amdhsa_system_sgpr_workgroup_id_z 0
		.amdhsa_system_sgpr_workgroup_info 0
		.amdhsa_system_vgpr_workitem_id 0
		.amdhsa_next_free_vgpr 1
		.amdhsa_next_free_sgpr 1
		.amdhsa_reserve_vcc 0
		.amdhsa_reserve_flat_scratch 0
		.amdhsa_float_round_mode_32 0
		.amdhsa_float_round_mode_16_64 0
		.amdhsa_float_denorm_mode_32 3
		.amdhsa_float_denorm_mode_16_64 3
		.amdhsa_dx10_clamp 1
		.amdhsa_ieee_mode 1
		.amdhsa_fp16_overflow 0
		.amdhsa_workgroup_processor_mode 1
		.amdhsa_memory_ordered 1
		.amdhsa_forward_progress 1
		.amdhsa_shared_vgpr_count 0
		.amdhsa_exception_fp_ieee_invalid_op 0
		.amdhsa_exception_fp_denorm_src 0
		.amdhsa_exception_fp_ieee_div_zero 0
		.amdhsa_exception_fp_ieee_overflow 0
		.amdhsa_exception_fp_ieee_underflow 0
		.amdhsa_exception_fp_ieee_inexact 0
		.amdhsa_exception_int_div_zero 0
	.end_amdhsa_kernel
	.section	.text._ZN7rocprim17ROCPRIM_400000_NS6detail17trampoline_kernelINS0_14default_configENS1_29binary_search_config_selectorIfiEEZNS1_14transform_implILb0ES3_S5_N6thrust23THRUST_200600_302600_NS6detail15normal_iteratorINS8_7pointerIfNS8_11hip_rocprim5par_tENS8_11use_defaultESE_EEEENSA_INSB_IiSD_SE_SE_EEEEZNS1_13binary_searchIS3_S5_NSA_INS8_10device_ptrIfEEEESG_SI_NS1_16binary_search_opENS9_16wrapped_functionINS8_6system6detail7generic6detail18binary_search_lessEbEEEE10hipError_tPvRmT1_T2_T3_mmT4_T5_P12ihipStream_tbEUlRKfE_EESV_SZ_S10_mS11_S14_bEUlT_E_NS1_11comp_targetILNS1_3genE2ELNS1_11target_archE906ELNS1_3gpuE6ELNS1_3repE0EEENS1_30default_config_static_selectorELNS0_4arch9wavefront6targetE0EEEvSY_,"axG",@progbits,_ZN7rocprim17ROCPRIM_400000_NS6detail17trampoline_kernelINS0_14default_configENS1_29binary_search_config_selectorIfiEEZNS1_14transform_implILb0ES3_S5_N6thrust23THRUST_200600_302600_NS6detail15normal_iteratorINS8_7pointerIfNS8_11hip_rocprim5par_tENS8_11use_defaultESE_EEEENSA_INSB_IiSD_SE_SE_EEEEZNS1_13binary_searchIS3_S5_NSA_INS8_10device_ptrIfEEEESG_SI_NS1_16binary_search_opENS9_16wrapped_functionINS8_6system6detail7generic6detail18binary_search_lessEbEEEE10hipError_tPvRmT1_T2_T3_mmT4_T5_P12ihipStream_tbEUlRKfE_EESV_SZ_S10_mS11_S14_bEUlT_E_NS1_11comp_targetILNS1_3genE2ELNS1_11target_archE906ELNS1_3gpuE6ELNS1_3repE0EEENS1_30default_config_static_selectorELNS0_4arch9wavefront6targetE0EEEvSY_,comdat
.Lfunc_end657:
	.size	_ZN7rocprim17ROCPRIM_400000_NS6detail17trampoline_kernelINS0_14default_configENS1_29binary_search_config_selectorIfiEEZNS1_14transform_implILb0ES3_S5_N6thrust23THRUST_200600_302600_NS6detail15normal_iteratorINS8_7pointerIfNS8_11hip_rocprim5par_tENS8_11use_defaultESE_EEEENSA_INSB_IiSD_SE_SE_EEEEZNS1_13binary_searchIS3_S5_NSA_INS8_10device_ptrIfEEEESG_SI_NS1_16binary_search_opENS9_16wrapped_functionINS8_6system6detail7generic6detail18binary_search_lessEbEEEE10hipError_tPvRmT1_T2_T3_mmT4_T5_P12ihipStream_tbEUlRKfE_EESV_SZ_S10_mS11_S14_bEUlT_E_NS1_11comp_targetILNS1_3genE2ELNS1_11target_archE906ELNS1_3gpuE6ELNS1_3repE0EEENS1_30default_config_static_selectorELNS0_4arch9wavefront6targetE0EEEvSY_, .Lfunc_end657-_ZN7rocprim17ROCPRIM_400000_NS6detail17trampoline_kernelINS0_14default_configENS1_29binary_search_config_selectorIfiEEZNS1_14transform_implILb0ES3_S5_N6thrust23THRUST_200600_302600_NS6detail15normal_iteratorINS8_7pointerIfNS8_11hip_rocprim5par_tENS8_11use_defaultESE_EEEENSA_INSB_IiSD_SE_SE_EEEEZNS1_13binary_searchIS3_S5_NSA_INS8_10device_ptrIfEEEESG_SI_NS1_16binary_search_opENS9_16wrapped_functionINS8_6system6detail7generic6detail18binary_search_lessEbEEEE10hipError_tPvRmT1_T2_T3_mmT4_T5_P12ihipStream_tbEUlRKfE_EESV_SZ_S10_mS11_S14_bEUlT_E_NS1_11comp_targetILNS1_3genE2ELNS1_11target_archE906ELNS1_3gpuE6ELNS1_3repE0EEENS1_30default_config_static_selectorELNS0_4arch9wavefront6targetE0EEEvSY_
                                        ; -- End function
	.set _ZN7rocprim17ROCPRIM_400000_NS6detail17trampoline_kernelINS0_14default_configENS1_29binary_search_config_selectorIfiEEZNS1_14transform_implILb0ES3_S5_N6thrust23THRUST_200600_302600_NS6detail15normal_iteratorINS8_7pointerIfNS8_11hip_rocprim5par_tENS8_11use_defaultESE_EEEENSA_INSB_IiSD_SE_SE_EEEEZNS1_13binary_searchIS3_S5_NSA_INS8_10device_ptrIfEEEESG_SI_NS1_16binary_search_opENS9_16wrapped_functionINS8_6system6detail7generic6detail18binary_search_lessEbEEEE10hipError_tPvRmT1_T2_T3_mmT4_T5_P12ihipStream_tbEUlRKfE_EESV_SZ_S10_mS11_S14_bEUlT_E_NS1_11comp_targetILNS1_3genE2ELNS1_11target_archE906ELNS1_3gpuE6ELNS1_3repE0EEENS1_30default_config_static_selectorELNS0_4arch9wavefront6targetE0EEEvSY_.num_vgpr, 0
	.set _ZN7rocprim17ROCPRIM_400000_NS6detail17trampoline_kernelINS0_14default_configENS1_29binary_search_config_selectorIfiEEZNS1_14transform_implILb0ES3_S5_N6thrust23THRUST_200600_302600_NS6detail15normal_iteratorINS8_7pointerIfNS8_11hip_rocprim5par_tENS8_11use_defaultESE_EEEENSA_INSB_IiSD_SE_SE_EEEEZNS1_13binary_searchIS3_S5_NSA_INS8_10device_ptrIfEEEESG_SI_NS1_16binary_search_opENS9_16wrapped_functionINS8_6system6detail7generic6detail18binary_search_lessEbEEEE10hipError_tPvRmT1_T2_T3_mmT4_T5_P12ihipStream_tbEUlRKfE_EESV_SZ_S10_mS11_S14_bEUlT_E_NS1_11comp_targetILNS1_3genE2ELNS1_11target_archE906ELNS1_3gpuE6ELNS1_3repE0EEENS1_30default_config_static_selectorELNS0_4arch9wavefront6targetE0EEEvSY_.num_agpr, 0
	.set _ZN7rocprim17ROCPRIM_400000_NS6detail17trampoline_kernelINS0_14default_configENS1_29binary_search_config_selectorIfiEEZNS1_14transform_implILb0ES3_S5_N6thrust23THRUST_200600_302600_NS6detail15normal_iteratorINS8_7pointerIfNS8_11hip_rocprim5par_tENS8_11use_defaultESE_EEEENSA_INSB_IiSD_SE_SE_EEEEZNS1_13binary_searchIS3_S5_NSA_INS8_10device_ptrIfEEEESG_SI_NS1_16binary_search_opENS9_16wrapped_functionINS8_6system6detail7generic6detail18binary_search_lessEbEEEE10hipError_tPvRmT1_T2_T3_mmT4_T5_P12ihipStream_tbEUlRKfE_EESV_SZ_S10_mS11_S14_bEUlT_E_NS1_11comp_targetILNS1_3genE2ELNS1_11target_archE906ELNS1_3gpuE6ELNS1_3repE0EEENS1_30default_config_static_selectorELNS0_4arch9wavefront6targetE0EEEvSY_.numbered_sgpr, 0
	.set _ZN7rocprim17ROCPRIM_400000_NS6detail17trampoline_kernelINS0_14default_configENS1_29binary_search_config_selectorIfiEEZNS1_14transform_implILb0ES3_S5_N6thrust23THRUST_200600_302600_NS6detail15normal_iteratorINS8_7pointerIfNS8_11hip_rocprim5par_tENS8_11use_defaultESE_EEEENSA_INSB_IiSD_SE_SE_EEEEZNS1_13binary_searchIS3_S5_NSA_INS8_10device_ptrIfEEEESG_SI_NS1_16binary_search_opENS9_16wrapped_functionINS8_6system6detail7generic6detail18binary_search_lessEbEEEE10hipError_tPvRmT1_T2_T3_mmT4_T5_P12ihipStream_tbEUlRKfE_EESV_SZ_S10_mS11_S14_bEUlT_E_NS1_11comp_targetILNS1_3genE2ELNS1_11target_archE906ELNS1_3gpuE6ELNS1_3repE0EEENS1_30default_config_static_selectorELNS0_4arch9wavefront6targetE0EEEvSY_.num_named_barrier, 0
	.set _ZN7rocprim17ROCPRIM_400000_NS6detail17trampoline_kernelINS0_14default_configENS1_29binary_search_config_selectorIfiEEZNS1_14transform_implILb0ES3_S5_N6thrust23THRUST_200600_302600_NS6detail15normal_iteratorINS8_7pointerIfNS8_11hip_rocprim5par_tENS8_11use_defaultESE_EEEENSA_INSB_IiSD_SE_SE_EEEEZNS1_13binary_searchIS3_S5_NSA_INS8_10device_ptrIfEEEESG_SI_NS1_16binary_search_opENS9_16wrapped_functionINS8_6system6detail7generic6detail18binary_search_lessEbEEEE10hipError_tPvRmT1_T2_T3_mmT4_T5_P12ihipStream_tbEUlRKfE_EESV_SZ_S10_mS11_S14_bEUlT_E_NS1_11comp_targetILNS1_3genE2ELNS1_11target_archE906ELNS1_3gpuE6ELNS1_3repE0EEENS1_30default_config_static_selectorELNS0_4arch9wavefront6targetE0EEEvSY_.private_seg_size, 0
	.set _ZN7rocprim17ROCPRIM_400000_NS6detail17trampoline_kernelINS0_14default_configENS1_29binary_search_config_selectorIfiEEZNS1_14transform_implILb0ES3_S5_N6thrust23THRUST_200600_302600_NS6detail15normal_iteratorINS8_7pointerIfNS8_11hip_rocprim5par_tENS8_11use_defaultESE_EEEENSA_INSB_IiSD_SE_SE_EEEEZNS1_13binary_searchIS3_S5_NSA_INS8_10device_ptrIfEEEESG_SI_NS1_16binary_search_opENS9_16wrapped_functionINS8_6system6detail7generic6detail18binary_search_lessEbEEEE10hipError_tPvRmT1_T2_T3_mmT4_T5_P12ihipStream_tbEUlRKfE_EESV_SZ_S10_mS11_S14_bEUlT_E_NS1_11comp_targetILNS1_3genE2ELNS1_11target_archE906ELNS1_3gpuE6ELNS1_3repE0EEENS1_30default_config_static_selectorELNS0_4arch9wavefront6targetE0EEEvSY_.uses_vcc, 0
	.set _ZN7rocprim17ROCPRIM_400000_NS6detail17trampoline_kernelINS0_14default_configENS1_29binary_search_config_selectorIfiEEZNS1_14transform_implILb0ES3_S5_N6thrust23THRUST_200600_302600_NS6detail15normal_iteratorINS8_7pointerIfNS8_11hip_rocprim5par_tENS8_11use_defaultESE_EEEENSA_INSB_IiSD_SE_SE_EEEEZNS1_13binary_searchIS3_S5_NSA_INS8_10device_ptrIfEEEESG_SI_NS1_16binary_search_opENS9_16wrapped_functionINS8_6system6detail7generic6detail18binary_search_lessEbEEEE10hipError_tPvRmT1_T2_T3_mmT4_T5_P12ihipStream_tbEUlRKfE_EESV_SZ_S10_mS11_S14_bEUlT_E_NS1_11comp_targetILNS1_3genE2ELNS1_11target_archE906ELNS1_3gpuE6ELNS1_3repE0EEENS1_30default_config_static_selectorELNS0_4arch9wavefront6targetE0EEEvSY_.uses_flat_scratch, 0
	.set _ZN7rocprim17ROCPRIM_400000_NS6detail17trampoline_kernelINS0_14default_configENS1_29binary_search_config_selectorIfiEEZNS1_14transform_implILb0ES3_S5_N6thrust23THRUST_200600_302600_NS6detail15normal_iteratorINS8_7pointerIfNS8_11hip_rocprim5par_tENS8_11use_defaultESE_EEEENSA_INSB_IiSD_SE_SE_EEEEZNS1_13binary_searchIS3_S5_NSA_INS8_10device_ptrIfEEEESG_SI_NS1_16binary_search_opENS9_16wrapped_functionINS8_6system6detail7generic6detail18binary_search_lessEbEEEE10hipError_tPvRmT1_T2_T3_mmT4_T5_P12ihipStream_tbEUlRKfE_EESV_SZ_S10_mS11_S14_bEUlT_E_NS1_11comp_targetILNS1_3genE2ELNS1_11target_archE906ELNS1_3gpuE6ELNS1_3repE0EEENS1_30default_config_static_selectorELNS0_4arch9wavefront6targetE0EEEvSY_.has_dyn_sized_stack, 0
	.set _ZN7rocprim17ROCPRIM_400000_NS6detail17trampoline_kernelINS0_14default_configENS1_29binary_search_config_selectorIfiEEZNS1_14transform_implILb0ES3_S5_N6thrust23THRUST_200600_302600_NS6detail15normal_iteratorINS8_7pointerIfNS8_11hip_rocprim5par_tENS8_11use_defaultESE_EEEENSA_INSB_IiSD_SE_SE_EEEEZNS1_13binary_searchIS3_S5_NSA_INS8_10device_ptrIfEEEESG_SI_NS1_16binary_search_opENS9_16wrapped_functionINS8_6system6detail7generic6detail18binary_search_lessEbEEEE10hipError_tPvRmT1_T2_T3_mmT4_T5_P12ihipStream_tbEUlRKfE_EESV_SZ_S10_mS11_S14_bEUlT_E_NS1_11comp_targetILNS1_3genE2ELNS1_11target_archE906ELNS1_3gpuE6ELNS1_3repE0EEENS1_30default_config_static_selectorELNS0_4arch9wavefront6targetE0EEEvSY_.has_recursion, 0
	.set _ZN7rocprim17ROCPRIM_400000_NS6detail17trampoline_kernelINS0_14default_configENS1_29binary_search_config_selectorIfiEEZNS1_14transform_implILb0ES3_S5_N6thrust23THRUST_200600_302600_NS6detail15normal_iteratorINS8_7pointerIfNS8_11hip_rocprim5par_tENS8_11use_defaultESE_EEEENSA_INSB_IiSD_SE_SE_EEEEZNS1_13binary_searchIS3_S5_NSA_INS8_10device_ptrIfEEEESG_SI_NS1_16binary_search_opENS9_16wrapped_functionINS8_6system6detail7generic6detail18binary_search_lessEbEEEE10hipError_tPvRmT1_T2_T3_mmT4_T5_P12ihipStream_tbEUlRKfE_EESV_SZ_S10_mS11_S14_bEUlT_E_NS1_11comp_targetILNS1_3genE2ELNS1_11target_archE906ELNS1_3gpuE6ELNS1_3repE0EEENS1_30default_config_static_selectorELNS0_4arch9wavefront6targetE0EEEvSY_.has_indirect_call, 0
	.section	.AMDGPU.csdata,"",@progbits
; Kernel info:
; codeLenInByte = 0
; TotalNumSgprs: 0
; NumVgprs: 0
; ScratchSize: 0
; MemoryBound: 0
; FloatMode: 240
; IeeeMode: 1
; LDSByteSize: 0 bytes/workgroup (compile time only)
; SGPRBlocks: 0
; VGPRBlocks: 0
; NumSGPRsForWavesPerEU: 1
; NumVGPRsForWavesPerEU: 1
; Occupancy: 16
; WaveLimiterHint : 0
; COMPUTE_PGM_RSRC2:SCRATCH_EN: 0
; COMPUTE_PGM_RSRC2:USER_SGPR: 6
; COMPUTE_PGM_RSRC2:TRAP_HANDLER: 0
; COMPUTE_PGM_RSRC2:TGID_X_EN: 1
; COMPUTE_PGM_RSRC2:TGID_Y_EN: 0
; COMPUTE_PGM_RSRC2:TGID_Z_EN: 0
; COMPUTE_PGM_RSRC2:TIDIG_COMP_CNT: 0
	.section	.text._ZN7rocprim17ROCPRIM_400000_NS6detail17trampoline_kernelINS0_14default_configENS1_29binary_search_config_selectorIfiEEZNS1_14transform_implILb0ES3_S5_N6thrust23THRUST_200600_302600_NS6detail15normal_iteratorINS8_7pointerIfNS8_11hip_rocprim5par_tENS8_11use_defaultESE_EEEENSA_INSB_IiSD_SE_SE_EEEEZNS1_13binary_searchIS3_S5_NSA_INS8_10device_ptrIfEEEESG_SI_NS1_16binary_search_opENS9_16wrapped_functionINS8_6system6detail7generic6detail18binary_search_lessEbEEEE10hipError_tPvRmT1_T2_T3_mmT4_T5_P12ihipStream_tbEUlRKfE_EESV_SZ_S10_mS11_S14_bEUlT_E_NS1_11comp_targetILNS1_3genE10ELNS1_11target_archE1201ELNS1_3gpuE5ELNS1_3repE0EEENS1_30default_config_static_selectorELNS0_4arch9wavefront6targetE0EEEvSY_,"axG",@progbits,_ZN7rocprim17ROCPRIM_400000_NS6detail17trampoline_kernelINS0_14default_configENS1_29binary_search_config_selectorIfiEEZNS1_14transform_implILb0ES3_S5_N6thrust23THRUST_200600_302600_NS6detail15normal_iteratorINS8_7pointerIfNS8_11hip_rocprim5par_tENS8_11use_defaultESE_EEEENSA_INSB_IiSD_SE_SE_EEEEZNS1_13binary_searchIS3_S5_NSA_INS8_10device_ptrIfEEEESG_SI_NS1_16binary_search_opENS9_16wrapped_functionINS8_6system6detail7generic6detail18binary_search_lessEbEEEE10hipError_tPvRmT1_T2_T3_mmT4_T5_P12ihipStream_tbEUlRKfE_EESV_SZ_S10_mS11_S14_bEUlT_E_NS1_11comp_targetILNS1_3genE10ELNS1_11target_archE1201ELNS1_3gpuE5ELNS1_3repE0EEENS1_30default_config_static_selectorELNS0_4arch9wavefront6targetE0EEEvSY_,comdat
	.protected	_ZN7rocprim17ROCPRIM_400000_NS6detail17trampoline_kernelINS0_14default_configENS1_29binary_search_config_selectorIfiEEZNS1_14transform_implILb0ES3_S5_N6thrust23THRUST_200600_302600_NS6detail15normal_iteratorINS8_7pointerIfNS8_11hip_rocprim5par_tENS8_11use_defaultESE_EEEENSA_INSB_IiSD_SE_SE_EEEEZNS1_13binary_searchIS3_S5_NSA_INS8_10device_ptrIfEEEESG_SI_NS1_16binary_search_opENS9_16wrapped_functionINS8_6system6detail7generic6detail18binary_search_lessEbEEEE10hipError_tPvRmT1_T2_T3_mmT4_T5_P12ihipStream_tbEUlRKfE_EESV_SZ_S10_mS11_S14_bEUlT_E_NS1_11comp_targetILNS1_3genE10ELNS1_11target_archE1201ELNS1_3gpuE5ELNS1_3repE0EEENS1_30default_config_static_selectorELNS0_4arch9wavefront6targetE0EEEvSY_ ; -- Begin function _ZN7rocprim17ROCPRIM_400000_NS6detail17trampoline_kernelINS0_14default_configENS1_29binary_search_config_selectorIfiEEZNS1_14transform_implILb0ES3_S5_N6thrust23THRUST_200600_302600_NS6detail15normal_iteratorINS8_7pointerIfNS8_11hip_rocprim5par_tENS8_11use_defaultESE_EEEENSA_INSB_IiSD_SE_SE_EEEEZNS1_13binary_searchIS3_S5_NSA_INS8_10device_ptrIfEEEESG_SI_NS1_16binary_search_opENS9_16wrapped_functionINS8_6system6detail7generic6detail18binary_search_lessEbEEEE10hipError_tPvRmT1_T2_T3_mmT4_T5_P12ihipStream_tbEUlRKfE_EESV_SZ_S10_mS11_S14_bEUlT_E_NS1_11comp_targetILNS1_3genE10ELNS1_11target_archE1201ELNS1_3gpuE5ELNS1_3repE0EEENS1_30default_config_static_selectorELNS0_4arch9wavefront6targetE0EEEvSY_
	.globl	_ZN7rocprim17ROCPRIM_400000_NS6detail17trampoline_kernelINS0_14default_configENS1_29binary_search_config_selectorIfiEEZNS1_14transform_implILb0ES3_S5_N6thrust23THRUST_200600_302600_NS6detail15normal_iteratorINS8_7pointerIfNS8_11hip_rocprim5par_tENS8_11use_defaultESE_EEEENSA_INSB_IiSD_SE_SE_EEEEZNS1_13binary_searchIS3_S5_NSA_INS8_10device_ptrIfEEEESG_SI_NS1_16binary_search_opENS9_16wrapped_functionINS8_6system6detail7generic6detail18binary_search_lessEbEEEE10hipError_tPvRmT1_T2_T3_mmT4_T5_P12ihipStream_tbEUlRKfE_EESV_SZ_S10_mS11_S14_bEUlT_E_NS1_11comp_targetILNS1_3genE10ELNS1_11target_archE1201ELNS1_3gpuE5ELNS1_3repE0EEENS1_30default_config_static_selectorELNS0_4arch9wavefront6targetE0EEEvSY_
	.p2align	8
	.type	_ZN7rocprim17ROCPRIM_400000_NS6detail17trampoline_kernelINS0_14default_configENS1_29binary_search_config_selectorIfiEEZNS1_14transform_implILb0ES3_S5_N6thrust23THRUST_200600_302600_NS6detail15normal_iteratorINS8_7pointerIfNS8_11hip_rocprim5par_tENS8_11use_defaultESE_EEEENSA_INSB_IiSD_SE_SE_EEEEZNS1_13binary_searchIS3_S5_NSA_INS8_10device_ptrIfEEEESG_SI_NS1_16binary_search_opENS9_16wrapped_functionINS8_6system6detail7generic6detail18binary_search_lessEbEEEE10hipError_tPvRmT1_T2_T3_mmT4_T5_P12ihipStream_tbEUlRKfE_EESV_SZ_S10_mS11_S14_bEUlT_E_NS1_11comp_targetILNS1_3genE10ELNS1_11target_archE1201ELNS1_3gpuE5ELNS1_3repE0EEENS1_30default_config_static_selectorELNS0_4arch9wavefront6targetE0EEEvSY_,@function
_ZN7rocprim17ROCPRIM_400000_NS6detail17trampoline_kernelINS0_14default_configENS1_29binary_search_config_selectorIfiEEZNS1_14transform_implILb0ES3_S5_N6thrust23THRUST_200600_302600_NS6detail15normal_iteratorINS8_7pointerIfNS8_11hip_rocprim5par_tENS8_11use_defaultESE_EEEENSA_INSB_IiSD_SE_SE_EEEEZNS1_13binary_searchIS3_S5_NSA_INS8_10device_ptrIfEEEESG_SI_NS1_16binary_search_opENS9_16wrapped_functionINS8_6system6detail7generic6detail18binary_search_lessEbEEEE10hipError_tPvRmT1_T2_T3_mmT4_T5_P12ihipStream_tbEUlRKfE_EESV_SZ_S10_mS11_S14_bEUlT_E_NS1_11comp_targetILNS1_3genE10ELNS1_11target_archE1201ELNS1_3gpuE5ELNS1_3repE0EEENS1_30default_config_static_selectorELNS0_4arch9wavefront6targetE0EEEvSY_: ; @_ZN7rocprim17ROCPRIM_400000_NS6detail17trampoline_kernelINS0_14default_configENS1_29binary_search_config_selectorIfiEEZNS1_14transform_implILb0ES3_S5_N6thrust23THRUST_200600_302600_NS6detail15normal_iteratorINS8_7pointerIfNS8_11hip_rocprim5par_tENS8_11use_defaultESE_EEEENSA_INSB_IiSD_SE_SE_EEEEZNS1_13binary_searchIS3_S5_NSA_INS8_10device_ptrIfEEEESG_SI_NS1_16binary_search_opENS9_16wrapped_functionINS8_6system6detail7generic6detail18binary_search_lessEbEEEE10hipError_tPvRmT1_T2_T3_mmT4_T5_P12ihipStream_tbEUlRKfE_EESV_SZ_S10_mS11_S14_bEUlT_E_NS1_11comp_targetILNS1_3genE10ELNS1_11target_archE1201ELNS1_3gpuE5ELNS1_3repE0EEENS1_30default_config_static_selectorELNS0_4arch9wavefront6targetE0EEEvSY_
; %bb.0:
	.section	.rodata,"a",@progbits
	.p2align	6, 0x0
	.amdhsa_kernel _ZN7rocprim17ROCPRIM_400000_NS6detail17trampoline_kernelINS0_14default_configENS1_29binary_search_config_selectorIfiEEZNS1_14transform_implILb0ES3_S5_N6thrust23THRUST_200600_302600_NS6detail15normal_iteratorINS8_7pointerIfNS8_11hip_rocprim5par_tENS8_11use_defaultESE_EEEENSA_INSB_IiSD_SE_SE_EEEEZNS1_13binary_searchIS3_S5_NSA_INS8_10device_ptrIfEEEESG_SI_NS1_16binary_search_opENS9_16wrapped_functionINS8_6system6detail7generic6detail18binary_search_lessEbEEEE10hipError_tPvRmT1_T2_T3_mmT4_T5_P12ihipStream_tbEUlRKfE_EESV_SZ_S10_mS11_S14_bEUlT_E_NS1_11comp_targetILNS1_3genE10ELNS1_11target_archE1201ELNS1_3gpuE5ELNS1_3repE0EEENS1_30default_config_static_selectorELNS0_4arch9wavefront6targetE0EEEvSY_
		.amdhsa_group_segment_fixed_size 0
		.amdhsa_private_segment_fixed_size 0
		.amdhsa_kernarg_size 56
		.amdhsa_user_sgpr_count 6
		.amdhsa_user_sgpr_private_segment_buffer 1
		.amdhsa_user_sgpr_dispatch_ptr 0
		.amdhsa_user_sgpr_queue_ptr 0
		.amdhsa_user_sgpr_kernarg_segment_ptr 1
		.amdhsa_user_sgpr_dispatch_id 0
		.amdhsa_user_sgpr_flat_scratch_init 0
		.amdhsa_user_sgpr_private_segment_size 0
		.amdhsa_wavefront_size32 1
		.amdhsa_uses_dynamic_stack 0
		.amdhsa_system_sgpr_private_segment_wavefront_offset 0
		.amdhsa_system_sgpr_workgroup_id_x 1
		.amdhsa_system_sgpr_workgroup_id_y 0
		.amdhsa_system_sgpr_workgroup_id_z 0
		.amdhsa_system_sgpr_workgroup_info 0
		.amdhsa_system_vgpr_workitem_id 0
		.amdhsa_next_free_vgpr 1
		.amdhsa_next_free_sgpr 1
		.amdhsa_reserve_vcc 0
		.amdhsa_reserve_flat_scratch 0
		.amdhsa_float_round_mode_32 0
		.amdhsa_float_round_mode_16_64 0
		.amdhsa_float_denorm_mode_32 3
		.amdhsa_float_denorm_mode_16_64 3
		.amdhsa_dx10_clamp 1
		.amdhsa_ieee_mode 1
		.amdhsa_fp16_overflow 0
		.amdhsa_workgroup_processor_mode 1
		.amdhsa_memory_ordered 1
		.amdhsa_forward_progress 1
		.amdhsa_shared_vgpr_count 0
		.amdhsa_exception_fp_ieee_invalid_op 0
		.amdhsa_exception_fp_denorm_src 0
		.amdhsa_exception_fp_ieee_div_zero 0
		.amdhsa_exception_fp_ieee_overflow 0
		.amdhsa_exception_fp_ieee_underflow 0
		.amdhsa_exception_fp_ieee_inexact 0
		.amdhsa_exception_int_div_zero 0
	.end_amdhsa_kernel
	.section	.text._ZN7rocprim17ROCPRIM_400000_NS6detail17trampoline_kernelINS0_14default_configENS1_29binary_search_config_selectorIfiEEZNS1_14transform_implILb0ES3_S5_N6thrust23THRUST_200600_302600_NS6detail15normal_iteratorINS8_7pointerIfNS8_11hip_rocprim5par_tENS8_11use_defaultESE_EEEENSA_INSB_IiSD_SE_SE_EEEEZNS1_13binary_searchIS3_S5_NSA_INS8_10device_ptrIfEEEESG_SI_NS1_16binary_search_opENS9_16wrapped_functionINS8_6system6detail7generic6detail18binary_search_lessEbEEEE10hipError_tPvRmT1_T2_T3_mmT4_T5_P12ihipStream_tbEUlRKfE_EESV_SZ_S10_mS11_S14_bEUlT_E_NS1_11comp_targetILNS1_3genE10ELNS1_11target_archE1201ELNS1_3gpuE5ELNS1_3repE0EEENS1_30default_config_static_selectorELNS0_4arch9wavefront6targetE0EEEvSY_,"axG",@progbits,_ZN7rocprim17ROCPRIM_400000_NS6detail17trampoline_kernelINS0_14default_configENS1_29binary_search_config_selectorIfiEEZNS1_14transform_implILb0ES3_S5_N6thrust23THRUST_200600_302600_NS6detail15normal_iteratorINS8_7pointerIfNS8_11hip_rocprim5par_tENS8_11use_defaultESE_EEEENSA_INSB_IiSD_SE_SE_EEEEZNS1_13binary_searchIS3_S5_NSA_INS8_10device_ptrIfEEEESG_SI_NS1_16binary_search_opENS9_16wrapped_functionINS8_6system6detail7generic6detail18binary_search_lessEbEEEE10hipError_tPvRmT1_T2_T3_mmT4_T5_P12ihipStream_tbEUlRKfE_EESV_SZ_S10_mS11_S14_bEUlT_E_NS1_11comp_targetILNS1_3genE10ELNS1_11target_archE1201ELNS1_3gpuE5ELNS1_3repE0EEENS1_30default_config_static_selectorELNS0_4arch9wavefront6targetE0EEEvSY_,comdat
.Lfunc_end658:
	.size	_ZN7rocprim17ROCPRIM_400000_NS6detail17trampoline_kernelINS0_14default_configENS1_29binary_search_config_selectorIfiEEZNS1_14transform_implILb0ES3_S5_N6thrust23THRUST_200600_302600_NS6detail15normal_iteratorINS8_7pointerIfNS8_11hip_rocprim5par_tENS8_11use_defaultESE_EEEENSA_INSB_IiSD_SE_SE_EEEEZNS1_13binary_searchIS3_S5_NSA_INS8_10device_ptrIfEEEESG_SI_NS1_16binary_search_opENS9_16wrapped_functionINS8_6system6detail7generic6detail18binary_search_lessEbEEEE10hipError_tPvRmT1_T2_T3_mmT4_T5_P12ihipStream_tbEUlRKfE_EESV_SZ_S10_mS11_S14_bEUlT_E_NS1_11comp_targetILNS1_3genE10ELNS1_11target_archE1201ELNS1_3gpuE5ELNS1_3repE0EEENS1_30default_config_static_selectorELNS0_4arch9wavefront6targetE0EEEvSY_, .Lfunc_end658-_ZN7rocprim17ROCPRIM_400000_NS6detail17trampoline_kernelINS0_14default_configENS1_29binary_search_config_selectorIfiEEZNS1_14transform_implILb0ES3_S5_N6thrust23THRUST_200600_302600_NS6detail15normal_iteratorINS8_7pointerIfNS8_11hip_rocprim5par_tENS8_11use_defaultESE_EEEENSA_INSB_IiSD_SE_SE_EEEEZNS1_13binary_searchIS3_S5_NSA_INS8_10device_ptrIfEEEESG_SI_NS1_16binary_search_opENS9_16wrapped_functionINS8_6system6detail7generic6detail18binary_search_lessEbEEEE10hipError_tPvRmT1_T2_T3_mmT4_T5_P12ihipStream_tbEUlRKfE_EESV_SZ_S10_mS11_S14_bEUlT_E_NS1_11comp_targetILNS1_3genE10ELNS1_11target_archE1201ELNS1_3gpuE5ELNS1_3repE0EEENS1_30default_config_static_selectorELNS0_4arch9wavefront6targetE0EEEvSY_
                                        ; -- End function
	.set _ZN7rocprim17ROCPRIM_400000_NS6detail17trampoline_kernelINS0_14default_configENS1_29binary_search_config_selectorIfiEEZNS1_14transform_implILb0ES3_S5_N6thrust23THRUST_200600_302600_NS6detail15normal_iteratorINS8_7pointerIfNS8_11hip_rocprim5par_tENS8_11use_defaultESE_EEEENSA_INSB_IiSD_SE_SE_EEEEZNS1_13binary_searchIS3_S5_NSA_INS8_10device_ptrIfEEEESG_SI_NS1_16binary_search_opENS9_16wrapped_functionINS8_6system6detail7generic6detail18binary_search_lessEbEEEE10hipError_tPvRmT1_T2_T3_mmT4_T5_P12ihipStream_tbEUlRKfE_EESV_SZ_S10_mS11_S14_bEUlT_E_NS1_11comp_targetILNS1_3genE10ELNS1_11target_archE1201ELNS1_3gpuE5ELNS1_3repE0EEENS1_30default_config_static_selectorELNS0_4arch9wavefront6targetE0EEEvSY_.num_vgpr, 0
	.set _ZN7rocprim17ROCPRIM_400000_NS6detail17trampoline_kernelINS0_14default_configENS1_29binary_search_config_selectorIfiEEZNS1_14transform_implILb0ES3_S5_N6thrust23THRUST_200600_302600_NS6detail15normal_iteratorINS8_7pointerIfNS8_11hip_rocprim5par_tENS8_11use_defaultESE_EEEENSA_INSB_IiSD_SE_SE_EEEEZNS1_13binary_searchIS3_S5_NSA_INS8_10device_ptrIfEEEESG_SI_NS1_16binary_search_opENS9_16wrapped_functionINS8_6system6detail7generic6detail18binary_search_lessEbEEEE10hipError_tPvRmT1_T2_T3_mmT4_T5_P12ihipStream_tbEUlRKfE_EESV_SZ_S10_mS11_S14_bEUlT_E_NS1_11comp_targetILNS1_3genE10ELNS1_11target_archE1201ELNS1_3gpuE5ELNS1_3repE0EEENS1_30default_config_static_selectorELNS0_4arch9wavefront6targetE0EEEvSY_.num_agpr, 0
	.set _ZN7rocprim17ROCPRIM_400000_NS6detail17trampoline_kernelINS0_14default_configENS1_29binary_search_config_selectorIfiEEZNS1_14transform_implILb0ES3_S5_N6thrust23THRUST_200600_302600_NS6detail15normal_iteratorINS8_7pointerIfNS8_11hip_rocprim5par_tENS8_11use_defaultESE_EEEENSA_INSB_IiSD_SE_SE_EEEEZNS1_13binary_searchIS3_S5_NSA_INS8_10device_ptrIfEEEESG_SI_NS1_16binary_search_opENS9_16wrapped_functionINS8_6system6detail7generic6detail18binary_search_lessEbEEEE10hipError_tPvRmT1_T2_T3_mmT4_T5_P12ihipStream_tbEUlRKfE_EESV_SZ_S10_mS11_S14_bEUlT_E_NS1_11comp_targetILNS1_3genE10ELNS1_11target_archE1201ELNS1_3gpuE5ELNS1_3repE0EEENS1_30default_config_static_selectorELNS0_4arch9wavefront6targetE0EEEvSY_.numbered_sgpr, 0
	.set _ZN7rocprim17ROCPRIM_400000_NS6detail17trampoline_kernelINS0_14default_configENS1_29binary_search_config_selectorIfiEEZNS1_14transform_implILb0ES3_S5_N6thrust23THRUST_200600_302600_NS6detail15normal_iteratorINS8_7pointerIfNS8_11hip_rocprim5par_tENS8_11use_defaultESE_EEEENSA_INSB_IiSD_SE_SE_EEEEZNS1_13binary_searchIS3_S5_NSA_INS8_10device_ptrIfEEEESG_SI_NS1_16binary_search_opENS9_16wrapped_functionINS8_6system6detail7generic6detail18binary_search_lessEbEEEE10hipError_tPvRmT1_T2_T3_mmT4_T5_P12ihipStream_tbEUlRKfE_EESV_SZ_S10_mS11_S14_bEUlT_E_NS1_11comp_targetILNS1_3genE10ELNS1_11target_archE1201ELNS1_3gpuE5ELNS1_3repE0EEENS1_30default_config_static_selectorELNS0_4arch9wavefront6targetE0EEEvSY_.num_named_barrier, 0
	.set _ZN7rocprim17ROCPRIM_400000_NS6detail17trampoline_kernelINS0_14default_configENS1_29binary_search_config_selectorIfiEEZNS1_14transform_implILb0ES3_S5_N6thrust23THRUST_200600_302600_NS6detail15normal_iteratorINS8_7pointerIfNS8_11hip_rocprim5par_tENS8_11use_defaultESE_EEEENSA_INSB_IiSD_SE_SE_EEEEZNS1_13binary_searchIS3_S5_NSA_INS8_10device_ptrIfEEEESG_SI_NS1_16binary_search_opENS9_16wrapped_functionINS8_6system6detail7generic6detail18binary_search_lessEbEEEE10hipError_tPvRmT1_T2_T3_mmT4_T5_P12ihipStream_tbEUlRKfE_EESV_SZ_S10_mS11_S14_bEUlT_E_NS1_11comp_targetILNS1_3genE10ELNS1_11target_archE1201ELNS1_3gpuE5ELNS1_3repE0EEENS1_30default_config_static_selectorELNS0_4arch9wavefront6targetE0EEEvSY_.private_seg_size, 0
	.set _ZN7rocprim17ROCPRIM_400000_NS6detail17trampoline_kernelINS0_14default_configENS1_29binary_search_config_selectorIfiEEZNS1_14transform_implILb0ES3_S5_N6thrust23THRUST_200600_302600_NS6detail15normal_iteratorINS8_7pointerIfNS8_11hip_rocprim5par_tENS8_11use_defaultESE_EEEENSA_INSB_IiSD_SE_SE_EEEEZNS1_13binary_searchIS3_S5_NSA_INS8_10device_ptrIfEEEESG_SI_NS1_16binary_search_opENS9_16wrapped_functionINS8_6system6detail7generic6detail18binary_search_lessEbEEEE10hipError_tPvRmT1_T2_T3_mmT4_T5_P12ihipStream_tbEUlRKfE_EESV_SZ_S10_mS11_S14_bEUlT_E_NS1_11comp_targetILNS1_3genE10ELNS1_11target_archE1201ELNS1_3gpuE5ELNS1_3repE0EEENS1_30default_config_static_selectorELNS0_4arch9wavefront6targetE0EEEvSY_.uses_vcc, 0
	.set _ZN7rocprim17ROCPRIM_400000_NS6detail17trampoline_kernelINS0_14default_configENS1_29binary_search_config_selectorIfiEEZNS1_14transform_implILb0ES3_S5_N6thrust23THRUST_200600_302600_NS6detail15normal_iteratorINS8_7pointerIfNS8_11hip_rocprim5par_tENS8_11use_defaultESE_EEEENSA_INSB_IiSD_SE_SE_EEEEZNS1_13binary_searchIS3_S5_NSA_INS8_10device_ptrIfEEEESG_SI_NS1_16binary_search_opENS9_16wrapped_functionINS8_6system6detail7generic6detail18binary_search_lessEbEEEE10hipError_tPvRmT1_T2_T3_mmT4_T5_P12ihipStream_tbEUlRKfE_EESV_SZ_S10_mS11_S14_bEUlT_E_NS1_11comp_targetILNS1_3genE10ELNS1_11target_archE1201ELNS1_3gpuE5ELNS1_3repE0EEENS1_30default_config_static_selectorELNS0_4arch9wavefront6targetE0EEEvSY_.uses_flat_scratch, 0
	.set _ZN7rocprim17ROCPRIM_400000_NS6detail17trampoline_kernelINS0_14default_configENS1_29binary_search_config_selectorIfiEEZNS1_14transform_implILb0ES3_S5_N6thrust23THRUST_200600_302600_NS6detail15normal_iteratorINS8_7pointerIfNS8_11hip_rocprim5par_tENS8_11use_defaultESE_EEEENSA_INSB_IiSD_SE_SE_EEEEZNS1_13binary_searchIS3_S5_NSA_INS8_10device_ptrIfEEEESG_SI_NS1_16binary_search_opENS9_16wrapped_functionINS8_6system6detail7generic6detail18binary_search_lessEbEEEE10hipError_tPvRmT1_T2_T3_mmT4_T5_P12ihipStream_tbEUlRKfE_EESV_SZ_S10_mS11_S14_bEUlT_E_NS1_11comp_targetILNS1_3genE10ELNS1_11target_archE1201ELNS1_3gpuE5ELNS1_3repE0EEENS1_30default_config_static_selectorELNS0_4arch9wavefront6targetE0EEEvSY_.has_dyn_sized_stack, 0
	.set _ZN7rocprim17ROCPRIM_400000_NS6detail17trampoline_kernelINS0_14default_configENS1_29binary_search_config_selectorIfiEEZNS1_14transform_implILb0ES3_S5_N6thrust23THRUST_200600_302600_NS6detail15normal_iteratorINS8_7pointerIfNS8_11hip_rocprim5par_tENS8_11use_defaultESE_EEEENSA_INSB_IiSD_SE_SE_EEEEZNS1_13binary_searchIS3_S5_NSA_INS8_10device_ptrIfEEEESG_SI_NS1_16binary_search_opENS9_16wrapped_functionINS8_6system6detail7generic6detail18binary_search_lessEbEEEE10hipError_tPvRmT1_T2_T3_mmT4_T5_P12ihipStream_tbEUlRKfE_EESV_SZ_S10_mS11_S14_bEUlT_E_NS1_11comp_targetILNS1_3genE10ELNS1_11target_archE1201ELNS1_3gpuE5ELNS1_3repE0EEENS1_30default_config_static_selectorELNS0_4arch9wavefront6targetE0EEEvSY_.has_recursion, 0
	.set _ZN7rocprim17ROCPRIM_400000_NS6detail17trampoline_kernelINS0_14default_configENS1_29binary_search_config_selectorIfiEEZNS1_14transform_implILb0ES3_S5_N6thrust23THRUST_200600_302600_NS6detail15normal_iteratorINS8_7pointerIfNS8_11hip_rocprim5par_tENS8_11use_defaultESE_EEEENSA_INSB_IiSD_SE_SE_EEEEZNS1_13binary_searchIS3_S5_NSA_INS8_10device_ptrIfEEEESG_SI_NS1_16binary_search_opENS9_16wrapped_functionINS8_6system6detail7generic6detail18binary_search_lessEbEEEE10hipError_tPvRmT1_T2_T3_mmT4_T5_P12ihipStream_tbEUlRKfE_EESV_SZ_S10_mS11_S14_bEUlT_E_NS1_11comp_targetILNS1_3genE10ELNS1_11target_archE1201ELNS1_3gpuE5ELNS1_3repE0EEENS1_30default_config_static_selectorELNS0_4arch9wavefront6targetE0EEEvSY_.has_indirect_call, 0
	.section	.AMDGPU.csdata,"",@progbits
; Kernel info:
; codeLenInByte = 0
; TotalNumSgprs: 0
; NumVgprs: 0
; ScratchSize: 0
; MemoryBound: 0
; FloatMode: 240
; IeeeMode: 1
; LDSByteSize: 0 bytes/workgroup (compile time only)
; SGPRBlocks: 0
; VGPRBlocks: 0
; NumSGPRsForWavesPerEU: 1
; NumVGPRsForWavesPerEU: 1
; Occupancy: 16
; WaveLimiterHint : 0
; COMPUTE_PGM_RSRC2:SCRATCH_EN: 0
; COMPUTE_PGM_RSRC2:USER_SGPR: 6
; COMPUTE_PGM_RSRC2:TRAP_HANDLER: 0
; COMPUTE_PGM_RSRC2:TGID_X_EN: 1
; COMPUTE_PGM_RSRC2:TGID_Y_EN: 0
; COMPUTE_PGM_RSRC2:TGID_Z_EN: 0
; COMPUTE_PGM_RSRC2:TIDIG_COMP_CNT: 0
	.section	.text._ZN7rocprim17ROCPRIM_400000_NS6detail17trampoline_kernelINS0_14default_configENS1_29binary_search_config_selectorIfiEEZNS1_14transform_implILb0ES3_S5_N6thrust23THRUST_200600_302600_NS6detail15normal_iteratorINS8_7pointerIfNS8_11hip_rocprim5par_tENS8_11use_defaultESE_EEEENSA_INSB_IiSD_SE_SE_EEEEZNS1_13binary_searchIS3_S5_NSA_INS8_10device_ptrIfEEEESG_SI_NS1_16binary_search_opENS9_16wrapped_functionINS8_6system6detail7generic6detail18binary_search_lessEbEEEE10hipError_tPvRmT1_T2_T3_mmT4_T5_P12ihipStream_tbEUlRKfE_EESV_SZ_S10_mS11_S14_bEUlT_E_NS1_11comp_targetILNS1_3genE10ELNS1_11target_archE1200ELNS1_3gpuE4ELNS1_3repE0EEENS1_30default_config_static_selectorELNS0_4arch9wavefront6targetE0EEEvSY_,"axG",@progbits,_ZN7rocprim17ROCPRIM_400000_NS6detail17trampoline_kernelINS0_14default_configENS1_29binary_search_config_selectorIfiEEZNS1_14transform_implILb0ES3_S5_N6thrust23THRUST_200600_302600_NS6detail15normal_iteratorINS8_7pointerIfNS8_11hip_rocprim5par_tENS8_11use_defaultESE_EEEENSA_INSB_IiSD_SE_SE_EEEEZNS1_13binary_searchIS3_S5_NSA_INS8_10device_ptrIfEEEESG_SI_NS1_16binary_search_opENS9_16wrapped_functionINS8_6system6detail7generic6detail18binary_search_lessEbEEEE10hipError_tPvRmT1_T2_T3_mmT4_T5_P12ihipStream_tbEUlRKfE_EESV_SZ_S10_mS11_S14_bEUlT_E_NS1_11comp_targetILNS1_3genE10ELNS1_11target_archE1200ELNS1_3gpuE4ELNS1_3repE0EEENS1_30default_config_static_selectorELNS0_4arch9wavefront6targetE0EEEvSY_,comdat
	.protected	_ZN7rocprim17ROCPRIM_400000_NS6detail17trampoline_kernelINS0_14default_configENS1_29binary_search_config_selectorIfiEEZNS1_14transform_implILb0ES3_S5_N6thrust23THRUST_200600_302600_NS6detail15normal_iteratorINS8_7pointerIfNS8_11hip_rocprim5par_tENS8_11use_defaultESE_EEEENSA_INSB_IiSD_SE_SE_EEEEZNS1_13binary_searchIS3_S5_NSA_INS8_10device_ptrIfEEEESG_SI_NS1_16binary_search_opENS9_16wrapped_functionINS8_6system6detail7generic6detail18binary_search_lessEbEEEE10hipError_tPvRmT1_T2_T3_mmT4_T5_P12ihipStream_tbEUlRKfE_EESV_SZ_S10_mS11_S14_bEUlT_E_NS1_11comp_targetILNS1_3genE10ELNS1_11target_archE1200ELNS1_3gpuE4ELNS1_3repE0EEENS1_30default_config_static_selectorELNS0_4arch9wavefront6targetE0EEEvSY_ ; -- Begin function _ZN7rocprim17ROCPRIM_400000_NS6detail17trampoline_kernelINS0_14default_configENS1_29binary_search_config_selectorIfiEEZNS1_14transform_implILb0ES3_S5_N6thrust23THRUST_200600_302600_NS6detail15normal_iteratorINS8_7pointerIfNS8_11hip_rocprim5par_tENS8_11use_defaultESE_EEEENSA_INSB_IiSD_SE_SE_EEEEZNS1_13binary_searchIS3_S5_NSA_INS8_10device_ptrIfEEEESG_SI_NS1_16binary_search_opENS9_16wrapped_functionINS8_6system6detail7generic6detail18binary_search_lessEbEEEE10hipError_tPvRmT1_T2_T3_mmT4_T5_P12ihipStream_tbEUlRKfE_EESV_SZ_S10_mS11_S14_bEUlT_E_NS1_11comp_targetILNS1_3genE10ELNS1_11target_archE1200ELNS1_3gpuE4ELNS1_3repE0EEENS1_30default_config_static_selectorELNS0_4arch9wavefront6targetE0EEEvSY_
	.globl	_ZN7rocprim17ROCPRIM_400000_NS6detail17trampoline_kernelINS0_14default_configENS1_29binary_search_config_selectorIfiEEZNS1_14transform_implILb0ES3_S5_N6thrust23THRUST_200600_302600_NS6detail15normal_iteratorINS8_7pointerIfNS8_11hip_rocprim5par_tENS8_11use_defaultESE_EEEENSA_INSB_IiSD_SE_SE_EEEEZNS1_13binary_searchIS3_S5_NSA_INS8_10device_ptrIfEEEESG_SI_NS1_16binary_search_opENS9_16wrapped_functionINS8_6system6detail7generic6detail18binary_search_lessEbEEEE10hipError_tPvRmT1_T2_T3_mmT4_T5_P12ihipStream_tbEUlRKfE_EESV_SZ_S10_mS11_S14_bEUlT_E_NS1_11comp_targetILNS1_3genE10ELNS1_11target_archE1200ELNS1_3gpuE4ELNS1_3repE0EEENS1_30default_config_static_selectorELNS0_4arch9wavefront6targetE0EEEvSY_
	.p2align	8
	.type	_ZN7rocprim17ROCPRIM_400000_NS6detail17trampoline_kernelINS0_14default_configENS1_29binary_search_config_selectorIfiEEZNS1_14transform_implILb0ES3_S5_N6thrust23THRUST_200600_302600_NS6detail15normal_iteratorINS8_7pointerIfNS8_11hip_rocprim5par_tENS8_11use_defaultESE_EEEENSA_INSB_IiSD_SE_SE_EEEEZNS1_13binary_searchIS3_S5_NSA_INS8_10device_ptrIfEEEESG_SI_NS1_16binary_search_opENS9_16wrapped_functionINS8_6system6detail7generic6detail18binary_search_lessEbEEEE10hipError_tPvRmT1_T2_T3_mmT4_T5_P12ihipStream_tbEUlRKfE_EESV_SZ_S10_mS11_S14_bEUlT_E_NS1_11comp_targetILNS1_3genE10ELNS1_11target_archE1200ELNS1_3gpuE4ELNS1_3repE0EEENS1_30default_config_static_selectorELNS0_4arch9wavefront6targetE0EEEvSY_,@function
_ZN7rocprim17ROCPRIM_400000_NS6detail17trampoline_kernelINS0_14default_configENS1_29binary_search_config_selectorIfiEEZNS1_14transform_implILb0ES3_S5_N6thrust23THRUST_200600_302600_NS6detail15normal_iteratorINS8_7pointerIfNS8_11hip_rocprim5par_tENS8_11use_defaultESE_EEEENSA_INSB_IiSD_SE_SE_EEEEZNS1_13binary_searchIS3_S5_NSA_INS8_10device_ptrIfEEEESG_SI_NS1_16binary_search_opENS9_16wrapped_functionINS8_6system6detail7generic6detail18binary_search_lessEbEEEE10hipError_tPvRmT1_T2_T3_mmT4_T5_P12ihipStream_tbEUlRKfE_EESV_SZ_S10_mS11_S14_bEUlT_E_NS1_11comp_targetILNS1_3genE10ELNS1_11target_archE1200ELNS1_3gpuE4ELNS1_3repE0EEENS1_30default_config_static_selectorELNS0_4arch9wavefront6targetE0EEEvSY_: ; @_ZN7rocprim17ROCPRIM_400000_NS6detail17trampoline_kernelINS0_14default_configENS1_29binary_search_config_selectorIfiEEZNS1_14transform_implILb0ES3_S5_N6thrust23THRUST_200600_302600_NS6detail15normal_iteratorINS8_7pointerIfNS8_11hip_rocprim5par_tENS8_11use_defaultESE_EEEENSA_INSB_IiSD_SE_SE_EEEEZNS1_13binary_searchIS3_S5_NSA_INS8_10device_ptrIfEEEESG_SI_NS1_16binary_search_opENS9_16wrapped_functionINS8_6system6detail7generic6detail18binary_search_lessEbEEEE10hipError_tPvRmT1_T2_T3_mmT4_T5_P12ihipStream_tbEUlRKfE_EESV_SZ_S10_mS11_S14_bEUlT_E_NS1_11comp_targetILNS1_3genE10ELNS1_11target_archE1200ELNS1_3gpuE4ELNS1_3repE0EEENS1_30default_config_static_selectorELNS0_4arch9wavefront6targetE0EEEvSY_
; %bb.0:
	.section	.rodata,"a",@progbits
	.p2align	6, 0x0
	.amdhsa_kernel _ZN7rocprim17ROCPRIM_400000_NS6detail17trampoline_kernelINS0_14default_configENS1_29binary_search_config_selectorIfiEEZNS1_14transform_implILb0ES3_S5_N6thrust23THRUST_200600_302600_NS6detail15normal_iteratorINS8_7pointerIfNS8_11hip_rocprim5par_tENS8_11use_defaultESE_EEEENSA_INSB_IiSD_SE_SE_EEEEZNS1_13binary_searchIS3_S5_NSA_INS8_10device_ptrIfEEEESG_SI_NS1_16binary_search_opENS9_16wrapped_functionINS8_6system6detail7generic6detail18binary_search_lessEbEEEE10hipError_tPvRmT1_T2_T3_mmT4_T5_P12ihipStream_tbEUlRKfE_EESV_SZ_S10_mS11_S14_bEUlT_E_NS1_11comp_targetILNS1_3genE10ELNS1_11target_archE1200ELNS1_3gpuE4ELNS1_3repE0EEENS1_30default_config_static_selectorELNS0_4arch9wavefront6targetE0EEEvSY_
		.amdhsa_group_segment_fixed_size 0
		.amdhsa_private_segment_fixed_size 0
		.amdhsa_kernarg_size 56
		.amdhsa_user_sgpr_count 6
		.amdhsa_user_sgpr_private_segment_buffer 1
		.amdhsa_user_sgpr_dispatch_ptr 0
		.amdhsa_user_sgpr_queue_ptr 0
		.amdhsa_user_sgpr_kernarg_segment_ptr 1
		.amdhsa_user_sgpr_dispatch_id 0
		.amdhsa_user_sgpr_flat_scratch_init 0
		.amdhsa_user_sgpr_private_segment_size 0
		.amdhsa_wavefront_size32 1
		.amdhsa_uses_dynamic_stack 0
		.amdhsa_system_sgpr_private_segment_wavefront_offset 0
		.amdhsa_system_sgpr_workgroup_id_x 1
		.amdhsa_system_sgpr_workgroup_id_y 0
		.amdhsa_system_sgpr_workgroup_id_z 0
		.amdhsa_system_sgpr_workgroup_info 0
		.amdhsa_system_vgpr_workitem_id 0
		.amdhsa_next_free_vgpr 1
		.amdhsa_next_free_sgpr 1
		.amdhsa_reserve_vcc 0
		.amdhsa_reserve_flat_scratch 0
		.amdhsa_float_round_mode_32 0
		.amdhsa_float_round_mode_16_64 0
		.amdhsa_float_denorm_mode_32 3
		.amdhsa_float_denorm_mode_16_64 3
		.amdhsa_dx10_clamp 1
		.amdhsa_ieee_mode 1
		.amdhsa_fp16_overflow 0
		.amdhsa_workgroup_processor_mode 1
		.amdhsa_memory_ordered 1
		.amdhsa_forward_progress 1
		.amdhsa_shared_vgpr_count 0
		.amdhsa_exception_fp_ieee_invalid_op 0
		.amdhsa_exception_fp_denorm_src 0
		.amdhsa_exception_fp_ieee_div_zero 0
		.amdhsa_exception_fp_ieee_overflow 0
		.amdhsa_exception_fp_ieee_underflow 0
		.amdhsa_exception_fp_ieee_inexact 0
		.amdhsa_exception_int_div_zero 0
	.end_amdhsa_kernel
	.section	.text._ZN7rocprim17ROCPRIM_400000_NS6detail17trampoline_kernelINS0_14default_configENS1_29binary_search_config_selectorIfiEEZNS1_14transform_implILb0ES3_S5_N6thrust23THRUST_200600_302600_NS6detail15normal_iteratorINS8_7pointerIfNS8_11hip_rocprim5par_tENS8_11use_defaultESE_EEEENSA_INSB_IiSD_SE_SE_EEEEZNS1_13binary_searchIS3_S5_NSA_INS8_10device_ptrIfEEEESG_SI_NS1_16binary_search_opENS9_16wrapped_functionINS8_6system6detail7generic6detail18binary_search_lessEbEEEE10hipError_tPvRmT1_T2_T3_mmT4_T5_P12ihipStream_tbEUlRKfE_EESV_SZ_S10_mS11_S14_bEUlT_E_NS1_11comp_targetILNS1_3genE10ELNS1_11target_archE1200ELNS1_3gpuE4ELNS1_3repE0EEENS1_30default_config_static_selectorELNS0_4arch9wavefront6targetE0EEEvSY_,"axG",@progbits,_ZN7rocprim17ROCPRIM_400000_NS6detail17trampoline_kernelINS0_14default_configENS1_29binary_search_config_selectorIfiEEZNS1_14transform_implILb0ES3_S5_N6thrust23THRUST_200600_302600_NS6detail15normal_iteratorINS8_7pointerIfNS8_11hip_rocprim5par_tENS8_11use_defaultESE_EEEENSA_INSB_IiSD_SE_SE_EEEEZNS1_13binary_searchIS3_S5_NSA_INS8_10device_ptrIfEEEESG_SI_NS1_16binary_search_opENS9_16wrapped_functionINS8_6system6detail7generic6detail18binary_search_lessEbEEEE10hipError_tPvRmT1_T2_T3_mmT4_T5_P12ihipStream_tbEUlRKfE_EESV_SZ_S10_mS11_S14_bEUlT_E_NS1_11comp_targetILNS1_3genE10ELNS1_11target_archE1200ELNS1_3gpuE4ELNS1_3repE0EEENS1_30default_config_static_selectorELNS0_4arch9wavefront6targetE0EEEvSY_,comdat
.Lfunc_end659:
	.size	_ZN7rocprim17ROCPRIM_400000_NS6detail17trampoline_kernelINS0_14default_configENS1_29binary_search_config_selectorIfiEEZNS1_14transform_implILb0ES3_S5_N6thrust23THRUST_200600_302600_NS6detail15normal_iteratorINS8_7pointerIfNS8_11hip_rocprim5par_tENS8_11use_defaultESE_EEEENSA_INSB_IiSD_SE_SE_EEEEZNS1_13binary_searchIS3_S5_NSA_INS8_10device_ptrIfEEEESG_SI_NS1_16binary_search_opENS9_16wrapped_functionINS8_6system6detail7generic6detail18binary_search_lessEbEEEE10hipError_tPvRmT1_T2_T3_mmT4_T5_P12ihipStream_tbEUlRKfE_EESV_SZ_S10_mS11_S14_bEUlT_E_NS1_11comp_targetILNS1_3genE10ELNS1_11target_archE1200ELNS1_3gpuE4ELNS1_3repE0EEENS1_30default_config_static_selectorELNS0_4arch9wavefront6targetE0EEEvSY_, .Lfunc_end659-_ZN7rocprim17ROCPRIM_400000_NS6detail17trampoline_kernelINS0_14default_configENS1_29binary_search_config_selectorIfiEEZNS1_14transform_implILb0ES3_S5_N6thrust23THRUST_200600_302600_NS6detail15normal_iteratorINS8_7pointerIfNS8_11hip_rocprim5par_tENS8_11use_defaultESE_EEEENSA_INSB_IiSD_SE_SE_EEEEZNS1_13binary_searchIS3_S5_NSA_INS8_10device_ptrIfEEEESG_SI_NS1_16binary_search_opENS9_16wrapped_functionINS8_6system6detail7generic6detail18binary_search_lessEbEEEE10hipError_tPvRmT1_T2_T3_mmT4_T5_P12ihipStream_tbEUlRKfE_EESV_SZ_S10_mS11_S14_bEUlT_E_NS1_11comp_targetILNS1_3genE10ELNS1_11target_archE1200ELNS1_3gpuE4ELNS1_3repE0EEENS1_30default_config_static_selectorELNS0_4arch9wavefront6targetE0EEEvSY_
                                        ; -- End function
	.set _ZN7rocprim17ROCPRIM_400000_NS6detail17trampoline_kernelINS0_14default_configENS1_29binary_search_config_selectorIfiEEZNS1_14transform_implILb0ES3_S5_N6thrust23THRUST_200600_302600_NS6detail15normal_iteratorINS8_7pointerIfNS8_11hip_rocprim5par_tENS8_11use_defaultESE_EEEENSA_INSB_IiSD_SE_SE_EEEEZNS1_13binary_searchIS3_S5_NSA_INS8_10device_ptrIfEEEESG_SI_NS1_16binary_search_opENS9_16wrapped_functionINS8_6system6detail7generic6detail18binary_search_lessEbEEEE10hipError_tPvRmT1_T2_T3_mmT4_T5_P12ihipStream_tbEUlRKfE_EESV_SZ_S10_mS11_S14_bEUlT_E_NS1_11comp_targetILNS1_3genE10ELNS1_11target_archE1200ELNS1_3gpuE4ELNS1_3repE0EEENS1_30default_config_static_selectorELNS0_4arch9wavefront6targetE0EEEvSY_.num_vgpr, 0
	.set _ZN7rocprim17ROCPRIM_400000_NS6detail17trampoline_kernelINS0_14default_configENS1_29binary_search_config_selectorIfiEEZNS1_14transform_implILb0ES3_S5_N6thrust23THRUST_200600_302600_NS6detail15normal_iteratorINS8_7pointerIfNS8_11hip_rocprim5par_tENS8_11use_defaultESE_EEEENSA_INSB_IiSD_SE_SE_EEEEZNS1_13binary_searchIS3_S5_NSA_INS8_10device_ptrIfEEEESG_SI_NS1_16binary_search_opENS9_16wrapped_functionINS8_6system6detail7generic6detail18binary_search_lessEbEEEE10hipError_tPvRmT1_T2_T3_mmT4_T5_P12ihipStream_tbEUlRKfE_EESV_SZ_S10_mS11_S14_bEUlT_E_NS1_11comp_targetILNS1_3genE10ELNS1_11target_archE1200ELNS1_3gpuE4ELNS1_3repE0EEENS1_30default_config_static_selectorELNS0_4arch9wavefront6targetE0EEEvSY_.num_agpr, 0
	.set _ZN7rocprim17ROCPRIM_400000_NS6detail17trampoline_kernelINS0_14default_configENS1_29binary_search_config_selectorIfiEEZNS1_14transform_implILb0ES3_S5_N6thrust23THRUST_200600_302600_NS6detail15normal_iteratorINS8_7pointerIfNS8_11hip_rocprim5par_tENS8_11use_defaultESE_EEEENSA_INSB_IiSD_SE_SE_EEEEZNS1_13binary_searchIS3_S5_NSA_INS8_10device_ptrIfEEEESG_SI_NS1_16binary_search_opENS9_16wrapped_functionINS8_6system6detail7generic6detail18binary_search_lessEbEEEE10hipError_tPvRmT1_T2_T3_mmT4_T5_P12ihipStream_tbEUlRKfE_EESV_SZ_S10_mS11_S14_bEUlT_E_NS1_11comp_targetILNS1_3genE10ELNS1_11target_archE1200ELNS1_3gpuE4ELNS1_3repE0EEENS1_30default_config_static_selectorELNS0_4arch9wavefront6targetE0EEEvSY_.numbered_sgpr, 0
	.set _ZN7rocprim17ROCPRIM_400000_NS6detail17trampoline_kernelINS0_14default_configENS1_29binary_search_config_selectorIfiEEZNS1_14transform_implILb0ES3_S5_N6thrust23THRUST_200600_302600_NS6detail15normal_iteratorINS8_7pointerIfNS8_11hip_rocprim5par_tENS8_11use_defaultESE_EEEENSA_INSB_IiSD_SE_SE_EEEEZNS1_13binary_searchIS3_S5_NSA_INS8_10device_ptrIfEEEESG_SI_NS1_16binary_search_opENS9_16wrapped_functionINS8_6system6detail7generic6detail18binary_search_lessEbEEEE10hipError_tPvRmT1_T2_T3_mmT4_T5_P12ihipStream_tbEUlRKfE_EESV_SZ_S10_mS11_S14_bEUlT_E_NS1_11comp_targetILNS1_3genE10ELNS1_11target_archE1200ELNS1_3gpuE4ELNS1_3repE0EEENS1_30default_config_static_selectorELNS0_4arch9wavefront6targetE0EEEvSY_.num_named_barrier, 0
	.set _ZN7rocprim17ROCPRIM_400000_NS6detail17trampoline_kernelINS0_14default_configENS1_29binary_search_config_selectorIfiEEZNS1_14transform_implILb0ES3_S5_N6thrust23THRUST_200600_302600_NS6detail15normal_iteratorINS8_7pointerIfNS8_11hip_rocprim5par_tENS8_11use_defaultESE_EEEENSA_INSB_IiSD_SE_SE_EEEEZNS1_13binary_searchIS3_S5_NSA_INS8_10device_ptrIfEEEESG_SI_NS1_16binary_search_opENS9_16wrapped_functionINS8_6system6detail7generic6detail18binary_search_lessEbEEEE10hipError_tPvRmT1_T2_T3_mmT4_T5_P12ihipStream_tbEUlRKfE_EESV_SZ_S10_mS11_S14_bEUlT_E_NS1_11comp_targetILNS1_3genE10ELNS1_11target_archE1200ELNS1_3gpuE4ELNS1_3repE0EEENS1_30default_config_static_selectorELNS0_4arch9wavefront6targetE0EEEvSY_.private_seg_size, 0
	.set _ZN7rocprim17ROCPRIM_400000_NS6detail17trampoline_kernelINS0_14default_configENS1_29binary_search_config_selectorIfiEEZNS1_14transform_implILb0ES3_S5_N6thrust23THRUST_200600_302600_NS6detail15normal_iteratorINS8_7pointerIfNS8_11hip_rocprim5par_tENS8_11use_defaultESE_EEEENSA_INSB_IiSD_SE_SE_EEEEZNS1_13binary_searchIS3_S5_NSA_INS8_10device_ptrIfEEEESG_SI_NS1_16binary_search_opENS9_16wrapped_functionINS8_6system6detail7generic6detail18binary_search_lessEbEEEE10hipError_tPvRmT1_T2_T3_mmT4_T5_P12ihipStream_tbEUlRKfE_EESV_SZ_S10_mS11_S14_bEUlT_E_NS1_11comp_targetILNS1_3genE10ELNS1_11target_archE1200ELNS1_3gpuE4ELNS1_3repE0EEENS1_30default_config_static_selectorELNS0_4arch9wavefront6targetE0EEEvSY_.uses_vcc, 0
	.set _ZN7rocprim17ROCPRIM_400000_NS6detail17trampoline_kernelINS0_14default_configENS1_29binary_search_config_selectorIfiEEZNS1_14transform_implILb0ES3_S5_N6thrust23THRUST_200600_302600_NS6detail15normal_iteratorINS8_7pointerIfNS8_11hip_rocprim5par_tENS8_11use_defaultESE_EEEENSA_INSB_IiSD_SE_SE_EEEEZNS1_13binary_searchIS3_S5_NSA_INS8_10device_ptrIfEEEESG_SI_NS1_16binary_search_opENS9_16wrapped_functionINS8_6system6detail7generic6detail18binary_search_lessEbEEEE10hipError_tPvRmT1_T2_T3_mmT4_T5_P12ihipStream_tbEUlRKfE_EESV_SZ_S10_mS11_S14_bEUlT_E_NS1_11comp_targetILNS1_3genE10ELNS1_11target_archE1200ELNS1_3gpuE4ELNS1_3repE0EEENS1_30default_config_static_selectorELNS0_4arch9wavefront6targetE0EEEvSY_.uses_flat_scratch, 0
	.set _ZN7rocprim17ROCPRIM_400000_NS6detail17trampoline_kernelINS0_14default_configENS1_29binary_search_config_selectorIfiEEZNS1_14transform_implILb0ES3_S5_N6thrust23THRUST_200600_302600_NS6detail15normal_iteratorINS8_7pointerIfNS8_11hip_rocprim5par_tENS8_11use_defaultESE_EEEENSA_INSB_IiSD_SE_SE_EEEEZNS1_13binary_searchIS3_S5_NSA_INS8_10device_ptrIfEEEESG_SI_NS1_16binary_search_opENS9_16wrapped_functionINS8_6system6detail7generic6detail18binary_search_lessEbEEEE10hipError_tPvRmT1_T2_T3_mmT4_T5_P12ihipStream_tbEUlRKfE_EESV_SZ_S10_mS11_S14_bEUlT_E_NS1_11comp_targetILNS1_3genE10ELNS1_11target_archE1200ELNS1_3gpuE4ELNS1_3repE0EEENS1_30default_config_static_selectorELNS0_4arch9wavefront6targetE0EEEvSY_.has_dyn_sized_stack, 0
	.set _ZN7rocprim17ROCPRIM_400000_NS6detail17trampoline_kernelINS0_14default_configENS1_29binary_search_config_selectorIfiEEZNS1_14transform_implILb0ES3_S5_N6thrust23THRUST_200600_302600_NS6detail15normal_iteratorINS8_7pointerIfNS8_11hip_rocprim5par_tENS8_11use_defaultESE_EEEENSA_INSB_IiSD_SE_SE_EEEEZNS1_13binary_searchIS3_S5_NSA_INS8_10device_ptrIfEEEESG_SI_NS1_16binary_search_opENS9_16wrapped_functionINS8_6system6detail7generic6detail18binary_search_lessEbEEEE10hipError_tPvRmT1_T2_T3_mmT4_T5_P12ihipStream_tbEUlRKfE_EESV_SZ_S10_mS11_S14_bEUlT_E_NS1_11comp_targetILNS1_3genE10ELNS1_11target_archE1200ELNS1_3gpuE4ELNS1_3repE0EEENS1_30default_config_static_selectorELNS0_4arch9wavefront6targetE0EEEvSY_.has_recursion, 0
	.set _ZN7rocprim17ROCPRIM_400000_NS6detail17trampoline_kernelINS0_14default_configENS1_29binary_search_config_selectorIfiEEZNS1_14transform_implILb0ES3_S5_N6thrust23THRUST_200600_302600_NS6detail15normal_iteratorINS8_7pointerIfNS8_11hip_rocprim5par_tENS8_11use_defaultESE_EEEENSA_INSB_IiSD_SE_SE_EEEEZNS1_13binary_searchIS3_S5_NSA_INS8_10device_ptrIfEEEESG_SI_NS1_16binary_search_opENS9_16wrapped_functionINS8_6system6detail7generic6detail18binary_search_lessEbEEEE10hipError_tPvRmT1_T2_T3_mmT4_T5_P12ihipStream_tbEUlRKfE_EESV_SZ_S10_mS11_S14_bEUlT_E_NS1_11comp_targetILNS1_3genE10ELNS1_11target_archE1200ELNS1_3gpuE4ELNS1_3repE0EEENS1_30default_config_static_selectorELNS0_4arch9wavefront6targetE0EEEvSY_.has_indirect_call, 0
	.section	.AMDGPU.csdata,"",@progbits
; Kernel info:
; codeLenInByte = 0
; TotalNumSgprs: 0
; NumVgprs: 0
; ScratchSize: 0
; MemoryBound: 0
; FloatMode: 240
; IeeeMode: 1
; LDSByteSize: 0 bytes/workgroup (compile time only)
; SGPRBlocks: 0
; VGPRBlocks: 0
; NumSGPRsForWavesPerEU: 1
; NumVGPRsForWavesPerEU: 1
; Occupancy: 16
; WaveLimiterHint : 0
; COMPUTE_PGM_RSRC2:SCRATCH_EN: 0
; COMPUTE_PGM_RSRC2:USER_SGPR: 6
; COMPUTE_PGM_RSRC2:TRAP_HANDLER: 0
; COMPUTE_PGM_RSRC2:TGID_X_EN: 1
; COMPUTE_PGM_RSRC2:TGID_Y_EN: 0
; COMPUTE_PGM_RSRC2:TGID_Z_EN: 0
; COMPUTE_PGM_RSRC2:TIDIG_COMP_CNT: 0
	.section	.text._ZN7rocprim17ROCPRIM_400000_NS6detail17trampoline_kernelINS0_14default_configENS1_29binary_search_config_selectorIfiEEZNS1_14transform_implILb0ES3_S5_N6thrust23THRUST_200600_302600_NS6detail15normal_iteratorINS8_7pointerIfNS8_11hip_rocprim5par_tENS8_11use_defaultESE_EEEENSA_INSB_IiSD_SE_SE_EEEEZNS1_13binary_searchIS3_S5_NSA_INS8_10device_ptrIfEEEESG_SI_NS1_16binary_search_opENS9_16wrapped_functionINS8_6system6detail7generic6detail18binary_search_lessEbEEEE10hipError_tPvRmT1_T2_T3_mmT4_T5_P12ihipStream_tbEUlRKfE_EESV_SZ_S10_mS11_S14_bEUlT_E_NS1_11comp_targetILNS1_3genE9ELNS1_11target_archE1100ELNS1_3gpuE3ELNS1_3repE0EEENS1_30default_config_static_selectorELNS0_4arch9wavefront6targetE0EEEvSY_,"axG",@progbits,_ZN7rocprim17ROCPRIM_400000_NS6detail17trampoline_kernelINS0_14default_configENS1_29binary_search_config_selectorIfiEEZNS1_14transform_implILb0ES3_S5_N6thrust23THRUST_200600_302600_NS6detail15normal_iteratorINS8_7pointerIfNS8_11hip_rocprim5par_tENS8_11use_defaultESE_EEEENSA_INSB_IiSD_SE_SE_EEEEZNS1_13binary_searchIS3_S5_NSA_INS8_10device_ptrIfEEEESG_SI_NS1_16binary_search_opENS9_16wrapped_functionINS8_6system6detail7generic6detail18binary_search_lessEbEEEE10hipError_tPvRmT1_T2_T3_mmT4_T5_P12ihipStream_tbEUlRKfE_EESV_SZ_S10_mS11_S14_bEUlT_E_NS1_11comp_targetILNS1_3genE9ELNS1_11target_archE1100ELNS1_3gpuE3ELNS1_3repE0EEENS1_30default_config_static_selectorELNS0_4arch9wavefront6targetE0EEEvSY_,comdat
	.protected	_ZN7rocprim17ROCPRIM_400000_NS6detail17trampoline_kernelINS0_14default_configENS1_29binary_search_config_selectorIfiEEZNS1_14transform_implILb0ES3_S5_N6thrust23THRUST_200600_302600_NS6detail15normal_iteratorINS8_7pointerIfNS8_11hip_rocprim5par_tENS8_11use_defaultESE_EEEENSA_INSB_IiSD_SE_SE_EEEEZNS1_13binary_searchIS3_S5_NSA_INS8_10device_ptrIfEEEESG_SI_NS1_16binary_search_opENS9_16wrapped_functionINS8_6system6detail7generic6detail18binary_search_lessEbEEEE10hipError_tPvRmT1_T2_T3_mmT4_T5_P12ihipStream_tbEUlRKfE_EESV_SZ_S10_mS11_S14_bEUlT_E_NS1_11comp_targetILNS1_3genE9ELNS1_11target_archE1100ELNS1_3gpuE3ELNS1_3repE0EEENS1_30default_config_static_selectorELNS0_4arch9wavefront6targetE0EEEvSY_ ; -- Begin function _ZN7rocprim17ROCPRIM_400000_NS6detail17trampoline_kernelINS0_14default_configENS1_29binary_search_config_selectorIfiEEZNS1_14transform_implILb0ES3_S5_N6thrust23THRUST_200600_302600_NS6detail15normal_iteratorINS8_7pointerIfNS8_11hip_rocprim5par_tENS8_11use_defaultESE_EEEENSA_INSB_IiSD_SE_SE_EEEEZNS1_13binary_searchIS3_S5_NSA_INS8_10device_ptrIfEEEESG_SI_NS1_16binary_search_opENS9_16wrapped_functionINS8_6system6detail7generic6detail18binary_search_lessEbEEEE10hipError_tPvRmT1_T2_T3_mmT4_T5_P12ihipStream_tbEUlRKfE_EESV_SZ_S10_mS11_S14_bEUlT_E_NS1_11comp_targetILNS1_3genE9ELNS1_11target_archE1100ELNS1_3gpuE3ELNS1_3repE0EEENS1_30default_config_static_selectorELNS0_4arch9wavefront6targetE0EEEvSY_
	.globl	_ZN7rocprim17ROCPRIM_400000_NS6detail17trampoline_kernelINS0_14default_configENS1_29binary_search_config_selectorIfiEEZNS1_14transform_implILb0ES3_S5_N6thrust23THRUST_200600_302600_NS6detail15normal_iteratorINS8_7pointerIfNS8_11hip_rocprim5par_tENS8_11use_defaultESE_EEEENSA_INSB_IiSD_SE_SE_EEEEZNS1_13binary_searchIS3_S5_NSA_INS8_10device_ptrIfEEEESG_SI_NS1_16binary_search_opENS9_16wrapped_functionINS8_6system6detail7generic6detail18binary_search_lessEbEEEE10hipError_tPvRmT1_T2_T3_mmT4_T5_P12ihipStream_tbEUlRKfE_EESV_SZ_S10_mS11_S14_bEUlT_E_NS1_11comp_targetILNS1_3genE9ELNS1_11target_archE1100ELNS1_3gpuE3ELNS1_3repE0EEENS1_30default_config_static_selectorELNS0_4arch9wavefront6targetE0EEEvSY_
	.p2align	8
	.type	_ZN7rocprim17ROCPRIM_400000_NS6detail17trampoline_kernelINS0_14default_configENS1_29binary_search_config_selectorIfiEEZNS1_14transform_implILb0ES3_S5_N6thrust23THRUST_200600_302600_NS6detail15normal_iteratorINS8_7pointerIfNS8_11hip_rocprim5par_tENS8_11use_defaultESE_EEEENSA_INSB_IiSD_SE_SE_EEEEZNS1_13binary_searchIS3_S5_NSA_INS8_10device_ptrIfEEEESG_SI_NS1_16binary_search_opENS9_16wrapped_functionINS8_6system6detail7generic6detail18binary_search_lessEbEEEE10hipError_tPvRmT1_T2_T3_mmT4_T5_P12ihipStream_tbEUlRKfE_EESV_SZ_S10_mS11_S14_bEUlT_E_NS1_11comp_targetILNS1_3genE9ELNS1_11target_archE1100ELNS1_3gpuE3ELNS1_3repE0EEENS1_30default_config_static_selectorELNS0_4arch9wavefront6targetE0EEEvSY_,@function
_ZN7rocprim17ROCPRIM_400000_NS6detail17trampoline_kernelINS0_14default_configENS1_29binary_search_config_selectorIfiEEZNS1_14transform_implILb0ES3_S5_N6thrust23THRUST_200600_302600_NS6detail15normal_iteratorINS8_7pointerIfNS8_11hip_rocprim5par_tENS8_11use_defaultESE_EEEENSA_INSB_IiSD_SE_SE_EEEEZNS1_13binary_searchIS3_S5_NSA_INS8_10device_ptrIfEEEESG_SI_NS1_16binary_search_opENS9_16wrapped_functionINS8_6system6detail7generic6detail18binary_search_lessEbEEEE10hipError_tPvRmT1_T2_T3_mmT4_T5_P12ihipStream_tbEUlRKfE_EESV_SZ_S10_mS11_S14_bEUlT_E_NS1_11comp_targetILNS1_3genE9ELNS1_11target_archE1100ELNS1_3gpuE3ELNS1_3repE0EEENS1_30default_config_static_selectorELNS0_4arch9wavefront6targetE0EEEvSY_: ; @_ZN7rocprim17ROCPRIM_400000_NS6detail17trampoline_kernelINS0_14default_configENS1_29binary_search_config_selectorIfiEEZNS1_14transform_implILb0ES3_S5_N6thrust23THRUST_200600_302600_NS6detail15normal_iteratorINS8_7pointerIfNS8_11hip_rocprim5par_tENS8_11use_defaultESE_EEEENSA_INSB_IiSD_SE_SE_EEEEZNS1_13binary_searchIS3_S5_NSA_INS8_10device_ptrIfEEEESG_SI_NS1_16binary_search_opENS9_16wrapped_functionINS8_6system6detail7generic6detail18binary_search_lessEbEEEE10hipError_tPvRmT1_T2_T3_mmT4_T5_P12ihipStream_tbEUlRKfE_EESV_SZ_S10_mS11_S14_bEUlT_E_NS1_11comp_targetILNS1_3genE9ELNS1_11target_archE1100ELNS1_3gpuE3ELNS1_3repE0EEENS1_30default_config_static_selectorELNS0_4arch9wavefront6targetE0EEEvSY_
; %bb.0:
	.section	.rodata,"a",@progbits
	.p2align	6, 0x0
	.amdhsa_kernel _ZN7rocprim17ROCPRIM_400000_NS6detail17trampoline_kernelINS0_14default_configENS1_29binary_search_config_selectorIfiEEZNS1_14transform_implILb0ES3_S5_N6thrust23THRUST_200600_302600_NS6detail15normal_iteratorINS8_7pointerIfNS8_11hip_rocprim5par_tENS8_11use_defaultESE_EEEENSA_INSB_IiSD_SE_SE_EEEEZNS1_13binary_searchIS3_S5_NSA_INS8_10device_ptrIfEEEESG_SI_NS1_16binary_search_opENS9_16wrapped_functionINS8_6system6detail7generic6detail18binary_search_lessEbEEEE10hipError_tPvRmT1_T2_T3_mmT4_T5_P12ihipStream_tbEUlRKfE_EESV_SZ_S10_mS11_S14_bEUlT_E_NS1_11comp_targetILNS1_3genE9ELNS1_11target_archE1100ELNS1_3gpuE3ELNS1_3repE0EEENS1_30default_config_static_selectorELNS0_4arch9wavefront6targetE0EEEvSY_
		.amdhsa_group_segment_fixed_size 0
		.amdhsa_private_segment_fixed_size 0
		.amdhsa_kernarg_size 56
		.amdhsa_user_sgpr_count 6
		.amdhsa_user_sgpr_private_segment_buffer 1
		.amdhsa_user_sgpr_dispatch_ptr 0
		.amdhsa_user_sgpr_queue_ptr 0
		.amdhsa_user_sgpr_kernarg_segment_ptr 1
		.amdhsa_user_sgpr_dispatch_id 0
		.amdhsa_user_sgpr_flat_scratch_init 0
		.amdhsa_user_sgpr_private_segment_size 0
		.amdhsa_wavefront_size32 1
		.amdhsa_uses_dynamic_stack 0
		.amdhsa_system_sgpr_private_segment_wavefront_offset 0
		.amdhsa_system_sgpr_workgroup_id_x 1
		.amdhsa_system_sgpr_workgroup_id_y 0
		.amdhsa_system_sgpr_workgroup_id_z 0
		.amdhsa_system_sgpr_workgroup_info 0
		.amdhsa_system_vgpr_workitem_id 0
		.amdhsa_next_free_vgpr 1
		.amdhsa_next_free_sgpr 1
		.amdhsa_reserve_vcc 0
		.amdhsa_reserve_flat_scratch 0
		.amdhsa_float_round_mode_32 0
		.amdhsa_float_round_mode_16_64 0
		.amdhsa_float_denorm_mode_32 3
		.amdhsa_float_denorm_mode_16_64 3
		.amdhsa_dx10_clamp 1
		.amdhsa_ieee_mode 1
		.amdhsa_fp16_overflow 0
		.amdhsa_workgroup_processor_mode 1
		.amdhsa_memory_ordered 1
		.amdhsa_forward_progress 1
		.amdhsa_shared_vgpr_count 0
		.amdhsa_exception_fp_ieee_invalid_op 0
		.amdhsa_exception_fp_denorm_src 0
		.amdhsa_exception_fp_ieee_div_zero 0
		.amdhsa_exception_fp_ieee_overflow 0
		.amdhsa_exception_fp_ieee_underflow 0
		.amdhsa_exception_fp_ieee_inexact 0
		.amdhsa_exception_int_div_zero 0
	.end_amdhsa_kernel
	.section	.text._ZN7rocprim17ROCPRIM_400000_NS6detail17trampoline_kernelINS0_14default_configENS1_29binary_search_config_selectorIfiEEZNS1_14transform_implILb0ES3_S5_N6thrust23THRUST_200600_302600_NS6detail15normal_iteratorINS8_7pointerIfNS8_11hip_rocprim5par_tENS8_11use_defaultESE_EEEENSA_INSB_IiSD_SE_SE_EEEEZNS1_13binary_searchIS3_S5_NSA_INS8_10device_ptrIfEEEESG_SI_NS1_16binary_search_opENS9_16wrapped_functionINS8_6system6detail7generic6detail18binary_search_lessEbEEEE10hipError_tPvRmT1_T2_T3_mmT4_T5_P12ihipStream_tbEUlRKfE_EESV_SZ_S10_mS11_S14_bEUlT_E_NS1_11comp_targetILNS1_3genE9ELNS1_11target_archE1100ELNS1_3gpuE3ELNS1_3repE0EEENS1_30default_config_static_selectorELNS0_4arch9wavefront6targetE0EEEvSY_,"axG",@progbits,_ZN7rocprim17ROCPRIM_400000_NS6detail17trampoline_kernelINS0_14default_configENS1_29binary_search_config_selectorIfiEEZNS1_14transform_implILb0ES3_S5_N6thrust23THRUST_200600_302600_NS6detail15normal_iteratorINS8_7pointerIfNS8_11hip_rocprim5par_tENS8_11use_defaultESE_EEEENSA_INSB_IiSD_SE_SE_EEEEZNS1_13binary_searchIS3_S5_NSA_INS8_10device_ptrIfEEEESG_SI_NS1_16binary_search_opENS9_16wrapped_functionINS8_6system6detail7generic6detail18binary_search_lessEbEEEE10hipError_tPvRmT1_T2_T3_mmT4_T5_P12ihipStream_tbEUlRKfE_EESV_SZ_S10_mS11_S14_bEUlT_E_NS1_11comp_targetILNS1_3genE9ELNS1_11target_archE1100ELNS1_3gpuE3ELNS1_3repE0EEENS1_30default_config_static_selectorELNS0_4arch9wavefront6targetE0EEEvSY_,comdat
.Lfunc_end660:
	.size	_ZN7rocprim17ROCPRIM_400000_NS6detail17trampoline_kernelINS0_14default_configENS1_29binary_search_config_selectorIfiEEZNS1_14transform_implILb0ES3_S5_N6thrust23THRUST_200600_302600_NS6detail15normal_iteratorINS8_7pointerIfNS8_11hip_rocprim5par_tENS8_11use_defaultESE_EEEENSA_INSB_IiSD_SE_SE_EEEEZNS1_13binary_searchIS3_S5_NSA_INS8_10device_ptrIfEEEESG_SI_NS1_16binary_search_opENS9_16wrapped_functionINS8_6system6detail7generic6detail18binary_search_lessEbEEEE10hipError_tPvRmT1_T2_T3_mmT4_T5_P12ihipStream_tbEUlRKfE_EESV_SZ_S10_mS11_S14_bEUlT_E_NS1_11comp_targetILNS1_3genE9ELNS1_11target_archE1100ELNS1_3gpuE3ELNS1_3repE0EEENS1_30default_config_static_selectorELNS0_4arch9wavefront6targetE0EEEvSY_, .Lfunc_end660-_ZN7rocprim17ROCPRIM_400000_NS6detail17trampoline_kernelINS0_14default_configENS1_29binary_search_config_selectorIfiEEZNS1_14transform_implILb0ES3_S5_N6thrust23THRUST_200600_302600_NS6detail15normal_iteratorINS8_7pointerIfNS8_11hip_rocprim5par_tENS8_11use_defaultESE_EEEENSA_INSB_IiSD_SE_SE_EEEEZNS1_13binary_searchIS3_S5_NSA_INS8_10device_ptrIfEEEESG_SI_NS1_16binary_search_opENS9_16wrapped_functionINS8_6system6detail7generic6detail18binary_search_lessEbEEEE10hipError_tPvRmT1_T2_T3_mmT4_T5_P12ihipStream_tbEUlRKfE_EESV_SZ_S10_mS11_S14_bEUlT_E_NS1_11comp_targetILNS1_3genE9ELNS1_11target_archE1100ELNS1_3gpuE3ELNS1_3repE0EEENS1_30default_config_static_selectorELNS0_4arch9wavefront6targetE0EEEvSY_
                                        ; -- End function
	.set _ZN7rocprim17ROCPRIM_400000_NS6detail17trampoline_kernelINS0_14default_configENS1_29binary_search_config_selectorIfiEEZNS1_14transform_implILb0ES3_S5_N6thrust23THRUST_200600_302600_NS6detail15normal_iteratorINS8_7pointerIfNS8_11hip_rocprim5par_tENS8_11use_defaultESE_EEEENSA_INSB_IiSD_SE_SE_EEEEZNS1_13binary_searchIS3_S5_NSA_INS8_10device_ptrIfEEEESG_SI_NS1_16binary_search_opENS9_16wrapped_functionINS8_6system6detail7generic6detail18binary_search_lessEbEEEE10hipError_tPvRmT1_T2_T3_mmT4_T5_P12ihipStream_tbEUlRKfE_EESV_SZ_S10_mS11_S14_bEUlT_E_NS1_11comp_targetILNS1_3genE9ELNS1_11target_archE1100ELNS1_3gpuE3ELNS1_3repE0EEENS1_30default_config_static_selectorELNS0_4arch9wavefront6targetE0EEEvSY_.num_vgpr, 0
	.set _ZN7rocprim17ROCPRIM_400000_NS6detail17trampoline_kernelINS0_14default_configENS1_29binary_search_config_selectorIfiEEZNS1_14transform_implILb0ES3_S5_N6thrust23THRUST_200600_302600_NS6detail15normal_iteratorINS8_7pointerIfNS8_11hip_rocprim5par_tENS8_11use_defaultESE_EEEENSA_INSB_IiSD_SE_SE_EEEEZNS1_13binary_searchIS3_S5_NSA_INS8_10device_ptrIfEEEESG_SI_NS1_16binary_search_opENS9_16wrapped_functionINS8_6system6detail7generic6detail18binary_search_lessEbEEEE10hipError_tPvRmT1_T2_T3_mmT4_T5_P12ihipStream_tbEUlRKfE_EESV_SZ_S10_mS11_S14_bEUlT_E_NS1_11comp_targetILNS1_3genE9ELNS1_11target_archE1100ELNS1_3gpuE3ELNS1_3repE0EEENS1_30default_config_static_selectorELNS0_4arch9wavefront6targetE0EEEvSY_.num_agpr, 0
	.set _ZN7rocprim17ROCPRIM_400000_NS6detail17trampoline_kernelINS0_14default_configENS1_29binary_search_config_selectorIfiEEZNS1_14transform_implILb0ES3_S5_N6thrust23THRUST_200600_302600_NS6detail15normal_iteratorINS8_7pointerIfNS8_11hip_rocprim5par_tENS8_11use_defaultESE_EEEENSA_INSB_IiSD_SE_SE_EEEEZNS1_13binary_searchIS3_S5_NSA_INS8_10device_ptrIfEEEESG_SI_NS1_16binary_search_opENS9_16wrapped_functionINS8_6system6detail7generic6detail18binary_search_lessEbEEEE10hipError_tPvRmT1_T2_T3_mmT4_T5_P12ihipStream_tbEUlRKfE_EESV_SZ_S10_mS11_S14_bEUlT_E_NS1_11comp_targetILNS1_3genE9ELNS1_11target_archE1100ELNS1_3gpuE3ELNS1_3repE0EEENS1_30default_config_static_selectorELNS0_4arch9wavefront6targetE0EEEvSY_.numbered_sgpr, 0
	.set _ZN7rocprim17ROCPRIM_400000_NS6detail17trampoline_kernelINS0_14default_configENS1_29binary_search_config_selectorIfiEEZNS1_14transform_implILb0ES3_S5_N6thrust23THRUST_200600_302600_NS6detail15normal_iteratorINS8_7pointerIfNS8_11hip_rocprim5par_tENS8_11use_defaultESE_EEEENSA_INSB_IiSD_SE_SE_EEEEZNS1_13binary_searchIS3_S5_NSA_INS8_10device_ptrIfEEEESG_SI_NS1_16binary_search_opENS9_16wrapped_functionINS8_6system6detail7generic6detail18binary_search_lessEbEEEE10hipError_tPvRmT1_T2_T3_mmT4_T5_P12ihipStream_tbEUlRKfE_EESV_SZ_S10_mS11_S14_bEUlT_E_NS1_11comp_targetILNS1_3genE9ELNS1_11target_archE1100ELNS1_3gpuE3ELNS1_3repE0EEENS1_30default_config_static_selectorELNS0_4arch9wavefront6targetE0EEEvSY_.num_named_barrier, 0
	.set _ZN7rocprim17ROCPRIM_400000_NS6detail17trampoline_kernelINS0_14default_configENS1_29binary_search_config_selectorIfiEEZNS1_14transform_implILb0ES3_S5_N6thrust23THRUST_200600_302600_NS6detail15normal_iteratorINS8_7pointerIfNS8_11hip_rocprim5par_tENS8_11use_defaultESE_EEEENSA_INSB_IiSD_SE_SE_EEEEZNS1_13binary_searchIS3_S5_NSA_INS8_10device_ptrIfEEEESG_SI_NS1_16binary_search_opENS9_16wrapped_functionINS8_6system6detail7generic6detail18binary_search_lessEbEEEE10hipError_tPvRmT1_T2_T3_mmT4_T5_P12ihipStream_tbEUlRKfE_EESV_SZ_S10_mS11_S14_bEUlT_E_NS1_11comp_targetILNS1_3genE9ELNS1_11target_archE1100ELNS1_3gpuE3ELNS1_3repE0EEENS1_30default_config_static_selectorELNS0_4arch9wavefront6targetE0EEEvSY_.private_seg_size, 0
	.set _ZN7rocprim17ROCPRIM_400000_NS6detail17trampoline_kernelINS0_14default_configENS1_29binary_search_config_selectorIfiEEZNS1_14transform_implILb0ES3_S5_N6thrust23THRUST_200600_302600_NS6detail15normal_iteratorINS8_7pointerIfNS8_11hip_rocprim5par_tENS8_11use_defaultESE_EEEENSA_INSB_IiSD_SE_SE_EEEEZNS1_13binary_searchIS3_S5_NSA_INS8_10device_ptrIfEEEESG_SI_NS1_16binary_search_opENS9_16wrapped_functionINS8_6system6detail7generic6detail18binary_search_lessEbEEEE10hipError_tPvRmT1_T2_T3_mmT4_T5_P12ihipStream_tbEUlRKfE_EESV_SZ_S10_mS11_S14_bEUlT_E_NS1_11comp_targetILNS1_3genE9ELNS1_11target_archE1100ELNS1_3gpuE3ELNS1_3repE0EEENS1_30default_config_static_selectorELNS0_4arch9wavefront6targetE0EEEvSY_.uses_vcc, 0
	.set _ZN7rocprim17ROCPRIM_400000_NS6detail17trampoline_kernelINS0_14default_configENS1_29binary_search_config_selectorIfiEEZNS1_14transform_implILb0ES3_S5_N6thrust23THRUST_200600_302600_NS6detail15normal_iteratorINS8_7pointerIfNS8_11hip_rocprim5par_tENS8_11use_defaultESE_EEEENSA_INSB_IiSD_SE_SE_EEEEZNS1_13binary_searchIS3_S5_NSA_INS8_10device_ptrIfEEEESG_SI_NS1_16binary_search_opENS9_16wrapped_functionINS8_6system6detail7generic6detail18binary_search_lessEbEEEE10hipError_tPvRmT1_T2_T3_mmT4_T5_P12ihipStream_tbEUlRKfE_EESV_SZ_S10_mS11_S14_bEUlT_E_NS1_11comp_targetILNS1_3genE9ELNS1_11target_archE1100ELNS1_3gpuE3ELNS1_3repE0EEENS1_30default_config_static_selectorELNS0_4arch9wavefront6targetE0EEEvSY_.uses_flat_scratch, 0
	.set _ZN7rocprim17ROCPRIM_400000_NS6detail17trampoline_kernelINS0_14default_configENS1_29binary_search_config_selectorIfiEEZNS1_14transform_implILb0ES3_S5_N6thrust23THRUST_200600_302600_NS6detail15normal_iteratorINS8_7pointerIfNS8_11hip_rocprim5par_tENS8_11use_defaultESE_EEEENSA_INSB_IiSD_SE_SE_EEEEZNS1_13binary_searchIS3_S5_NSA_INS8_10device_ptrIfEEEESG_SI_NS1_16binary_search_opENS9_16wrapped_functionINS8_6system6detail7generic6detail18binary_search_lessEbEEEE10hipError_tPvRmT1_T2_T3_mmT4_T5_P12ihipStream_tbEUlRKfE_EESV_SZ_S10_mS11_S14_bEUlT_E_NS1_11comp_targetILNS1_3genE9ELNS1_11target_archE1100ELNS1_3gpuE3ELNS1_3repE0EEENS1_30default_config_static_selectorELNS0_4arch9wavefront6targetE0EEEvSY_.has_dyn_sized_stack, 0
	.set _ZN7rocprim17ROCPRIM_400000_NS6detail17trampoline_kernelINS0_14default_configENS1_29binary_search_config_selectorIfiEEZNS1_14transform_implILb0ES3_S5_N6thrust23THRUST_200600_302600_NS6detail15normal_iteratorINS8_7pointerIfNS8_11hip_rocprim5par_tENS8_11use_defaultESE_EEEENSA_INSB_IiSD_SE_SE_EEEEZNS1_13binary_searchIS3_S5_NSA_INS8_10device_ptrIfEEEESG_SI_NS1_16binary_search_opENS9_16wrapped_functionINS8_6system6detail7generic6detail18binary_search_lessEbEEEE10hipError_tPvRmT1_T2_T3_mmT4_T5_P12ihipStream_tbEUlRKfE_EESV_SZ_S10_mS11_S14_bEUlT_E_NS1_11comp_targetILNS1_3genE9ELNS1_11target_archE1100ELNS1_3gpuE3ELNS1_3repE0EEENS1_30default_config_static_selectorELNS0_4arch9wavefront6targetE0EEEvSY_.has_recursion, 0
	.set _ZN7rocprim17ROCPRIM_400000_NS6detail17trampoline_kernelINS0_14default_configENS1_29binary_search_config_selectorIfiEEZNS1_14transform_implILb0ES3_S5_N6thrust23THRUST_200600_302600_NS6detail15normal_iteratorINS8_7pointerIfNS8_11hip_rocprim5par_tENS8_11use_defaultESE_EEEENSA_INSB_IiSD_SE_SE_EEEEZNS1_13binary_searchIS3_S5_NSA_INS8_10device_ptrIfEEEESG_SI_NS1_16binary_search_opENS9_16wrapped_functionINS8_6system6detail7generic6detail18binary_search_lessEbEEEE10hipError_tPvRmT1_T2_T3_mmT4_T5_P12ihipStream_tbEUlRKfE_EESV_SZ_S10_mS11_S14_bEUlT_E_NS1_11comp_targetILNS1_3genE9ELNS1_11target_archE1100ELNS1_3gpuE3ELNS1_3repE0EEENS1_30default_config_static_selectorELNS0_4arch9wavefront6targetE0EEEvSY_.has_indirect_call, 0
	.section	.AMDGPU.csdata,"",@progbits
; Kernel info:
; codeLenInByte = 0
; TotalNumSgprs: 0
; NumVgprs: 0
; ScratchSize: 0
; MemoryBound: 0
; FloatMode: 240
; IeeeMode: 1
; LDSByteSize: 0 bytes/workgroup (compile time only)
; SGPRBlocks: 0
; VGPRBlocks: 0
; NumSGPRsForWavesPerEU: 1
; NumVGPRsForWavesPerEU: 1
; Occupancy: 16
; WaveLimiterHint : 0
; COMPUTE_PGM_RSRC2:SCRATCH_EN: 0
; COMPUTE_PGM_RSRC2:USER_SGPR: 6
; COMPUTE_PGM_RSRC2:TRAP_HANDLER: 0
; COMPUTE_PGM_RSRC2:TGID_X_EN: 1
; COMPUTE_PGM_RSRC2:TGID_Y_EN: 0
; COMPUTE_PGM_RSRC2:TGID_Z_EN: 0
; COMPUTE_PGM_RSRC2:TIDIG_COMP_CNT: 0
	.section	.text._ZN7rocprim17ROCPRIM_400000_NS6detail17trampoline_kernelINS0_14default_configENS1_29binary_search_config_selectorIfiEEZNS1_14transform_implILb0ES3_S5_N6thrust23THRUST_200600_302600_NS6detail15normal_iteratorINS8_7pointerIfNS8_11hip_rocprim5par_tENS8_11use_defaultESE_EEEENSA_INSB_IiSD_SE_SE_EEEEZNS1_13binary_searchIS3_S5_NSA_INS8_10device_ptrIfEEEESG_SI_NS1_16binary_search_opENS9_16wrapped_functionINS8_6system6detail7generic6detail18binary_search_lessEbEEEE10hipError_tPvRmT1_T2_T3_mmT4_T5_P12ihipStream_tbEUlRKfE_EESV_SZ_S10_mS11_S14_bEUlT_E_NS1_11comp_targetILNS1_3genE8ELNS1_11target_archE1030ELNS1_3gpuE2ELNS1_3repE0EEENS1_30default_config_static_selectorELNS0_4arch9wavefront6targetE0EEEvSY_,"axG",@progbits,_ZN7rocprim17ROCPRIM_400000_NS6detail17trampoline_kernelINS0_14default_configENS1_29binary_search_config_selectorIfiEEZNS1_14transform_implILb0ES3_S5_N6thrust23THRUST_200600_302600_NS6detail15normal_iteratorINS8_7pointerIfNS8_11hip_rocprim5par_tENS8_11use_defaultESE_EEEENSA_INSB_IiSD_SE_SE_EEEEZNS1_13binary_searchIS3_S5_NSA_INS8_10device_ptrIfEEEESG_SI_NS1_16binary_search_opENS9_16wrapped_functionINS8_6system6detail7generic6detail18binary_search_lessEbEEEE10hipError_tPvRmT1_T2_T3_mmT4_T5_P12ihipStream_tbEUlRKfE_EESV_SZ_S10_mS11_S14_bEUlT_E_NS1_11comp_targetILNS1_3genE8ELNS1_11target_archE1030ELNS1_3gpuE2ELNS1_3repE0EEENS1_30default_config_static_selectorELNS0_4arch9wavefront6targetE0EEEvSY_,comdat
	.protected	_ZN7rocprim17ROCPRIM_400000_NS6detail17trampoline_kernelINS0_14default_configENS1_29binary_search_config_selectorIfiEEZNS1_14transform_implILb0ES3_S5_N6thrust23THRUST_200600_302600_NS6detail15normal_iteratorINS8_7pointerIfNS8_11hip_rocprim5par_tENS8_11use_defaultESE_EEEENSA_INSB_IiSD_SE_SE_EEEEZNS1_13binary_searchIS3_S5_NSA_INS8_10device_ptrIfEEEESG_SI_NS1_16binary_search_opENS9_16wrapped_functionINS8_6system6detail7generic6detail18binary_search_lessEbEEEE10hipError_tPvRmT1_T2_T3_mmT4_T5_P12ihipStream_tbEUlRKfE_EESV_SZ_S10_mS11_S14_bEUlT_E_NS1_11comp_targetILNS1_3genE8ELNS1_11target_archE1030ELNS1_3gpuE2ELNS1_3repE0EEENS1_30default_config_static_selectorELNS0_4arch9wavefront6targetE0EEEvSY_ ; -- Begin function _ZN7rocprim17ROCPRIM_400000_NS6detail17trampoline_kernelINS0_14default_configENS1_29binary_search_config_selectorIfiEEZNS1_14transform_implILb0ES3_S5_N6thrust23THRUST_200600_302600_NS6detail15normal_iteratorINS8_7pointerIfNS8_11hip_rocprim5par_tENS8_11use_defaultESE_EEEENSA_INSB_IiSD_SE_SE_EEEEZNS1_13binary_searchIS3_S5_NSA_INS8_10device_ptrIfEEEESG_SI_NS1_16binary_search_opENS9_16wrapped_functionINS8_6system6detail7generic6detail18binary_search_lessEbEEEE10hipError_tPvRmT1_T2_T3_mmT4_T5_P12ihipStream_tbEUlRKfE_EESV_SZ_S10_mS11_S14_bEUlT_E_NS1_11comp_targetILNS1_3genE8ELNS1_11target_archE1030ELNS1_3gpuE2ELNS1_3repE0EEENS1_30default_config_static_selectorELNS0_4arch9wavefront6targetE0EEEvSY_
	.globl	_ZN7rocprim17ROCPRIM_400000_NS6detail17trampoline_kernelINS0_14default_configENS1_29binary_search_config_selectorIfiEEZNS1_14transform_implILb0ES3_S5_N6thrust23THRUST_200600_302600_NS6detail15normal_iteratorINS8_7pointerIfNS8_11hip_rocprim5par_tENS8_11use_defaultESE_EEEENSA_INSB_IiSD_SE_SE_EEEEZNS1_13binary_searchIS3_S5_NSA_INS8_10device_ptrIfEEEESG_SI_NS1_16binary_search_opENS9_16wrapped_functionINS8_6system6detail7generic6detail18binary_search_lessEbEEEE10hipError_tPvRmT1_T2_T3_mmT4_T5_P12ihipStream_tbEUlRKfE_EESV_SZ_S10_mS11_S14_bEUlT_E_NS1_11comp_targetILNS1_3genE8ELNS1_11target_archE1030ELNS1_3gpuE2ELNS1_3repE0EEENS1_30default_config_static_selectorELNS0_4arch9wavefront6targetE0EEEvSY_
	.p2align	8
	.type	_ZN7rocprim17ROCPRIM_400000_NS6detail17trampoline_kernelINS0_14default_configENS1_29binary_search_config_selectorIfiEEZNS1_14transform_implILb0ES3_S5_N6thrust23THRUST_200600_302600_NS6detail15normal_iteratorINS8_7pointerIfNS8_11hip_rocprim5par_tENS8_11use_defaultESE_EEEENSA_INSB_IiSD_SE_SE_EEEEZNS1_13binary_searchIS3_S5_NSA_INS8_10device_ptrIfEEEESG_SI_NS1_16binary_search_opENS9_16wrapped_functionINS8_6system6detail7generic6detail18binary_search_lessEbEEEE10hipError_tPvRmT1_T2_T3_mmT4_T5_P12ihipStream_tbEUlRKfE_EESV_SZ_S10_mS11_S14_bEUlT_E_NS1_11comp_targetILNS1_3genE8ELNS1_11target_archE1030ELNS1_3gpuE2ELNS1_3repE0EEENS1_30default_config_static_selectorELNS0_4arch9wavefront6targetE0EEEvSY_,@function
_ZN7rocprim17ROCPRIM_400000_NS6detail17trampoline_kernelINS0_14default_configENS1_29binary_search_config_selectorIfiEEZNS1_14transform_implILb0ES3_S5_N6thrust23THRUST_200600_302600_NS6detail15normal_iteratorINS8_7pointerIfNS8_11hip_rocprim5par_tENS8_11use_defaultESE_EEEENSA_INSB_IiSD_SE_SE_EEEEZNS1_13binary_searchIS3_S5_NSA_INS8_10device_ptrIfEEEESG_SI_NS1_16binary_search_opENS9_16wrapped_functionINS8_6system6detail7generic6detail18binary_search_lessEbEEEE10hipError_tPvRmT1_T2_T3_mmT4_T5_P12ihipStream_tbEUlRKfE_EESV_SZ_S10_mS11_S14_bEUlT_E_NS1_11comp_targetILNS1_3genE8ELNS1_11target_archE1030ELNS1_3gpuE2ELNS1_3repE0EEENS1_30default_config_static_selectorELNS0_4arch9wavefront6targetE0EEEvSY_: ; @_ZN7rocprim17ROCPRIM_400000_NS6detail17trampoline_kernelINS0_14default_configENS1_29binary_search_config_selectorIfiEEZNS1_14transform_implILb0ES3_S5_N6thrust23THRUST_200600_302600_NS6detail15normal_iteratorINS8_7pointerIfNS8_11hip_rocprim5par_tENS8_11use_defaultESE_EEEENSA_INSB_IiSD_SE_SE_EEEEZNS1_13binary_searchIS3_S5_NSA_INS8_10device_ptrIfEEEESG_SI_NS1_16binary_search_opENS9_16wrapped_functionINS8_6system6detail7generic6detail18binary_search_lessEbEEEE10hipError_tPvRmT1_T2_T3_mmT4_T5_P12ihipStream_tbEUlRKfE_EESV_SZ_S10_mS11_S14_bEUlT_E_NS1_11comp_targetILNS1_3genE8ELNS1_11target_archE1030ELNS1_3gpuE2ELNS1_3repE0EEENS1_30default_config_static_selectorELNS0_4arch9wavefront6targetE0EEEvSY_
; %bb.0:
	s_clause 0x3
	s_load_dwordx4 s[16:19], s[4:5], 0x0
	s_load_dword s3, s[4:5], 0x38
	s_load_dwordx2 s[0:1], s[4:5], 0x28
	s_load_dwordx4 s[8:11], s[4:5], 0x18
	s_waitcnt lgkmcnt(0)
	s_lshl_b64 s[12:13], s[18:19], 2
	s_add_u32 s14, s16, s12
	s_addc_u32 s15, s17, s13
	s_add_i32 s7, s3, -1
	s_lshl_b32 s2, s6, 8
	s_mov_b32 s3, 0
	s_cmp_lg_u32 s6, s7
	s_mov_b32 s16, -1
	s_cbranch_scc0 .LBB661_6
; %bb.1:
	v_lshlrev_b32_e32 v1, 2, v0
	s_lshl_b64 s[6:7], s[2:3], 2
	s_add_u32 s6, s14, s6
	s_addc_u32 s7, s15, s7
	v_add_co_u32 v1, s6, s6, v1
	v_add_co_ci_u32_e64 v2, null, s7, 0, s6
	s_cmp_eq_u64 s[0:1], 0
	flat_load_dword v6, v[1:2]
	v_mov_b32_e32 v2, 0
	v_mov_b32_e32 v1, 0
	;; [unrolled: 1-line block ×3, first 2 shown]
	s_cbranch_scc1 .LBB661_5
; %bb.2:
	v_mov_b32_e32 v5, s1
	v_mov_b32_e32 v4, s0
	s_mov_b32 s6, 0
	s_inst_prefetch 0x1
	.p2align	6
.LBB661_3:                              ; =>This Inner Loop Header: Depth=1
	v_sub_co_u32 v7, vcc_lo, v4, v2
	v_sub_co_ci_u32_e64 v8, null, v5, v3, vcc_lo
	v_lshrrev_b64 v[9:10], 1, v[7:8]
	v_lshrrev_b64 v[7:8], 6, v[7:8]
	v_add_co_u32 v9, vcc_lo, v9, v2
	v_add_co_ci_u32_e64 v10, null, v10, v3, vcc_lo
	v_add_co_u32 v7, vcc_lo, v9, v7
	v_add_co_ci_u32_e64 v8, null, v10, v8, vcc_lo
	v_lshlrev_b64 v[9:10], 2, v[7:8]
	v_add_co_u32 v9, vcc_lo, s10, v9
	v_add_co_ci_u32_e64 v10, null, s11, v10, vcc_lo
	global_load_dword v9, v[9:10], off
	v_add_co_u32 v10, vcc_lo, v7, 1
	v_add_co_ci_u32_e64 v11, null, 0, v8, vcc_lo
	s_waitcnt vmcnt(0) lgkmcnt(0)
	v_cmp_lt_f32_e32 vcc_lo, v9, v6
	v_cndmask_b32_e32 v5, v8, v5, vcc_lo
	v_cndmask_b32_e32 v4, v7, v4, vcc_lo
	;; [unrolled: 1-line block ×4, first 2 shown]
	v_cmp_ge_u64_e32 vcc_lo, v[2:3], v[4:5]
	s_or_b32 s6, vcc_lo, s6
	s_andn2_b32 exec_lo, exec_lo, s6
	s_cbranch_execnz .LBB661_3
; %bb.4:
	s_inst_prefetch 0x2
	s_or_b32 exec_lo, exec_lo, s6
.LBB661_5:
	v_cmp_eq_u64_e64 s6, s[0:1], v[2:3]
	v_cmp_ne_u64_e64 s7, s[0:1], v[2:3]
	s_branch .LBB661_14
.LBB661_6:
	s_mov_b32 s7, s3
	s_mov_b32 s6, s3
                                        ; implicit-def: $vgpr6
                                        ; implicit-def: $vgpr2_vgpr3
	s_and_b32 vcc_lo, exec_lo, s16
	s_cbranch_vccz .LBB661_14
; %bb.7:
	s_load_dword s4, s[4:5], 0x10
                                        ; implicit-def: $vgpr6
                                        ; implicit-def: $vgpr2_vgpr3
	s_waitcnt lgkmcnt(0)
	s_sub_i32 s4, s4, s2
	v_cmp_gt_u32_e32 vcc_lo, s4, v0
	s_and_saveexec_b32 s4, vcc_lo
	s_cbranch_execz .LBB661_13
; %bb.8:
	v_lshlrev_b32_e32 v1, 2, v0
	s_lshl_b64 s[16:17], s[2:3], 2
	s_add_u32 s5, s14, s16
	s_addc_u32 s14, s15, s17
	v_add_co_u32 v1, s5, s5, v1
	v_add_co_ci_u32_e64 v2, null, s14, 0, s5
	s_cmp_eq_u64 s[0:1], 0
	s_waitcnt vmcnt(0)
	flat_load_dword v6, v[1:2]
	v_mov_b32_e32 v2, 0
	v_mov_b32_e32 v1, 0
	;; [unrolled: 1-line block ×3, first 2 shown]
	s_cbranch_scc1 .LBB661_12
; %bb.9:
	v_mov_b32_e32 v5, s1
	v_mov_b32_e32 v4, s0
	s_mov_b32 s5, 0
	s_inst_prefetch 0x1
	.p2align	6
.LBB661_10:                             ; =>This Inner Loop Header: Depth=1
	v_sub_co_u32 v7, vcc_lo, v4, v2
	v_sub_co_ci_u32_e64 v8, null, v5, v3, vcc_lo
	v_lshrrev_b64 v[9:10], 1, v[7:8]
	v_lshrrev_b64 v[7:8], 6, v[7:8]
	v_add_co_u32 v9, vcc_lo, v9, v2
	v_add_co_ci_u32_e64 v10, null, v10, v3, vcc_lo
	v_add_co_u32 v7, vcc_lo, v9, v7
	v_add_co_ci_u32_e64 v8, null, v10, v8, vcc_lo
	v_lshlrev_b64 v[9:10], 2, v[7:8]
	v_add_co_u32 v9, vcc_lo, s10, v9
	v_add_co_ci_u32_e64 v10, null, s11, v10, vcc_lo
	global_load_dword v9, v[9:10], off
	v_add_co_u32 v10, vcc_lo, v7, 1
	v_add_co_ci_u32_e64 v11, null, 0, v8, vcc_lo
	s_waitcnt vmcnt(0) lgkmcnt(0)
	v_cmp_lt_f32_e32 vcc_lo, v9, v6
	v_cndmask_b32_e32 v5, v8, v5, vcc_lo
	v_cndmask_b32_e32 v4, v7, v4, vcc_lo
	;; [unrolled: 1-line block ×4, first 2 shown]
	v_cmp_ge_u64_e32 vcc_lo, v[2:3], v[4:5]
	s_or_b32 s5, vcc_lo, s5
	s_andn2_b32 exec_lo, exec_lo, s5
	s_cbranch_execnz .LBB661_10
; %bb.11:
	s_inst_prefetch 0x2
	s_or_b32 exec_lo, exec_lo, s5
.LBB661_12:
	v_cmp_eq_u64_e32 vcc_lo, s[0:1], v[2:3]
	v_cmp_ne_u64_e64 s0, s[0:1], v[2:3]
	s_andn2_b32 s1, s6, exec_lo
	s_andn2_b32 s5, s7, exec_lo
	s_and_b32 s6, vcc_lo, exec_lo
	s_and_b32 s0, s0, exec_lo
	s_or_b32 s6, s1, s6
	s_or_b32 s7, s5, s0
.LBB661_13:
	s_or_b32 exec_lo, exec_lo, s4
.LBB661_14:
	v_mov_b32_e32 v4, 0
	s_and_saveexec_b32 s0, s7
	s_cbranch_execnz .LBB661_17
; %bb.15:
	s_or_b32 exec_lo, exec_lo, s0
	s_and_saveexec_b32 s0, s6
	s_cbranch_execnz .LBB661_18
.LBB661_16:
	s_endpgm
.LBB661_17:
	v_lshlrev_b64 v[2:3], 2, v[2:3]
	s_or_b32 s6, s6, exec_lo
	v_add_co_u32 v2, vcc_lo, s10, v2
	v_add_co_ci_u32_e64 v3, null, s11, v3, vcc_lo
	global_load_dword v2, v[2:3], off
	s_waitcnt vmcnt(0) lgkmcnt(0)
	v_cmp_nlt_f32_e32 vcc_lo, v6, v2
	v_cndmask_b32_e64 v4, 0, 1, vcc_lo
	s_or_b32 exec_lo, exec_lo, s0
	s_and_saveexec_b32 s0, s6
	s_cbranch_execz .LBB661_16
.LBB661_18:
	v_lshlrev_b64 v[0:1], 2, v[0:1]
	s_add_u32 s4, s8, s12
	s_addc_u32 s5, s9, s13
	s_lshl_b64 s[0:1], s[2:3], 2
	s_add_u32 s0, s4, s0
	s_addc_u32 s1, s5, s1
	v_add_co_u32 v0, vcc_lo, s0, v0
	v_add_co_ci_u32_e64 v1, null, s1, v1, vcc_lo
	flat_store_dword v[0:1], v4
	s_endpgm
	.section	.rodata,"a",@progbits
	.p2align	6, 0x0
	.amdhsa_kernel _ZN7rocprim17ROCPRIM_400000_NS6detail17trampoline_kernelINS0_14default_configENS1_29binary_search_config_selectorIfiEEZNS1_14transform_implILb0ES3_S5_N6thrust23THRUST_200600_302600_NS6detail15normal_iteratorINS8_7pointerIfNS8_11hip_rocprim5par_tENS8_11use_defaultESE_EEEENSA_INSB_IiSD_SE_SE_EEEEZNS1_13binary_searchIS3_S5_NSA_INS8_10device_ptrIfEEEESG_SI_NS1_16binary_search_opENS9_16wrapped_functionINS8_6system6detail7generic6detail18binary_search_lessEbEEEE10hipError_tPvRmT1_T2_T3_mmT4_T5_P12ihipStream_tbEUlRKfE_EESV_SZ_S10_mS11_S14_bEUlT_E_NS1_11comp_targetILNS1_3genE8ELNS1_11target_archE1030ELNS1_3gpuE2ELNS1_3repE0EEENS1_30default_config_static_selectorELNS0_4arch9wavefront6targetE0EEEvSY_
		.amdhsa_group_segment_fixed_size 0
		.amdhsa_private_segment_fixed_size 0
		.amdhsa_kernarg_size 312
		.amdhsa_user_sgpr_count 6
		.amdhsa_user_sgpr_private_segment_buffer 1
		.amdhsa_user_sgpr_dispatch_ptr 0
		.amdhsa_user_sgpr_queue_ptr 0
		.amdhsa_user_sgpr_kernarg_segment_ptr 1
		.amdhsa_user_sgpr_dispatch_id 0
		.amdhsa_user_sgpr_flat_scratch_init 0
		.amdhsa_user_sgpr_private_segment_size 0
		.amdhsa_wavefront_size32 1
		.amdhsa_uses_dynamic_stack 0
		.amdhsa_system_sgpr_private_segment_wavefront_offset 0
		.amdhsa_system_sgpr_workgroup_id_x 1
		.amdhsa_system_sgpr_workgroup_id_y 0
		.amdhsa_system_sgpr_workgroup_id_z 0
		.amdhsa_system_sgpr_workgroup_info 0
		.amdhsa_system_vgpr_workitem_id 0
		.amdhsa_next_free_vgpr 12
		.amdhsa_next_free_sgpr 20
		.amdhsa_reserve_vcc 1
		.amdhsa_reserve_flat_scratch 0
		.amdhsa_float_round_mode_32 0
		.amdhsa_float_round_mode_16_64 0
		.amdhsa_float_denorm_mode_32 3
		.amdhsa_float_denorm_mode_16_64 3
		.amdhsa_dx10_clamp 1
		.amdhsa_ieee_mode 1
		.amdhsa_fp16_overflow 0
		.amdhsa_workgroup_processor_mode 1
		.amdhsa_memory_ordered 1
		.amdhsa_forward_progress 1
		.amdhsa_shared_vgpr_count 0
		.amdhsa_exception_fp_ieee_invalid_op 0
		.amdhsa_exception_fp_denorm_src 0
		.amdhsa_exception_fp_ieee_div_zero 0
		.amdhsa_exception_fp_ieee_overflow 0
		.amdhsa_exception_fp_ieee_underflow 0
		.amdhsa_exception_fp_ieee_inexact 0
		.amdhsa_exception_int_div_zero 0
	.end_amdhsa_kernel
	.section	.text._ZN7rocprim17ROCPRIM_400000_NS6detail17trampoline_kernelINS0_14default_configENS1_29binary_search_config_selectorIfiEEZNS1_14transform_implILb0ES3_S5_N6thrust23THRUST_200600_302600_NS6detail15normal_iteratorINS8_7pointerIfNS8_11hip_rocprim5par_tENS8_11use_defaultESE_EEEENSA_INSB_IiSD_SE_SE_EEEEZNS1_13binary_searchIS3_S5_NSA_INS8_10device_ptrIfEEEESG_SI_NS1_16binary_search_opENS9_16wrapped_functionINS8_6system6detail7generic6detail18binary_search_lessEbEEEE10hipError_tPvRmT1_T2_T3_mmT4_T5_P12ihipStream_tbEUlRKfE_EESV_SZ_S10_mS11_S14_bEUlT_E_NS1_11comp_targetILNS1_3genE8ELNS1_11target_archE1030ELNS1_3gpuE2ELNS1_3repE0EEENS1_30default_config_static_selectorELNS0_4arch9wavefront6targetE0EEEvSY_,"axG",@progbits,_ZN7rocprim17ROCPRIM_400000_NS6detail17trampoline_kernelINS0_14default_configENS1_29binary_search_config_selectorIfiEEZNS1_14transform_implILb0ES3_S5_N6thrust23THRUST_200600_302600_NS6detail15normal_iteratorINS8_7pointerIfNS8_11hip_rocprim5par_tENS8_11use_defaultESE_EEEENSA_INSB_IiSD_SE_SE_EEEEZNS1_13binary_searchIS3_S5_NSA_INS8_10device_ptrIfEEEESG_SI_NS1_16binary_search_opENS9_16wrapped_functionINS8_6system6detail7generic6detail18binary_search_lessEbEEEE10hipError_tPvRmT1_T2_T3_mmT4_T5_P12ihipStream_tbEUlRKfE_EESV_SZ_S10_mS11_S14_bEUlT_E_NS1_11comp_targetILNS1_3genE8ELNS1_11target_archE1030ELNS1_3gpuE2ELNS1_3repE0EEENS1_30default_config_static_selectorELNS0_4arch9wavefront6targetE0EEEvSY_,comdat
.Lfunc_end661:
	.size	_ZN7rocprim17ROCPRIM_400000_NS6detail17trampoline_kernelINS0_14default_configENS1_29binary_search_config_selectorIfiEEZNS1_14transform_implILb0ES3_S5_N6thrust23THRUST_200600_302600_NS6detail15normal_iteratorINS8_7pointerIfNS8_11hip_rocprim5par_tENS8_11use_defaultESE_EEEENSA_INSB_IiSD_SE_SE_EEEEZNS1_13binary_searchIS3_S5_NSA_INS8_10device_ptrIfEEEESG_SI_NS1_16binary_search_opENS9_16wrapped_functionINS8_6system6detail7generic6detail18binary_search_lessEbEEEE10hipError_tPvRmT1_T2_T3_mmT4_T5_P12ihipStream_tbEUlRKfE_EESV_SZ_S10_mS11_S14_bEUlT_E_NS1_11comp_targetILNS1_3genE8ELNS1_11target_archE1030ELNS1_3gpuE2ELNS1_3repE0EEENS1_30default_config_static_selectorELNS0_4arch9wavefront6targetE0EEEvSY_, .Lfunc_end661-_ZN7rocprim17ROCPRIM_400000_NS6detail17trampoline_kernelINS0_14default_configENS1_29binary_search_config_selectorIfiEEZNS1_14transform_implILb0ES3_S5_N6thrust23THRUST_200600_302600_NS6detail15normal_iteratorINS8_7pointerIfNS8_11hip_rocprim5par_tENS8_11use_defaultESE_EEEENSA_INSB_IiSD_SE_SE_EEEEZNS1_13binary_searchIS3_S5_NSA_INS8_10device_ptrIfEEEESG_SI_NS1_16binary_search_opENS9_16wrapped_functionINS8_6system6detail7generic6detail18binary_search_lessEbEEEE10hipError_tPvRmT1_T2_T3_mmT4_T5_P12ihipStream_tbEUlRKfE_EESV_SZ_S10_mS11_S14_bEUlT_E_NS1_11comp_targetILNS1_3genE8ELNS1_11target_archE1030ELNS1_3gpuE2ELNS1_3repE0EEENS1_30default_config_static_selectorELNS0_4arch9wavefront6targetE0EEEvSY_
                                        ; -- End function
	.set _ZN7rocprim17ROCPRIM_400000_NS6detail17trampoline_kernelINS0_14default_configENS1_29binary_search_config_selectorIfiEEZNS1_14transform_implILb0ES3_S5_N6thrust23THRUST_200600_302600_NS6detail15normal_iteratorINS8_7pointerIfNS8_11hip_rocprim5par_tENS8_11use_defaultESE_EEEENSA_INSB_IiSD_SE_SE_EEEEZNS1_13binary_searchIS3_S5_NSA_INS8_10device_ptrIfEEEESG_SI_NS1_16binary_search_opENS9_16wrapped_functionINS8_6system6detail7generic6detail18binary_search_lessEbEEEE10hipError_tPvRmT1_T2_T3_mmT4_T5_P12ihipStream_tbEUlRKfE_EESV_SZ_S10_mS11_S14_bEUlT_E_NS1_11comp_targetILNS1_3genE8ELNS1_11target_archE1030ELNS1_3gpuE2ELNS1_3repE0EEENS1_30default_config_static_selectorELNS0_4arch9wavefront6targetE0EEEvSY_.num_vgpr, 12
	.set _ZN7rocprim17ROCPRIM_400000_NS6detail17trampoline_kernelINS0_14default_configENS1_29binary_search_config_selectorIfiEEZNS1_14transform_implILb0ES3_S5_N6thrust23THRUST_200600_302600_NS6detail15normal_iteratorINS8_7pointerIfNS8_11hip_rocprim5par_tENS8_11use_defaultESE_EEEENSA_INSB_IiSD_SE_SE_EEEEZNS1_13binary_searchIS3_S5_NSA_INS8_10device_ptrIfEEEESG_SI_NS1_16binary_search_opENS9_16wrapped_functionINS8_6system6detail7generic6detail18binary_search_lessEbEEEE10hipError_tPvRmT1_T2_T3_mmT4_T5_P12ihipStream_tbEUlRKfE_EESV_SZ_S10_mS11_S14_bEUlT_E_NS1_11comp_targetILNS1_3genE8ELNS1_11target_archE1030ELNS1_3gpuE2ELNS1_3repE0EEENS1_30default_config_static_selectorELNS0_4arch9wavefront6targetE0EEEvSY_.num_agpr, 0
	.set _ZN7rocprim17ROCPRIM_400000_NS6detail17trampoline_kernelINS0_14default_configENS1_29binary_search_config_selectorIfiEEZNS1_14transform_implILb0ES3_S5_N6thrust23THRUST_200600_302600_NS6detail15normal_iteratorINS8_7pointerIfNS8_11hip_rocprim5par_tENS8_11use_defaultESE_EEEENSA_INSB_IiSD_SE_SE_EEEEZNS1_13binary_searchIS3_S5_NSA_INS8_10device_ptrIfEEEESG_SI_NS1_16binary_search_opENS9_16wrapped_functionINS8_6system6detail7generic6detail18binary_search_lessEbEEEE10hipError_tPvRmT1_T2_T3_mmT4_T5_P12ihipStream_tbEUlRKfE_EESV_SZ_S10_mS11_S14_bEUlT_E_NS1_11comp_targetILNS1_3genE8ELNS1_11target_archE1030ELNS1_3gpuE2ELNS1_3repE0EEENS1_30default_config_static_selectorELNS0_4arch9wavefront6targetE0EEEvSY_.numbered_sgpr, 20
	.set _ZN7rocprim17ROCPRIM_400000_NS6detail17trampoline_kernelINS0_14default_configENS1_29binary_search_config_selectorIfiEEZNS1_14transform_implILb0ES3_S5_N6thrust23THRUST_200600_302600_NS6detail15normal_iteratorINS8_7pointerIfNS8_11hip_rocprim5par_tENS8_11use_defaultESE_EEEENSA_INSB_IiSD_SE_SE_EEEEZNS1_13binary_searchIS3_S5_NSA_INS8_10device_ptrIfEEEESG_SI_NS1_16binary_search_opENS9_16wrapped_functionINS8_6system6detail7generic6detail18binary_search_lessEbEEEE10hipError_tPvRmT1_T2_T3_mmT4_T5_P12ihipStream_tbEUlRKfE_EESV_SZ_S10_mS11_S14_bEUlT_E_NS1_11comp_targetILNS1_3genE8ELNS1_11target_archE1030ELNS1_3gpuE2ELNS1_3repE0EEENS1_30default_config_static_selectorELNS0_4arch9wavefront6targetE0EEEvSY_.num_named_barrier, 0
	.set _ZN7rocprim17ROCPRIM_400000_NS6detail17trampoline_kernelINS0_14default_configENS1_29binary_search_config_selectorIfiEEZNS1_14transform_implILb0ES3_S5_N6thrust23THRUST_200600_302600_NS6detail15normal_iteratorINS8_7pointerIfNS8_11hip_rocprim5par_tENS8_11use_defaultESE_EEEENSA_INSB_IiSD_SE_SE_EEEEZNS1_13binary_searchIS3_S5_NSA_INS8_10device_ptrIfEEEESG_SI_NS1_16binary_search_opENS9_16wrapped_functionINS8_6system6detail7generic6detail18binary_search_lessEbEEEE10hipError_tPvRmT1_T2_T3_mmT4_T5_P12ihipStream_tbEUlRKfE_EESV_SZ_S10_mS11_S14_bEUlT_E_NS1_11comp_targetILNS1_3genE8ELNS1_11target_archE1030ELNS1_3gpuE2ELNS1_3repE0EEENS1_30default_config_static_selectorELNS0_4arch9wavefront6targetE0EEEvSY_.private_seg_size, 0
	.set _ZN7rocprim17ROCPRIM_400000_NS6detail17trampoline_kernelINS0_14default_configENS1_29binary_search_config_selectorIfiEEZNS1_14transform_implILb0ES3_S5_N6thrust23THRUST_200600_302600_NS6detail15normal_iteratorINS8_7pointerIfNS8_11hip_rocprim5par_tENS8_11use_defaultESE_EEEENSA_INSB_IiSD_SE_SE_EEEEZNS1_13binary_searchIS3_S5_NSA_INS8_10device_ptrIfEEEESG_SI_NS1_16binary_search_opENS9_16wrapped_functionINS8_6system6detail7generic6detail18binary_search_lessEbEEEE10hipError_tPvRmT1_T2_T3_mmT4_T5_P12ihipStream_tbEUlRKfE_EESV_SZ_S10_mS11_S14_bEUlT_E_NS1_11comp_targetILNS1_3genE8ELNS1_11target_archE1030ELNS1_3gpuE2ELNS1_3repE0EEENS1_30default_config_static_selectorELNS0_4arch9wavefront6targetE0EEEvSY_.uses_vcc, 1
	.set _ZN7rocprim17ROCPRIM_400000_NS6detail17trampoline_kernelINS0_14default_configENS1_29binary_search_config_selectorIfiEEZNS1_14transform_implILb0ES3_S5_N6thrust23THRUST_200600_302600_NS6detail15normal_iteratorINS8_7pointerIfNS8_11hip_rocprim5par_tENS8_11use_defaultESE_EEEENSA_INSB_IiSD_SE_SE_EEEEZNS1_13binary_searchIS3_S5_NSA_INS8_10device_ptrIfEEEESG_SI_NS1_16binary_search_opENS9_16wrapped_functionINS8_6system6detail7generic6detail18binary_search_lessEbEEEE10hipError_tPvRmT1_T2_T3_mmT4_T5_P12ihipStream_tbEUlRKfE_EESV_SZ_S10_mS11_S14_bEUlT_E_NS1_11comp_targetILNS1_3genE8ELNS1_11target_archE1030ELNS1_3gpuE2ELNS1_3repE0EEENS1_30default_config_static_selectorELNS0_4arch9wavefront6targetE0EEEvSY_.uses_flat_scratch, 0
	.set _ZN7rocprim17ROCPRIM_400000_NS6detail17trampoline_kernelINS0_14default_configENS1_29binary_search_config_selectorIfiEEZNS1_14transform_implILb0ES3_S5_N6thrust23THRUST_200600_302600_NS6detail15normal_iteratorINS8_7pointerIfNS8_11hip_rocprim5par_tENS8_11use_defaultESE_EEEENSA_INSB_IiSD_SE_SE_EEEEZNS1_13binary_searchIS3_S5_NSA_INS8_10device_ptrIfEEEESG_SI_NS1_16binary_search_opENS9_16wrapped_functionINS8_6system6detail7generic6detail18binary_search_lessEbEEEE10hipError_tPvRmT1_T2_T3_mmT4_T5_P12ihipStream_tbEUlRKfE_EESV_SZ_S10_mS11_S14_bEUlT_E_NS1_11comp_targetILNS1_3genE8ELNS1_11target_archE1030ELNS1_3gpuE2ELNS1_3repE0EEENS1_30default_config_static_selectorELNS0_4arch9wavefront6targetE0EEEvSY_.has_dyn_sized_stack, 0
	.set _ZN7rocprim17ROCPRIM_400000_NS6detail17trampoline_kernelINS0_14default_configENS1_29binary_search_config_selectorIfiEEZNS1_14transform_implILb0ES3_S5_N6thrust23THRUST_200600_302600_NS6detail15normal_iteratorINS8_7pointerIfNS8_11hip_rocprim5par_tENS8_11use_defaultESE_EEEENSA_INSB_IiSD_SE_SE_EEEEZNS1_13binary_searchIS3_S5_NSA_INS8_10device_ptrIfEEEESG_SI_NS1_16binary_search_opENS9_16wrapped_functionINS8_6system6detail7generic6detail18binary_search_lessEbEEEE10hipError_tPvRmT1_T2_T3_mmT4_T5_P12ihipStream_tbEUlRKfE_EESV_SZ_S10_mS11_S14_bEUlT_E_NS1_11comp_targetILNS1_3genE8ELNS1_11target_archE1030ELNS1_3gpuE2ELNS1_3repE0EEENS1_30default_config_static_selectorELNS0_4arch9wavefront6targetE0EEEvSY_.has_recursion, 0
	.set _ZN7rocprim17ROCPRIM_400000_NS6detail17trampoline_kernelINS0_14default_configENS1_29binary_search_config_selectorIfiEEZNS1_14transform_implILb0ES3_S5_N6thrust23THRUST_200600_302600_NS6detail15normal_iteratorINS8_7pointerIfNS8_11hip_rocprim5par_tENS8_11use_defaultESE_EEEENSA_INSB_IiSD_SE_SE_EEEEZNS1_13binary_searchIS3_S5_NSA_INS8_10device_ptrIfEEEESG_SI_NS1_16binary_search_opENS9_16wrapped_functionINS8_6system6detail7generic6detail18binary_search_lessEbEEEE10hipError_tPvRmT1_T2_T3_mmT4_T5_P12ihipStream_tbEUlRKfE_EESV_SZ_S10_mS11_S14_bEUlT_E_NS1_11comp_targetILNS1_3genE8ELNS1_11target_archE1030ELNS1_3gpuE2ELNS1_3repE0EEENS1_30default_config_static_selectorELNS0_4arch9wavefront6targetE0EEEvSY_.has_indirect_call, 0
	.section	.AMDGPU.csdata,"",@progbits
; Kernel info:
; codeLenInByte = 860
; TotalNumSgprs: 22
; NumVgprs: 12
; ScratchSize: 0
; MemoryBound: 0
; FloatMode: 240
; IeeeMode: 1
; LDSByteSize: 0 bytes/workgroup (compile time only)
; SGPRBlocks: 0
; VGPRBlocks: 1
; NumSGPRsForWavesPerEU: 22
; NumVGPRsForWavesPerEU: 12
; Occupancy: 16
; WaveLimiterHint : 0
; COMPUTE_PGM_RSRC2:SCRATCH_EN: 0
; COMPUTE_PGM_RSRC2:USER_SGPR: 6
; COMPUTE_PGM_RSRC2:TRAP_HANDLER: 0
; COMPUTE_PGM_RSRC2:TGID_X_EN: 1
; COMPUTE_PGM_RSRC2:TGID_Y_EN: 0
; COMPUTE_PGM_RSRC2:TGID_Z_EN: 0
; COMPUTE_PGM_RSRC2:TIDIG_COMP_CNT: 0
	.section	.text._ZN7rocprim17ROCPRIM_400000_NS6detail17trampoline_kernelINS0_14default_configENS1_29binary_search_config_selectorIyiEEZNS1_14transform_implILb0ES3_S5_N6thrust23THRUST_200600_302600_NS6detail15normal_iteratorINS8_7pointerIyNS8_11hip_rocprim5par_tENS8_11use_defaultESE_EEEENSA_INSB_IiSD_SE_SE_EEEEZNS1_13binary_searchIS3_S5_NSA_INS8_10device_ptrIyEEEESG_SI_NS1_16binary_search_opENS9_16wrapped_functionINS8_6system6detail7generic6detail18binary_search_lessEbEEEE10hipError_tPvRmT1_T2_T3_mmT4_T5_P12ihipStream_tbEUlRKyE_EESV_SZ_S10_mS11_S14_bEUlT_E_NS1_11comp_targetILNS1_3genE0ELNS1_11target_archE4294967295ELNS1_3gpuE0ELNS1_3repE0EEENS1_30default_config_static_selectorELNS0_4arch9wavefront6targetE0EEEvSY_,"axG",@progbits,_ZN7rocprim17ROCPRIM_400000_NS6detail17trampoline_kernelINS0_14default_configENS1_29binary_search_config_selectorIyiEEZNS1_14transform_implILb0ES3_S5_N6thrust23THRUST_200600_302600_NS6detail15normal_iteratorINS8_7pointerIyNS8_11hip_rocprim5par_tENS8_11use_defaultESE_EEEENSA_INSB_IiSD_SE_SE_EEEEZNS1_13binary_searchIS3_S5_NSA_INS8_10device_ptrIyEEEESG_SI_NS1_16binary_search_opENS9_16wrapped_functionINS8_6system6detail7generic6detail18binary_search_lessEbEEEE10hipError_tPvRmT1_T2_T3_mmT4_T5_P12ihipStream_tbEUlRKyE_EESV_SZ_S10_mS11_S14_bEUlT_E_NS1_11comp_targetILNS1_3genE0ELNS1_11target_archE4294967295ELNS1_3gpuE0ELNS1_3repE0EEENS1_30default_config_static_selectorELNS0_4arch9wavefront6targetE0EEEvSY_,comdat
	.protected	_ZN7rocprim17ROCPRIM_400000_NS6detail17trampoline_kernelINS0_14default_configENS1_29binary_search_config_selectorIyiEEZNS1_14transform_implILb0ES3_S5_N6thrust23THRUST_200600_302600_NS6detail15normal_iteratorINS8_7pointerIyNS8_11hip_rocprim5par_tENS8_11use_defaultESE_EEEENSA_INSB_IiSD_SE_SE_EEEEZNS1_13binary_searchIS3_S5_NSA_INS8_10device_ptrIyEEEESG_SI_NS1_16binary_search_opENS9_16wrapped_functionINS8_6system6detail7generic6detail18binary_search_lessEbEEEE10hipError_tPvRmT1_T2_T3_mmT4_T5_P12ihipStream_tbEUlRKyE_EESV_SZ_S10_mS11_S14_bEUlT_E_NS1_11comp_targetILNS1_3genE0ELNS1_11target_archE4294967295ELNS1_3gpuE0ELNS1_3repE0EEENS1_30default_config_static_selectorELNS0_4arch9wavefront6targetE0EEEvSY_ ; -- Begin function _ZN7rocprim17ROCPRIM_400000_NS6detail17trampoline_kernelINS0_14default_configENS1_29binary_search_config_selectorIyiEEZNS1_14transform_implILb0ES3_S5_N6thrust23THRUST_200600_302600_NS6detail15normal_iteratorINS8_7pointerIyNS8_11hip_rocprim5par_tENS8_11use_defaultESE_EEEENSA_INSB_IiSD_SE_SE_EEEEZNS1_13binary_searchIS3_S5_NSA_INS8_10device_ptrIyEEEESG_SI_NS1_16binary_search_opENS9_16wrapped_functionINS8_6system6detail7generic6detail18binary_search_lessEbEEEE10hipError_tPvRmT1_T2_T3_mmT4_T5_P12ihipStream_tbEUlRKyE_EESV_SZ_S10_mS11_S14_bEUlT_E_NS1_11comp_targetILNS1_3genE0ELNS1_11target_archE4294967295ELNS1_3gpuE0ELNS1_3repE0EEENS1_30default_config_static_selectorELNS0_4arch9wavefront6targetE0EEEvSY_
	.globl	_ZN7rocprim17ROCPRIM_400000_NS6detail17trampoline_kernelINS0_14default_configENS1_29binary_search_config_selectorIyiEEZNS1_14transform_implILb0ES3_S5_N6thrust23THRUST_200600_302600_NS6detail15normal_iteratorINS8_7pointerIyNS8_11hip_rocprim5par_tENS8_11use_defaultESE_EEEENSA_INSB_IiSD_SE_SE_EEEEZNS1_13binary_searchIS3_S5_NSA_INS8_10device_ptrIyEEEESG_SI_NS1_16binary_search_opENS9_16wrapped_functionINS8_6system6detail7generic6detail18binary_search_lessEbEEEE10hipError_tPvRmT1_T2_T3_mmT4_T5_P12ihipStream_tbEUlRKyE_EESV_SZ_S10_mS11_S14_bEUlT_E_NS1_11comp_targetILNS1_3genE0ELNS1_11target_archE4294967295ELNS1_3gpuE0ELNS1_3repE0EEENS1_30default_config_static_selectorELNS0_4arch9wavefront6targetE0EEEvSY_
	.p2align	8
	.type	_ZN7rocprim17ROCPRIM_400000_NS6detail17trampoline_kernelINS0_14default_configENS1_29binary_search_config_selectorIyiEEZNS1_14transform_implILb0ES3_S5_N6thrust23THRUST_200600_302600_NS6detail15normal_iteratorINS8_7pointerIyNS8_11hip_rocprim5par_tENS8_11use_defaultESE_EEEENSA_INSB_IiSD_SE_SE_EEEEZNS1_13binary_searchIS3_S5_NSA_INS8_10device_ptrIyEEEESG_SI_NS1_16binary_search_opENS9_16wrapped_functionINS8_6system6detail7generic6detail18binary_search_lessEbEEEE10hipError_tPvRmT1_T2_T3_mmT4_T5_P12ihipStream_tbEUlRKyE_EESV_SZ_S10_mS11_S14_bEUlT_E_NS1_11comp_targetILNS1_3genE0ELNS1_11target_archE4294967295ELNS1_3gpuE0ELNS1_3repE0EEENS1_30default_config_static_selectorELNS0_4arch9wavefront6targetE0EEEvSY_,@function
_ZN7rocprim17ROCPRIM_400000_NS6detail17trampoline_kernelINS0_14default_configENS1_29binary_search_config_selectorIyiEEZNS1_14transform_implILb0ES3_S5_N6thrust23THRUST_200600_302600_NS6detail15normal_iteratorINS8_7pointerIyNS8_11hip_rocprim5par_tENS8_11use_defaultESE_EEEENSA_INSB_IiSD_SE_SE_EEEEZNS1_13binary_searchIS3_S5_NSA_INS8_10device_ptrIyEEEESG_SI_NS1_16binary_search_opENS9_16wrapped_functionINS8_6system6detail7generic6detail18binary_search_lessEbEEEE10hipError_tPvRmT1_T2_T3_mmT4_T5_P12ihipStream_tbEUlRKyE_EESV_SZ_S10_mS11_S14_bEUlT_E_NS1_11comp_targetILNS1_3genE0ELNS1_11target_archE4294967295ELNS1_3gpuE0ELNS1_3repE0EEENS1_30default_config_static_selectorELNS0_4arch9wavefront6targetE0EEEvSY_: ; @_ZN7rocprim17ROCPRIM_400000_NS6detail17trampoline_kernelINS0_14default_configENS1_29binary_search_config_selectorIyiEEZNS1_14transform_implILb0ES3_S5_N6thrust23THRUST_200600_302600_NS6detail15normal_iteratorINS8_7pointerIyNS8_11hip_rocprim5par_tENS8_11use_defaultESE_EEEENSA_INSB_IiSD_SE_SE_EEEEZNS1_13binary_searchIS3_S5_NSA_INS8_10device_ptrIyEEEESG_SI_NS1_16binary_search_opENS9_16wrapped_functionINS8_6system6detail7generic6detail18binary_search_lessEbEEEE10hipError_tPvRmT1_T2_T3_mmT4_T5_P12ihipStream_tbEUlRKyE_EESV_SZ_S10_mS11_S14_bEUlT_E_NS1_11comp_targetILNS1_3genE0ELNS1_11target_archE4294967295ELNS1_3gpuE0ELNS1_3repE0EEENS1_30default_config_static_selectorELNS0_4arch9wavefront6targetE0EEEvSY_
; %bb.0:
	.section	.rodata,"a",@progbits
	.p2align	6, 0x0
	.amdhsa_kernel _ZN7rocprim17ROCPRIM_400000_NS6detail17trampoline_kernelINS0_14default_configENS1_29binary_search_config_selectorIyiEEZNS1_14transform_implILb0ES3_S5_N6thrust23THRUST_200600_302600_NS6detail15normal_iteratorINS8_7pointerIyNS8_11hip_rocprim5par_tENS8_11use_defaultESE_EEEENSA_INSB_IiSD_SE_SE_EEEEZNS1_13binary_searchIS3_S5_NSA_INS8_10device_ptrIyEEEESG_SI_NS1_16binary_search_opENS9_16wrapped_functionINS8_6system6detail7generic6detail18binary_search_lessEbEEEE10hipError_tPvRmT1_T2_T3_mmT4_T5_P12ihipStream_tbEUlRKyE_EESV_SZ_S10_mS11_S14_bEUlT_E_NS1_11comp_targetILNS1_3genE0ELNS1_11target_archE4294967295ELNS1_3gpuE0ELNS1_3repE0EEENS1_30default_config_static_selectorELNS0_4arch9wavefront6targetE0EEEvSY_
		.amdhsa_group_segment_fixed_size 0
		.amdhsa_private_segment_fixed_size 0
		.amdhsa_kernarg_size 56
		.amdhsa_user_sgpr_count 6
		.amdhsa_user_sgpr_private_segment_buffer 1
		.amdhsa_user_sgpr_dispatch_ptr 0
		.amdhsa_user_sgpr_queue_ptr 0
		.amdhsa_user_sgpr_kernarg_segment_ptr 1
		.amdhsa_user_sgpr_dispatch_id 0
		.amdhsa_user_sgpr_flat_scratch_init 0
		.amdhsa_user_sgpr_private_segment_size 0
		.amdhsa_wavefront_size32 1
		.amdhsa_uses_dynamic_stack 0
		.amdhsa_system_sgpr_private_segment_wavefront_offset 0
		.amdhsa_system_sgpr_workgroup_id_x 1
		.amdhsa_system_sgpr_workgroup_id_y 0
		.amdhsa_system_sgpr_workgroup_id_z 0
		.amdhsa_system_sgpr_workgroup_info 0
		.amdhsa_system_vgpr_workitem_id 0
		.amdhsa_next_free_vgpr 1
		.amdhsa_next_free_sgpr 1
		.amdhsa_reserve_vcc 0
		.amdhsa_reserve_flat_scratch 0
		.amdhsa_float_round_mode_32 0
		.amdhsa_float_round_mode_16_64 0
		.amdhsa_float_denorm_mode_32 3
		.amdhsa_float_denorm_mode_16_64 3
		.amdhsa_dx10_clamp 1
		.amdhsa_ieee_mode 1
		.amdhsa_fp16_overflow 0
		.amdhsa_workgroup_processor_mode 1
		.amdhsa_memory_ordered 1
		.amdhsa_forward_progress 1
		.amdhsa_shared_vgpr_count 0
		.amdhsa_exception_fp_ieee_invalid_op 0
		.amdhsa_exception_fp_denorm_src 0
		.amdhsa_exception_fp_ieee_div_zero 0
		.amdhsa_exception_fp_ieee_overflow 0
		.amdhsa_exception_fp_ieee_underflow 0
		.amdhsa_exception_fp_ieee_inexact 0
		.amdhsa_exception_int_div_zero 0
	.end_amdhsa_kernel
	.section	.text._ZN7rocprim17ROCPRIM_400000_NS6detail17trampoline_kernelINS0_14default_configENS1_29binary_search_config_selectorIyiEEZNS1_14transform_implILb0ES3_S5_N6thrust23THRUST_200600_302600_NS6detail15normal_iteratorINS8_7pointerIyNS8_11hip_rocprim5par_tENS8_11use_defaultESE_EEEENSA_INSB_IiSD_SE_SE_EEEEZNS1_13binary_searchIS3_S5_NSA_INS8_10device_ptrIyEEEESG_SI_NS1_16binary_search_opENS9_16wrapped_functionINS8_6system6detail7generic6detail18binary_search_lessEbEEEE10hipError_tPvRmT1_T2_T3_mmT4_T5_P12ihipStream_tbEUlRKyE_EESV_SZ_S10_mS11_S14_bEUlT_E_NS1_11comp_targetILNS1_3genE0ELNS1_11target_archE4294967295ELNS1_3gpuE0ELNS1_3repE0EEENS1_30default_config_static_selectorELNS0_4arch9wavefront6targetE0EEEvSY_,"axG",@progbits,_ZN7rocprim17ROCPRIM_400000_NS6detail17trampoline_kernelINS0_14default_configENS1_29binary_search_config_selectorIyiEEZNS1_14transform_implILb0ES3_S5_N6thrust23THRUST_200600_302600_NS6detail15normal_iteratorINS8_7pointerIyNS8_11hip_rocprim5par_tENS8_11use_defaultESE_EEEENSA_INSB_IiSD_SE_SE_EEEEZNS1_13binary_searchIS3_S5_NSA_INS8_10device_ptrIyEEEESG_SI_NS1_16binary_search_opENS9_16wrapped_functionINS8_6system6detail7generic6detail18binary_search_lessEbEEEE10hipError_tPvRmT1_T2_T3_mmT4_T5_P12ihipStream_tbEUlRKyE_EESV_SZ_S10_mS11_S14_bEUlT_E_NS1_11comp_targetILNS1_3genE0ELNS1_11target_archE4294967295ELNS1_3gpuE0ELNS1_3repE0EEENS1_30default_config_static_selectorELNS0_4arch9wavefront6targetE0EEEvSY_,comdat
.Lfunc_end662:
	.size	_ZN7rocprim17ROCPRIM_400000_NS6detail17trampoline_kernelINS0_14default_configENS1_29binary_search_config_selectorIyiEEZNS1_14transform_implILb0ES3_S5_N6thrust23THRUST_200600_302600_NS6detail15normal_iteratorINS8_7pointerIyNS8_11hip_rocprim5par_tENS8_11use_defaultESE_EEEENSA_INSB_IiSD_SE_SE_EEEEZNS1_13binary_searchIS3_S5_NSA_INS8_10device_ptrIyEEEESG_SI_NS1_16binary_search_opENS9_16wrapped_functionINS8_6system6detail7generic6detail18binary_search_lessEbEEEE10hipError_tPvRmT1_T2_T3_mmT4_T5_P12ihipStream_tbEUlRKyE_EESV_SZ_S10_mS11_S14_bEUlT_E_NS1_11comp_targetILNS1_3genE0ELNS1_11target_archE4294967295ELNS1_3gpuE0ELNS1_3repE0EEENS1_30default_config_static_selectorELNS0_4arch9wavefront6targetE0EEEvSY_, .Lfunc_end662-_ZN7rocprim17ROCPRIM_400000_NS6detail17trampoline_kernelINS0_14default_configENS1_29binary_search_config_selectorIyiEEZNS1_14transform_implILb0ES3_S5_N6thrust23THRUST_200600_302600_NS6detail15normal_iteratorINS8_7pointerIyNS8_11hip_rocprim5par_tENS8_11use_defaultESE_EEEENSA_INSB_IiSD_SE_SE_EEEEZNS1_13binary_searchIS3_S5_NSA_INS8_10device_ptrIyEEEESG_SI_NS1_16binary_search_opENS9_16wrapped_functionINS8_6system6detail7generic6detail18binary_search_lessEbEEEE10hipError_tPvRmT1_T2_T3_mmT4_T5_P12ihipStream_tbEUlRKyE_EESV_SZ_S10_mS11_S14_bEUlT_E_NS1_11comp_targetILNS1_3genE0ELNS1_11target_archE4294967295ELNS1_3gpuE0ELNS1_3repE0EEENS1_30default_config_static_selectorELNS0_4arch9wavefront6targetE0EEEvSY_
                                        ; -- End function
	.set _ZN7rocprim17ROCPRIM_400000_NS6detail17trampoline_kernelINS0_14default_configENS1_29binary_search_config_selectorIyiEEZNS1_14transform_implILb0ES3_S5_N6thrust23THRUST_200600_302600_NS6detail15normal_iteratorINS8_7pointerIyNS8_11hip_rocprim5par_tENS8_11use_defaultESE_EEEENSA_INSB_IiSD_SE_SE_EEEEZNS1_13binary_searchIS3_S5_NSA_INS8_10device_ptrIyEEEESG_SI_NS1_16binary_search_opENS9_16wrapped_functionINS8_6system6detail7generic6detail18binary_search_lessEbEEEE10hipError_tPvRmT1_T2_T3_mmT4_T5_P12ihipStream_tbEUlRKyE_EESV_SZ_S10_mS11_S14_bEUlT_E_NS1_11comp_targetILNS1_3genE0ELNS1_11target_archE4294967295ELNS1_3gpuE0ELNS1_3repE0EEENS1_30default_config_static_selectorELNS0_4arch9wavefront6targetE0EEEvSY_.num_vgpr, 0
	.set _ZN7rocprim17ROCPRIM_400000_NS6detail17trampoline_kernelINS0_14default_configENS1_29binary_search_config_selectorIyiEEZNS1_14transform_implILb0ES3_S5_N6thrust23THRUST_200600_302600_NS6detail15normal_iteratorINS8_7pointerIyNS8_11hip_rocprim5par_tENS8_11use_defaultESE_EEEENSA_INSB_IiSD_SE_SE_EEEEZNS1_13binary_searchIS3_S5_NSA_INS8_10device_ptrIyEEEESG_SI_NS1_16binary_search_opENS9_16wrapped_functionINS8_6system6detail7generic6detail18binary_search_lessEbEEEE10hipError_tPvRmT1_T2_T3_mmT4_T5_P12ihipStream_tbEUlRKyE_EESV_SZ_S10_mS11_S14_bEUlT_E_NS1_11comp_targetILNS1_3genE0ELNS1_11target_archE4294967295ELNS1_3gpuE0ELNS1_3repE0EEENS1_30default_config_static_selectorELNS0_4arch9wavefront6targetE0EEEvSY_.num_agpr, 0
	.set _ZN7rocprim17ROCPRIM_400000_NS6detail17trampoline_kernelINS0_14default_configENS1_29binary_search_config_selectorIyiEEZNS1_14transform_implILb0ES3_S5_N6thrust23THRUST_200600_302600_NS6detail15normal_iteratorINS8_7pointerIyNS8_11hip_rocprim5par_tENS8_11use_defaultESE_EEEENSA_INSB_IiSD_SE_SE_EEEEZNS1_13binary_searchIS3_S5_NSA_INS8_10device_ptrIyEEEESG_SI_NS1_16binary_search_opENS9_16wrapped_functionINS8_6system6detail7generic6detail18binary_search_lessEbEEEE10hipError_tPvRmT1_T2_T3_mmT4_T5_P12ihipStream_tbEUlRKyE_EESV_SZ_S10_mS11_S14_bEUlT_E_NS1_11comp_targetILNS1_3genE0ELNS1_11target_archE4294967295ELNS1_3gpuE0ELNS1_3repE0EEENS1_30default_config_static_selectorELNS0_4arch9wavefront6targetE0EEEvSY_.numbered_sgpr, 0
	.set _ZN7rocprim17ROCPRIM_400000_NS6detail17trampoline_kernelINS0_14default_configENS1_29binary_search_config_selectorIyiEEZNS1_14transform_implILb0ES3_S5_N6thrust23THRUST_200600_302600_NS6detail15normal_iteratorINS8_7pointerIyNS8_11hip_rocprim5par_tENS8_11use_defaultESE_EEEENSA_INSB_IiSD_SE_SE_EEEEZNS1_13binary_searchIS3_S5_NSA_INS8_10device_ptrIyEEEESG_SI_NS1_16binary_search_opENS9_16wrapped_functionINS8_6system6detail7generic6detail18binary_search_lessEbEEEE10hipError_tPvRmT1_T2_T3_mmT4_T5_P12ihipStream_tbEUlRKyE_EESV_SZ_S10_mS11_S14_bEUlT_E_NS1_11comp_targetILNS1_3genE0ELNS1_11target_archE4294967295ELNS1_3gpuE0ELNS1_3repE0EEENS1_30default_config_static_selectorELNS0_4arch9wavefront6targetE0EEEvSY_.num_named_barrier, 0
	.set _ZN7rocprim17ROCPRIM_400000_NS6detail17trampoline_kernelINS0_14default_configENS1_29binary_search_config_selectorIyiEEZNS1_14transform_implILb0ES3_S5_N6thrust23THRUST_200600_302600_NS6detail15normal_iteratorINS8_7pointerIyNS8_11hip_rocprim5par_tENS8_11use_defaultESE_EEEENSA_INSB_IiSD_SE_SE_EEEEZNS1_13binary_searchIS3_S5_NSA_INS8_10device_ptrIyEEEESG_SI_NS1_16binary_search_opENS9_16wrapped_functionINS8_6system6detail7generic6detail18binary_search_lessEbEEEE10hipError_tPvRmT1_T2_T3_mmT4_T5_P12ihipStream_tbEUlRKyE_EESV_SZ_S10_mS11_S14_bEUlT_E_NS1_11comp_targetILNS1_3genE0ELNS1_11target_archE4294967295ELNS1_3gpuE0ELNS1_3repE0EEENS1_30default_config_static_selectorELNS0_4arch9wavefront6targetE0EEEvSY_.private_seg_size, 0
	.set _ZN7rocprim17ROCPRIM_400000_NS6detail17trampoline_kernelINS0_14default_configENS1_29binary_search_config_selectorIyiEEZNS1_14transform_implILb0ES3_S5_N6thrust23THRUST_200600_302600_NS6detail15normal_iteratorINS8_7pointerIyNS8_11hip_rocprim5par_tENS8_11use_defaultESE_EEEENSA_INSB_IiSD_SE_SE_EEEEZNS1_13binary_searchIS3_S5_NSA_INS8_10device_ptrIyEEEESG_SI_NS1_16binary_search_opENS9_16wrapped_functionINS8_6system6detail7generic6detail18binary_search_lessEbEEEE10hipError_tPvRmT1_T2_T3_mmT4_T5_P12ihipStream_tbEUlRKyE_EESV_SZ_S10_mS11_S14_bEUlT_E_NS1_11comp_targetILNS1_3genE0ELNS1_11target_archE4294967295ELNS1_3gpuE0ELNS1_3repE0EEENS1_30default_config_static_selectorELNS0_4arch9wavefront6targetE0EEEvSY_.uses_vcc, 0
	.set _ZN7rocprim17ROCPRIM_400000_NS6detail17trampoline_kernelINS0_14default_configENS1_29binary_search_config_selectorIyiEEZNS1_14transform_implILb0ES3_S5_N6thrust23THRUST_200600_302600_NS6detail15normal_iteratorINS8_7pointerIyNS8_11hip_rocprim5par_tENS8_11use_defaultESE_EEEENSA_INSB_IiSD_SE_SE_EEEEZNS1_13binary_searchIS3_S5_NSA_INS8_10device_ptrIyEEEESG_SI_NS1_16binary_search_opENS9_16wrapped_functionINS8_6system6detail7generic6detail18binary_search_lessEbEEEE10hipError_tPvRmT1_T2_T3_mmT4_T5_P12ihipStream_tbEUlRKyE_EESV_SZ_S10_mS11_S14_bEUlT_E_NS1_11comp_targetILNS1_3genE0ELNS1_11target_archE4294967295ELNS1_3gpuE0ELNS1_3repE0EEENS1_30default_config_static_selectorELNS0_4arch9wavefront6targetE0EEEvSY_.uses_flat_scratch, 0
	.set _ZN7rocprim17ROCPRIM_400000_NS6detail17trampoline_kernelINS0_14default_configENS1_29binary_search_config_selectorIyiEEZNS1_14transform_implILb0ES3_S5_N6thrust23THRUST_200600_302600_NS6detail15normal_iteratorINS8_7pointerIyNS8_11hip_rocprim5par_tENS8_11use_defaultESE_EEEENSA_INSB_IiSD_SE_SE_EEEEZNS1_13binary_searchIS3_S5_NSA_INS8_10device_ptrIyEEEESG_SI_NS1_16binary_search_opENS9_16wrapped_functionINS8_6system6detail7generic6detail18binary_search_lessEbEEEE10hipError_tPvRmT1_T2_T3_mmT4_T5_P12ihipStream_tbEUlRKyE_EESV_SZ_S10_mS11_S14_bEUlT_E_NS1_11comp_targetILNS1_3genE0ELNS1_11target_archE4294967295ELNS1_3gpuE0ELNS1_3repE0EEENS1_30default_config_static_selectorELNS0_4arch9wavefront6targetE0EEEvSY_.has_dyn_sized_stack, 0
	.set _ZN7rocprim17ROCPRIM_400000_NS6detail17trampoline_kernelINS0_14default_configENS1_29binary_search_config_selectorIyiEEZNS1_14transform_implILb0ES3_S5_N6thrust23THRUST_200600_302600_NS6detail15normal_iteratorINS8_7pointerIyNS8_11hip_rocprim5par_tENS8_11use_defaultESE_EEEENSA_INSB_IiSD_SE_SE_EEEEZNS1_13binary_searchIS3_S5_NSA_INS8_10device_ptrIyEEEESG_SI_NS1_16binary_search_opENS9_16wrapped_functionINS8_6system6detail7generic6detail18binary_search_lessEbEEEE10hipError_tPvRmT1_T2_T3_mmT4_T5_P12ihipStream_tbEUlRKyE_EESV_SZ_S10_mS11_S14_bEUlT_E_NS1_11comp_targetILNS1_3genE0ELNS1_11target_archE4294967295ELNS1_3gpuE0ELNS1_3repE0EEENS1_30default_config_static_selectorELNS0_4arch9wavefront6targetE0EEEvSY_.has_recursion, 0
	.set _ZN7rocprim17ROCPRIM_400000_NS6detail17trampoline_kernelINS0_14default_configENS1_29binary_search_config_selectorIyiEEZNS1_14transform_implILb0ES3_S5_N6thrust23THRUST_200600_302600_NS6detail15normal_iteratorINS8_7pointerIyNS8_11hip_rocprim5par_tENS8_11use_defaultESE_EEEENSA_INSB_IiSD_SE_SE_EEEEZNS1_13binary_searchIS3_S5_NSA_INS8_10device_ptrIyEEEESG_SI_NS1_16binary_search_opENS9_16wrapped_functionINS8_6system6detail7generic6detail18binary_search_lessEbEEEE10hipError_tPvRmT1_T2_T3_mmT4_T5_P12ihipStream_tbEUlRKyE_EESV_SZ_S10_mS11_S14_bEUlT_E_NS1_11comp_targetILNS1_3genE0ELNS1_11target_archE4294967295ELNS1_3gpuE0ELNS1_3repE0EEENS1_30default_config_static_selectorELNS0_4arch9wavefront6targetE0EEEvSY_.has_indirect_call, 0
	.section	.AMDGPU.csdata,"",@progbits
; Kernel info:
; codeLenInByte = 0
; TotalNumSgprs: 0
; NumVgprs: 0
; ScratchSize: 0
; MemoryBound: 0
; FloatMode: 240
; IeeeMode: 1
; LDSByteSize: 0 bytes/workgroup (compile time only)
; SGPRBlocks: 0
; VGPRBlocks: 0
; NumSGPRsForWavesPerEU: 1
; NumVGPRsForWavesPerEU: 1
; Occupancy: 16
; WaveLimiterHint : 0
; COMPUTE_PGM_RSRC2:SCRATCH_EN: 0
; COMPUTE_PGM_RSRC2:USER_SGPR: 6
; COMPUTE_PGM_RSRC2:TRAP_HANDLER: 0
; COMPUTE_PGM_RSRC2:TGID_X_EN: 1
; COMPUTE_PGM_RSRC2:TGID_Y_EN: 0
; COMPUTE_PGM_RSRC2:TGID_Z_EN: 0
; COMPUTE_PGM_RSRC2:TIDIG_COMP_CNT: 0
	.section	.text._ZN7rocprim17ROCPRIM_400000_NS6detail17trampoline_kernelINS0_14default_configENS1_29binary_search_config_selectorIyiEEZNS1_14transform_implILb0ES3_S5_N6thrust23THRUST_200600_302600_NS6detail15normal_iteratorINS8_7pointerIyNS8_11hip_rocprim5par_tENS8_11use_defaultESE_EEEENSA_INSB_IiSD_SE_SE_EEEEZNS1_13binary_searchIS3_S5_NSA_INS8_10device_ptrIyEEEESG_SI_NS1_16binary_search_opENS9_16wrapped_functionINS8_6system6detail7generic6detail18binary_search_lessEbEEEE10hipError_tPvRmT1_T2_T3_mmT4_T5_P12ihipStream_tbEUlRKyE_EESV_SZ_S10_mS11_S14_bEUlT_E_NS1_11comp_targetILNS1_3genE5ELNS1_11target_archE942ELNS1_3gpuE9ELNS1_3repE0EEENS1_30default_config_static_selectorELNS0_4arch9wavefront6targetE0EEEvSY_,"axG",@progbits,_ZN7rocprim17ROCPRIM_400000_NS6detail17trampoline_kernelINS0_14default_configENS1_29binary_search_config_selectorIyiEEZNS1_14transform_implILb0ES3_S5_N6thrust23THRUST_200600_302600_NS6detail15normal_iteratorINS8_7pointerIyNS8_11hip_rocprim5par_tENS8_11use_defaultESE_EEEENSA_INSB_IiSD_SE_SE_EEEEZNS1_13binary_searchIS3_S5_NSA_INS8_10device_ptrIyEEEESG_SI_NS1_16binary_search_opENS9_16wrapped_functionINS8_6system6detail7generic6detail18binary_search_lessEbEEEE10hipError_tPvRmT1_T2_T3_mmT4_T5_P12ihipStream_tbEUlRKyE_EESV_SZ_S10_mS11_S14_bEUlT_E_NS1_11comp_targetILNS1_3genE5ELNS1_11target_archE942ELNS1_3gpuE9ELNS1_3repE0EEENS1_30default_config_static_selectorELNS0_4arch9wavefront6targetE0EEEvSY_,comdat
	.protected	_ZN7rocprim17ROCPRIM_400000_NS6detail17trampoline_kernelINS0_14default_configENS1_29binary_search_config_selectorIyiEEZNS1_14transform_implILb0ES3_S5_N6thrust23THRUST_200600_302600_NS6detail15normal_iteratorINS8_7pointerIyNS8_11hip_rocprim5par_tENS8_11use_defaultESE_EEEENSA_INSB_IiSD_SE_SE_EEEEZNS1_13binary_searchIS3_S5_NSA_INS8_10device_ptrIyEEEESG_SI_NS1_16binary_search_opENS9_16wrapped_functionINS8_6system6detail7generic6detail18binary_search_lessEbEEEE10hipError_tPvRmT1_T2_T3_mmT4_T5_P12ihipStream_tbEUlRKyE_EESV_SZ_S10_mS11_S14_bEUlT_E_NS1_11comp_targetILNS1_3genE5ELNS1_11target_archE942ELNS1_3gpuE9ELNS1_3repE0EEENS1_30default_config_static_selectorELNS0_4arch9wavefront6targetE0EEEvSY_ ; -- Begin function _ZN7rocprim17ROCPRIM_400000_NS6detail17trampoline_kernelINS0_14default_configENS1_29binary_search_config_selectorIyiEEZNS1_14transform_implILb0ES3_S5_N6thrust23THRUST_200600_302600_NS6detail15normal_iteratorINS8_7pointerIyNS8_11hip_rocprim5par_tENS8_11use_defaultESE_EEEENSA_INSB_IiSD_SE_SE_EEEEZNS1_13binary_searchIS3_S5_NSA_INS8_10device_ptrIyEEEESG_SI_NS1_16binary_search_opENS9_16wrapped_functionINS8_6system6detail7generic6detail18binary_search_lessEbEEEE10hipError_tPvRmT1_T2_T3_mmT4_T5_P12ihipStream_tbEUlRKyE_EESV_SZ_S10_mS11_S14_bEUlT_E_NS1_11comp_targetILNS1_3genE5ELNS1_11target_archE942ELNS1_3gpuE9ELNS1_3repE0EEENS1_30default_config_static_selectorELNS0_4arch9wavefront6targetE0EEEvSY_
	.globl	_ZN7rocprim17ROCPRIM_400000_NS6detail17trampoline_kernelINS0_14default_configENS1_29binary_search_config_selectorIyiEEZNS1_14transform_implILb0ES3_S5_N6thrust23THRUST_200600_302600_NS6detail15normal_iteratorINS8_7pointerIyNS8_11hip_rocprim5par_tENS8_11use_defaultESE_EEEENSA_INSB_IiSD_SE_SE_EEEEZNS1_13binary_searchIS3_S5_NSA_INS8_10device_ptrIyEEEESG_SI_NS1_16binary_search_opENS9_16wrapped_functionINS8_6system6detail7generic6detail18binary_search_lessEbEEEE10hipError_tPvRmT1_T2_T3_mmT4_T5_P12ihipStream_tbEUlRKyE_EESV_SZ_S10_mS11_S14_bEUlT_E_NS1_11comp_targetILNS1_3genE5ELNS1_11target_archE942ELNS1_3gpuE9ELNS1_3repE0EEENS1_30default_config_static_selectorELNS0_4arch9wavefront6targetE0EEEvSY_
	.p2align	8
	.type	_ZN7rocprim17ROCPRIM_400000_NS6detail17trampoline_kernelINS0_14default_configENS1_29binary_search_config_selectorIyiEEZNS1_14transform_implILb0ES3_S5_N6thrust23THRUST_200600_302600_NS6detail15normal_iteratorINS8_7pointerIyNS8_11hip_rocprim5par_tENS8_11use_defaultESE_EEEENSA_INSB_IiSD_SE_SE_EEEEZNS1_13binary_searchIS3_S5_NSA_INS8_10device_ptrIyEEEESG_SI_NS1_16binary_search_opENS9_16wrapped_functionINS8_6system6detail7generic6detail18binary_search_lessEbEEEE10hipError_tPvRmT1_T2_T3_mmT4_T5_P12ihipStream_tbEUlRKyE_EESV_SZ_S10_mS11_S14_bEUlT_E_NS1_11comp_targetILNS1_3genE5ELNS1_11target_archE942ELNS1_3gpuE9ELNS1_3repE0EEENS1_30default_config_static_selectorELNS0_4arch9wavefront6targetE0EEEvSY_,@function
_ZN7rocprim17ROCPRIM_400000_NS6detail17trampoline_kernelINS0_14default_configENS1_29binary_search_config_selectorIyiEEZNS1_14transform_implILb0ES3_S5_N6thrust23THRUST_200600_302600_NS6detail15normal_iteratorINS8_7pointerIyNS8_11hip_rocprim5par_tENS8_11use_defaultESE_EEEENSA_INSB_IiSD_SE_SE_EEEEZNS1_13binary_searchIS3_S5_NSA_INS8_10device_ptrIyEEEESG_SI_NS1_16binary_search_opENS9_16wrapped_functionINS8_6system6detail7generic6detail18binary_search_lessEbEEEE10hipError_tPvRmT1_T2_T3_mmT4_T5_P12ihipStream_tbEUlRKyE_EESV_SZ_S10_mS11_S14_bEUlT_E_NS1_11comp_targetILNS1_3genE5ELNS1_11target_archE942ELNS1_3gpuE9ELNS1_3repE0EEENS1_30default_config_static_selectorELNS0_4arch9wavefront6targetE0EEEvSY_: ; @_ZN7rocprim17ROCPRIM_400000_NS6detail17trampoline_kernelINS0_14default_configENS1_29binary_search_config_selectorIyiEEZNS1_14transform_implILb0ES3_S5_N6thrust23THRUST_200600_302600_NS6detail15normal_iteratorINS8_7pointerIyNS8_11hip_rocprim5par_tENS8_11use_defaultESE_EEEENSA_INSB_IiSD_SE_SE_EEEEZNS1_13binary_searchIS3_S5_NSA_INS8_10device_ptrIyEEEESG_SI_NS1_16binary_search_opENS9_16wrapped_functionINS8_6system6detail7generic6detail18binary_search_lessEbEEEE10hipError_tPvRmT1_T2_T3_mmT4_T5_P12ihipStream_tbEUlRKyE_EESV_SZ_S10_mS11_S14_bEUlT_E_NS1_11comp_targetILNS1_3genE5ELNS1_11target_archE942ELNS1_3gpuE9ELNS1_3repE0EEENS1_30default_config_static_selectorELNS0_4arch9wavefront6targetE0EEEvSY_
; %bb.0:
	.section	.rodata,"a",@progbits
	.p2align	6, 0x0
	.amdhsa_kernel _ZN7rocprim17ROCPRIM_400000_NS6detail17trampoline_kernelINS0_14default_configENS1_29binary_search_config_selectorIyiEEZNS1_14transform_implILb0ES3_S5_N6thrust23THRUST_200600_302600_NS6detail15normal_iteratorINS8_7pointerIyNS8_11hip_rocprim5par_tENS8_11use_defaultESE_EEEENSA_INSB_IiSD_SE_SE_EEEEZNS1_13binary_searchIS3_S5_NSA_INS8_10device_ptrIyEEEESG_SI_NS1_16binary_search_opENS9_16wrapped_functionINS8_6system6detail7generic6detail18binary_search_lessEbEEEE10hipError_tPvRmT1_T2_T3_mmT4_T5_P12ihipStream_tbEUlRKyE_EESV_SZ_S10_mS11_S14_bEUlT_E_NS1_11comp_targetILNS1_3genE5ELNS1_11target_archE942ELNS1_3gpuE9ELNS1_3repE0EEENS1_30default_config_static_selectorELNS0_4arch9wavefront6targetE0EEEvSY_
		.amdhsa_group_segment_fixed_size 0
		.amdhsa_private_segment_fixed_size 0
		.amdhsa_kernarg_size 56
		.amdhsa_user_sgpr_count 6
		.amdhsa_user_sgpr_private_segment_buffer 1
		.amdhsa_user_sgpr_dispatch_ptr 0
		.amdhsa_user_sgpr_queue_ptr 0
		.amdhsa_user_sgpr_kernarg_segment_ptr 1
		.amdhsa_user_sgpr_dispatch_id 0
		.amdhsa_user_sgpr_flat_scratch_init 0
		.amdhsa_user_sgpr_private_segment_size 0
		.amdhsa_wavefront_size32 1
		.amdhsa_uses_dynamic_stack 0
		.amdhsa_system_sgpr_private_segment_wavefront_offset 0
		.amdhsa_system_sgpr_workgroup_id_x 1
		.amdhsa_system_sgpr_workgroup_id_y 0
		.amdhsa_system_sgpr_workgroup_id_z 0
		.amdhsa_system_sgpr_workgroup_info 0
		.amdhsa_system_vgpr_workitem_id 0
		.amdhsa_next_free_vgpr 1
		.amdhsa_next_free_sgpr 1
		.amdhsa_reserve_vcc 0
		.amdhsa_reserve_flat_scratch 0
		.amdhsa_float_round_mode_32 0
		.amdhsa_float_round_mode_16_64 0
		.amdhsa_float_denorm_mode_32 3
		.amdhsa_float_denorm_mode_16_64 3
		.amdhsa_dx10_clamp 1
		.amdhsa_ieee_mode 1
		.amdhsa_fp16_overflow 0
		.amdhsa_workgroup_processor_mode 1
		.amdhsa_memory_ordered 1
		.amdhsa_forward_progress 1
		.amdhsa_shared_vgpr_count 0
		.amdhsa_exception_fp_ieee_invalid_op 0
		.amdhsa_exception_fp_denorm_src 0
		.amdhsa_exception_fp_ieee_div_zero 0
		.amdhsa_exception_fp_ieee_overflow 0
		.amdhsa_exception_fp_ieee_underflow 0
		.amdhsa_exception_fp_ieee_inexact 0
		.amdhsa_exception_int_div_zero 0
	.end_amdhsa_kernel
	.section	.text._ZN7rocprim17ROCPRIM_400000_NS6detail17trampoline_kernelINS0_14default_configENS1_29binary_search_config_selectorIyiEEZNS1_14transform_implILb0ES3_S5_N6thrust23THRUST_200600_302600_NS6detail15normal_iteratorINS8_7pointerIyNS8_11hip_rocprim5par_tENS8_11use_defaultESE_EEEENSA_INSB_IiSD_SE_SE_EEEEZNS1_13binary_searchIS3_S5_NSA_INS8_10device_ptrIyEEEESG_SI_NS1_16binary_search_opENS9_16wrapped_functionINS8_6system6detail7generic6detail18binary_search_lessEbEEEE10hipError_tPvRmT1_T2_T3_mmT4_T5_P12ihipStream_tbEUlRKyE_EESV_SZ_S10_mS11_S14_bEUlT_E_NS1_11comp_targetILNS1_3genE5ELNS1_11target_archE942ELNS1_3gpuE9ELNS1_3repE0EEENS1_30default_config_static_selectorELNS0_4arch9wavefront6targetE0EEEvSY_,"axG",@progbits,_ZN7rocprim17ROCPRIM_400000_NS6detail17trampoline_kernelINS0_14default_configENS1_29binary_search_config_selectorIyiEEZNS1_14transform_implILb0ES3_S5_N6thrust23THRUST_200600_302600_NS6detail15normal_iteratorINS8_7pointerIyNS8_11hip_rocprim5par_tENS8_11use_defaultESE_EEEENSA_INSB_IiSD_SE_SE_EEEEZNS1_13binary_searchIS3_S5_NSA_INS8_10device_ptrIyEEEESG_SI_NS1_16binary_search_opENS9_16wrapped_functionINS8_6system6detail7generic6detail18binary_search_lessEbEEEE10hipError_tPvRmT1_T2_T3_mmT4_T5_P12ihipStream_tbEUlRKyE_EESV_SZ_S10_mS11_S14_bEUlT_E_NS1_11comp_targetILNS1_3genE5ELNS1_11target_archE942ELNS1_3gpuE9ELNS1_3repE0EEENS1_30default_config_static_selectorELNS0_4arch9wavefront6targetE0EEEvSY_,comdat
.Lfunc_end663:
	.size	_ZN7rocprim17ROCPRIM_400000_NS6detail17trampoline_kernelINS0_14default_configENS1_29binary_search_config_selectorIyiEEZNS1_14transform_implILb0ES3_S5_N6thrust23THRUST_200600_302600_NS6detail15normal_iteratorINS8_7pointerIyNS8_11hip_rocprim5par_tENS8_11use_defaultESE_EEEENSA_INSB_IiSD_SE_SE_EEEEZNS1_13binary_searchIS3_S5_NSA_INS8_10device_ptrIyEEEESG_SI_NS1_16binary_search_opENS9_16wrapped_functionINS8_6system6detail7generic6detail18binary_search_lessEbEEEE10hipError_tPvRmT1_T2_T3_mmT4_T5_P12ihipStream_tbEUlRKyE_EESV_SZ_S10_mS11_S14_bEUlT_E_NS1_11comp_targetILNS1_3genE5ELNS1_11target_archE942ELNS1_3gpuE9ELNS1_3repE0EEENS1_30default_config_static_selectorELNS0_4arch9wavefront6targetE0EEEvSY_, .Lfunc_end663-_ZN7rocprim17ROCPRIM_400000_NS6detail17trampoline_kernelINS0_14default_configENS1_29binary_search_config_selectorIyiEEZNS1_14transform_implILb0ES3_S5_N6thrust23THRUST_200600_302600_NS6detail15normal_iteratorINS8_7pointerIyNS8_11hip_rocprim5par_tENS8_11use_defaultESE_EEEENSA_INSB_IiSD_SE_SE_EEEEZNS1_13binary_searchIS3_S5_NSA_INS8_10device_ptrIyEEEESG_SI_NS1_16binary_search_opENS9_16wrapped_functionINS8_6system6detail7generic6detail18binary_search_lessEbEEEE10hipError_tPvRmT1_T2_T3_mmT4_T5_P12ihipStream_tbEUlRKyE_EESV_SZ_S10_mS11_S14_bEUlT_E_NS1_11comp_targetILNS1_3genE5ELNS1_11target_archE942ELNS1_3gpuE9ELNS1_3repE0EEENS1_30default_config_static_selectorELNS0_4arch9wavefront6targetE0EEEvSY_
                                        ; -- End function
	.set _ZN7rocprim17ROCPRIM_400000_NS6detail17trampoline_kernelINS0_14default_configENS1_29binary_search_config_selectorIyiEEZNS1_14transform_implILb0ES3_S5_N6thrust23THRUST_200600_302600_NS6detail15normal_iteratorINS8_7pointerIyNS8_11hip_rocprim5par_tENS8_11use_defaultESE_EEEENSA_INSB_IiSD_SE_SE_EEEEZNS1_13binary_searchIS3_S5_NSA_INS8_10device_ptrIyEEEESG_SI_NS1_16binary_search_opENS9_16wrapped_functionINS8_6system6detail7generic6detail18binary_search_lessEbEEEE10hipError_tPvRmT1_T2_T3_mmT4_T5_P12ihipStream_tbEUlRKyE_EESV_SZ_S10_mS11_S14_bEUlT_E_NS1_11comp_targetILNS1_3genE5ELNS1_11target_archE942ELNS1_3gpuE9ELNS1_3repE0EEENS1_30default_config_static_selectorELNS0_4arch9wavefront6targetE0EEEvSY_.num_vgpr, 0
	.set _ZN7rocprim17ROCPRIM_400000_NS6detail17trampoline_kernelINS0_14default_configENS1_29binary_search_config_selectorIyiEEZNS1_14transform_implILb0ES3_S5_N6thrust23THRUST_200600_302600_NS6detail15normal_iteratorINS8_7pointerIyNS8_11hip_rocprim5par_tENS8_11use_defaultESE_EEEENSA_INSB_IiSD_SE_SE_EEEEZNS1_13binary_searchIS3_S5_NSA_INS8_10device_ptrIyEEEESG_SI_NS1_16binary_search_opENS9_16wrapped_functionINS8_6system6detail7generic6detail18binary_search_lessEbEEEE10hipError_tPvRmT1_T2_T3_mmT4_T5_P12ihipStream_tbEUlRKyE_EESV_SZ_S10_mS11_S14_bEUlT_E_NS1_11comp_targetILNS1_3genE5ELNS1_11target_archE942ELNS1_3gpuE9ELNS1_3repE0EEENS1_30default_config_static_selectorELNS0_4arch9wavefront6targetE0EEEvSY_.num_agpr, 0
	.set _ZN7rocprim17ROCPRIM_400000_NS6detail17trampoline_kernelINS0_14default_configENS1_29binary_search_config_selectorIyiEEZNS1_14transform_implILb0ES3_S5_N6thrust23THRUST_200600_302600_NS6detail15normal_iteratorINS8_7pointerIyNS8_11hip_rocprim5par_tENS8_11use_defaultESE_EEEENSA_INSB_IiSD_SE_SE_EEEEZNS1_13binary_searchIS3_S5_NSA_INS8_10device_ptrIyEEEESG_SI_NS1_16binary_search_opENS9_16wrapped_functionINS8_6system6detail7generic6detail18binary_search_lessEbEEEE10hipError_tPvRmT1_T2_T3_mmT4_T5_P12ihipStream_tbEUlRKyE_EESV_SZ_S10_mS11_S14_bEUlT_E_NS1_11comp_targetILNS1_3genE5ELNS1_11target_archE942ELNS1_3gpuE9ELNS1_3repE0EEENS1_30default_config_static_selectorELNS0_4arch9wavefront6targetE0EEEvSY_.numbered_sgpr, 0
	.set _ZN7rocprim17ROCPRIM_400000_NS6detail17trampoline_kernelINS0_14default_configENS1_29binary_search_config_selectorIyiEEZNS1_14transform_implILb0ES3_S5_N6thrust23THRUST_200600_302600_NS6detail15normal_iteratorINS8_7pointerIyNS8_11hip_rocprim5par_tENS8_11use_defaultESE_EEEENSA_INSB_IiSD_SE_SE_EEEEZNS1_13binary_searchIS3_S5_NSA_INS8_10device_ptrIyEEEESG_SI_NS1_16binary_search_opENS9_16wrapped_functionINS8_6system6detail7generic6detail18binary_search_lessEbEEEE10hipError_tPvRmT1_T2_T3_mmT4_T5_P12ihipStream_tbEUlRKyE_EESV_SZ_S10_mS11_S14_bEUlT_E_NS1_11comp_targetILNS1_3genE5ELNS1_11target_archE942ELNS1_3gpuE9ELNS1_3repE0EEENS1_30default_config_static_selectorELNS0_4arch9wavefront6targetE0EEEvSY_.num_named_barrier, 0
	.set _ZN7rocprim17ROCPRIM_400000_NS6detail17trampoline_kernelINS0_14default_configENS1_29binary_search_config_selectorIyiEEZNS1_14transform_implILb0ES3_S5_N6thrust23THRUST_200600_302600_NS6detail15normal_iteratorINS8_7pointerIyNS8_11hip_rocprim5par_tENS8_11use_defaultESE_EEEENSA_INSB_IiSD_SE_SE_EEEEZNS1_13binary_searchIS3_S5_NSA_INS8_10device_ptrIyEEEESG_SI_NS1_16binary_search_opENS9_16wrapped_functionINS8_6system6detail7generic6detail18binary_search_lessEbEEEE10hipError_tPvRmT1_T2_T3_mmT4_T5_P12ihipStream_tbEUlRKyE_EESV_SZ_S10_mS11_S14_bEUlT_E_NS1_11comp_targetILNS1_3genE5ELNS1_11target_archE942ELNS1_3gpuE9ELNS1_3repE0EEENS1_30default_config_static_selectorELNS0_4arch9wavefront6targetE0EEEvSY_.private_seg_size, 0
	.set _ZN7rocprim17ROCPRIM_400000_NS6detail17trampoline_kernelINS0_14default_configENS1_29binary_search_config_selectorIyiEEZNS1_14transform_implILb0ES3_S5_N6thrust23THRUST_200600_302600_NS6detail15normal_iteratorINS8_7pointerIyNS8_11hip_rocprim5par_tENS8_11use_defaultESE_EEEENSA_INSB_IiSD_SE_SE_EEEEZNS1_13binary_searchIS3_S5_NSA_INS8_10device_ptrIyEEEESG_SI_NS1_16binary_search_opENS9_16wrapped_functionINS8_6system6detail7generic6detail18binary_search_lessEbEEEE10hipError_tPvRmT1_T2_T3_mmT4_T5_P12ihipStream_tbEUlRKyE_EESV_SZ_S10_mS11_S14_bEUlT_E_NS1_11comp_targetILNS1_3genE5ELNS1_11target_archE942ELNS1_3gpuE9ELNS1_3repE0EEENS1_30default_config_static_selectorELNS0_4arch9wavefront6targetE0EEEvSY_.uses_vcc, 0
	.set _ZN7rocprim17ROCPRIM_400000_NS6detail17trampoline_kernelINS0_14default_configENS1_29binary_search_config_selectorIyiEEZNS1_14transform_implILb0ES3_S5_N6thrust23THRUST_200600_302600_NS6detail15normal_iteratorINS8_7pointerIyNS8_11hip_rocprim5par_tENS8_11use_defaultESE_EEEENSA_INSB_IiSD_SE_SE_EEEEZNS1_13binary_searchIS3_S5_NSA_INS8_10device_ptrIyEEEESG_SI_NS1_16binary_search_opENS9_16wrapped_functionINS8_6system6detail7generic6detail18binary_search_lessEbEEEE10hipError_tPvRmT1_T2_T3_mmT4_T5_P12ihipStream_tbEUlRKyE_EESV_SZ_S10_mS11_S14_bEUlT_E_NS1_11comp_targetILNS1_3genE5ELNS1_11target_archE942ELNS1_3gpuE9ELNS1_3repE0EEENS1_30default_config_static_selectorELNS0_4arch9wavefront6targetE0EEEvSY_.uses_flat_scratch, 0
	.set _ZN7rocprim17ROCPRIM_400000_NS6detail17trampoline_kernelINS0_14default_configENS1_29binary_search_config_selectorIyiEEZNS1_14transform_implILb0ES3_S5_N6thrust23THRUST_200600_302600_NS6detail15normal_iteratorINS8_7pointerIyNS8_11hip_rocprim5par_tENS8_11use_defaultESE_EEEENSA_INSB_IiSD_SE_SE_EEEEZNS1_13binary_searchIS3_S5_NSA_INS8_10device_ptrIyEEEESG_SI_NS1_16binary_search_opENS9_16wrapped_functionINS8_6system6detail7generic6detail18binary_search_lessEbEEEE10hipError_tPvRmT1_T2_T3_mmT4_T5_P12ihipStream_tbEUlRKyE_EESV_SZ_S10_mS11_S14_bEUlT_E_NS1_11comp_targetILNS1_3genE5ELNS1_11target_archE942ELNS1_3gpuE9ELNS1_3repE0EEENS1_30default_config_static_selectorELNS0_4arch9wavefront6targetE0EEEvSY_.has_dyn_sized_stack, 0
	.set _ZN7rocprim17ROCPRIM_400000_NS6detail17trampoline_kernelINS0_14default_configENS1_29binary_search_config_selectorIyiEEZNS1_14transform_implILb0ES3_S5_N6thrust23THRUST_200600_302600_NS6detail15normal_iteratorINS8_7pointerIyNS8_11hip_rocprim5par_tENS8_11use_defaultESE_EEEENSA_INSB_IiSD_SE_SE_EEEEZNS1_13binary_searchIS3_S5_NSA_INS8_10device_ptrIyEEEESG_SI_NS1_16binary_search_opENS9_16wrapped_functionINS8_6system6detail7generic6detail18binary_search_lessEbEEEE10hipError_tPvRmT1_T2_T3_mmT4_T5_P12ihipStream_tbEUlRKyE_EESV_SZ_S10_mS11_S14_bEUlT_E_NS1_11comp_targetILNS1_3genE5ELNS1_11target_archE942ELNS1_3gpuE9ELNS1_3repE0EEENS1_30default_config_static_selectorELNS0_4arch9wavefront6targetE0EEEvSY_.has_recursion, 0
	.set _ZN7rocprim17ROCPRIM_400000_NS6detail17trampoline_kernelINS0_14default_configENS1_29binary_search_config_selectorIyiEEZNS1_14transform_implILb0ES3_S5_N6thrust23THRUST_200600_302600_NS6detail15normal_iteratorINS8_7pointerIyNS8_11hip_rocprim5par_tENS8_11use_defaultESE_EEEENSA_INSB_IiSD_SE_SE_EEEEZNS1_13binary_searchIS3_S5_NSA_INS8_10device_ptrIyEEEESG_SI_NS1_16binary_search_opENS9_16wrapped_functionINS8_6system6detail7generic6detail18binary_search_lessEbEEEE10hipError_tPvRmT1_T2_T3_mmT4_T5_P12ihipStream_tbEUlRKyE_EESV_SZ_S10_mS11_S14_bEUlT_E_NS1_11comp_targetILNS1_3genE5ELNS1_11target_archE942ELNS1_3gpuE9ELNS1_3repE0EEENS1_30default_config_static_selectorELNS0_4arch9wavefront6targetE0EEEvSY_.has_indirect_call, 0
	.section	.AMDGPU.csdata,"",@progbits
; Kernel info:
; codeLenInByte = 0
; TotalNumSgprs: 0
; NumVgprs: 0
; ScratchSize: 0
; MemoryBound: 0
; FloatMode: 240
; IeeeMode: 1
; LDSByteSize: 0 bytes/workgroup (compile time only)
; SGPRBlocks: 0
; VGPRBlocks: 0
; NumSGPRsForWavesPerEU: 1
; NumVGPRsForWavesPerEU: 1
; Occupancy: 16
; WaveLimiterHint : 0
; COMPUTE_PGM_RSRC2:SCRATCH_EN: 0
; COMPUTE_PGM_RSRC2:USER_SGPR: 6
; COMPUTE_PGM_RSRC2:TRAP_HANDLER: 0
; COMPUTE_PGM_RSRC2:TGID_X_EN: 1
; COMPUTE_PGM_RSRC2:TGID_Y_EN: 0
; COMPUTE_PGM_RSRC2:TGID_Z_EN: 0
; COMPUTE_PGM_RSRC2:TIDIG_COMP_CNT: 0
	.section	.text._ZN7rocprim17ROCPRIM_400000_NS6detail17trampoline_kernelINS0_14default_configENS1_29binary_search_config_selectorIyiEEZNS1_14transform_implILb0ES3_S5_N6thrust23THRUST_200600_302600_NS6detail15normal_iteratorINS8_7pointerIyNS8_11hip_rocprim5par_tENS8_11use_defaultESE_EEEENSA_INSB_IiSD_SE_SE_EEEEZNS1_13binary_searchIS3_S5_NSA_INS8_10device_ptrIyEEEESG_SI_NS1_16binary_search_opENS9_16wrapped_functionINS8_6system6detail7generic6detail18binary_search_lessEbEEEE10hipError_tPvRmT1_T2_T3_mmT4_T5_P12ihipStream_tbEUlRKyE_EESV_SZ_S10_mS11_S14_bEUlT_E_NS1_11comp_targetILNS1_3genE4ELNS1_11target_archE910ELNS1_3gpuE8ELNS1_3repE0EEENS1_30default_config_static_selectorELNS0_4arch9wavefront6targetE0EEEvSY_,"axG",@progbits,_ZN7rocprim17ROCPRIM_400000_NS6detail17trampoline_kernelINS0_14default_configENS1_29binary_search_config_selectorIyiEEZNS1_14transform_implILb0ES3_S5_N6thrust23THRUST_200600_302600_NS6detail15normal_iteratorINS8_7pointerIyNS8_11hip_rocprim5par_tENS8_11use_defaultESE_EEEENSA_INSB_IiSD_SE_SE_EEEEZNS1_13binary_searchIS3_S5_NSA_INS8_10device_ptrIyEEEESG_SI_NS1_16binary_search_opENS9_16wrapped_functionINS8_6system6detail7generic6detail18binary_search_lessEbEEEE10hipError_tPvRmT1_T2_T3_mmT4_T5_P12ihipStream_tbEUlRKyE_EESV_SZ_S10_mS11_S14_bEUlT_E_NS1_11comp_targetILNS1_3genE4ELNS1_11target_archE910ELNS1_3gpuE8ELNS1_3repE0EEENS1_30default_config_static_selectorELNS0_4arch9wavefront6targetE0EEEvSY_,comdat
	.protected	_ZN7rocprim17ROCPRIM_400000_NS6detail17trampoline_kernelINS0_14default_configENS1_29binary_search_config_selectorIyiEEZNS1_14transform_implILb0ES3_S5_N6thrust23THRUST_200600_302600_NS6detail15normal_iteratorINS8_7pointerIyNS8_11hip_rocprim5par_tENS8_11use_defaultESE_EEEENSA_INSB_IiSD_SE_SE_EEEEZNS1_13binary_searchIS3_S5_NSA_INS8_10device_ptrIyEEEESG_SI_NS1_16binary_search_opENS9_16wrapped_functionINS8_6system6detail7generic6detail18binary_search_lessEbEEEE10hipError_tPvRmT1_T2_T3_mmT4_T5_P12ihipStream_tbEUlRKyE_EESV_SZ_S10_mS11_S14_bEUlT_E_NS1_11comp_targetILNS1_3genE4ELNS1_11target_archE910ELNS1_3gpuE8ELNS1_3repE0EEENS1_30default_config_static_selectorELNS0_4arch9wavefront6targetE0EEEvSY_ ; -- Begin function _ZN7rocprim17ROCPRIM_400000_NS6detail17trampoline_kernelINS0_14default_configENS1_29binary_search_config_selectorIyiEEZNS1_14transform_implILb0ES3_S5_N6thrust23THRUST_200600_302600_NS6detail15normal_iteratorINS8_7pointerIyNS8_11hip_rocprim5par_tENS8_11use_defaultESE_EEEENSA_INSB_IiSD_SE_SE_EEEEZNS1_13binary_searchIS3_S5_NSA_INS8_10device_ptrIyEEEESG_SI_NS1_16binary_search_opENS9_16wrapped_functionINS8_6system6detail7generic6detail18binary_search_lessEbEEEE10hipError_tPvRmT1_T2_T3_mmT4_T5_P12ihipStream_tbEUlRKyE_EESV_SZ_S10_mS11_S14_bEUlT_E_NS1_11comp_targetILNS1_3genE4ELNS1_11target_archE910ELNS1_3gpuE8ELNS1_3repE0EEENS1_30default_config_static_selectorELNS0_4arch9wavefront6targetE0EEEvSY_
	.globl	_ZN7rocprim17ROCPRIM_400000_NS6detail17trampoline_kernelINS0_14default_configENS1_29binary_search_config_selectorIyiEEZNS1_14transform_implILb0ES3_S5_N6thrust23THRUST_200600_302600_NS6detail15normal_iteratorINS8_7pointerIyNS8_11hip_rocprim5par_tENS8_11use_defaultESE_EEEENSA_INSB_IiSD_SE_SE_EEEEZNS1_13binary_searchIS3_S5_NSA_INS8_10device_ptrIyEEEESG_SI_NS1_16binary_search_opENS9_16wrapped_functionINS8_6system6detail7generic6detail18binary_search_lessEbEEEE10hipError_tPvRmT1_T2_T3_mmT4_T5_P12ihipStream_tbEUlRKyE_EESV_SZ_S10_mS11_S14_bEUlT_E_NS1_11comp_targetILNS1_3genE4ELNS1_11target_archE910ELNS1_3gpuE8ELNS1_3repE0EEENS1_30default_config_static_selectorELNS0_4arch9wavefront6targetE0EEEvSY_
	.p2align	8
	.type	_ZN7rocprim17ROCPRIM_400000_NS6detail17trampoline_kernelINS0_14default_configENS1_29binary_search_config_selectorIyiEEZNS1_14transform_implILb0ES3_S5_N6thrust23THRUST_200600_302600_NS6detail15normal_iteratorINS8_7pointerIyNS8_11hip_rocprim5par_tENS8_11use_defaultESE_EEEENSA_INSB_IiSD_SE_SE_EEEEZNS1_13binary_searchIS3_S5_NSA_INS8_10device_ptrIyEEEESG_SI_NS1_16binary_search_opENS9_16wrapped_functionINS8_6system6detail7generic6detail18binary_search_lessEbEEEE10hipError_tPvRmT1_T2_T3_mmT4_T5_P12ihipStream_tbEUlRKyE_EESV_SZ_S10_mS11_S14_bEUlT_E_NS1_11comp_targetILNS1_3genE4ELNS1_11target_archE910ELNS1_3gpuE8ELNS1_3repE0EEENS1_30default_config_static_selectorELNS0_4arch9wavefront6targetE0EEEvSY_,@function
_ZN7rocprim17ROCPRIM_400000_NS6detail17trampoline_kernelINS0_14default_configENS1_29binary_search_config_selectorIyiEEZNS1_14transform_implILb0ES3_S5_N6thrust23THRUST_200600_302600_NS6detail15normal_iteratorINS8_7pointerIyNS8_11hip_rocprim5par_tENS8_11use_defaultESE_EEEENSA_INSB_IiSD_SE_SE_EEEEZNS1_13binary_searchIS3_S5_NSA_INS8_10device_ptrIyEEEESG_SI_NS1_16binary_search_opENS9_16wrapped_functionINS8_6system6detail7generic6detail18binary_search_lessEbEEEE10hipError_tPvRmT1_T2_T3_mmT4_T5_P12ihipStream_tbEUlRKyE_EESV_SZ_S10_mS11_S14_bEUlT_E_NS1_11comp_targetILNS1_3genE4ELNS1_11target_archE910ELNS1_3gpuE8ELNS1_3repE0EEENS1_30default_config_static_selectorELNS0_4arch9wavefront6targetE0EEEvSY_: ; @_ZN7rocprim17ROCPRIM_400000_NS6detail17trampoline_kernelINS0_14default_configENS1_29binary_search_config_selectorIyiEEZNS1_14transform_implILb0ES3_S5_N6thrust23THRUST_200600_302600_NS6detail15normal_iteratorINS8_7pointerIyNS8_11hip_rocprim5par_tENS8_11use_defaultESE_EEEENSA_INSB_IiSD_SE_SE_EEEEZNS1_13binary_searchIS3_S5_NSA_INS8_10device_ptrIyEEEESG_SI_NS1_16binary_search_opENS9_16wrapped_functionINS8_6system6detail7generic6detail18binary_search_lessEbEEEE10hipError_tPvRmT1_T2_T3_mmT4_T5_P12ihipStream_tbEUlRKyE_EESV_SZ_S10_mS11_S14_bEUlT_E_NS1_11comp_targetILNS1_3genE4ELNS1_11target_archE910ELNS1_3gpuE8ELNS1_3repE0EEENS1_30default_config_static_selectorELNS0_4arch9wavefront6targetE0EEEvSY_
; %bb.0:
	.section	.rodata,"a",@progbits
	.p2align	6, 0x0
	.amdhsa_kernel _ZN7rocprim17ROCPRIM_400000_NS6detail17trampoline_kernelINS0_14default_configENS1_29binary_search_config_selectorIyiEEZNS1_14transform_implILb0ES3_S5_N6thrust23THRUST_200600_302600_NS6detail15normal_iteratorINS8_7pointerIyNS8_11hip_rocprim5par_tENS8_11use_defaultESE_EEEENSA_INSB_IiSD_SE_SE_EEEEZNS1_13binary_searchIS3_S5_NSA_INS8_10device_ptrIyEEEESG_SI_NS1_16binary_search_opENS9_16wrapped_functionINS8_6system6detail7generic6detail18binary_search_lessEbEEEE10hipError_tPvRmT1_T2_T3_mmT4_T5_P12ihipStream_tbEUlRKyE_EESV_SZ_S10_mS11_S14_bEUlT_E_NS1_11comp_targetILNS1_3genE4ELNS1_11target_archE910ELNS1_3gpuE8ELNS1_3repE0EEENS1_30default_config_static_selectorELNS0_4arch9wavefront6targetE0EEEvSY_
		.amdhsa_group_segment_fixed_size 0
		.amdhsa_private_segment_fixed_size 0
		.amdhsa_kernarg_size 56
		.amdhsa_user_sgpr_count 6
		.amdhsa_user_sgpr_private_segment_buffer 1
		.amdhsa_user_sgpr_dispatch_ptr 0
		.amdhsa_user_sgpr_queue_ptr 0
		.amdhsa_user_sgpr_kernarg_segment_ptr 1
		.amdhsa_user_sgpr_dispatch_id 0
		.amdhsa_user_sgpr_flat_scratch_init 0
		.amdhsa_user_sgpr_private_segment_size 0
		.amdhsa_wavefront_size32 1
		.amdhsa_uses_dynamic_stack 0
		.amdhsa_system_sgpr_private_segment_wavefront_offset 0
		.amdhsa_system_sgpr_workgroup_id_x 1
		.amdhsa_system_sgpr_workgroup_id_y 0
		.amdhsa_system_sgpr_workgroup_id_z 0
		.amdhsa_system_sgpr_workgroup_info 0
		.amdhsa_system_vgpr_workitem_id 0
		.amdhsa_next_free_vgpr 1
		.amdhsa_next_free_sgpr 1
		.amdhsa_reserve_vcc 0
		.amdhsa_reserve_flat_scratch 0
		.amdhsa_float_round_mode_32 0
		.amdhsa_float_round_mode_16_64 0
		.amdhsa_float_denorm_mode_32 3
		.amdhsa_float_denorm_mode_16_64 3
		.amdhsa_dx10_clamp 1
		.amdhsa_ieee_mode 1
		.amdhsa_fp16_overflow 0
		.amdhsa_workgroup_processor_mode 1
		.amdhsa_memory_ordered 1
		.amdhsa_forward_progress 1
		.amdhsa_shared_vgpr_count 0
		.amdhsa_exception_fp_ieee_invalid_op 0
		.amdhsa_exception_fp_denorm_src 0
		.amdhsa_exception_fp_ieee_div_zero 0
		.amdhsa_exception_fp_ieee_overflow 0
		.amdhsa_exception_fp_ieee_underflow 0
		.amdhsa_exception_fp_ieee_inexact 0
		.amdhsa_exception_int_div_zero 0
	.end_amdhsa_kernel
	.section	.text._ZN7rocprim17ROCPRIM_400000_NS6detail17trampoline_kernelINS0_14default_configENS1_29binary_search_config_selectorIyiEEZNS1_14transform_implILb0ES3_S5_N6thrust23THRUST_200600_302600_NS6detail15normal_iteratorINS8_7pointerIyNS8_11hip_rocprim5par_tENS8_11use_defaultESE_EEEENSA_INSB_IiSD_SE_SE_EEEEZNS1_13binary_searchIS3_S5_NSA_INS8_10device_ptrIyEEEESG_SI_NS1_16binary_search_opENS9_16wrapped_functionINS8_6system6detail7generic6detail18binary_search_lessEbEEEE10hipError_tPvRmT1_T2_T3_mmT4_T5_P12ihipStream_tbEUlRKyE_EESV_SZ_S10_mS11_S14_bEUlT_E_NS1_11comp_targetILNS1_3genE4ELNS1_11target_archE910ELNS1_3gpuE8ELNS1_3repE0EEENS1_30default_config_static_selectorELNS0_4arch9wavefront6targetE0EEEvSY_,"axG",@progbits,_ZN7rocprim17ROCPRIM_400000_NS6detail17trampoline_kernelINS0_14default_configENS1_29binary_search_config_selectorIyiEEZNS1_14transform_implILb0ES3_S5_N6thrust23THRUST_200600_302600_NS6detail15normal_iteratorINS8_7pointerIyNS8_11hip_rocprim5par_tENS8_11use_defaultESE_EEEENSA_INSB_IiSD_SE_SE_EEEEZNS1_13binary_searchIS3_S5_NSA_INS8_10device_ptrIyEEEESG_SI_NS1_16binary_search_opENS9_16wrapped_functionINS8_6system6detail7generic6detail18binary_search_lessEbEEEE10hipError_tPvRmT1_T2_T3_mmT4_T5_P12ihipStream_tbEUlRKyE_EESV_SZ_S10_mS11_S14_bEUlT_E_NS1_11comp_targetILNS1_3genE4ELNS1_11target_archE910ELNS1_3gpuE8ELNS1_3repE0EEENS1_30default_config_static_selectorELNS0_4arch9wavefront6targetE0EEEvSY_,comdat
.Lfunc_end664:
	.size	_ZN7rocprim17ROCPRIM_400000_NS6detail17trampoline_kernelINS0_14default_configENS1_29binary_search_config_selectorIyiEEZNS1_14transform_implILb0ES3_S5_N6thrust23THRUST_200600_302600_NS6detail15normal_iteratorINS8_7pointerIyNS8_11hip_rocprim5par_tENS8_11use_defaultESE_EEEENSA_INSB_IiSD_SE_SE_EEEEZNS1_13binary_searchIS3_S5_NSA_INS8_10device_ptrIyEEEESG_SI_NS1_16binary_search_opENS9_16wrapped_functionINS8_6system6detail7generic6detail18binary_search_lessEbEEEE10hipError_tPvRmT1_T2_T3_mmT4_T5_P12ihipStream_tbEUlRKyE_EESV_SZ_S10_mS11_S14_bEUlT_E_NS1_11comp_targetILNS1_3genE4ELNS1_11target_archE910ELNS1_3gpuE8ELNS1_3repE0EEENS1_30default_config_static_selectorELNS0_4arch9wavefront6targetE0EEEvSY_, .Lfunc_end664-_ZN7rocprim17ROCPRIM_400000_NS6detail17trampoline_kernelINS0_14default_configENS1_29binary_search_config_selectorIyiEEZNS1_14transform_implILb0ES3_S5_N6thrust23THRUST_200600_302600_NS6detail15normal_iteratorINS8_7pointerIyNS8_11hip_rocprim5par_tENS8_11use_defaultESE_EEEENSA_INSB_IiSD_SE_SE_EEEEZNS1_13binary_searchIS3_S5_NSA_INS8_10device_ptrIyEEEESG_SI_NS1_16binary_search_opENS9_16wrapped_functionINS8_6system6detail7generic6detail18binary_search_lessEbEEEE10hipError_tPvRmT1_T2_T3_mmT4_T5_P12ihipStream_tbEUlRKyE_EESV_SZ_S10_mS11_S14_bEUlT_E_NS1_11comp_targetILNS1_3genE4ELNS1_11target_archE910ELNS1_3gpuE8ELNS1_3repE0EEENS1_30default_config_static_selectorELNS0_4arch9wavefront6targetE0EEEvSY_
                                        ; -- End function
	.set _ZN7rocprim17ROCPRIM_400000_NS6detail17trampoline_kernelINS0_14default_configENS1_29binary_search_config_selectorIyiEEZNS1_14transform_implILb0ES3_S5_N6thrust23THRUST_200600_302600_NS6detail15normal_iteratorINS8_7pointerIyNS8_11hip_rocprim5par_tENS8_11use_defaultESE_EEEENSA_INSB_IiSD_SE_SE_EEEEZNS1_13binary_searchIS3_S5_NSA_INS8_10device_ptrIyEEEESG_SI_NS1_16binary_search_opENS9_16wrapped_functionINS8_6system6detail7generic6detail18binary_search_lessEbEEEE10hipError_tPvRmT1_T2_T3_mmT4_T5_P12ihipStream_tbEUlRKyE_EESV_SZ_S10_mS11_S14_bEUlT_E_NS1_11comp_targetILNS1_3genE4ELNS1_11target_archE910ELNS1_3gpuE8ELNS1_3repE0EEENS1_30default_config_static_selectorELNS0_4arch9wavefront6targetE0EEEvSY_.num_vgpr, 0
	.set _ZN7rocprim17ROCPRIM_400000_NS6detail17trampoline_kernelINS0_14default_configENS1_29binary_search_config_selectorIyiEEZNS1_14transform_implILb0ES3_S5_N6thrust23THRUST_200600_302600_NS6detail15normal_iteratorINS8_7pointerIyNS8_11hip_rocprim5par_tENS8_11use_defaultESE_EEEENSA_INSB_IiSD_SE_SE_EEEEZNS1_13binary_searchIS3_S5_NSA_INS8_10device_ptrIyEEEESG_SI_NS1_16binary_search_opENS9_16wrapped_functionINS8_6system6detail7generic6detail18binary_search_lessEbEEEE10hipError_tPvRmT1_T2_T3_mmT4_T5_P12ihipStream_tbEUlRKyE_EESV_SZ_S10_mS11_S14_bEUlT_E_NS1_11comp_targetILNS1_3genE4ELNS1_11target_archE910ELNS1_3gpuE8ELNS1_3repE0EEENS1_30default_config_static_selectorELNS0_4arch9wavefront6targetE0EEEvSY_.num_agpr, 0
	.set _ZN7rocprim17ROCPRIM_400000_NS6detail17trampoline_kernelINS0_14default_configENS1_29binary_search_config_selectorIyiEEZNS1_14transform_implILb0ES3_S5_N6thrust23THRUST_200600_302600_NS6detail15normal_iteratorINS8_7pointerIyNS8_11hip_rocprim5par_tENS8_11use_defaultESE_EEEENSA_INSB_IiSD_SE_SE_EEEEZNS1_13binary_searchIS3_S5_NSA_INS8_10device_ptrIyEEEESG_SI_NS1_16binary_search_opENS9_16wrapped_functionINS8_6system6detail7generic6detail18binary_search_lessEbEEEE10hipError_tPvRmT1_T2_T3_mmT4_T5_P12ihipStream_tbEUlRKyE_EESV_SZ_S10_mS11_S14_bEUlT_E_NS1_11comp_targetILNS1_3genE4ELNS1_11target_archE910ELNS1_3gpuE8ELNS1_3repE0EEENS1_30default_config_static_selectorELNS0_4arch9wavefront6targetE0EEEvSY_.numbered_sgpr, 0
	.set _ZN7rocprim17ROCPRIM_400000_NS6detail17trampoline_kernelINS0_14default_configENS1_29binary_search_config_selectorIyiEEZNS1_14transform_implILb0ES3_S5_N6thrust23THRUST_200600_302600_NS6detail15normal_iteratorINS8_7pointerIyNS8_11hip_rocprim5par_tENS8_11use_defaultESE_EEEENSA_INSB_IiSD_SE_SE_EEEEZNS1_13binary_searchIS3_S5_NSA_INS8_10device_ptrIyEEEESG_SI_NS1_16binary_search_opENS9_16wrapped_functionINS8_6system6detail7generic6detail18binary_search_lessEbEEEE10hipError_tPvRmT1_T2_T3_mmT4_T5_P12ihipStream_tbEUlRKyE_EESV_SZ_S10_mS11_S14_bEUlT_E_NS1_11comp_targetILNS1_3genE4ELNS1_11target_archE910ELNS1_3gpuE8ELNS1_3repE0EEENS1_30default_config_static_selectorELNS0_4arch9wavefront6targetE0EEEvSY_.num_named_barrier, 0
	.set _ZN7rocprim17ROCPRIM_400000_NS6detail17trampoline_kernelINS0_14default_configENS1_29binary_search_config_selectorIyiEEZNS1_14transform_implILb0ES3_S5_N6thrust23THRUST_200600_302600_NS6detail15normal_iteratorINS8_7pointerIyNS8_11hip_rocprim5par_tENS8_11use_defaultESE_EEEENSA_INSB_IiSD_SE_SE_EEEEZNS1_13binary_searchIS3_S5_NSA_INS8_10device_ptrIyEEEESG_SI_NS1_16binary_search_opENS9_16wrapped_functionINS8_6system6detail7generic6detail18binary_search_lessEbEEEE10hipError_tPvRmT1_T2_T3_mmT4_T5_P12ihipStream_tbEUlRKyE_EESV_SZ_S10_mS11_S14_bEUlT_E_NS1_11comp_targetILNS1_3genE4ELNS1_11target_archE910ELNS1_3gpuE8ELNS1_3repE0EEENS1_30default_config_static_selectorELNS0_4arch9wavefront6targetE0EEEvSY_.private_seg_size, 0
	.set _ZN7rocprim17ROCPRIM_400000_NS6detail17trampoline_kernelINS0_14default_configENS1_29binary_search_config_selectorIyiEEZNS1_14transform_implILb0ES3_S5_N6thrust23THRUST_200600_302600_NS6detail15normal_iteratorINS8_7pointerIyNS8_11hip_rocprim5par_tENS8_11use_defaultESE_EEEENSA_INSB_IiSD_SE_SE_EEEEZNS1_13binary_searchIS3_S5_NSA_INS8_10device_ptrIyEEEESG_SI_NS1_16binary_search_opENS9_16wrapped_functionINS8_6system6detail7generic6detail18binary_search_lessEbEEEE10hipError_tPvRmT1_T2_T3_mmT4_T5_P12ihipStream_tbEUlRKyE_EESV_SZ_S10_mS11_S14_bEUlT_E_NS1_11comp_targetILNS1_3genE4ELNS1_11target_archE910ELNS1_3gpuE8ELNS1_3repE0EEENS1_30default_config_static_selectorELNS0_4arch9wavefront6targetE0EEEvSY_.uses_vcc, 0
	.set _ZN7rocprim17ROCPRIM_400000_NS6detail17trampoline_kernelINS0_14default_configENS1_29binary_search_config_selectorIyiEEZNS1_14transform_implILb0ES3_S5_N6thrust23THRUST_200600_302600_NS6detail15normal_iteratorINS8_7pointerIyNS8_11hip_rocprim5par_tENS8_11use_defaultESE_EEEENSA_INSB_IiSD_SE_SE_EEEEZNS1_13binary_searchIS3_S5_NSA_INS8_10device_ptrIyEEEESG_SI_NS1_16binary_search_opENS9_16wrapped_functionINS8_6system6detail7generic6detail18binary_search_lessEbEEEE10hipError_tPvRmT1_T2_T3_mmT4_T5_P12ihipStream_tbEUlRKyE_EESV_SZ_S10_mS11_S14_bEUlT_E_NS1_11comp_targetILNS1_3genE4ELNS1_11target_archE910ELNS1_3gpuE8ELNS1_3repE0EEENS1_30default_config_static_selectorELNS0_4arch9wavefront6targetE0EEEvSY_.uses_flat_scratch, 0
	.set _ZN7rocprim17ROCPRIM_400000_NS6detail17trampoline_kernelINS0_14default_configENS1_29binary_search_config_selectorIyiEEZNS1_14transform_implILb0ES3_S5_N6thrust23THRUST_200600_302600_NS6detail15normal_iteratorINS8_7pointerIyNS8_11hip_rocprim5par_tENS8_11use_defaultESE_EEEENSA_INSB_IiSD_SE_SE_EEEEZNS1_13binary_searchIS3_S5_NSA_INS8_10device_ptrIyEEEESG_SI_NS1_16binary_search_opENS9_16wrapped_functionINS8_6system6detail7generic6detail18binary_search_lessEbEEEE10hipError_tPvRmT1_T2_T3_mmT4_T5_P12ihipStream_tbEUlRKyE_EESV_SZ_S10_mS11_S14_bEUlT_E_NS1_11comp_targetILNS1_3genE4ELNS1_11target_archE910ELNS1_3gpuE8ELNS1_3repE0EEENS1_30default_config_static_selectorELNS0_4arch9wavefront6targetE0EEEvSY_.has_dyn_sized_stack, 0
	.set _ZN7rocprim17ROCPRIM_400000_NS6detail17trampoline_kernelINS0_14default_configENS1_29binary_search_config_selectorIyiEEZNS1_14transform_implILb0ES3_S5_N6thrust23THRUST_200600_302600_NS6detail15normal_iteratorINS8_7pointerIyNS8_11hip_rocprim5par_tENS8_11use_defaultESE_EEEENSA_INSB_IiSD_SE_SE_EEEEZNS1_13binary_searchIS3_S5_NSA_INS8_10device_ptrIyEEEESG_SI_NS1_16binary_search_opENS9_16wrapped_functionINS8_6system6detail7generic6detail18binary_search_lessEbEEEE10hipError_tPvRmT1_T2_T3_mmT4_T5_P12ihipStream_tbEUlRKyE_EESV_SZ_S10_mS11_S14_bEUlT_E_NS1_11comp_targetILNS1_3genE4ELNS1_11target_archE910ELNS1_3gpuE8ELNS1_3repE0EEENS1_30default_config_static_selectorELNS0_4arch9wavefront6targetE0EEEvSY_.has_recursion, 0
	.set _ZN7rocprim17ROCPRIM_400000_NS6detail17trampoline_kernelINS0_14default_configENS1_29binary_search_config_selectorIyiEEZNS1_14transform_implILb0ES3_S5_N6thrust23THRUST_200600_302600_NS6detail15normal_iteratorINS8_7pointerIyNS8_11hip_rocprim5par_tENS8_11use_defaultESE_EEEENSA_INSB_IiSD_SE_SE_EEEEZNS1_13binary_searchIS3_S5_NSA_INS8_10device_ptrIyEEEESG_SI_NS1_16binary_search_opENS9_16wrapped_functionINS8_6system6detail7generic6detail18binary_search_lessEbEEEE10hipError_tPvRmT1_T2_T3_mmT4_T5_P12ihipStream_tbEUlRKyE_EESV_SZ_S10_mS11_S14_bEUlT_E_NS1_11comp_targetILNS1_3genE4ELNS1_11target_archE910ELNS1_3gpuE8ELNS1_3repE0EEENS1_30default_config_static_selectorELNS0_4arch9wavefront6targetE0EEEvSY_.has_indirect_call, 0
	.section	.AMDGPU.csdata,"",@progbits
; Kernel info:
; codeLenInByte = 0
; TotalNumSgprs: 0
; NumVgprs: 0
; ScratchSize: 0
; MemoryBound: 0
; FloatMode: 240
; IeeeMode: 1
; LDSByteSize: 0 bytes/workgroup (compile time only)
; SGPRBlocks: 0
; VGPRBlocks: 0
; NumSGPRsForWavesPerEU: 1
; NumVGPRsForWavesPerEU: 1
; Occupancy: 16
; WaveLimiterHint : 0
; COMPUTE_PGM_RSRC2:SCRATCH_EN: 0
; COMPUTE_PGM_RSRC2:USER_SGPR: 6
; COMPUTE_PGM_RSRC2:TRAP_HANDLER: 0
; COMPUTE_PGM_RSRC2:TGID_X_EN: 1
; COMPUTE_PGM_RSRC2:TGID_Y_EN: 0
; COMPUTE_PGM_RSRC2:TGID_Z_EN: 0
; COMPUTE_PGM_RSRC2:TIDIG_COMP_CNT: 0
	.section	.text._ZN7rocprim17ROCPRIM_400000_NS6detail17trampoline_kernelINS0_14default_configENS1_29binary_search_config_selectorIyiEEZNS1_14transform_implILb0ES3_S5_N6thrust23THRUST_200600_302600_NS6detail15normal_iteratorINS8_7pointerIyNS8_11hip_rocprim5par_tENS8_11use_defaultESE_EEEENSA_INSB_IiSD_SE_SE_EEEEZNS1_13binary_searchIS3_S5_NSA_INS8_10device_ptrIyEEEESG_SI_NS1_16binary_search_opENS9_16wrapped_functionINS8_6system6detail7generic6detail18binary_search_lessEbEEEE10hipError_tPvRmT1_T2_T3_mmT4_T5_P12ihipStream_tbEUlRKyE_EESV_SZ_S10_mS11_S14_bEUlT_E_NS1_11comp_targetILNS1_3genE3ELNS1_11target_archE908ELNS1_3gpuE7ELNS1_3repE0EEENS1_30default_config_static_selectorELNS0_4arch9wavefront6targetE0EEEvSY_,"axG",@progbits,_ZN7rocprim17ROCPRIM_400000_NS6detail17trampoline_kernelINS0_14default_configENS1_29binary_search_config_selectorIyiEEZNS1_14transform_implILb0ES3_S5_N6thrust23THRUST_200600_302600_NS6detail15normal_iteratorINS8_7pointerIyNS8_11hip_rocprim5par_tENS8_11use_defaultESE_EEEENSA_INSB_IiSD_SE_SE_EEEEZNS1_13binary_searchIS3_S5_NSA_INS8_10device_ptrIyEEEESG_SI_NS1_16binary_search_opENS9_16wrapped_functionINS8_6system6detail7generic6detail18binary_search_lessEbEEEE10hipError_tPvRmT1_T2_T3_mmT4_T5_P12ihipStream_tbEUlRKyE_EESV_SZ_S10_mS11_S14_bEUlT_E_NS1_11comp_targetILNS1_3genE3ELNS1_11target_archE908ELNS1_3gpuE7ELNS1_3repE0EEENS1_30default_config_static_selectorELNS0_4arch9wavefront6targetE0EEEvSY_,comdat
	.protected	_ZN7rocprim17ROCPRIM_400000_NS6detail17trampoline_kernelINS0_14default_configENS1_29binary_search_config_selectorIyiEEZNS1_14transform_implILb0ES3_S5_N6thrust23THRUST_200600_302600_NS6detail15normal_iteratorINS8_7pointerIyNS8_11hip_rocprim5par_tENS8_11use_defaultESE_EEEENSA_INSB_IiSD_SE_SE_EEEEZNS1_13binary_searchIS3_S5_NSA_INS8_10device_ptrIyEEEESG_SI_NS1_16binary_search_opENS9_16wrapped_functionINS8_6system6detail7generic6detail18binary_search_lessEbEEEE10hipError_tPvRmT1_T2_T3_mmT4_T5_P12ihipStream_tbEUlRKyE_EESV_SZ_S10_mS11_S14_bEUlT_E_NS1_11comp_targetILNS1_3genE3ELNS1_11target_archE908ELNS1_3gpuE7ELNS1_3repE0EEENS1_30default_config_static_selectorELNS0_4arch9wavefront6targetE0EEEvSY_ ; -- Begin function _ZN7rocprim17ROCPRIM_400000_NS6detail17trampoline_kernelINS0_14default_configENS1_29binary_search_config_selectorIyiEEZNS1_14transform_implILb0ES3_S5_N6thrust23THRUST_200600_302600_NS6detail15normal_iteratorINS8_7pointerIyNS8_11hip_rocprim5par_tENS8_11use_defaultESE_EEEENSA_INSB_IiSD_SE_SE_EEEEZNS1_13binary_searchIS3_S5_NSA_INS8_10device_ptrIyEEEESG_SI_NS1_16binary_search_opENS9_16wrapped_functionINS8_6system6detail7generic6detail18binary_search_lessEbEEEE10hipError_tPvRmT1_T2_T3_mmT4_T5_P12ihipStream_tbEUlRKyE_EESV_SZ_S10_mS11_S14_bEUlT_E_NS1_11comp_targetILNS1_3genE3ELNS1_11target_archE908ELNS1_3gpuE7ELNS1_3repE0EEENS1_30default_config_static_selectorELNS0_4arch9wavefront6targetE0EEEvSY_
	.globl	_ZN7rocprim17ROCPRIM_400000_NS6detail17trampoline_kernelINS0_14default_configENS1_29binary_search_config_selectorIyiEEZNS1_14transform_implILb0ES3_S5_N6thrust23THRUST_200600_302600_NS6detail15normal_iteratorINS8_7pointerIyNS8_11hip_rocprim5par_tENS8_11use_defaultESE_EEEENSA_INSB_IiSD_SE_SE_EEEEZNS1_13binary_searchIS3_S5_NSA_INS8_10device_ptrIyEEEESG_SI_NS1_16binary_search_opENS9_16wrapped_functionINS8_6system6detail7generic6detail18binary_search_lessEbEEEE10hipError_tPvRmT1_T2_T3_mmT4_T5_P12ihipStream_tbEUlRKyE_EESV_SZ_S10_mS11_S14_bEUlT_E_NS1_11comp_targetILNS1_3genE3ELNS1_11target_archE908ELNS1_3gpuE7ELNS1_3repE0EEENS1_30default_config_static_selectorELNS0_4arch9wavefront6targetE0EEEvSY_
	.p2align	8
	.type	_ZN7rocprim17ROCPRIM_400000_NS6detail17trampoline_kernelINS0_14default_configENS1_29binary_search_config_selectorIyiEEZNS1_14transform_implILb0ES3_S5_N6thrust23THRUST_200600_302600_NS6detail15normal_iteratorINS8_7pointerIyNS8_11hip_rocprim5par_tENS8_11use_defaultESE_EEEENSA_INSB_IiSD_SE_SE_EEEEZNS1_13binary_searchIS3_S5_NSA_INS8_10device_ptrIyEEEESG_SI_NS1_16binary_search_opENS9_16wrapped_functionINS8_6system6detail7generic6detail18binary_search_lessEbEEEE10hipError_tPvRmT1_T2_T3_mmT4_T5_P12ihipStream_tbEUlRKyE_EESV_SZ_S10_mS11_S14_bEUlT_E_NS1_11comp_targetILNS1_3genE3ELNS1_11target_archE908ELNS1_3gpuE7ELNS1_3repE0EEENS1_30default_config_static_selectorELNS0_4arch9wavefront6targetE0EEEvSY_,@function
_ZN7rocprim17ROCPRIM_400000_NS6detail17trampoline_kernelINS0_14default_configENS1_29binary_search_config_selectorIyiEEZNS1_14transform_implILb0ES3_S5_N6thrust23THRUST_200600_302600_NS6detail15normal_iteratorINS8_7pointerIyNS8_11hip_rocprim5par_tENS8_11use_defaultESE_EEEENSA_INSB_IiSD_SE_SE_EEEEZNS1_13binary_searchIS3_S5_NSA_INS8_10device_ptrIyEEEESG_SI_NS1_16binary_search_opENS9_16wrapped_functionINS8_6system6detail7generic6detail18binary_search_lessEbEEEE10hipError_tPvRmT1_T2_T3_mmT4_T5_P12ihipStream_tbEUlRKyE_EESV_SZ_S10_mS11_S14_bEUlT_E_NS1_11comp_targetILNS1_3genE3ELNS1_11target_archE908ELNS1_3gpuE7ELNS1_3repE0EEENS1_30default_config_static_selectorELNS0_4arch9wavefront6targetE0EEEvSY_: ; @_ZN7rocprim17ROCPRIM_400000_NS6detail17trampoline_kernelINS0_14default_configENS1_29binary_search_config_selectorIyiEEZNS1_14transform_implILb0ES3_S5_N6thrust23THRUST_200600_302600_NS6detail15normal_iteratorINS8_7pointerIyNS8_11hip_rocprim5par_tENS8_11use_defaultESE_EEEENSA_INSB_IiSD_SE_SE_EEEEZNS1_13binary_searchIS3_S5_NSA_INS8_10device_ptrIyEEEESG_SI_NS1_16binary_search_opENS9_16wrapped_functionINS8_6system6detail7generic6detail18binary_search_lessEbEEEE10hipError_tPvRmT1_T2_T3_mmT4_T5_P12ihipStream_tbEUlRKyE_EESV_SZ_S10_mS11_S14_bEUlT_E_NS1_11comp_targetILNS1_3genE3ELNS1_11target_archE908ELNS1_3gpuE7ELNS1_3repE0EEENS1_30default_config_static_selectorELNS0_4arch9wavefront6targetE0EEEvSY_
; %bb.0:
	.section	.rodata,"a",@progbits
	.p2align	6, 0x0
	.amdhsa_kernel _ZN7rocprim17ROCPRIM_400000_NS6detail17trampoline_kernelINS0_14default_configENS1_29binary_search_config_selectorIyiEEZNS1_14transform_implILb0ES3_S5_N6thrust23THRUST_200600_302600_NS6detail15normal_iteratorINS8_7pointerIyNS8_11hip_rocprim5par_tENS8_11use_defaultESE_EEEENSA_INSB_IiSD_SE_SE_EEEEZNS1_13binary_searchIS3_S5_NSA_INS8_10device_ptrIyEEEESG_SI_NS1_16binary_search_opENS9_16wrapped_functionINS8_6system6detail7generic6detail18binary_search_lessEbEEEE10hipError_tPvRmT1_T2_T3_mmT4_T5_P12ihipStream_tbEUlRKyE_EESV_SZ_S10_mS11_S14_bEUlT_E_NS1_11comp_targetILNS1_3genE3ELNS1_11target_archE908ELNS1_3gpuE7ELNS1_3repE0EEENS1_30default_config_static_selectorELNS0_4arch9wavefront6targetE0EEEvSY_
		.amdhsa_group_segment_fixed_size 0
		.amdhsa_private_segment_fixed_size 0
		.amdhsa_kernarg_size 56
		.amdhsa_user_sgpr_count 6
		.amdhsa_user_sgpr_private_segment_buffer 1
		.amdhsa_user_sgpr_dispatch_ptr 0
		.amdhsa_user_sgpr_queue_ptr 0
		.amdhsa_user_sgpr_kernarg_segment_ptr 1
		.amdhsa_user_sgpr_dispatch_id 0
		.amdhsa_user_sgpr_flat_scratch_init 0
		.amdhsa_user_sgpr_private_segment_size 0
		.amdhsa_wavefront_size32 1
		.amdhsa_uses_dynamic_stack 0
		.amdhsa_system_sgpr_private_segment_wavefront_offset 0
		.amdhsa_system_sgpr_workgroup_id_x 1
		.amdhsa_system_sgpr_workgroup_id_y 0
		.amdhsa_system_sgpr_workgroup_id_z 0
		.amdhsa_system_sgpr_workgroup_info 0
		.amdhsa_system_vgpr_workitem_id 0
		.amdhsa_next_free_vgpr 1
		.amdhsa_next_free_sgpr 1
		.amdhsa_reserve_vcc 0
		.amdhsa_reserve_flat_scratch 0
		.amdhsa_float_round_mode_32 0
		.amdhsa_float_round_mode_16_64 0
		.amdhsa_float_denorm_mode_32 3
		.amdhsa_float_denorm_mode_16_64 3
		.amdhsa_dx10_clamp 1
		.amdhsa_ieee_mode 1
		.amdhsa_fp16_overflow 0
		.amdhsa_workgroup_processor_mode 1
		.amdhsa_memory_ordered 1
		.amdhsa_forward_progress 1
		.amdhsa_shared_vgpr_count 0
		.amdhsa_exception_fp_ieee_invalid_op 0
		.amdhsa_exception_fp_denorm_src 0
		.amdhsa_exception_fp_ieee_div_zero 0
		.amdhsa_exception_fp_ieee_overflow 0
		.amdhsa_exception_fp_ieee_underflow 0
		.amdhsa_exception_fp_ieee_inexact 0
		.amdhsa_exception_int_div_zero 0
	.end_amdhsa_kernel
	.section	.text._ZN7rocprim17ROCPRIM_400000_NS6detail17trampoline_kernelINS0_14default_configENS1_29binary_search_config_selectorIyiEEZNS1_14transform_implILb0ES3_S5_N6thrust23THRUST_200600_302600_NS6detail15normal_iteratorINS8_7pointerIyNS8_11hip_rocprim5par_tENS8_11use_defaultESE_EEEENSA_INSB_IiSD_SE_SE_EEEEZNS1_13binary_searchIS3_S5_NSA_INS8_10device_ptrIyEEEESG_SI_NS1_16binary_search_opENS9_16wrapped_functionINS8_6system6detail7generic6detail18binary_search_lessEbEEEE10hipError_tPvRmT1_T2_T3_mmT4_T5_P12ihipStream_tbEUlRKyE_EESV_SZ_S10_mS11_S14_bEUlT_E_NS1_11comp_targetILNS1_3genE3ELNS1_11target_archE908ELNS1_3gpuE7ELNS1_3repE0EEENS1_30default_config_static_selectorELNS0_4arch9wavefront6targetE0EEEvSY_,"axG",@progbits,_ZN7rocprim17ROCPRIM_400000_NS6detail17trampoline_kernelINS0_14default_configENS1_29binary_search_config_selectorIyiEEZNS1_14transform_implILb0ES3_S5_N6thrust23THRUST_200600_302600_NS6detail15normal_iteratorINS8_7pointerIyNS8_11hip_rocprim5par_tENS8_11use_defaultESE_EEEENSA_INSB_IiSD_SE_SE_EEEEZNS1_13binary_searchIS3_S5_NSA_INS8_10device_ptrIyEEEESG_SI_NS1_16binary_search_opENS9_16wrapped_functionINS8_6system6detail7generic6detail18binary_search_lessEbEEEE10hipError_tPvRmT1_T2_T3_mmT4_T5_P12ihipStream_tbEUlRKyE_EESV_SZ_S10_mS11_S14_bEUlT_E_NS1_11comp_targetILNS1_3genE3ELNS1_11target_archE908ELNS1_3gpuE7ELNS1_3repE0EEENS1_30default_config_static_selectorELNS0_4arch9wavefront6targetE0EEEvSY_,comdat
.Lfunc_end665:
	.size	_ZN7rocprim17ROCPRIM_400000_NS6detail17trampoline_kernelINS0_14default_configENS1_29binary_search_config_selectorIyiEEZNS1_14transform_implILb0ES3_S5_N6thrust23THRUST_200600_302600_NS6detail15normal_iteratorINS8_7pointerIyNS8_11hip_rocprim5par_tENS8_11use_defaultESE_EEEENSA_INSB_IiSD_SE_SE_EEEEZNS1_13binary_searchIS3_S5_NSA_INS8_10device_ptrIyEEEESG_SI_NS1_16binary_search_opENS9_16wrapped_functionINS8_6system6detail7generic6detail18binary_search_lessEbEEEE10hipError_tPvRmT1_T2_T3_mmT4_T5_P12ihipStream_tbEUlRKyE_EESV_SZ_S10_mS11_S14_bEUlT_E_NS1_11comp_targetILNS1_3genE3ELNS1_11target_archE908ELNS1_3gpuE7ELNS1_3repE0EEENS1_30default_config_static_selectorELNS0_4arch9wavefront6targetE0EEEvSY_, .Lfunc_end665-_ZN7rocprim17ROCPRIM_400000_NS6detail17trampoline_kernelINS0_14default_configENS1_29binary_search_config_selectorIyiEEZNS1_14transform_implILb0ES3_S5_N6thrust23THRUST_200600_302600_NS6detail15normal_iteratorINS8_7pointerIyNS8_11hip_rocprim5par_tENS8_11use_defaultESE_EEEENSA_INSB_IiSD_SE_SE_EEEEZNS1_13binary_searchIS3_S5_NSA_INS8_10device_ptrIyEEEESG_SI_NS1_16binary_search_opENS9_16wrapped_functionINS8_6system6detail7generic6detail18binary_search_lessEbEEEE10hipError_tPvRmT1_T2_T3_mmT4_T5_P12ihipStream_tbEUlRKyE_EESV_SZ_S10_mS11_S14_bEUlT_E_NS1_11comp_targetILNS1_3genE3ELNS1_11target_archE908ELNS1_3gpuE7ELNS1_3repE0EEENS1_30default_config_static_selectorELNS0_4arch9wavefront6targetE0EEEvSY_
                                        ; -- End function
	.set _ZN7rocprim17ROCPRIM_400000_NS6detail17trampoline_kernelINS0_14default_configENS1_29binary_search_config_selectorIyiEEZNS1_14transform_implILb0ES3_S5_N6thrust23THRUST_200600_302600_NS6detail15normal_iteratorINS8_7pointerIyNS8_11hip_rocprim5par_tENS8_11use_defaultESE_EEEENSA_INSB_IiSD_SE_SE_EEEEZNS1_13binary_searchIS3_S5_NSA_INS8_10device_ptrIyEEEESG_SI_NS1_16binary_search_opENS9_16wrapped_functionINS8_6system6detail7generic6detail18binary_search_lessEbEEEE10hipError_tPvRmT1_T2_T3_mmT4_T5_P12ihipStream_tbEUlRKyE_EESV_SZ_S10_mS11_S14_bEUlT_E_NS1_11comp_targetILNS1_3genE3ELNS1_11target_archE908ELNS1_3gpuE7ELNS1_3repE0EEENS1_30default_config_static_selectorELNS0_4arch9wavefront6targetE0EEEvSY_.num_vgpr, 0
	.set _ZN7rocprim17ROCPRIM_400000_NS6detail17trampoline_kernelINS0_14default_configENS1_29binary_search_config_selectorIyiEEZNS1_14transform_implILb0ES3_S5_N6thrust23THRUST_200600_302600_NS6detail15normal_iteratorINS8_7pointerIyNS8_11hip_rocprim5par_tENS8_11use_defaultESE_EEEENSA_INSB_IiSD_SE_SE_EEEEZNS1_13binary_searchIS3_S5_NSA_INS8_10device_ptrIyEEEESG_SI_NS1_16binary_search_opENS9_16wrapped_functionINS8_6system6detail7generic6detail18binary_search_lessEbEEEE10hipError_tPvRmT1_T2_T3_mmT4_T5_P12ihipStream_tbEUlRKyE_EESV_SZ_S10_mS11_S14_bEUlT_E_NS1_11comp_targetILNS1_3genE3ELNS1_11target_archE908ELNS1_3gpuE7ELNS1_3repE0EEENS1_30default_config_static_selectorELNS0_4arch9wavefront6targetE0EEEvSY_.num_agpr, 0
	.set _ZN7rocprim17ROCPRIM_400000_NS6detail17trampoline_kernelINS0_14default_configENS1_29binary_search_config_selectorIyiEEZNS1_14transform_implILb0ES3_S5_N6thrust23THRUST_200600_302600_NS6detail15normal_iteratorINS8_7pointerIyNS8_11hip_rocprim5par_tENS8_11use_defaultESE_EEEENSA_INSB_IiSD_SE_SE_EEEEZNS1_13binary_searchIS3_S5_NSA_INS8_10device_ptrIyEEEESG_SI_NS1_16binary_search_opENS9_16wrapped_functionINS8_6system6detail7generic6detail18binary_search_lessEbEEEE10hipError_tPvRmT1_T2_T3_mmT4_T5_P12ihipStream_tbEUlRKyE_EESV_SZ_S10_mS11_S14_bEUlT_E_NS1_11comp_targetILNS1_3genE3ELNS1_11target_archE908ELNS1_3gpuE7ELNS1_3repE0EEENS1_30default_config_static_selectorELNS0_4arch9wavefront6targetE0EEEvSY_.numbered_sgpr, 0
	.set _ZN7rocprim17ROCPRIM_400000_NS6detail17trampoline_kernelINS0_14default_configENS1_29binary_search_config_selectorIyiEEZNS1_14transform_implILb0ES3_S5_N6thrust23THRUST_200600_302600_NS6detail15normal_iteratorINS8_7pointerIyNS8_11hip_rocprim5par_tENS8_11use_defaultESE_EEEENSA_INSB_IiSD_SE_SE_EEEEZNS1_13binary_searchIS3_S5_NSA_INS8_10device_ptrIyEEEESG_SI_NS1_16binary_search_opENS9_16wrapped_functionINS8_6system6detail7generic6detail18binary_search_lessEbEEEE10hipError_tPvRmT1_T2_T3_mmT4_T5_P12ihipStream_tbEUlRKyE_EESV_SZ_S10_mS11_S14_bEUlT_E_NS1_11comp_targetILNS1_3genE3ELNS1_11target_archE908ELNS1_3gpuE7ELNS1_3repE0EEENS1_30default_config_static_selectorELNS0_4arch9wavefront6targetE0EEEvSY_.num_named_barrier, 0
	.set _ZN7rocprim17ROCPRIM_400000_NS6detail17trampoline_kernelINS0_14default_configENS1_29binary_search_config_selectorIyiEEZNS1_14transform_implILb0ES3_S5_N6thrust23THRUST_200600_302600_NS6detail15normal_iteratorINS8_7pointerIyNS8_11hip_rocprim5par_tENS8_11use_defaultESE_EEEENSA_INSB_IiSD_SE_SE_EEEEZNS1_13binary_searchIS3_S5_NSA_INS8_10device_ptrIyEEEESG_SI_NS1_16binary_search_opENS9_16wrapped_functionINS8_6system6detail7generic6detail18binary_search_lessEbEEEE10hipError_tPvRmT1_T2_T3_mmT4_T5_P12ihipStream_tbEUlRKyE_EESV_SZ_S10_mS11_S14_bEUlT_E_NS1_11comp_targetILNS1_3genE3ELNS1_11target_archE908ELNS1_3gpuE7ELNS1_3repE0EEENS1_30default_config_static_selectorELNS0_4arch9wavefront6targetE0EEEvSY_.private_seg_size, 0
	.set _ZN7rocprim17ROCPRIM_400000_NS6detail17trampoline_kernelINS0_14default_configENS1_29binary_search_config_selectorIyiEEZNS1_14transform_implILb0ES3_S5_N6thrust23THRUST_200600_302600_NS6detail15normal_iteratorINS8_7pointerIyNS8_11hip_rocprim5par_tENS8_11use_defaultESE_EEEENSA_INSB_IiSD_SE_SE_EEEEZNS1_13binary_searchIS3_S5_NSA_INS8_10device_ptrIyEEEESG_SI_NS1_16binary_search_opENS9_16wrapped_functionINS8_6system6detail7generic6detail18binary_search_lessEbEEEE10hipError_tPvRmT1_T2_T3_mmT4_T5_P12ihipStream_tbEUlRKyE_EESV_SZ_S10_mS11_S14_bEUlT_E_NS1_11comp_targetILNS1_3genE3ELNS1_11target_archE908ELNS1_3gpuE7ELNS1_3repE0EEENS1_30default_config_static_selectorELNS0_4arch9wavefront6targetE0EEEvSY_.uses_vcc, 0
	.set _ZN7rocprim17ROCPRIM_400000_NS6detail17trampoline_kernelINS0_14default_configENS1_29binary_search_config_selectorIyiEEZNS1_14transform_implILb0ES3_S5_N6thrust23THRUST_200600_302600_NS6detail15normal_iteratorINS8_7pointerIyNS8_11hip_rocprim5par_tENS8_11use_defaultESE_EEEENSA_INSB_IiSD_SE_SE_EEEEZNS1_13binary_searchIS3_S5_NSA_INS8_10device_ptrIyEEEESG_SI_NS1_16binary_search_opENS9_16wrapped_functionINS8_6system6detail7generic6detail18binary_search_lessEbEEEE10hipError_tPvRmT1_T2_T3_mmT4_T5_P12ihipStream_tbEUlRKyE_EESV_SZ_S10_mS11_S14_bEUlT_E_NS1_11comp_targetILNS1_3genE3ELNS1_11target_archE908ELNS1_3gpuE7ELNS1_3repE0EEENS1_30default_config_static_selectorELNS0_4arch9wavefront6targetE0EEEvSY_.uses_flat_scratch, 0
	.set _ZN7rocprim17ROCPRIM_400000_NS6detail17trampoline_kernelINS0_14default_configENS1_29binary_search_config_selectorIyiEEZNS1_14transform_implILb0ES3_S5_N6thrust23THRUST_200600_302600_NS6detail15normal_iteratorINS8_7pointerIyNS8_11hip_rocprim5par_tENS8_11use_defaultESE_EEEENSA_INSB_IiSD_SE_SE_EEEEZNS1_13binary_searchIS3_S5_NSA_INS8_10device_ptrIyEEEESG_SI_NS1_16binary_search_opENS9_16wrapped_functionINS8_6system6detail7generic6detail18binary_search_lessEbEEEE10hipError_tPvRmT1_T2_T3_mmT4_T5_P12ihipStream_tbEUlRKyE_EESV_SZ_S10_mS11_S14_bEUlT_E_NS1_11comp_targetILNS1_3genE3ELNS1_11target_archE908ELNS1_3gpuE7ELNS1_3repE0EEENS1_30default_config_static_selectorELNS0_4arch9wavefront6targetE0EEEvSY_.has_dyn_sized_stack, 0
	.set _ZN7rocprim17ROCPRIM_400000_NS6detail17trampoline_kernelINS0_14default_configENS1_29binary_search_config_selectorIyiEEZNS1_14transform_implILb0ES3_S5_N6thrust23THRUST_200600_302600_NS6detail15normal_iteratorINS8_7pointerIyNS8_11hip_rocprim5par_tENS8_11use_defaultESE_EEEENSA_INSB_IiSD_SE_SE_EEEEZNS1_13binary_searchIS3_S5_NSA_INS8_10device_ptrIyEEEESG_SI_NS1_16binary_search_opENS9_16wrapped_functionINS8_6system6detail7generic6detail18binary_search_lessEbEEEE10hipError_tPvRmT1_T2_T3_mmT4_T5_P12ihipStream_tbEUlRKyE_EESV_SZ_S10_mS11_S14_bEUlT_E_NS1_11comp_targetILNS1_3genE3ELNS1_11target_archE908ELNS1_3gpuE7ELNS1_3repE0EEENS1_30default_config_static_selectorELNS0_4arch9wavefront6targetE0EEEvSY_.has_recursion, 0
	.set _ZN7rocprim17ROCPRIM_400000_NS6detail17trampoline_kernelINS0_14default_configENS1_29binary_search_config_selectorIyiEEZNS1_14transform_implILb0ES3_S5_N6thrust23THRUST_200600_302600_NS6detail15normal_iteratorINS8_7pointerIyNS8_11hip_rocprim5par_tENS8_11use_defaultESE_EEEENSA_INSB_IiSD_SE_SE_EEEEZNS1_13binary_searchIS3_S5_NSA_INS8_10device_ptrIyEEEESG_SI_NS1_16binary_search_opENS9_16wrapped_functionINS8_6system6detail7generic6detail18binary_search_lessEbEEEE10hipError_tPvRmT1_T2_T3_mmT4_T5_P12ihipStream_tbEUlRKyE_EESV_SZ_S10_mS11_S14_bEUlT_E_NS1_11comp_targetILNS1_3genE3ELNS1_11target_archE908ELNS1_3gpuE7ELNS1_3repE0EEENS1_30default_config_static_selectorELNS0_4arch9wavefront6targetE0EEEvSY_.has_indirect_call, 0
	.section	.AMDGPU.csdata,"",@progbits
; Kernel info:
; codeLenInByte = 0
; TotalNumSgprs: 0
; NumVgprs: 0
; ScratchSize: 0
; MemoryBound: 0
; FloatMode: 240
; IeeeMode: 1
; LDSByteSize: 0 bytes/workgroup (compile time only)
; SGPRBlocks: 0
; VGPRBlocks: 0
; NumSGPRsForWavesPerEU: 1
; NumVGPRsForWavesPerEU: 1
; Occupancy: 16
; WaveLimiterHint : 0
; COMPUTE_PGM_RSRC2:SCRATCH_EN: 0
; COMPUTE_PGM_RSRC2:USER_SGPR: 6
; COMPUTE_PGM_RSRC2:TRAP_HANDLER: 0
; COMPUTE_PGM_RSRC2:TGID_X_EN: 1
; COMPUTE_PGM_RSRC2:TGID_Y_EN: 0
; COMPUTE_PGM_RSRC2:TGID_Z_EN: 0
; COMPUTE_PGM_RSRC2:TIDIG_COMP_CNT: 0
	.section	.text._ZN7rocprim17ROCPRIM_400000_NS6detail17trampoline_kernelINS0_14default_configENS1_29binary_search_config_selectorIyiEEZNS1_14transform_implILb0ES3_S5_N6thrust23THRUST_200600_302600_NS6detail15normal_iteratorINS8_7pointerIyNS8_11hip_rocprim5par_tENS8_11use_defaultESE_EEEENSA_INSB_IiSD_SE_SE_EEEEZNS1_13binary_searchIS3_S5_NSA_INS8_10device_ptrIyEEEESG_SI_NS1_16binary_search_opENS9_16wrapped_functionINS8_6system6detail7generic6detail18binary_search_lessEbEEEE10hipError_tPvRmT1_T2_T3_mmT4_T5_P12ihipStream_tbEUlRKyE_EESV_SZ_S10_mS11_S14_bEUlT_E_NS1_11comp_targetILNS1_3genE2ELNS1_11target_archE906ELNS1_3gpuE6ELNS1_3repE0EEENS1_30default_config_static_selectorELNS0_4arch9wavefront6targetE0EEEvSY_,"axG",@progbits,_ZN7rocprim17ROCPRIM_400000_NS6detail17trampoline_kernelINS0_14default_configENS1_29binary_search_config_selectorIyiEEZNS1_14transform_implILb0ES3_S5_N6thrust23THRUST_200600_302600_NS6detail15normal_iteratorINS8_7pointerIyNS8_11hip_rocprim5par_tENS8_11use_defaultESE_EEEENSA_INSB_IiSD_SE_SE_EEEEZNS1_13binary_searchIS3_S5_NSA_INS8_10device_ptrIyEEEESG_SI_NS1_16binary_search_opENS9_16wrapped_functionINS8_6system6detail7generic6detail18binary_search_lessEbEEEE10hipError_tPvRmT1_T2_T3_mmT4_T5_P12ihipStream_tbEUlRKyE_EESV_SZ_S10_mS11_S14_bEUlT_E_NS1_11comp_targetILNS1_3genE2ELNS1_11target_archE906ELNS1_3gpuE6ELNS1_3repE0EEENS1_30default_config_static_selectorELNS0_4arch9wavefront6targetE0EEEvSY_,comdat
	.protected	_ZN7rocprim17ROCPRIM_400000_NS6detail17trampoline_kernelINS0_14default_configENS1_29binary_search_config_selectorIyiEEZNS1_14transform_implILb0ES3_S5_N6thrust23THRUST_200600_302600_NS6detail15normal_iteratorINS8_7pointerIyNS8_11hip_rocprim5par_tENS8_11use_defaultESE_EEEENSA_INSB_IiSD_SE_SE_EEEEZNS1_13binary_searchIS3_S5_NSA_INS8_10device_ptrIyEEEESG_SI_NS1_16binary_search_opENS9_16wrapped_functionINS8_6system6detail7generic6detail18binary_search_lessEbEEEE10hipError_tPvRmT1_T2_T3_mmT4_T5_P12ihipStream_tbEUlRKyE_EESV_SZ_S10_mS11_S14_bEUlT_E_NS1_11comp_targetILNS1_3genE2ELNS1_11target_archE906ELNS1_3gpuE6ELNS1_3repE0EEENS1_30default_config_static_selectorELNS0_4arch9wavefront6targetE0EEEvSY_ ; -- Begin function _ZN7rocprim17ROCPRIM_400000_NS6detail17trampoline_kernelINS0_14default_configENS1_29binary_search_config_selectorIyiEEZNS1_14transform_implILb0ES3_S5_N6thrust23THRUST_200600_302600_NS6detail15normal_iteratorINS8_7pointerIyNS8_11hip_rocprim5par_tENS8_11use_defaultESE_EEEENSA_INSB_IiSD_SE_SE_EEEEZNS1_13binary_searchIS3_S5_NSA_INS8_10device_ptrIyEEEESG_SI_NS1_16binary_search_opENS9_16wrapped_functionINS8_6system6detail7generic6detail18binary_search_lessEbEEEE10hipError_tPvRmT1_T2_T3_mmT4_T5_P12ihipStream_tbEUlRKyE_EESV_SZ_S10_mS11_S14_bEUlT_E_NS1_11comp_targetILNS1_3genE2ELNS1_11target_archE906ELNS1_3gpuE6ELNS1_3repE0EEENS1_30default_config_static_selectorELNS0_4arch9wavefront6targetE0EEEvSY_
	.globl	_ZN7rocprim17ROCPRIM_400000_NS6detail17trampoline_kernelINS0_14default_configENS1_29binary_search_config_selectorIyiEEZNS1_14transform_implILb0ES3_S5_N6thrust23THRUST_200600_302600_NS6detail15normal_iteratorINS8_7pointerIyNS8_11hip_rocprim5par_tENS8_11use_defaultESE_EEEENSA_INSB_IiSD_SE_SE_EEEEZNS1_13binary_searchIS3_S5_NSA_INS8_10device_ptrIyEEEESG_SI_NS1_16binary_search_opENS9_16wrapped_functionINS8_6system6detail7generic6detail18binary_search_lessEbEEEE10hipError_tPvRmT1_T2_T3_mmT4_T5_P12ihipStream_tbEUlRKyE_EESV_SZ_S10_mS11_S14_bEUlT_E_NS1_11comp_targetILNS1_3genE2ELNS1_11target_archE906ELNS1_3gpuE6ELNS1_3repE0EEENS1_30default_config_static_selectorELNS0_4arch9wavefront6targetE0EEEvSY_
	.p2align	8
	.type	_ZN7rocprim17ROCPRIM_400000_NS6detail17trampoline_kernelINS0_14default_configENS1_29binary_search_config_selectorIyiEEZNS1_14transform_implILb0ES3_S5_N6thrust23THRUST_200600_302600_NS6detail15normal_iteratorINS8_7pointerIyNS8_11hip_rocprim5par_tENS8_11use_defaultESE_EEEENSA_INSB_IiSD_SE_SE_EEEEZNS1_13binary_searchIS3_S5_NSA_INS8_10device_ptrIyEEEESG_SI_NS1_16binary_search_opENS9_16wrapped_functionINS8_6system6detail7generic6detail18binary_search_lessEbEEEE10hipError_tPvRmT1_T2_T3_mmT4_T5_P12ihipStream_tbEUlRKyE_EESV_SZ_S10_mS11_S14_bEUlT_E_NS1_11comp_targetILNS1_3genE2ELNS1_11target_archE906ELNS1_3gpuE6ELNS1_3repE0EEENS1_30default_config_static_selectorELNS0_4arch9wavefront6targetE0EEEvSY_,@function
_ZN7rocprim17ROCPRIM_400000_NS6detail17trampoline_kernelINS0_14default_configENS1_29binary_search_config_selectorIyiEEZNS1_14transform_implILb0ES3_S5_N6thrust23THRUST_200600_302600_NS6detail15normal_iteratorINS8_7pointerIyNS8_11hip_rocprim5par_tENS8_11use_defaultESE_EEEENSA_INSB_IiSD_SE_SE_EEEEZNS1_13binary_searchIS3_S5_NSA_INS8_10device_ptrIyEEEESG_SI_NS1_16binary_search_opENS9_16wrapped_functionINS8_6system6detail7generic6detail18binary_search_lessEbEEEE10hipError_tPvRmT1_T2_T3_mmT4_T5_P12ihipStream_tbEUlRKyE_EESV_SZ_S10_mS11_S14_bEUlT_E_NS1_11comp_targetILNS1_3genE2ELNS1_11target_archE906ELNS1_3gpuE6ELNS1_3repE0EEENS1_30default_config_static_selectorELNS0_4arch9wavefront6targetE0EEEvSY_: ; @_ZN7rocprim17ROCPRIM_400000_NS6detail17trampoline_kernelINS0_14default_configENS1_29binary_search_config_selectorIyiEEZNS1_14transform_implILb0ES3_S5_N6thrust23THRUST_200600_302600_NS6detail15normal_iteratorINS8_7pointerIyNS8_11hip_rocprim5par_tENS8_11use_defaultESE_EEEENSA_INSB_IiSD_SE_SE_EEEEZNS1_13binary_searchIS3_S5_NSA_INS8_10device_ptrIyEEEESG_SI_NS1_16binary_search_opENS9_16wrapped_functionINS8_6system6detail7generic6detail18binary_search_lessEbEEEE10hipError_tPvRmT1_T2_T3_mmT4_T5_P12ihipStream_tbEUlRKyE_EESV_SZ_S10_mS11_S14_bEUlT_E_NS1_11comp_targetILNS1_3genE2ELNS1_11target_archE906ELNS1_3gpuE6ELNS1_3repE0EEENS1_30default_config_static_selectorELNS0_4arch9wavefront6targetE0EEEvSY_
; %bb.0:
	.section	.rodata,"a",@progbits
	.p2align	6, 0x0
	.amdhsa_kernel _ZN7rocprim17ROCPRIM_400000_NS6detail17trampoline_kernelINS0_14default_configENS1_29binary_search_config_selectorIyiEEZNS1_14transform_implILb0ES3_S5_N6thrust23THRUST_200600_302600_NS6detail15normal_iteratorINS8_7pointerIyNS8_11hip_rocprim5par_tENS8_11use_defaultESE_EEEENSA_INSB_IiSD_SE_SE_EEEEZNS1_13binary_searchIS3_S5_NSA_INS8_10device_ptrIyEEEESG_SI_NS1_16binary_search_opENS9_16wrapped_functionINS8_6system6detail7generic6detail18binary_search_lessEbEEEE10hipError_tPvRmT1_T2_T3_mmT4_T5_P12ihipStream_tbEUlRKyE_EESV_SZ_S10_mS11_S14_bEUlT_E_NS1_11comp_targetILNS1_3genE2ELNS1_11target_archE906ELNS1_3gpuE6ELNS1_3repE0EEENS1_30default_config_static_selectorELNS0_4arch9wavefront6targetE0EEEvSY_
		.amdhsa_group_segment_fixed_size 0
		.amdhsa_private_segment_fixed_size 0
		.amdhsa_kernarg_size 56
		.amdhsa_user_sgpr_count 6
		.amdhsa_user_sgpr_private_segment_buffer 1
		.amdhsa_user_sgpr_dispatch_ptr 0
		.amdhsa_user_sgpr_queue_ptr 0
		.amdhsa_user_sgpr_kernarg_segment_ptr 1
		.amdhsa_user_sgpr_dispatch_id 0
		.amdhsa_user_sgpr_flat_scratch_init 0
		.amdhsa_user_sgpr_private_segment_size 0
		.amdhsa_wavefront_size32 1
		.amdhsa_uses_dynamic_stack 0
		.amdhsa_system_sgpr_private_segment_wavefront_offset 0
		.amdhsa_system_sgpr_workgroup_id_x 1
		.amdhsa_system_sgpr_workgroup_id_y 0
		.amdhsa_system_sgpr_workgroup_id_z 0
		.amdhsa_system_sgpr_workgroup_info 0
		.amdhsa_system_vgpr_workitem_id 0
		.amdhsa_next_free_vgpr 1
		.amdhsa_next_free_sgpr 1
		.amdhsa_reserve_vcc 0
		.amdhsa_reserve_flat_scratch 0
		.amdhsa_float_round_mode_32 0
		.amdhsa_float_round_mode_16_64 0
		.amdhsa_float_denorm_mode_32 3
		.amdhsa_float_denorm_mode_16_64 3
		.amdhsa_dx10_clamp 1
		.amdhsa_ieee_mode 1
		.amdhsa_fp16_overflow 0
		.amdhsa_workgroup_processor_mode 1
		.amdhsa_memory_ordered 1
		.amdhsa_forward_progress 1
		.amdhsa_shared_vgpr_count 0
		.amdhsa_exception_fp_ieee_invalid_op 0
		.amdhsa_exception_fp_denorm_src 0
		.amdhsa_exception_fp_ieee_div_zero 0
		.amdhsa_exception_fp_ieee_overflow 0
		.amdhsa_exception_fp_ieee_underflow 0
		.amdhsa_exception_fp_ieee_inexact 0
		.amdhsa_exception_int_div_zero 0
	.end_amdhsa_kernel
	.section	.text._ZN7rocprim17ROCPRIM_400000_NS6detail17trampoline_kernelINS0_14default_configENS1_29binary_search_config_selectorIyiEEZNS1_14transform_implILb0ES3_S5_N6thrust23THRUST_200600_302600_NS6detail15normal_iteratorINS8_7pointerIyNS8_11hip_rocprim5par_tENS8_11use_defaultESE_EEEENSA_INSB_IiSD_SE_SE_EEEEZNS1_13binary_searchIS3_S5_NSA_INS8_10device_ptrIyEEEESG_SI_NS1_16binary_search_opENS9_16wrapped_functionINS8_6system6detail7generic6detail18binary_search_lessEbEEEE10hipError_tPvRmT1_T2_T3_mmT4_T5_P12ihipStream_tbEUlRKyE_EESV_SZ_S10_mS11_S14_bEUlT_E_NS1_11comp_targetILNS1_3genE2ELNS1_11target_archE906ELNS1_3gpuE6ELNS1_3repE0EEENS1_30default_config_static_selectorELNS0_4arch9wavefront6targetE0EEEvSY_,"axG",@progbits,_ZN7rocprim17ROCPRIM_400000_NS6detail17trampoline_kernelINS0_14default_configENS1_29binary_search_config_selectorIyiEEZNS1_14transform_implILb0ES3_S5_N6thrust23THRUST_200600_302600_NS6detail15normal_iteratorINS8_7pointerIyNS8_11hip_rocprim5par_tENS8_11use_defaultESE_EEEENSA_INSB_IiSD_SE_SE_EEEEZNS1_13binary_searchIS3_S5_NSA_INS8_10device_ptrIyEEEESG_SI_NS1_16binary_search_opENS9_16wrapped_functionINS8_6system6detail7generic6detail18binary_search_lessEbEEEE10hipError_tPvRmT1_T2_T3_mmT4_T5_P12ihipStream_tbEUlRKyE_EESV_SZ_S10_mS11_S14_bEUlT_E_NS1_11comp_targetILNS1_3genE2ELNS1_11target_archE906ELNS1_3gpuE6ELNS1_3repE0EEENS1_30default_config_static_selectorELNS0_4arch9wavefront6targetE0EEEvSY_,comdat
.Lfunc_end666:
	.size	_ZN7rocprim17ROCPRIM_400000_NS6detail17trampoline_kernelINS0_14default_configENS1_29binary_search_config_selectorIyiEEZNS1_14transform_implILb0ES3_S5_N6thrust23THRUST_200600_302600_NS6detail15normal_iteratorINS8_7pointerIyNS8_11hip_rocprim5par_tENS8_11use_defaultESE_EEEENSA_INSB_IiSD_SE_SE_EEEEZNS1_13binary_searchIS3_S5_NSA_INS8_10device_ptrIyEEEESG_SI_NS1_16binary_search_opENS9_16wrapped_functionINS8_6system6detail7generic6detail18binary_search_lessEbEEEE10hipError_tPvRmT1_T2_T3_mmT4_T5_P12ihipStream_tbEUlRKyE_EESV_SZ_S10_mS11_S14_bEUlT_E_NS1_11comp_targetILNS1_3genE2ELNS1_11target_archE906ELNS1_3gpuE6ELNS1_3repE0EEENS1_30default_config_static_selectorELNS0_4arch9wavefront6targetE0EEEvSY_, .Lfunc_end666-_ZN7rocprim17ROCPRIM_400000_NS6detail17trampoline_kernelINS0_14default_configENS1_29binary_search_config_selectorIyiEEZNS1_14transform_implILb0ES3_S5_N6thrust23THRUST_200600_302600_NS6detail15normal_iteratorINS8_7pointerIyNS8_11hip_rocprim5par_tENS8_11use_defaultESE_EEEENSA_INSB_IiSD_SE_SE_EEEEZNS1_13binary_searchIS3_S5_NSA_INS8_10device_ptrIyEEEESG_SI_NS1_16binary_search_opENS9_16wrapped_functionINS8_6system6detail7generic6detail18binary_search_lessEbEEEE10hipError_tPvRmT1_T2_T3_mmT4_T5_P12ihipStream_tbEUlRKyE_EESV_SZ_S10_mS11_S14_bEUlT_E_NS1_11comp_targetILNS1_3genE2ELNS1_11target_archE906ELNS1_3gpuE6ELNS1_3repE0EEENS1_30default_config_static_selectorELNS0_4arch9wavefront6targetE0EEEvSY_
                                        ; -- End function
	.set _ZN7rocprim17ROCPRIM_400000_NS6detail17trampoline_kernelINS0_14default_configENS1_29binary_search_config_selectorIyiEEZNS1_14transform_implILb0ES3_S5_N6thrust23THRUST_200600_302600_NS6detail15normal_iteratorINS8_7pointerIyNS8_11hip_rocprim5par_tENS8_11use_defaultESE_EEEENSA_INSB_IiSD_SE_SE_EEEEZNS1_13binary_searchIS3_S5_NSA_INS8_10device_ptrIyEEEESG_SI_NS1_16binary_search_opENS9_16wrapped_functionINS8_6system6detail7generic6detail18binary_search_lessEbEEEE10hipError_tPvRmT1_T2_T3_mmT4_T5_P12ihipStream_tbEUlRKyE_EESV_SZ_S10_mS11_S14_bEUlT_E_NS1_11comp_targetILNS1_3genE2ELNS1_11target_archE906ELNS1_3gpuE6ELNS1_3repE0EEENS1_30default_config_static_selectorELNS0_4arch9wavefront6targetE0EEEvSY_.num_vgpr, 0
	.set _ZN7rocprim17ROCPRIM_400000_NS6detail17trampoline_kernelINS0_14default_configENS1_29binary_search_config_selectorIyiEEZNS1_14transform_implILb0ES3_S5_N6thrust23THRUST_200600_302600_NS6detail15normal_iteratorINS8_7pointerIyNS8_11hip_rocprim5par_tENS8_11use_defaultESE_EEEENSA_INSB_IiSD_SE_SE_EEEEZNS1_13binary_searchIS3_S5_NSA_INS8_10device_ptrIyEEEESG_SI_NS1_16binary_search_opENS9_16wrapped_functionINS8_6system6detail7generic6detail18binary_search_lessEbEEEE10hipError_tPvRmT1_T2_T3_mmT4_T5_P12ihipStream_tbEUlRKyE_EESV_SZ_S10_mS11_S14_bEUlT_E_NS1_11comp_targetILNS1_3genE2ELNS1_11target_archE906ELNS1_3gpuE6ELNS1_3repE0EEENS1_30default_config_static_selectorELNS0_4arch9wavefront6targetE0EEEvSY_.num_agpr, 0
	.set _ZN7rocprim17ROCPRIM_400000_NS6detail17trampoline_kernelINS0_14default_configENS1_29binary_search_config_selectorIyiEEZNS1_14transform_implILb0ES3_S5_N6thrust23THRUST_200600_302600_NS6detail15normal_iteratorINS8_7pointerIyNS8_11hip_rocprim5par_tENS8_11use_defaultESE_EEEENSA_INSB_IiSD_SE_SE_EEEEZNS1_13binary_searchIS3_S5_NSA_INS8_10device_ptrIyEEEESG_SI_NS1_16binary_search_opENS9_16wrapped_functionINS8_6system6detail7generic6detail18binary_search_lessEbEEEE10hipError_tPvRmT1_T2_T3_mmT4_T5_P12ihipStream_tbEUlRKyE_EESV_SZ_S10_mS11_S14_bEUlT_E_NS1_11comp_targetILNS1_3genE2ELNS1_11target_archE906ELNS1_3gpuE6ELNS1_3repE0EEENS1_30default_config_static_selectorELNS0_4arch9wavefront6targetE0EEEvSY_.numbered_sgpr, 0
	.set _ZN7rocprim17ROCPRIM_400000_NS6detail17trampoline_kernelINS0_14default_configENS1_29binary_search_config_selectorIyiEEZNS1_14transform_implILb0ES3_S5_N6thrust23THRUST_200600_302600_NS6detail15normal_iteratorINS8_7pointerIyNS8_11hip_rocprim5par_tENS8_11use_defaultESE_EEEENSA_INSB_IiSD_SE_SE_EEEEZNS1_13binary_searchIS3_S5_NSA_INS8_10device_ptrIyEEEESG_SI_NS1_16binary_search_opENS9_16wrapped_functionINS8_6system6detail7generic6detail18binary_search_lessEbEEEE10hipError_tPvRmT1_T2_T3_mmT4_T5_P12ihipStream_tbEUlRKyE_EESV_SZ_S10_mS11_S14_bEUlT_E_NS1_11comp_targetILNS1_3genE2ELNS1_11target_archE906ELNS1_3gpuE6ELNS1_3repE0EEENS1_30default_config_static_selectorELNS0_4arch9wavefront6targetE0EEEvSY_.num_named_barrier, 0
	.set _ZN7rocprim17ROCPRIM_400000_NS6detail17trampoline_kernelINS0_14default_configENS1_29binary_search_config_selectorIyiEEZNS1_14transform_implILb0ES3_S5_N6thrust23THRUST_200600_302600_NS6detail15normal_iteratorINS8_7pointerIyNS8_11hip_rocprim5par_tENS8_11use_defaultESE_EEEENSA_INSB_IiSD_SE_SE_EEEEZNS1_13binary_searchIS3_S5_NSA_INS8_10device_ptrIyEEEESG_SI_NS1_16binary_search_opENS9_16wrapped_functionINS8_6system6detail7generic6detail18binary_search_lessEbEEEE10hipError_tPvRmT1_T2_T3_mmT4_T5_P12ihipStream_tbEUlRKyE_EESV_SZ_S10_mS11_S14_bEUlT_E_NS1_11comp_targetILNS1_3genE2ELNS1_11target_archE906ELNS1_3gpuE6ELNS1_3repE0EEENS1_30default_config_static_selectorELNS0_4arch9wavefront6targetE0EEEvSY_.private_seg_size, 0
	.set _ZN7rocprim17ROCPRIM_400000_NS6detail17trampoline_kernelINS0_14default_configENS1_29binary_search_config_selectorIyiEEZNS1_14transform_implILb0ES3_S5_N6thrust23THRUST_200600_302600_NS6detail15normal_iteratorINS8_7pointerIyNS8_11hip_rocprim5par_tENS8_11use_defaultESE_EEEENSA_INSB_IiSD_SE_SE_EEEEZNS1_13binary_searchIS3_S5_NSA_INS8_10device_ptrIyEEEESG_SI_NS1_16binary_search_opENS9_16wrapped_functionINS8_6system6detail7generic6detail18binary_search_lessEbEEEE10hipError_tPvRmT1_T2_T3_mmT4_T5_P12ihipStream_tbEUlRKyE_EESV_SZ_S10_mS11_S14_bEUlT_E_NS1_11comp_targetILNS1_3genE2ELNS1_11target_archE906ELNS1_3gpuE6ELNS1_3repE0EEENS1_30default_config_static_selectorELNS0_4arch9wavefront6targetE0EEEvSY_.uses_vcc, 0
	.set _ZN7rocprim17ROCPRIM_400000_NS6detail17trampoline_kernelINS0_14default_configENS1_29binary_search_config_selectorIyiEEZNS1_14transform_implILb0ES3_S5_N6thrust23THRUST_200600_302600_NS6detail15normal_iteratorINS8_7pointerIyNS8_11hip_rocprim5par_tENS8_11use_defaultESE_EEEENSA_INSB_IiSD_SE_SE_EEEEZNS1_13binary_searchIS3_S5_NSA_INS8_10device_ptrIyEEEESG_SI_NS1_16binary_search_opENS9_16wrapped_functionINS8_6system6detail7generic6detail18binary_search_lessEbEEEE10hipError_tPvRmT1_T2_T3_mmT4_T5_P12ihipStream_tbEUlRKyE_EESV_SZ_S10_mS11_S14_bEUlT_E_NS1_11comp_targetILNS1_3genE2ELNS1_11target_archE906ELNS1_3gpuE6ELNS1_3repE0EEENS1_30default_config_static_selectorELNS0_4arch9wavefront6targetE0EEEvSY_.uses_flat_scratch, 0
	.set _ZN7rocprim17ROCPRIM_400000_NS6detail17trampoline_kernelINS0_14default_configENS1_29binary_search_config_selectorIyiEEZNS1_14transform_implILb0ES3_S5_N6thrust23THRUST_200600_302600_NS6detail15normal_iteratorINS8_7pointerIyNS8_11hip_rocprim5par_tENS8_11use_defaultESE_EEEENSA_INSB_IiSD_SE_SE_EEEEZNS1_13binary_searchIS3_S5_NSA_INS8_10device_ptrIyEEEESG_SI_NS1_16binary_search_opENS9_16wrapped_functionINS8_6system6detail7generic6detail18binary_search_lessEbEEEE10hipError_tPvRmT1_T2_T3_mmT4_T5_P12ihipStream_tbEUlRKyE_EESV_SZ_S10_mS11_S14_bEUlT_E_NS1_11comp_targetILNS1_3genE2ELNS1_11target_archE906ELNS1_3gpuE6ELNS1_3repE0EEENS1_30default_config_static_selectorELNS0_4arch9wavefront6targetE0EEEvSY_.has_dyn_sized_stack, 0
	.set _ZN7rocprim17ROCPRIM_400000_NS6detail17trampoline_kernelINS0_14default_configENS1_29binary_search_config_selectorIyiEEZNS1_14transform_implILb0ES3_S5_N6thrust23THRUST_200600_302600_NS6detail15normal_iteratorINS8_7pointerIyNS8_11hip_rocprim5par_tENS8_11use_defaultESE_EEEENSA_INSB_IiSD_SE_SE_EEEEZNS1_13binary_searchIS3_S5_NSA_INS8_10device_ptrIyEEEESG_SI_NS1_16binary_search_opENS9_16wrapped_functionINS8_6system6detail7generic6detail18binary_search_lessEbEEEE10hipError_tPvRmT1_T2_T3_mmT4_T5_P12ihipStream_tbEUlRKyE_EESV_SZ_S10_mS11_S14_bEUlT_E_NS1_11comp_targetILNS1_3genE2ELNS1_11target_archE906ELNS1_3gpuE6ELNS1_3repE0EEENS1_30default_config_static_selectorELNS0_4arch9wavefront6targetE0EEEvSY_.has_recursion, 0
	.set _ZN7rocprim17ROCPRIM_400000_NS6detail17trampoline_kernelINS0_14default_configENS1_29binary_search_config_selectorIyiEEZNS1_14transform_implILb0ES3_S5_N6thrust23THRUST_200600_302600_NS6detail15normal_iteratorINS8_7pointerIyNS8_11hip_rocprim5par_tENS8_11use_defaultESE_EEEENSA_INSB_IiSD_SE_SE_EEEEZNS1_13binary_searchIS3_S5_NSA_INS8_10device_ptrIyEEEESG_SI_NS1_16binary_search_opENS9_16wrapped_functionINS8_6system6detail7generic6detail18binary_search_lessEbEEEE10hipError_tPvRmT1_T2_T3_mmT4_T5_P12ihipStream_tbEUlRKyE_EESV_SZ_S10_mS11_S14_bEUlT_E_NS1_11comp_targetILNS1_3genE2ELNS1_11target_archE906ELNS1_3gpuE6ELNS1_3repE0EEENS1_30default_config_static_selectorELNS0_4arch9wavefront6targetE0EEEvSY_.has_indirect_call, 0
	.section	.AMDGPU.csdata,"",@progbits
; Kernel info:
; codeLenInByte = 0
; TotalNumSgprs: 0
; NumVgprs: 0
; ScratchSize: 0
; MemoryBound: 0
; FloatMode: 240
; IeeeMode: 1
; LDSByteSize: 0 bytes/workgroup (compile time only)
; SGPRBlocks: 0
; VGPRBlocks: 0
; NumSGPRsForWavesPerEU: 1
; NumVGPRsForWavesPerEU: 1
; Occupancy: 16
; WaveLimiterHint : 0
; COMPUTE_PGM_RSRC2:SCRATCH_EN: 0
; COMPUTE_PGM_RSRC2:USER_SGPR: 6
; COMPUTE_PGM_RSRC2:TRAP_HANDLER: 0
; COMPUTE_PGM_RSRC2:TGID_X_EN: 1
; COMPUTE_PGM_RSRC2:TGID_Y_EN: 0
; COMPUTE_PGM_RSRC2:TGID_Z_EN: 0
; COMPUTE_PGM_RSRC2:TIDIG_COMP_CNT: 0
	.section	.text._ZN7rocprim17ROCPRIM_400000_NS6detail17trampoline_kernelINS0_14default_configENS1_29binary_search_config_selectorIyiEEZNS1_14transform_implILb0ES3_S5_N6thrust23THRUST_200600_302600_NS6detail15normal_iteratorINS8_7pointerIyNS8_11hip_rocprim5par_tENS8_11use_defaultESE_EEEENSA_INSB_IiSD_SE_SE_EEEEZNS1_13binary_searchIS3_S5_NSA_INS8_10device_ptrIyEEEESG_SI_NS1_16binary_search_opENS9_16wrapped_functionINS8_6system6detail7generic6detail18binary_search_lessEbEEEE10hipError_tPvRmT1_T2_T3_mmT4_T5_P12ihipStream_tbEUlRKyE_EESV_SZ_S10_mS11_S14_bEUlT_E_NS1_11comp_targetILNS1_3genE10ELNS1_11target_archE1201ELNS1_3gpuE5ELNS1_3repE0EEENS1_30default_config_static_selectorELNS0_4arch9wavefront6targetE0EEEvSY_,"axG",@progbits,_ZN7rocprim17ROCPRIM_400000_NS6detail17trampoline_kernelINS0_14default_configENS1_29binary_search_config_selectorIyiEEZNS1_14transform_implILb0ES3_S5_N6thrust23THRUST_200600_302600_NS6detail15normal_iteratorINS8_7pointerIyNS8_11hip_rocprim5par_tENS8_11use_defaultESE_EEEENSA_INSB_IiSD_SE_SE_EEEEZNS1_13binary_searchIS3_S5_NSA_INS8_10device_ptrIyEEEESG_SI_NS1_16binary_search_opENS9_16wrapped_functionINS8_6system6detail7generic6detail18binary_search_lessEbEEEE10hipError_tPvRmT1_T2_T3_mmT4_T5_P12ihipStream_tbEUlRKyE_EESV_SZ_S10_mS11_S14_bEUlT_E_NS1_11comp_targetILNS1_3genE10ELNS1_11target_archE1201ELNS1_3gpuE5ELNS1_3repE0EEENS1_30default_config_static_selectorELNS0_4arch9wavefront6targetE0EEEvSY_,comdat
	.protected	_ZN7rocprim17ROCPRIM_400000_NS6detail17trampoline_kernelINS0_14default_configENS1_29binary_search_config_selectorIyiEEZNS1_14transform_implILb0ES3_S5_N6thrust23THRUST_200600_302600_NS6detail15normal_iteratorINS8_7pointerIyNS8_11hip_rocprim5par_tENS8_11use_defaultESE_EEEENSA_INSB_IiSD_SE_SE_EEEEZNS1_13binary_searchIS3_S5_NSA_INS8_10device_ptrIyEEEESG_SI_NS1_16binary_search_opENS9_16wrapped_functionINS8_6system6detail7generic6detail18binary_search_lessEbEEEE10hipError_tPvRmT1_T2_T3_mmT4_T5_P12ihipStream_tbEUlRKyE_EESV_SZ_S10_mS11_S14_bEUlT_E_NS1_11comp_targetILNS1_3genE10ELNS1_11target_archE1201ELNS1_3gpuE5ELNS1_3repE0EEENS1_30default_config_static_selectorELNS0_4arch9wavefront6targetE0EEEvSY_ ; -- Begin function _ZN7rocprim17ROCPRIM_400000_NS6detail17trampoline_kernelINS0_14default_configENS1_29binary_search_config_selectorIyiEEZNS1_14transform_implILb0ES3_S5_N6thrust23THRUST_200600_302600_NS6detail15normal_iteratorINS8_7pointerIyNS8_11hip_rocprim5par_tENS8_11use_defaultESE_EEEENSA_INSB_IiSD_SE_SE_EEEEZNS1_13binary_searchIS3_S5_NSA_INS8_10device_ptrIyEEEESG_SI_NS1_16binary_search_opENS9_16wrapped_functionINS8_6system6detail7generic6detail18binary_search_lessEbEEEE10hipError_tPvRmT1_T2_T3_mmT4_T5_P12ihipStream_tbEUlRKyE_EESV_SZ_S10_mS11_S14_bEUlT_E_NS1_11comp_targetILNS1_3genE10ELNS1_11target_archE1201ELNS1_3gpuE5ELNS1_3repE0EEENS1_30default_config_static_selectorELNS0_4arch9wavefront6targetE0EEEvSY_
	.globl	_ZN7rocprim17ROCPRIM_400000_NS6detail17trampoline_kernelINS0_14default_configENS1_29binary_search_config_selectorIyiEEZNS1_14transform_implILb0ES3_S5_N6thrust23THRUST_200600_302600_NS6detail15normal_iteratorINS8_7pointerIyNS8_11hip_rocprim5par_tENS8_11use_defaultESE_EEEENSA_INSB_IiSD_SE_SE_EEEEZNS1_13binary_searchIS3_S5_NSA_INS8_10device_ptrIyEEEESG_SI_NS1_16binary_search_opENS9_16wrapped_functionINS8_6system6detail7generic6detail18binary_search_lessEbEEEE10hipError_tPvRmT1_T2_T3_mmT4_T5_P12ihipStream_tbEUlRKyE_EESV_SZ_S10_mS11_S14_bEUlT_E_NS1_11comp_targetILNS1_3genE10ELNS1_11target_archE1201ELNS1_3gpuE5ELNS1_3repE0EEENS1_30default_config_static_selectorELNS0_4arch9wavefront6targetE0EEEvSY_
	.p2align	8
	.type	_ZN7rocprim17ROCPRIM_400000_NS6detail17trampoline_kernelINS0_14default_configENS1_29binary_search_config_selectorIyiEEZNS1_14transform_implILb0ES3_S5_N6thrust23THRUST_200600_302600_NS6detail15normal_iteratorINS8_7pointerIyNS8_11hip_rocprim5par_tENS8_11use_defaultESE_EEEENSA_INSB_IiSD_SE_SE_EEEEZNS1_13binary_searchIS3_S5_NSA_INS8_10device_ptrIyEEEESG_SI_NS1_16binary_search_opENS9_16wrapped_functionINS8_6system6detail7generic6detail18binary_search_lessEbEEEE10hipError_tPvRmT1_T2_T3_mmT4_T5_P12ihipStream_tbEUlRKyE_EESV_SZ_S10_mS11_S14_bEUlT_E_NS1_11comp_targetILNS1_3genE10ELNS1_11target_archE1201ELNS1_3gpuE5ELNS1_3repE0EEENS1_30default_config_static_selectorELNS0_4arch9wavefront6targetE0EEEvSY_,@function
_ZN7rocprim17ROCPRIM_400000_NS6detail17trampoline_kernelINS0_14default_configENS1_29binary_search_config_selectorIyiEEZNS1_14transform_implILb0ES3_S5_N6thrust23THRUST_200600_302600_NS6detail15normal_iteratorINS8_7pointerIyNS8_11hip_rocprim5par_tENS8_11use_defaultESE_EEEENSA_INSB_IiSD_SE_SE_EEEEZNS1_13binary_searchIS3_S5_NSA_INS8_10device_ptrIyEEEESG_SI_NS1_16binary_search_opENS9_16wrapped_functionINS8_6system6detail7generic6detail18binary_search_lessEbEEEE10hipError_tPvRmT1_T2_T3_mmT4_T5_P12ihipStream_tbEUlRKyE_EESV_SZ_S10_mS11_S14_bEUlT_E_NS1_11comp_targetILNS1_3genE10ELNS1_11target_archE1201ELNS1_3gpuE5ELNS1_3repE0EEENS1_30default_config_static_selectorELNS0_4arch9wavefront6targetE0EEEvSY_: ; @_ZN7rocprim17ROCPRIM_400000_NS6detail17trampoline_kernelINS0_14default_configENS1_29binary_search_config_selectorIyiEEZNS1_14transform_implILb0ES3_S5_N6thrust23THRUST_200600_302600_NS6detail15normal_iteratorINS8_7pointerIyNS8_11hip_rocprim5par_tENS8_11use_defaultESE_EEEENSA_INSB_IiSD_SE_SE_EEEEZNS1_13binary_searchIS3_S5_NSA_INS8_10device_ptrIyEEEESG_SI_NS1_16binary_search_opENS9_16wrapped_functionINS8_6system6detail7generic6detail18binary_search_lessEbEEEE10hipError_tPvRmT1_T2_T3_mmT4_T5_P12ihipStream_tbEUlRKyE_EESV_SZ_S10_mS11_S14_bEUlT_E_NS1_11comp_targetILNS1_3genE10ELNS1_11target_archE1201ELNS1_3gpuE5ELNS1_3repE0EEENS1_30default_config_static_selectorELNS0_4arch9wavefront6targetE0EEEvSY_
; %bb.0:
	.section	.rodata,"a",@progbits
	.p2align	6, 0x0
	.amdhsa_kernel _ZN7rocprim17ROCPRIM_400000_NS6detail17trampoline_kernelINS0_14default_configENS1_29binary_search_config_selectorIyiEEZNS1_14transform_implILb0ES3_S5_N6thrust23THRUST_200600_302600_NS6detail15normal_iteratorINS8_7pointerIyNS8_11hip_rocprim5par_tENS8_11use_defaultESE_EEEENSA_INSB_IiSD_SE_SE_EEEEZNS1_13binary_searchIS3_S5_NSA_INS8_10device_ptrIyEEEESG_SI_NS1_16binary_search_opENS9_16wrapped_functionINS8_6system6detail7generic6detail18binary_search_lessEbEEEE10hipError_tPvRmT1_T2_T3_mmT4_T5_P12ihipStream_tbEUlRKyE_EESV_SZ_S10_mS11_S14_bEUlT_E_NS1_11comp_targetILNS1_3genE10ELNS1_11target_archE1201ELNS1_3gpuE5ELNS1_3repE0EEENS1_30default_config_static_selectorELNS0_4arch9wavefront6targetE0EEEvSY_
		.amdhsa_group_segment_fixed_size 0
		.amdhsa_private_segment_fixed_size 0
		.amdhsa_kernarg_size 56
		.amdhsa_user_sgpr_count 6
		.amdhsa_user_sgpr_private_segment_buffer 1
		.amdhsa_user_sgpr_dispatch_ptr 0
		.amdhsa_user_sgpr_queue_ptr 0
		.amdhsa_user_sgpr_kernarg_segment_ptr 1
		.amdhsa_user_sgpr_dispatch_id 0
		.amdhsa_user_sgpr_flat_scratch_init 0
		.amdhsa_user_sgpr_private_segment_size 0
		.amdhsa_wavefront_size32 1
		.amdhsa_uses_dynamic_stack 0
		.amdhsa_system_sgpr_private_segment_wavefront_offset 0
		.amdhsa_system_sgpr_workgroup_id_x 1
		.amdhsa_system_sgpr_workgroup_id_y 0
		.amdhsa_system_sgpr_workgroup_id_z 0
		.amdhsa_system_sgpr_workgroup_info 0
		.amdhsa_system_vgpr_workitem_id 0
		.amdhsa_next_free_vgpr 1
		.amdhsa_next_free_sgpr 1
		.amdhsa_reserve_vcc 0
		.amdhsa_reserve_flat_scratch 0
		.amdhsa_float_round_mode_32 0
		.amdhsa_float_round_mode_16_64 0
		.amdhsa_float_denorm_mode_32 3
		.amdhsa_float_denorm_mode_16_64 3
		.amdhsa_dx10_clamp 1
		.amdhsa_ieee_mode 1
		.amdhsa_fp16_overflow 0
		.amdhsa_workgroup_processor_mode 1
		.amdhsa_memory_ordered 1
		.amdhsa_forward_progress 1
		.amdhsa_shared_vgpr_count 0
		.amdhsa_exception_fp_ieee_invalid_op 0
		.amdhsa_exception_fp_denorm_src 0
		.amdhsa_exception_fp_ieee_div_zero 0
		.amdhsa_exception_fp_ieee_overflow 0
		.amdhsa_exception_fp_ieee_underflow 0
		.amdhsa_exception_fp_ieee_inexact 0
		.amdhsa_exception_int_div_zero 0
	.end_amdhsa_kernel
	.section	.text._ZN7rocprim17ROCPRIM_400000_NS6detail17trampoline_kernelINS0_14default_configENS1_29binary_search_config_selectorIyiEEZNS1_14transform_implILb0ES3_S5_N6thrust23THRUST_200600_302600_NS6detail15normal_iteratorINS8_7pointerIyNS8_11hip_rocprim5par_tENS8_11use_defaultESE_EEEENSA_INSB_IiSD_SE_SE_EEEEZNS1_13binary_searchIS3_S5_NSA_INS8_10device_ptrIyEEEESG_SI_NS1_16binary_search_opENS9_16wrapped_functionINS8_6system6detail7generic6detail18binary_search_lessEbEEEE10hipError_tPvRmT1_T2_T3_mmT4_T5_P12ihipStream_tbEUlRKyE_EESV_SZ_S10_mS11_S14_bEUlT_E_NS1_11comp_targetILNS1_3genE10ELNS1_11target_archE1201ELNS1_3gpuE5ELNS1_3repE0EEENS1_30default_config_static_selectorELNS0_4arch9wavefront6targetE0EEEvSY_,"axG",@progbits,_ZN7rocprim17ROCPRIM_400000_NS6detail17trampoline_kernelINS0_14default_configENS1_29binary_search_config_selectorIyiEEZNS1_14transform_implILb0ES3_S5_N6thrust23THRUST_200600_302600_NS6detail15normal_iteratorINS8_7pointerIyNS8_11hip_rocprim5par_tENS8_11use_defaultESE_EEEENSA_INSB_IiSD_SE_SE_EEEEZNS1_13binary_searchIS3_S5_NSA_INS8_10device_ptrIyEEEESG_SI_NS1_16binary_search_opENS9_16wrapped_functionINS8_6system6detail7generic6detail18binary_search_lessEbEEEE10hipError_tPvRmT1_T2_T3_mmT4_T5_P12ihipStream_tbEUlRKyE_EESV_SZ_S10_mS11_S14_bEUlT_E_NS1_11comp_targetILNS1_3genE10ELNS1_11target_archE1201ELNS1_3gpuE5ELNS1_3repE0EEENS1_30default_config_static_selectorELNS0_4arch9wavefront6targetE0EEEvSY_,comdat
.Lfunc_end667:
	.size	_ZN7rocprim17ROCPRIM_400000_NS6detail17trampoline_kernelINS0_14default_configENS1_29binary_search_config_selectorIyiEEZNS1_14transform_implILb0ES3_S5_N6thrust23THRUST_200600_302600_NS6detail15normal_iteratorINS8_7pointerIyNS8_11hip_rocprim5par_tENS8_11use_defaultESE_EEEENSA_INSB_IiSD_SE_SE_EEEEZNS1_13binary_searchIS3_S5_NSA_INS8_10device_ptrIyEEEESG_SI_NS1_16binary_search_opENS9_16wrapped_functionINS8_6system6detail7generic6detail18binary_search_lessEbEEEE10hipError_tPvRmT1_T2_T3_mmT4_T5_P12ihipStream_tbEUlRKyE_EESV_SZ_S10_mS11_S14_bEUlT_E_NS1_11comp_targetILNS1_3genE10ELNS1_11target_archE1201ELNS1_3gpuE5ELNS1_3repE0EEENS1_30default_config_static_selectorELNS0_4arch9wavefront6targetE0EEEvSY_, .Lfunc_end667-_ZN7rocprim17ROCPRIM_400000_NS6detail17trampoline_kernelINS0_14default_configENS1_29binary_search_config_selectorIyiEEZNS1_14transform_implILb0ES3_S5_N6thrust23THRUST_200600_302600_NS6detail15normal_iteratorINS8_7pointerIyNS8_11hip_rocprim5par_tENS8_11use_defaultESE_EEEENSA_INSB_IiSD_SE_SE_EEEEZNS1_13binary_searchIS3_S5_NSA_INS8_10device_ptrIyEEEESG_SI_NS1_16binary_search_opENS9_16wrapped_functionINS8_6system6detail7generic6detail18binary_search_lessEbEEEE10hipError_tPvRmT1_T2_T3_mmT4_T5_P12ihipStream_tbEUlRKyE_EESV_SZ_S10_mS11_S14_bEUlT_E_NS1_11comp_targetILNS1_3genE10ELNS1_11target_archE1201ELNS1_3gpuE5ELNS1_3repE0EEENS1_30default_config_static_selectorELNS0_4arch9wavefront6targetE0EEEvSY_
                                        ; -- End function
	.set _ZN7rocprim17ROCPRIM_400000_NS6detail17trampoline_kernelINS0_14default_configENS1_29binary_search_config_selectorIyiEEZNS1_14transform_implILb0ES3_S5_N6thrust23THRUST_200600_302600_NS6detail15normal_iteratorINS8_7pointerIyNS8_11hip_rocprim5par_tENS8_11use_defaultESE_EEEENSA_INSB_IiSD_SE_SE_EEEEZNS1_13binary_searchIS3_S5_NSA_INS8_10device_ptrIyEEEESG_SI_NS1_16binary_search_opENS9_16wrapped_functionINS8_6system6detail7generic6detail18binary_search_lessEbEEEE10hipError_tPvRmT1_T2_T3_mmT4_T5_P12ihipStream_tbEUlRKyE_EESV_SZ_S10_mS11_S14_bEUlT_E_NS1_11comp_targetILNS1_3genE10ELNS1_11target_archE1201ELNS1_3gpuE5ELNS1_3repE0EEENS1_30default_config_static_selectorELNS0_4arch9wavefront6targetE0EEEvSY_.num_vgpr, 0
	.set _ZN7rocprim17ROCPRIM_400000_NS6detail17trampoline_kernelINS0_14default_configENS1_29binary_search_config_selectorIyiEEZNS1_14transform_implILb0ES3_S5_N6thrust23THRUST_200600_302600_NS6detail15normal_iteratorINS8_7pointerIyNS8_11hip_rocprim5par_tENS8_11use_defaultESE_EEEENSA_INSB_IiSD_SE_SE_EEEEZNS1_13binary_searchIS3_S5_NSA_INS8_10device_ptrIyEEEESG_SI_NS1_16binary_search_opENS9_16wrapped_functionINS8_6system6detail7generic6detail18binary_search_lessEbEEEE10hipError_tPvRmT1_T2_T3_mmT4_T5_P12ihipStream_tbEUlRKyE_EESV_SZ_S10_mS11_S14_bEUlT_E_NS1_11comp_targetILNS1_3genE10ELNS1_11target_archE1201ELNS1_3gpuE5ELNS1_3repE0EEENS1_30default_config_static_selectorELNS0_4arch9wavefront6targetE0EEEvSY_.num_agpr, 0
	.set _ZN7rocprim17ROCPRIM_400000_NS6detail17trampoline_kernelINS0_14default_configENS1_29binary_search_config_selectorIyiEEZNS1_14transform_implILb0ES3_S5_N6thrust23THRUST_200600_302600_NS6detail15normal_iteratorINS8_7pointerIyNS8_11hip_rocprim5par_tENS8_11use_defaultESE_EEEENSA_INSB_IiSD_SE_SE_EEEEZNS1_13binary_searchIS3_S5_NSA_INS8_10device_ptrIyEEEESG_SI_NS1_16binary_search_opENS9_16wrapped_functionINS8_6system6detail7generic6detail18binary_search_lessEbEEEE10hipError_tPvRmT1_T2_T3_mmT4_T5_P12ihipStream_tbEUlRKyE_EESV_SZ_S10_mS11_S14_bEUlT_E_NS1_11comp_targetILNS1_3genE10ELNS1_11target_archE1201ELNS1_3gpuE5ELNS1_3repE0EEENS1_30default_config_static_selectorELNS0_4arch9wavefront6targetE0EEEvSY_.numbered_sgpr, 0
	.set _ZN7rocprim17ROCPRIM_400000_NS6detail17trampoline_kernelINS0_14default_configENS1_29binary_search_config_selectorIyiEEZNS1_14transform_implILb0ES3_S5_N6thrust23THRUST_200600_302600_NS6detail15normal_iteratorINS8_7pointerIyNS8_11hip_rocprim5par_tENS8_11use_defaultESE_EEEENSA_INSB_IiSD_SE_SE_EEEEZNS1_13binary_searchIS3_S5_NSA_INS8_10device_ptrIyEEEESG_SI_NS1_16binary_search_opENS9_16wrapped_functionINS8_6system6detail7generic6detail18binary_search_lessEbEEEE10hipError_tPvRmT1_T2_T3_mmT4_T5_P12ihipStream_tbEUlRKyE_EESV_SZ_S10_mS11_S14_bEUlT_E_NS1_11comp_targetILNS1_3genE10ELNS1_11target_archE1201ELNS1_3gpuE5ELNS1_3repE0EEENS1_30default_config_static_selectorELNS0_4arch9wavefront6targetE0EEEvSY_.num_named_barrier, 0
	.set _ZN7rocprim17ROCPRIM_400000_NS6detail17trampoline_kernelINS0_14default_configENS1_29binary_search_config_selectorIyiEEZNS1_14transform_implILb0ES3_S5_N6thrust23THRUST_200600_302600_NS6detail15normal_iteratorINS8_7pointerIyNS8_11hip_rocprim5par_tENS8_11use_defaultESE_EEEENSA_INSB_IiSD_SE_SE_EEEEZNS1_13binary_searchIS3_S5_NSA_INS8_10device_ptrIyEEEESG_SI_NS1_16binary_search_opENS9_16wrapped_functionINS8_6system6detail7generic6detail18binary_search_lessEbEEEE10hipError_tPvRmT1_T2_T3_mmT4_T5_P12ihipStream_tbEUlRKyE_EESV_SZ_S10_mS11_S14_bEUlT_E_NS1_11comp_targetILNS1_3genE10ELNS1_11target_archE1201ELNS1_3gpuE5ELNS1_3repE0EEENS1_30default_config_static_selectorELNS0_4arch9wavefront6targetE0EEEvSY_.private_seg_size, 0
	.set _ZN7rocprim17ROCPRIM_400000_NS6detail17trampoline_kernelINS0_14default_configENS1_29binary_search_config_selectorIyiEEZNS1_14transform_implILb0ES3_S5_N6thrust23THRUST_200600_302600_NS6detail15normal_iteratorINS8_7pointerIyNS8_11hip_rocprim5par_tENS8_11use_defaultESE_EEEENSA_INSB_IiSD_SE_SE_EEEEZNS1_13binary_searchIS3_S5_NSA_INS8_10device_ptrIyEEEESG_SI_NS1_16binary_search_opENS9_16wrapped_functionINS8_6system6detail7generic6detail18binary_search_lessEbEEEE10hipError_tPvRmT1_T2_T3_mmT4_T5_P12ihipStream_tbEUlRKyE_EESV_SZ_S10_mS11_S14_bEUlT_E_NS1_11comp_targetILNS1_3genE10ELNS1_11target_archE1201ELNS1_3gpuE5ELNS1_3repE0EEENS1_30default_config_static_selectorELNS0_4arch9wavefront6targetE0EEEvSY_.uses_vcc, 0
	.set _ZN7rocprim17ROCPRIM_400000_NS6detail17trampoline_kernelINS0_14default_configENS1_29binary_search_config_selectorIyiEEZNS1_14transform_implILb0ES3_S5_N6thrust23THRUST_200600_302600_NS6detail15normal_iteratorINS8_7pointerIyNS8_11hip_rocprim5par_tENS8_11use_defaultESE_EEEENSA_INSB_IiSD_SE_SE_EEEEZNS1_13binary_searchIS3_S5_NSA_INS8_10device_ptrIyEEEESG_SI_NS1_16binary_search_opENS9_16wrapped_functionINS8_6system6detail7generic6detail18binary_search_lessEbEEEE10hipError_tPvRmT1_T2_T3_mmT4_T5_P12ihipStream_tbEUlRKyE_EESV_SZ_S10_mS11_S14_bEUlT_E_NS1_11comp_targetILNS1_3genE10ELNS1_11target_archE1201ELNS1_3gpuE5ELNS1_3repE0EEENS1_30default_config_static_selectorELNS0_4arch9wavefront6targetE0EEEvSY_.uses_flat_scratch, 0
	.set _ZN7rocprim17ROCPRIM_400000_NS6detail17trampoline_kernelINS0_14default_configENS1_29binary_search_config_selectorIyiEEZNS1_14transform_implILb0ES3_S5_N6thrust23THRUST_200600_302600_NS6detail15normal_iteratorINS8_7pointerIyNS8_11hip_rocprim5par_tENS8_11use_defaultESE_EEEENSA_INSB_IiSD_SE_SE_EEEEZNS1_13binary_searchIS3_S5_NSA_INS8_10device_ptrIyEEEESG_SI_NS1_16binary_search_opENS9_16wrapped_functionINS8_6system6detail7generic6detail18binary_search_lessEbEEEE10hipError_tPvRmT1_T2_T3_mmT4_T5_P12ihipStream_tbEUlRKyE_EESV_SZ_S10_mS11_S14_bEUlT_E_NS1_11comp_targetILNS1_3genE10ELNS1_11target_archE1201ELNS1_3gpuE5ELNS1_3repE0EEENS1_30default_config_static_selectorELNS0_4arch9wavefront6targetE0EEEvSY_.has_dyn_sized_stack, 0
	.set _ZN7rocprim17ROCPRIM_400000_NS6detail17trampoline_kernelINS0_14default_configENS1_29binary_search_config_selectorIyiEEZNS1_14transform_implILb0ES3_S5_N6thrust23THRUST_200600_302600_NS6detail15normal_iteratorINS8_7pointerIyNS8_11hip_rocprim5par_tENS8_11use_defaultESE_EEEENSA_INSB_IiSD_SE_SE_EEEEZNS1_13binary_searchIS3_S5_NSA_INS8_10device_ptrIyEEEESG_SI_NS1_16binary_search_opENS9_16wrapped_functionINS8_6system6detail7generic6detail18binary_search_lessEbEEEE10hipError_tPvRmT1_T2_T3_mmT4_T5_P12ihipStream_tbEUlRKyE_EESV_SZ_S10_mS11_S14_bEUlT_E_NS1_11comp_targetILNS1_3genE10ELNS1_11target_archE1201ELNS1_3gpuE5ELNS1_3repE0EEENS1_30default_config_static_selectorELNS0_4arch9wavefront6targetE0EEEvSY_.has_recursion, 0
	.set _ZN7rocprim17ROCPRIM_400000_NS6detail17trampoline_kernelINS0_14default_configENS1_29binary_search_config_selectorIyiEEZNS1_14transform_implILb0ES3_S5_N6thrust23THRUST_200600_302600_NS6detail15normal_iteratorINS8_7pointerIyNS8_11hip_rocprim5par_tENS8_11use_defaultESE_EEEENSA_INSB_IiSD_SE_SE_EEEEZNS1_13binary_searchIS3_S5_NSA_INS8_10device_ptrIyEEEESG_SI_NS1_16binary_search_opENS9_16wrapped_functionINS8_6system6detail7generic6detail18binary_search_lessEbEEEE10hipError_tPvRmT1_T2_T3_mmT4_T5_P12ihipStream_tbEUlRKyE_EESV_SZ_S10_mS11_S14_bEUlT_E_NS1_11comp_targetILNS1_3genE10ELNS1_11target_archE1201ELNS1_3gpuE5ELNS1_3repE0EEENS1_30default_config_static_selectorELNS0_4arch9wavefront6targetE0EEEvSY_.has_indirect_call, 0
	.section	.AMDGPU.csdata,"",@progbits
; Kernel info:
; codeLenInByte = 0
; TotalNumSgprs: 0
; NumVgprs: 0
; ScratchSize: 0
; MemoryBound: 0
; FloatMode: 240
; IeeeMode: 1
; LDSByteSize: 0 bytes/workgroup (compile time only)
; SGPRBlocks: 0
; VGPRBlocks: 0
; NumSGPRsForWavesPerEU: 1
; NumVGPRsForWavesPerEU: 1
; Occupancy: 16
; WaveLimiterHint : 0
; COMPUTE_PGM_RSRC2:SCRATCH_EN: 0
; COMPUTE_PGM_RSRC2:USER_SGPR: 6
; COMPUTE_PGM_RSRC2:TRAP_HANDLER: 0
; COMPUTE_PGM_RSRC2:TGID_X_EN: 1
; COMPUTE_PGM_RSRC2:TGID_Y_EN: 0
; COMPUTE_PGM_RSRC2:TGID_Z_EN: 0
; COMPUTE_PGM_RSRC2:TIDIG_COMP_CNT: 0
	.section	.text._ZN7rocprim17ROCPRIM_400000_NS6detail17trampoline_kernelINS0_14default_configENS1_29binary_search_config_selectorIyiEEZNS1_14transform_implILb0ES3_S5_N6thrust23THRUST_200600_302600_NS6detail15normal_iteratorINS8_7pointerIyNS8_11hip_rocprim5par_tENS8_11use_defaultESE_EEEENSA_INSB_IiSD_SE_SE_EEEEZNS1_13binary_searchIS3_S5_NSA_INS8_10device_ptrIyEEEESG_SI_NS1_16binary_search_opENS9_16wrapped_functionINS8_6system6detail7generic6detail18binary_search_lessEbEEEE10hipError_tPvRmT1_T2_T3_mmT4_T5_P12ihipStream_tbEUlRKyE_EESV_SZ_S10_mS11_S14_bEUlT_E_NS1_11comp_targetILNS1_3genE10ELNS1_11target_archE1200ELNS1_3gpuE4ELNS1_3repE0EEENS1_30default_config_static_selectorELNS0_4arch9wavefront6targetE0EEEvSY_,"axG",@progbits,_ZN7rocprim17ROCPRIM_400000_NS6detail17trampoline_kernelINS0_14default_configENS1_29binary_search_config_selectorIyiEEZNS1_14transform_implILb0ES3_S5_N6thrust23THRUST_200600_302600_NS6detail15normal_iteratorINS8_7pointerIyNS8_11hip_rocprim5par_tENS8_11use_defaultESE_EEEENSA_INSB_IiSD_SE_SE_EEEEZNS1_13binary_searchIS3_S5_NSA_INS8_10device_ptrIyEEEESG_SI_NS1_16binary_search_opENS9_16wrapped_functionINS8_6system6detail7generic6detail18binary_search_lessEbEEEE10hipError_tPvRmT1_T2_T3_mmT4_T5_P12ihipStream_tbEUlRKyE_EESV_SZ_S10_mS11_S14_bEUlT_E_NS1_11comp_targetILNS1_3genE10ELNS1_11target_archE1200ELNS1_3gpuE4ELNS1_3repE0EEENS1_30default_config_static_selectorELNS0_4arch9wavefront6targetE0EEEvSY_,comdat
	.protected	_ZN7rocprim17ROCPRIM_400000_NS6detail17trampoline_kernelINS0_14default_configENS1_29binary_search_config_selectorIyiEEZNS1_14transform_implILb0ES3_S5_N6thrust23THRUST_200600_302600_NS6detail15normal_iteratorINS8_7pointerIyNS8_11hip_rocprim5par_tENS8_11use_defaultESE_EEEENSA_INSB_IiSD_SE_SE_EEEEZNS1_13binary_searchIS3_S5_NSA_INS8_10device_ptrIyEEEESG_SI_NS1_16binary_search_opENS9_16wrapped_functionINS8_6system6detail7generic6detail18binary_search_lessEbEEEE10hipError_tPvRmT1_T2_T3_mmT4_T5_P12ihipStream_tbEUlRKyE_EESV_SZ_S10_mS11_S14_bEUlT_E_NS1_11comp_targetILNS1_3genE10ELNS1_11target_archE1200ELNS1_3gpuE4ELNS1_3repE0EEENS1_30default_config_static_selectorELNS0_4arch9wavefront6targetE0EEEvSY_ ; -- Begin function _ZN7rocprim17ROCPRIM_400000_NS6detail17trampoline_kernelINS0_14default_configENS1_29binary_search_config_selectorIyiEEZNS1_14transform_implILb0ES3_S5_N6thrust23THRUST_200600_302600_NS6detail15normal_iteratorINS8_7pointerIyNS8_11hip_rocprim5par_tENS8_11use_defaultESE_EEEENSA_INSB_IiSD_SE_SE_EEEEZNS1_13binary_searchIS3_S5_NSA_INS8_10device_ptrIyEEEESG_SI_NS1_16binary_search_opENS9_16wrapped_functionINS8_6system6detail7generic6detail18binary_search_lessEbEEEE10hipError_tPvRmT1_T2_T3_mmT4_T5_P12ihipStream_tbEUlRKyE_EESV_SZ_S10_mS11_S14_bEUlT_E_NS1_11comp_targetILNS1_3genE10ELNS1_11target_archE1200ELNS1_3gpuE4ELNS1_3repE0EEENS1_30default_config_static_selectorELNS0_4arch9wavefront6targetE0EEEvSY_
	.globl	_ZN7rocprim17ROCPRIM_400000_NS6detail17trampoline_kernelINS0_14default_configENS1_29binary_search_config_selectorIyiEEZNS1_14transform_implILb0ES3_S5_N6thrust23THRUST_200600_302600_NS6detail15normal_iteratorINS8_7pointerIyNS8_11hip_rocprim5par_tENS8_11use_defaultESE_EEEENSA_INSB_IiSD_SE_SE_EEEEZNS1_13binary_searchIS3_S5_NSA_INS8_10device_ptrIyEEEESG_SI_NS1_16binary_search_opENS9_16wrapped_functionINS8_6system6detail7generic6detail18binary_search_lessEbEEEE10hipError_tPvRmT1_T2_T3_mmT4_T5_P12ihipStream_tbEUlRKyE_EESV_SZ_S10_mS11_S14_bEUlT_E_NS1_11comp_targetILNS1_3genE10ELNS1_11target_archE1200ELNS1_3gpuE4ELNS1_3repE0EEENS1_30default_config_static_selectorELNS0_4arch9wavefront6targetE0EEEvSY_
	.p2align	8
	.type	_ZN7rocprim17ROCPRIM_400000_NS6detail17trampoline_kernelINS0_14default_configENS1_29binary_search_config_selectorIyiEEZNS1_14transform_implILb0ES3_S5_N6thrust23THRUST_200600_302600_NS6detail15normal_iteratorINS8_7pointerIyNS8_11hip_rocprim5par_tENS8_11use_defaultESE_EEEENSA_INSB_IiSD_SE_SE_EEEEZNS1_13binary_searchIS3_S5_NSA_INS8_10device_ptrIyEEEESG_SI_NS1_16binary_search_opENS9_16wrapped_functionINS8_6system6detail7generic6detail18binary_search_lessEbEEEE10hipError_tPvRmT1_T2_T3_mmT4_T5_P12ihipStream_tbEUlRKyE_EESV_SZ_S10_mS11_S14_bEUlT_E_NS1_11comp_targetILNS1_3genE10ELNS1_11target_archE1200ELNS1_3gpuE4ELNS1_3repE0EEENS1_30default_config_static_selectorELNS0_4arch9wavefront6targetE0EEEvSY_,@function
_ZN7rocprim17ROCPRIM_400000_NS6detail17trampoline_kernelINS0_14default_configENS1_29binary_search_config_selectorIyiEEZNS1_14transform_implILb0ES3_S5_N6thrust23THRUST_200600_302600_NS6detail15normal_iteratorINS8_7pointerIyNS8_11hip_rocprim5par_tENS8_11use_defaultESE_EEEENSA_INSB_IiSD_SE_SE_EEEEZNS1_13binary_searchIS3_S5_NSA_INS8_10device_ptrIyEEEESG_SI_NS1_16binary_search_opENS9_16wrapped_functionINS8_6system6detail7generic6detail18binary_search_lessEbEEEE10hipError_tPvRmT1_T2_T3_mmT4_T5_P12ihipStream_tbEUlRKyE_EESV_SZ_S10_mS11_S14_bEUlT_E_NS1_11comp_targetILNS1_3genE10ELNS1_11target_archE1200ELNS1_3gpuE4ELNS1_3repE0EEENS1_30default_config_static_selectorELNS0_4arch9wavefront6targetE0EEEvSY_: ; @_ZN7rocprim17ROCPRIM_400000_NS6detail17trampoline_kernelINS0_14default_configENS1_29binary_search_config_selectorIyiEEZNS1_14transform_implILb0ES3_S5_N6thrust23THRUST_200600_302600_NS6detail15normal_iteratorINS8_7pointerIyNS8_11hip_rocprim5par_tENS8_11use_defaultESE_EEEENSA_INSB_IiSD_SE_SE_EEEEZNS1_13binary_searchIS3_S5_NSA_INS8_10device_ptrIyEEEESG_SI_NS1_16binary_search_opENS9_16wrapped_functionINS8_6system6detail7generic6detail18binary_search_lessEbEEEE10hipError_tPvRmT1_T2_T3_mmT4_T5_P12ihipStream_tbEUlRKyE_EESV_SZ_S10_mS11_S14_bEUlT_E_NS1_11comp_targetILNS1_3genE10ELNS1_11target_archE1200ELNS1_3gpuE4ELNS1_3repE0EEENS1_30default_config_static_selectorELNS0_4arch9wavefront6targetE0EEEvSY_
; %bb.0:
	.section	.rodata,"a",@progbits
	.p2align	6, 0x0
	.amdhsa_kernel _ZN7rocprim17ROCPRIM_400000_NS6detail17trampoline_kernelINS0_14default_configENS1_29binary_search_config_selectorIyiEEZNS1_14transform_implILb0ES3_S5_N6thrust23THRUST_200600_302600_NS6detail15normal_iteratorINS8_7pointerIyNS8_11hip_rocprim5par_tENS8_11use_defaultESE_EEEENSA_INSB_IiSD_SE_SE_EEEEZNS1_13binary_searchIS3_S5_NSA_INS8_10device_ptrIyEEEESG_SI_NS1_16binary_search_opENS9_16wrapped_functionINS8_6system6detail7generic6detail18binary_search_lessEbEEEE10hipError_tPvRmT1_T2_T3_mmT4_T5_P12ihipStream_tbEUlRKyE_EESV_SZ_S10_mS11_S14_bEUlT_E_NS1_11comp_targetILNS1_3genE10ELNS1_11target_archE1200ELNS1_3gpuE4ELNS1_3repE0EEENS1_30default_config_static_selectorELNS0_4arch9wavefront6targetE0EEEvSY_
		.amdhsa_group_segment_fixed_size 0
		.amdhsa_private_segment_fixed_size 0
		.amdhsa_kernarg_size 56
		.amdhsa_user_sgpr_count 6
		.amdhsa_user_sgpr_private_segment_buffer 1
		.amdhsa_user_sgpr_dispatch_ptr 0
		.amdhsa_user_sgpr_queue_ptr 0
		.amdhsa_user_sgpr_kernarg_segment_ptr 1
		.amdhsa_user_sgpr_dispatch_id 0
		.amdhsa_user_sgpr_flat_scratch_init 0
		.amdhsa_user_sgpr_private_segment_size 0
		.amdhsa_wavefront_size32 1
		.amdhsa_uses_dynamic_stack 0
		.amdhsa_system_sgpr_private_segment_wavefront_offset 0
		.amdhsa_system_sgpr_workgroup_id_x 1
		.amdhsa_system_sgpr_workgroup_id_y 0
		.amdhsa_system_sgpr_workgroup_id_z 0
		.amdhsa_system_sgpr_workgroup_info 0
		.amdhsa_system_vgpr_workitem_id 0
		.amdhsa_next_free_vgpr 1
		.amdhsa_next_free_sgpr 1
		.amdhsa_reserve_vcc 0
		.amdhsa_reserve_flat_scratch 0
		.amdhsa_float_round_mode_32 0
		.amdhsa_float_round_mode_16_64 0
		.amdhsa_float_denorm_mode_32 3
		.amdhsa_float_denorm_mode_16_64 3
		.amdhsa_dx10_clamp 1
		.amdhsa_ieee_mode 1
		.amdhsa_fp16_overflow 0
		.amdhsa_workgroup_processor_mode 1
		.amdhsa_memory_ordered 1
		.amdhsa_forward_progress 1
		.amdhsa_shared_vgpr_count 0
		.amdhsa_exception_fp_ieee_invalid_op 0
		.amdhsa_exception_fp_denorm_src 0
		.amdhsa_exception_fp_ieee_div_zero 0
		.amdhsa_exception_fp_ieee_overflow 0
		.amdhsa_exception_fp_ieee_underflow 0
		.amdhsa_exception_fp_ieee_inexact 0
		.amdhsa_exception_int_div_zero 0
	.end_amdhsa_kernel
	.section	.text._ZN7rocprim17ROCPRIM_400000_NS6detail17trampoline_kernelINS0_14default_configENS1_29binary_search_config_selectorIyiEEZNS1_14transform_implILb0ES3_S5_N6thrust23THRUST_200600_302600_NS6detail15normal_iteratorINS8_7pointerIyNS8_11hip_rocprim5par_tENS8_11use_defaultESE_EEEENSA_INSB_IiSD_SE_SE_EEEEZNS1_13binary_searchIS3_S5_NSA_INS8_10device_ptrIyEEEESG_SI_NS1_16binary_search_opENS9_16wrapped_functionINS8_6system6detail7generic6detail18binary_search_lessEbEEEE10hipError_tPvRmT1_T2_T3_mmT4_T5_P12ihipStream_tbEUlRKyE_EESV_SZ_S10_mS11_S14_bEUlT_E_NS1_11comp_targetILNS1_3genE10ELNS1_11target_archE1200ELNS1_3gpuE4ELNS1_3repE0EEENS1_30default_config_static_selectorELNS0_4arch9wavefront6targetE0EEEvSY_,"axG",@progbits,_ZN7rocprim17ROCPRIM_400000_NS6detail17trampoline_kernelINS0_14default_configENS1_29binary_search_config_selectorIyiEEZNS1_14transform_implILb0ES3_S5_N6thrust23THRUST_200600_302600_NS6detail15normal_iteratorINS8_7pointerIyNS8_11hip_rocprim5par_tENS8_11use_defaultESE_EEEENSA_INSB_IiSD_SE_SE_EEEEZNS1_13binary_searchIS3_S5_NSA_INS8_10device_ptrIyEEEESG_SI_NS1_16binary_search_opENS9_16wrapped_functionINS8_6system6detail7generic6detail18binary_search_lessEbEEEE10hipError_tPvRmT1_T2_T3_mmT4_T5_P12ihipStream_tbEUlRKyE_EESV_SZ_S10_mS11_S14_bEUlT_E_NS1_11comp_targetILNS1_3genE10ELNS1_11target_archE1200ELNS1_3gpuE4ELNS1_3repE0EEENS1_30default_config_static_selectorELNS0_4arch9wavefront6targetE0EEEvSY_,comdat
.Lfunc_end668:
	.size	_ZN7rocprim17ROCPRIM_400000_NS6detail17trampoline_kernelINS0_14default_configENS1_29binary_search_config_selectorIyiEEZNS1_14transform_implILb0ES3_S5_N6thrust23THRUST_200600_302600_NS6detail15normal_iteratorINS8_7pointerIyNS8_11hip_rocprim5par_tENS8_11use_defaultESE_EEEENSA_INSB_IiSD_SE_SE_EEEEZNS1_13binary_searchIS3_S5_NSA_INS8_10device_ptrIyEEEESG_SI_NS1_16binary_search_opENS9_16wrapped_functionINS8_6system6detail7generic6detail18binary_search_lessEbEEEE10hipError_tPvRmT1_T2_T3_mmT4_T5_P12ihipStream_tbEUlRKyE_EESV_SZ_S10_mS11_S14_bEUlT_E_NS1_11comp_targetILNS1_3genE10ELNS1_11target_archE1200ELNS1_3gpuE4ELNS1_3repE0EEENS1_30default_config_static_selectorELNS0_4arch9wavefront6targetE0EEEvSY_, .Lfunc_end668-_ZN7rocprim17ROCPRIM_400000_NS6detail17trampoline_kernelINS0_14default_configENS1_29binary_search_config_selectorIyiEEZNS1_14transform_implILb0ES3_S5_N6thrust23THRUST_200600_302600_NS6detail15normal_iteratorINS8_7pointerIyNS8_11hip_rocprim5par_tENS8_11use_defaultESE_EEEENSA_INSB_IiSD_SE_SE_EEEEZNS1_13binary_searchIS3_S5_NSA_INS8_10device_ptrIyEEEESG_SI_NS1_16binary_search_opENS9_16wrapped_functionINS8_6system6detail7generic6detail18binary_search_lessEbEEEE10hipError_tPvRmT1_T2_T3_mmT4_T5_P12ihipStream_tbEUlRKyE_EESV_SZ_S10_mS11_S14_bEUlT_E_NS1_11comp_targetILNS1_3genE10ELNS1_11target_archE1200ELNS1_3gpuE4ELNS1_3repE0EEENS1_30default_config_static_selectorELNS0_4arch9wavefront6targetE0EEEvSY_
                                        ; -- End function
	.set _ZN7rocprim17ROCPRIM_400000_NS6detail17trampoline_kernelINS0_14default_configENS1_29binary_search_config_selectorIyiEEZNS1_14transform_implILb0ES3_S5_N6thrust23THRUST_200600_302600_NS6detail15normal_iteratorINS8_7pointerIyNS8_11hip_rocprim5par_tENS8_11use_defaultESE_EEEENSA_INSB_IiSD_SE_SE_EEEEZNS1_13binary_searchIS3_S5_NSA_INS8_10device_ptrIyEEEESG_SI_NS1_16binary_search_opENS9_16wrapped_functionINS8_6system6detail7generic6detail18binary_search_lessEbEEEE10hipError_tPvRmT1_T2_T3_mmT4_T5_P12ihipStream_tbEUlRKyE_EESV_SZ_S10_mS11_S14_bEUlT_E_NS1_11comp_targetILNS1_3genE10ELNS1_11target_archE1200ELNS1_3gpuE4ELNS1_3repE0EEENS1_30default_config_static_selectorELNS0_4arch9wavefront6targetE0EEEvSY_.num_vgpr, 0
	.set _ZN7rocprim17ROCPRIM_400000_NS6detail17trampoline_kernelINS0_14default_configENS1_29binary_search_config_selectorIyiEEZNS1_14transform_implILb0ES3_S5_N6thrust23THRUST_200600_302600_NS6detail15normal_iteratorINS8_7pointerIyNS8_11hip_rocprim5par_tENS8_11use_defaultESE_EEEENSA_INSB_IiSD_SE_SE_EEEEZNS1_13binary_searchIS3_S5_NSA_INS8_10device_ptrIyEEEESG_SI_NS1_16binary_search_opENS9_16wrapped_functionINS8_6system6detail7generic6detail18binary_search_lessEbEEEE10hipError_tPvRmT1_T2_T3_mmT4_T5_P12ihipStream_tbEUlRKyE_EESV_SZ_S10_mS11_S14_bEUlT_E_NS1_11comp_targetILNS1_3genE10ELNS1_11target_archE1200ELNS1_3gpuE4ELNS1_3repE0EEENS1_30default_config_static_selectorELNS0_4arch9wavefront6targetE0EEEvSY_.num_agpr, 0
	.set _ZN7rocprim17ROCPRIM_400000_NS6detail17trampoline_kernelINS0_14default_configENS1_29binary_search_config_selectorIyiEEZNS1_14transform_implILb0ES3_S5_N6thrust23THRUST_200600_302600_NS6detail15normal_iteratorINS8_7pointerIyNS8_11hip_rocprim5par_tENS8_11use_defaultESE_EEEENSA_INSB_IiSD_SE_SE_EEEEZNS1_13binary_searchIS3_S5_NSA_INS8_10device_ptrIyEEEESG_SI_NS1_16binary_search_opENS9_16wrapped_functionINS8_6system6detail7generic6detail18binary_search_lessEbEEEE10hipError_tPvRmT1_T2_T3_mmT4_T5_P12ihipStream_tbEUlRKyE_EESV_SZ_S10_mS11_S14_bEUlT_E_NS1_11comp_targetILNS1_3genE10ELNS1_11target_archE1200ELNS1_3gpuE4ELNS1_3repE0EEENS1_30default_config_static_selectorELNS0_4arch9wavefront6targetE0EEEvSY_.numbered_sgpr, 0
	.set _ZN7rocprim17ROCPRIM_400000_NS6detail17trampoline_kernelINS0_14default_configENS1_29binary_search_config_selectorIyiEEZNS1_14transform_implILb0ES3_S5_N6thrust23THRUST_200600_302600_NS6detail15normal_iteratorINS8_7pointerIyNS8_11hip_rocprim5par_tENS8_11use_defaultESE_EEEENSA_INSB_IiSD_SE_SE_EEEEZNS1_13binary_searchIS3_S5_NSA_INS8_10device_ptrIyEEEESG_SI_NS1_16binary_search_opENS9_16wrapped_functionINS8_6system6detail7generic6detail18binary_search_lessEbEEEE10hipError_tPvRmT1_T2_T3_mmT4_T5_P12ihipStream_tbEUlRKyE_EESV_SZ_S10_mS11_S14_bEUlT_E_NS1_11comp_targetILNS1_3genE10ELNS1_11target_archE1200ELNS1_3gpuE4ELNS1_3repE0EEENS1_30default_config_static_selectorELNS0_4arch9wavefront6targetE0EEEvSY_.num_named_barrier, 0
	.set _ZN7rocprim17ROCPRIM_400000_NS6detail17trampoline_kernelINS0_14default_configENS1_29binary_search_config_selectorIyiEEZNS1_14transform_implILb0ES3_S5_N6thrust23THRUST_200600_302600_NS6detail15normal_iteratorINS8_7pointerIyNS8_11hip_rocprim5par_tENS8_11use_defaultESE_EEEENSA_INSB_IiSD_SE_SE_EEEEZNS1_13binary_searchIS3_S5_NSA_INS8_10device_ptrIyEEEESG_SI_NS1_16binary_search_opENS9_16wrapped_functionINS8_6system6detail7generic6detail18binary_search_lessEbEEEE10hipError_tPvRmT1_T2_T3_mmT4_T5_P12ihipStream_tbEUlRKyE_EESV_SZ_S10_mS11_S14_bEUlT_E_NS1_11comp_targetILNS1_3genE10ELNS1_11target_archE1200ELNS1_3gpuE4ELNS1_3repE0EEENS1_30default_config_static_selectorELNS0_4arch9wavefront6targetE0EEEvSY_.private_seg_size, 0
	.set _ZN7rocprim17ROCPRIM_400000_NS6detail17trampoline_kernelINS0_14default_configENS1_29binary_search_config_selectorIyiEEZNS1_14transform_implILb0ES3_S5_N6thrust23THRUST_200600_302600_NS6detail15normal_iteratorINS8_7pointerIyNS8_11hip_rocprim5par_tENS8_11use_defaultESE_EEEENSA_INSB_IiSD_SE_SE_EEEEZNS1_13binary_searchIS3_S5_NSA_INS8_10device_ptrIyEEEESG_SI_NS1_16binary_search_opENS9_16wrapped_functionINS8_6system6detail7generic6detail18binary_search_lessEbEEEE10hipError_tPvRmT1_T2_T3_mmT4_T5_P12ihipStream_tbEUlRKyE_EESV_SZ_S10_mS11_S14_bEUlT_E_NS1_11comp_targetILNS1_3genE10ELNS1_11target_archE1200ELNS1_3gpuE4ELNS1_3repE0EEENS1_30default_config_static_selectorELNS0_4arch9wavefront6targetE0EEEvSY_.uses_vcc, 0
	.set _ZN7rocprim17ROCPRIM_400000_NS6detail17trampoline_kernelINS0_14default_configENS1_29binary_search_config_selectorIyiEEZNS1_14transform_implILb0ES3_S5_N6thrust23THRUST_200600_302600_NS6detail15normal_iteratorINS8_7pointerIyNS8_11hip_rocprim5par_tENS8_11use_defaultESE_EEEENSA_INSB_IiSD_SE_SE_EEEEZNS1_13binary_searchIS3_S5_NSA_INS8_10device_ptrIyEEEESG_SI_NS1_16binary_search_opENS9_16wrapped_functionINS8_6system6detail7generic6detail18binary_search_lessEbEEEE10hipError_tPvRmT1_T2_T3_mmT4_T5_P12ihipStream_tbEUlRKyE_EESV_SZ_S10_mS11_S14_bEUlT_E_NS1_11comp_targetILNS1_3genE10ELNS1_11target_archE1200ELNS1_3gpuE4ELNS1_3repE0EEENS1_30default_config_static_selectorELNS0_4arch9wavefront6targetE0EEEvSY_.uses_flat_scratch, 0
	.set _ZN7rocprim17ROCPRIM_400000_NS6detail17trampoline_kernelINS0_14default_configENS1_29binary_search_config_selectorIyiEEZNS1_14transform_implILb0ES3_S5_N6thrust23THRUST_200600_302600_NS6detail15normal_iteratorINS8_7pointerIyNS8_11hip_rocprim5par_tENS8_11use_defaultESE_EEEENSA_INSB_IiSD_SE_SE_EEEEZNS1_13binary_searchIS3_S5_NSA_INS8_10device_ptrIyEEEESG_SI_NS1_16binary_search_opENS9_16wrapped_functionINS8_6system6detail7generic6detail18binary_search_lessEbEEEE10hipError_tPvRmT1_T2_T3_mmT4_T5_P12ihipStream_tbEUlRKyE_EESV_SZ_S10_mS11_S14_bEUlT_E_NS1_11comp_targetILNS1_3genE10ELNS1_11target_archE1200ELNS1_3gpuE4ELNS1_3repE0EEENS1_30default_config_static_selectorELNS0_4arch9wavefront6targetE0EEEvSY_.has_dyn_sized_stack, 0
	.set _ZN7rocprim17ROCPRIM_400000_NS6detail17trampoline_kernelINS0_14default_configENS1_29binary_search_config_selectorIyiEEZNS1_14transform_implILb0ES3_S5_N6thrust23THRUST_200600_302600_NS6detail15normal_iteratorINS8_7pointerIyNS8_11hip_rocprim5par_tENS8_11use_defaultESE_EEEENSA_INSB_IiSD_SE_SE_EEEEZNS1_13binary_searchIS3_S5_NSA_INS8_10device_ptrIyEEEESG_SI_NS1_16binary_search_opENS9_16wrapped_functionINS8_6system6detail7generic6detail18binary_search_lessEbEEEE10hipError_tPvRmT1_T2_T3_mmT4_T5_P12ihipStream_tbEUlRKyE_EESV_SZ_S10_mS11_S14_bEUlT_E_NS1_11comp_targetILNS1_3genE10ELNS1_11target_archE1200ELNS1_3gpuE4ELNS1_3repE0EEENS1_30default_config_static_selectorELNS0_4arch9wavefront6targetE0EEEvSY_.has_recursion, 0
	.set _ZN7rocprim17ROCPRIM_400000_NS6detail17trampoline_kernelINS0_14default_configENS1_29binary_search_config_selectorIyiEEZNS1_14transform_implILb0ES3_S5_N6thrust23THRUST_200600_302600_NS6detail15normal_iteratorINS8_7pointerIyNS8_11hip_rocprim5par_tENS8_11use_defaultESE_EEEENSA_INSB_IiSD_SE_SE_EEEEZNS1_13binary_searchIS3_S5_NSA_INS8_10device_ptrIyEEEESG_SI_NS1_16binary_search_opENS9_16wrapped_functionINS8_6system6detail7generic6detail18binary_search_lessEbEEEE10hipError_tPvRmT1_T2_T3_mmT4_T5_P12ihipStream_tbEUlRKyE_EESV_SZ_S10_mS11_S14_bEUlT_E_NS1_11comp_targetILNS1_3genE10ELNS1_11target_archE1200ELNS1_3gpuE4ELNS1_3repE0EEENS1_30default_config_static_selectorELNS0_4arch9wavefront6targetE0EEEvSY_.has_indirect_call, 0
	.section	.AMDGPU.csdata,"",@progbits
; Kernel info:
; codeLenInByte = 0
; TotalNumSgprs: 0
; NumVgprs: 0
; ScratchSize: 0
; MemoryBound: 0
; FloatMode: 240
; IeeeMode: 1
; LDSByteSize: 0 bytes/workgroup (compile time only)
; SGPRBlocks: 0
; VGPRBlocks: 0
; NumSGPRsForWavesPerEU: 1
; NumVGPRsForWavesPerEU: 1
; Occupancy: 16
; WaveLimiterHint : 0
; COMPUTE_PGM_RSRC2:SCRATCH_EN: 0
; COMPUTE_PGM_RSRC2:USER_SGPR: 6
; COMPUTE_PGM_RSRC2:TRAP_HANDLER: 0
; COMPUTE_PGM_RSRC2:TGID_X_EN: 1
; COMPUTE_PGM_RSRC2:TGID_Y_EN: 0
; COMPUTE_PGM_RSRC2:TGID_Z_EN: 0
; COMPUTE_PGM_RSRC2:TIDIG_COMP_CNT: 0
	.section	.text._ZN7rocprim17ROCPRIM_400000_NS6detail17trampoline_kernelINS0_14default_configENS1_29binary_search_config_selectorIyiEEZNS1_14transform_implILb0ES3_S5_N6thrust23THRUST_200600_302600_NS6detail15normal_iteratorINS8_7pointerIyNS8_11hip_rocprim5par_tENS8_11use_defaultESE_EEEENSA_INSB_IiSD_SE_SE_EEEEZNS1_13binary_searchIS3_S5_NSA_INS8_10device_ptrIyEEEESG_SI_NS1_16binary_search_opENS9_16wrapped_functionINS8_6system6detail7generic6detail18binary_search_lessEbEEEE10hipError_tPvRmT1_T2_T3_mmT4_T5_P12ihipStream_tbEUlRKyE_EESV_SZ_S10_mS11_S14_bEUlT_E_NS1_11comp_targetILNS1_3genE9ELNS1_11target_archE1100ELNS1_3gpuE3ELNS1_3repE0EEENS1_30default_config_static_selectorELNS0_4arch9wavefront6targetE0EEEvSY_,"axG",@progbits,_ZN7rocprim17ROCPRIM_400000_NS6detail17trampoline_kernelINS0_14default_configENS1_29binary_search_config_selectorIyiEEZNS1_14transform_implILb0ES3_S5_N6thrust23THRUST_200600_302600_NS6detail15normal_iteratorINS8_7pointerIyNS8_11hip_rocprim5par_tENS8_11use_defaultESE_EEEENSA_INSB_IiSD_SE_SE_EEEEZNS1_13binary_searchIS3_S5_NSA_INS8_10device_ptrIyEEEESG_SI_NS1_16binary_search_opENS9_16wrapped_functionINS8_6system6detail7generic6detail18binary_search_lessEbEEEE10hipError_tPvRmT1_T2_T3_mmT4_T5_P12ihipStream_tbEUlRKyE_EESV_SZ_S10_mS11_S14_bEUlT_E_NS1_11comp_targetILNS1_3genE9ELNS1_11target_archE1100ELNS1_3gpuE3ELNS1_3repE0EEENS1_30default_config_static_selectorELNS0_4arch9wavefront6targetE0EEEvSY_,comdat
	.protected	_ZN7rocprim17ROCPRIM_400000_NS6detail17trampoline_kernelINS0_14default_configENS1_29binary_search_config_selectorIyiEEZNS1_14transform_implILb0ES3_S5_N6thrust23THRUST_200600_302600_NS6detail15normal_iteratorINS8_7pointerIyNS8_11hip_rocprim5par_tENS8_11use_defaultESE_EEEENSA_INSB_IiSD_SE_SE_EEEEZNS1_13binary_searchIS3_S5_NSA_INS8_10device_ptrIyEEEESG_SI_NS1_16binary_search_opENS9_16wrapped_functionINS8_6system6detail7generic6detail18binary_search_lessEbEEEE10hipError_tPvRmT1_T2_T3_mmT4_T5_P12ihipStream_tbEUlRKyE_EESV_SZ_S10_mS11_S14_bEUlT_E_NS1_11comp_targetILNS1_3genE9ELNS1_11target_archE1100ELNS1_3gpuE3ELNS1_3repE0EEENS1_30default_config_static_selectorELNS0_4arch9wavefront6targetE0EEEvSY_ ; -- Begin function _ZN7rocprim17ROCPRIM_400000_NS6detail17trampoline_kernelINS0_14default_configENS1_29binary_search_config_selectorIyiEEZNS1_14transform_implILb0ES3_S5_N6thrust23THRUST_200600_302600_NS6detail15normal_iteratorINS8_7pointerIyNS8_11hip_rocprim5par_tENS8_11use_defaultESE_EEEENSA_INSB_IiSD_SE_SE_EEEEZNS1_13binary_searchIS3_S5_NSA_INS8_10device_ptrIyEEEESG_SI_NS1_16binary_search_opENS9_16wrapped_functionINS8_6system6detail7generic6detail18binary_search_lessEbEEEE10hipError_tPvRmT1_T2_T3_mmT4_T5_P12ihipStream_tbEUlRKyE_EESV_SZ_S10_mS11_S14_bEUlT_E_NS1_11comp_targetILNS1_3genE9ELNS1_11target_archE1100ELNS1_3gpuE3ELNS1_3repE0EEENS1_30default_config_static_selectorELNS0_4arch9wavefront6targetE0EEEvSY_
	.globl	_ZN7rocprim17ROCPRIM_400000_NS6detail17trampoline_kernelINS0_14default_configENS1_29binary_search_config_selectorIyiEEZNS1_14transform_implILb0ES3_S5_N6thrust23THRUST_200600_302600_NS6detail15normal_iteratorINS8_7pointerIyNS8_11hip_rocprim5par_tENS8_11use_defaultESE_EEEENSA_INSB_IiSD_SE_SE_EEEEZNS1_13binary_searchIS3_S5_NSA_INS8_10device_ptrIyEEEESG_SI_NS1_16binary_search_opENS9_16wrapped_functionINS8_6system6detail7generic6detail18binary_search_lessEbEEEE10hipError_tPvRmT1_T2_T3_mmT4_T5_P12ihipStream_tbEUlRKyE_EESV_SZ_S10_mS11_S14_bEUlT_E_NS1_11comp_targetILNS1_3genE9ELNS1_11target_archE1100ELNS1_3gpuE3ELNS1_3repE0EEENS1_30default_config_static_selectorELNS0_4arch9wavefront6targetE0EEEvSY_
	.p2align	8
	.type	_ZN7rocprim17ROCPRIM_400000_NS6detail17trampoline_kernelINS0_14default_configENS1_29binary_search_config_selectorIyiEEZNS1_14transform_implILb0ES3_S5_N6thrust23THRUST_200600_302600_NS6detail15normal_iteratorINS8_7pointerIyNS8_11hip_rocprim5par_tENS8_11use_defaultESE_EEEENSA_INSB_IiSD_SE_SE_EEEEZNS1_13binary_searchIS3_S5_NSA_INS8_10device_ptrIyEEEESG_SI_NS1_16binary_search_opENS9_16wrapped_functionINS8_6system6detail7generic6detail18binary_search_lessEbEEEE10hipError_tPvRmT1_T2_T3_mmT4_T5_P12ihipStream_tbEUlRKyE_EESV_SZ_S10_mS11_S14_bEUlT_E_NS1_11comp_targetILNS1_3genE9ELNS1_11target_archE1100ELNS1_3gpuE3ELNS1_3repE0EEENS1_30default_config_static_selectorELNS0_4arch9wavefront6targetE0EEEvSY_,@function
_ZN7rocprim17ROCPRIM_400000_NS6detail17trampoline_kernelINS0_14default_configENS1_29binary_search_config_selectorIyiEEZNS1_14transform_implILb0ES3_S5_N6thrust23THRUST_200600_302600_NS6detail15normal_iteratorINS8_7pointerIyNS8_11hip_rocprim5par_tENS8_11use_defaultESE_EEEENSA_INSB_IiSD_SE_SE_EEEEZNS1_13binary_searchIS3_S5_NSA_INS8_10device_ptrIyEEEESG_SI_NS1_16binary_search_opENS9_16wrapped_functionINS8_6system6detail7generic6detail18binary_search_lessEbEEEE10hipError_tPvRmT1_T2_T3_mmT4_T5_P12ihipStream_tbEUlRKyE_EESV_SZ_S10_mS11_S14_bEUlT_E_NS1_11comp_targetILNS1_3genE9ELNS1_11target_archE1100ELNS1_3gpuE3ELNS1_3repE0EEENS1_30default_config_static_selectorELNS0_4arch9wavefront6targetE0EEEvSY_: ; @_ZN7rocprim17ROCPRIM_400000_NS6detail17trampoline_kernelINS0_14default_configENS1_29binary_search_config_selectorIyiEEZNS1_14transform_implILb0ES3_S5_N6thrust23THRUST_200600_302600_NS6detail15normal_iteratorINS8_7pointerIyNS8_11hip_rocprim5par_tENS8_11use_defaultESE_EEEENSA_INSB_IiSD_SE_SE_EEEEZNS1_13binary_searchIS3_S5_NSA_INS8_10device_ptrIyEEEESG_SI_NS1_16binary_search_opENS9_16wrapped_functionINS8_6system6detail7generic6detail18binary_search_lessEbEEEE10hipError_tPvRmT1_T2_T3_mmT4_T5_P12ihipStream_tbEUlRKyE_EESV_SZ_S10_mS11_S14_bEUlT_E_NS1_11comp_targetILNS1_3genE9ELNS1_11target_archE1100ELNS1_3gpuE3ELNS1_3repE0EEENS1_30default_config_static_selectorELNS0_4arch9wavefront6targetE0EEEvSY_
; %bb.0:
	.section	.rodata,"a",@progbits
	.p2align	6, 0x0
	.amdhsa_kernel _ZN7rocprim17ROCPRIM_400000_NS6detail17trampoline_kernelINS0_14default_configENS1_29binary_search_config_selectorIyiEEZNS1_14transform_implILb0ES3_S5_N6thrust23THRUST_200600_302600_NS6detail15normal_iteratorINS8_7pointerIyNS8_11hip_rocprim5par_tENS8_11use_defaultESE_EEEENSA_INSB_IiSD_SE_SE_EEEEZNS1_13binary_searchIS3_S5_NSA_INS8_10device_ptrIyEEEESG_SI_NS1_16binary_search_opENS9_16wrapped_functionINS8_6system6detail7generic6detail18binary_search_lessEbEEEE10hipError_tPvRmT1_T2_T3_mmT4_T5_P12ihipStream_tbEUlRKyE_EESV_SZ_S10_mS11_S14_bEUlT_E_NS1_11comp_targetILNS1_3genE9ELNS1_11target_archE1100ELNS1_3gpuE3ELNS1_3repE0EEENS1_30default_config_static_selectorELNS0_4arch9wavefront6targetE0EEEvSY_
		.amdhsa_group_segment_fixed_size 0
		.amdhsa_private_segment_fixed_size 0
		.amdhsa_kernarg_size 56
		.amdhsa_user_sgpr_count 6
		.amdhsa_user_sgpr_private_segment_buffer 1
		.amdhsa_user_sgpr_dispatch_ptr 0
		.amdhsa_user_sgpr_queue_ptr 0
		.amdhsa_user_sgpr_kernarg_segment_ptr 1
		.amdhsa_user_sgpr_dispatch_id 0
		.amdhsa_user_sgpr_flat_scratch_init 0
		.amdhsa_user_sgpr_private_segment_size 0
		.amdhsa_wavefront_size32 1
		.amdhsa_uses_dynamic_stack 0
		.amdhsa_system_sgpr_private_segment_wavefront_offset 0
		.amdhsa_system_sgpr_workgroup_id_x 1
		.amdhsa_system_sgpr_workgroup_id_y 0
		.amdhsa_system_sgpr_workgroup_id_z 0
		.amdhsa_system_sgpr_workgroup_info 0
		.amdhsa_system_vgpr_workitem_id 0
		.amdhsa_next_free_vgpr 1
		.amdhsa_next_free_sgpr 1
		.amdhsa_reserve_vcc 0
		.amdhsa_reserve_flat_scratch 0
		.amdhsa_float_round_mode_32 0
		.amdhsa_float_round_mode_16_64 0
		.amdhsa_float_denorm_mode_32 3
		.amdhsa_float_denorm_mode_16_64 3
		.amdhsa_dx10_clamp 1
		.amdhsa_ieee_mode 1
		.amdhsa_fp16_overflow 0
		.amdhsa_workgroup_processor_mode 1
		.amdhsa_memory_ordered 1
		.amdhsa_forward_progress 1
		.amdhsa_shared_vgpr_count 0
		.amdhsa_exception_fp_ieee_invalid_op 0
		.amdhsa_exception_fp_denorm_src 0
		.amdhsa_exception_fp_ieee_div_zero 0
		.amdhsa_exception_fp_ieee_overflow 0
		.amdhsa_exception_fp_ieee_underflow 0
		.amdhsa_exception_fp_ieee_inexact 0
		.amdhsa_exception_int_div_zero 0
	.end_amdhsa_kernel
	.section	.text._ZN7rocprim17ROCPRIM_400000_NS6detail17trampoline_kernelINS0_14default_configENS1_29binary_search_config_selectorIyiEEZNS1_14transform_implILb0ES3_S5_N6thrust23THRUST_200600_302600_NS6detail15normal_iteratorINS8_7pointerIyNS8_11hip_rocprim5par_tENS8_11use_defaultESE_EEEENSA_INSB_IiSD_SE_SE_EEEEZNS1_13binary_searchIS3_S5_NSA_INS8_10device_ptrIyEEEESG_SI_NS1_16binary_search_opENS9_16wrapped_functionINS8_6system6detail7generic6detail18binary_search_lessEbEEEE10hipError_tPvRmT1_T2_T3_mmT4_T5_P12ihipStream_tbEUlRKyE_EESV_SZ_S10_mS11_S14_bEUlT_E_NS1_11comp_targetILNS1_3genE9ELNS1_11target_archE1100ELNS1_3gpuE3ELNS1_3repE0EEENS1_30default_config_static_selectorELNS0_4arch9wavefront6targetE0EEEvSY_,"axG",@progbits,_ZN7rocprim17ROCPRIM_400000_NS6detail17trampoline_kernelINS0_14default_configENS1_29binary_search_config_selectorIyiEEZNS1_14transform_implILb0ES3_S5_N6thrust23THRUST_200600_302600_NS6detail15normal_iteratorINS8_7pointerIyNS8_11hip_rocprim5par_tENS8_11use_defaultESE_EEEENSA_INSB_IiSD_SE_SE_EEEEZNS1_13binary_searchIS3_S5_NSA_INS8_10device_ptrIyEEEESG_SI_NS1_16binary_search_opENS9_16wrapped_functionINS8_6system6detail7generic6detail18binary_search_lessEbEEEE10hipError_tPvRmT1_T2_T3_mmT4_T5_P12ihipStream_tbEUlRKyE_EESV_SZ_S10_mS11_S14_bEUlT_E_NS1_11comp_targetILNS1_3genE9ELNS1_11target_archE1100ELNS1_3gpuE3ELNS1_3repE0EEENS1_30default_config_static_selectorELNS0_4arch9wavefront6targetE0EEEvSY_,comdat
.Lfunc_end669:
	.size	_ZN7rocprim17ROCPRIM_400000_NS6detail17trampoline_kernelINS0_14default_configENS1_29binary_search_config_selectorIyiEEZNS1_14transform_implILb0ES3_S5_N6thrust23THRUST_200600_302600_NS6detail15normal_iteratorINS8_7pointerIyNS8_11hip_rocprim5par_tENS8_11use_defaultESE_EEEENSA_INSB_IiSD_SE_SE_EEEEZNS1_13binary_searchIS3_S5_NSA_INS8_10device_ptrIyEEEESG_SI_NS1_16binary_search_opENS9_16wrapped_functionINS8_6system6detail7generic6detail18binary_search_lessEbEEEE10hipError_tPvRmT1_T2_T3_mmT4_T5_P12ihipStream_tbEUlRKyE_EESV_SZ_S10_mS11_S14_bEUlT_E_NS1_11comp_targetILNS1_3genE9ELNS1_11target_archE1100ELNS1_3gpuE3ELNS1_3repE0EEENS1_30default_config_static_selectorELNS0_4arch9wavefront6targetE0EEEvSY_, .Lfunc_end669-_ZN7rocprim17ROCPRIM_400000_NS6detail17trampoline_kernelINS0_14default_configENS1_29binary_search_config_selectorIyiEEZNS1_14transform_implILb0ES3_S5_N6thrust23THRUST_200600_302600_NS6detail15normal_iteratorINS8_7pointerIyNS8_11hip_rocprim5par_tENS8_11use_defaultESE_EEEENSA_INSB_IiSD_SE_SE_EEEEZNS1_13binary_searchIS3_S5_NSA_INS8_10device_ptrIyEEEESG_SI_NS1_16binary_search_opENS9_16wrapped_functionINS8_6system6detail7generic6detail18binary_search_lessEbEEEE10hipError_tPvRmT1_T2_T3_mmT4_T5_P12ihipStream_tbEUlRKyE_EESV_SZ_S10_mS11_S14_bEUlT_E_NS1_11comp_targetILNS1_3genE9ELNS1_11target_archE1100ELNS1_3gpuE3ELNS1_3repE0EEENS1_30default_config_static_selectorELNS0_4arch9wavefront6targetE0EEEvSY_
                                        ; -- End function
	.set _ZN7rocprim17ROCPRIM_400000_NS6detail17trampoline_kernelINS0_14default_configENS1_29binary_search_config_selectorIyiEEZNS1_14transform_implILb0ES3_S5_N6thrust23THRUST_200600_302600_NS6detail15normal_iteratorINS8_7pointerIyNS8_11hip_rocprim5par_tENS8_11use_defaultESE_EEEENSA_INSB_IiSD_SE_SE_EEEEZNS1_13binary_searchIS3_S5_NSA_INS8_10device_ptrIyEEEESG_SI_NS1_16binary_search_opENS9_16wrapped_functionINS8_6system6detail7generic6detail18binary_search_lessEbEEEE10hipError_tPvRmT1_T2_T3_mmT4_T5_P12ihipStream_tbEUlRKyE_EESV_SZ_S10_mS11_S14_bEUlT_E_NS1_11comp_targetILNS1_3genE9ELNS1_11target_archE1100ELNS1_3gpuE3ELNS1_3repE0EEENS1_30default_config_static_selectorELNS0_4arch9wavefront6targetE0EEEvSY_.num_vgpr, 0
	.set _ZN7rocprim17ROCPRIM_400000_NS6detail17trampoline_kernelINS0_14default_configENS1_29binary_search_config_selectorIyiEEZNS1_14transform_implILb0ES3_S5_N6thrust23THRUST_200600_302600_NS6detail15normal_iteratorINS8_7pointerIyNS8_11hip_rocprim5par_tENS8_11use_defaultESE_EEEENSA_INSB_IiSD_SE_SE_EEEEZNS1_13binary_searchIS3_S5_NSA_INS8_10device_ptrIyEEEESG_SI_NS1_16binary_search_opENS9_16wrapped_functionINS8_6system6detail7generic6detail18binary_search_lessEbEEEE10hipError_tPvRmT1_T2_T3_mmT4_T5_P12ihipStream_tbEUlRKyE_EESV_SZ_S10_mS11_S14_bEUlT_E_NS1_11comp_targetILNS1_3genE9ELNS1_11target_archE1100ELNS1_3gpuE3ELNS1_3repE0EEENS1_30default_config_static_selectorELNS0_4arch9wavefront6targetE0EEEvSY_.num_agpr, 0
	.set _ZN7rocprim17ROCPRIM_400000_NS6detail17trampoline_kernelINS0_14default_configENS1_29binary_search_config_selectorIyiEEZNS1_14transform_implILb0ES3_S5_N6thrust23THRUST_200600_302600_NS6detail15normal_iteratorINS8_7pointerIyNS8_11hip_rocprim5par_tENS8_11use_defaultESE_EEEENSA_INSB_IiSD_SE_SE_EEEEZNS1_13binary_searchIS3_S5_NSA_INS8_10device_ptrIyEEEESG_SI_NS1_16binary_search_opENS9_16wrapped_functionINS8_6system6detail7generic6detail18binary_search_lessEbEEEE10hipError_tPvRmT1_T2_T3_mmT4_T5_P12ihipStream_tbEUlRKyE_EESV_SZ_S10_mS11_S14_bEUlT_E_NS1_11comp_targetILNS1_3genE9ELNS1_11target_archE1100ELNS1_3gpuE3ELNS1_3repE0EEENS1_30default_config_static_selectorELNS0_4arch9wavefront6targetE0EEEvSY_.numbered_sgpr, 0
	.set _ZN7rocprim17ROCPRIM_400000_NS6detail17trampoline_kernelINS0_14default_configENS1_29binary_search_config_selectorIyiEEZNS1_14transform_implILb0ES3_S5_N6thrust23THRUST_200600_302600_NS6detail15normal_iteratorINS8_7pointerIyNS8_11hip_rocprim5par_tENS8_11use_defaultESE_EEEENSA_INSB_IiSD_SE_SE_EEEEZNS1_13binary_searchIS3_S5_NSA_INS8_10device_ptrIyEEEESG_SI_NS1_16binary_search_opENS9_16wrapped_functionINS8_6system6detail7generic6detail18binary_search_lessEbEEEE10hipError_tPvRmT1_T2_T3_mmT4_T5_P12ihipStream_tbEUlRKyE_EESV_SZ_S10_mS11_S14_bEUlT_E_NS1_11comp_targetILNS1_3genE9ELNS1_11target_archE1100ELNS1_3gpuE3ELNS1_3repE0EEENS1_30default_config_static_selectorELNS0_4arch9wavefront6targetE0EEEvSY_.num_named_barrier, 0
	.set _ZN7rocprim17ROCPRIM_400000_NS6detail17trampoline_kernelINS0_14default_configENS1_29binary_search_config_selectorIyiEEZNS1_14transform_implILb0ES3_S5_N6thrust23THRUST_200600_302600_NS6detail15normal_iteratorINS8_7pointerIyNS8_11hip_rocprim5par_tENS8_11use_defaultESE_EEEENSA_INSB_IiSD_SE_SE_EEEEZNS1_13binary_searchIS3_S5_NSA_INS8_10device_ptrIyEEEESG_SI_NS1_16binary_search_opENS9_16wrapped_functionINS8_6system6detail7generic6detail18binary_search_lessEbEEEE10hipError_tPvRmT1_T2_T3_mmT4_T5_P12ihipStream_tbEUlRKyE_EESV_SZ_S10_mS11_S14_bEUlT_E_NS1_11comp_targetILNS1_3genE9ELNS1_11target_archE1100ELNS1_3gpuE3ELNS1_3repE0EEENS1_30default_config_static_selectorELNS0_4arch9wavefront6targetE0EEEvSY_.private_seg_size, 0
	.set _ZN7rocprim17ROCPRIM_400000_NS6detail17trampoline_kernelINS0_14default_configENS1_29binary_search_config_selectorIyiEEZNS1_14transform_implILb0ES3_S5_N6thrust23THRUST_200600_302600_NS6detail15normal_iteratorINS8_7pointerIyNS8_11hip_rocprim5par_tENS8_11use_defaultESE_EEEENSA_INSB_IiSD_SE_SE_EEEEZNS1_13binary_searchIS3_S5_NSA_INS8_10device_ptrIyEEEESG_SI_NS1_16binary_search_opENS9_16wrapped_functionINS8_6system6detail7generic6detail18binary_search_lessEbEEEE10hipError_tPvRmT1_T2_T3_mmT4_T5_P12ihipStream_tbEUlRKyE_EESV_SZ_S10_mS11_S14_bEUlT_E_NS1_11comp_targetILNS1_3genE9ELNS1_11target_archE1100ELNS1_3gpuE3ELNS1_3repE0EEENS1_30default_config_static_selectorELNS0_4arch9wavefront6targetE0EEEvSY_.uses_vcc, 0
	.set _ZN7rocprim17ROCPRIM_400000_NS6detail17trampoline_kernelINS0_14default_configENS1_29binary_search_config_selectorIyiEEZNS1_14transform_implILb0ES3_S5_N6thrust23THRUST_200600_302600_NS6detail15normal_iteratorINS8_7pointerIyNS8_11hip_rocprim5par_tENS8_11use_defaultESE_EEEENSA_INSB_IiSD_SE_SE_EEEEZNS1_13binary_searchIS3_S5_NSA_INS8_10device_ptrIyEEEESG_SI_NS1_16binary_search_opENS9_16wrapped_functionINS8_6system6detail7generic6detail18binary_search_lessEbEEEE10hipError_tPvRmT1_T2_T3_mmT4_T5_P12ihipStream_tbEUlRKyE_EESV_SZ_S10_mS11_S14_bEUlT_E_NS1_11comp_targetILNS1_3genE9ELNS1_11target_archE1100ELNS1_3gpuE3ELNS1_3repE0EEENS1_30default_config_static_selectorELNS0_4arch9wavefront6targetE0EEEvSY_.uses_flat_scratch, 0
	.set _ZN7rocprim17ROCPRIM_400000_NS6detail17trampoline_kernelINS0_14default_configENS1_29binary_search_config_selectorIyiEEZNS1_14transform_implILb0ES3_S5_N6thrust23THRUST_200600_302600_NS6detail15normal_iteratorINS8_7pointerIyNS8_11hip_rocprim5par_tENS8_11use_defaultESE_EEEENSA_INSB_IiSD_SE_SE_EEEEZNS1_13binary_searchIS3_S5_NSA_INS8_10device_ptrIyEEEESG_SI_NS1_16binary_search_opENS9_16wrapped_functionINS8_6system6detail7generic6detail18binary_search_lessEbEEEE10hipError_tPvRmT1_T2_T3_mmT4_T5_P12ihipStream_tbEUlRKyE_EESV_SZ_S10_mS11_S14_bEUlT_E_NS1_11comp_targetILNS1_3genE9ELNS1_11target_archE1100ELNS1_3gpuE3ELNS1_3repE0EEENS1_30default_config_static_selectorELNS0_4arch9wavefront6targetE0EEEvSY_.has_dyn_sized_stack, 0
	.set _ZN7rocprim17ROCPRIM_400000_NS6detail17trampoline_kernelINS0_14default_configENS1_29binary_search_config_selectorIyiEEZNS1_14transform_implILb0ES3_S5_N6thrust23THRUST_200600_302600_NS6detail15normal_iteratorINS8_7pointerIyNS8_11hip_rocprim5par_tENS8_11use_defaultESE_EEEENSA_INSB_IiSD_SE_SE_EEEEZNS1_13binary_searchIS3_S5_NSA_INS8_10device_ptrIyEEEESG_SI_NS1_16binary_search_opENS9_16wrapped_functionINS8_6system6detail7generic6detail18binary_search_lessEbEEEE10hipError_tPvRmT1_T2_T3_mmT4_T5_P12ihipStream_tbEUlRKyE_EESV_SZ_S10_mS11_S14_bEUlT_E_NS1_11comp_targetILNS1_3genE9ELNS1_11target_archE1100ELNS1_3gpuE3ELNS1_3repE0EEENS1_30default_config_static_selectorELNS0_4arch9wavefront6targetE0EEEvSY_.has_recursion, 0
	.set _ZN7rocprim17ROCPRIM_400000_NS6detail17trampoline_kernelINS0_14default_configENS1_29binary_search_config_selectorIyiEEZNS1_14transform_implILb0ES3_S5_N6thrust23THRUST_200600_302600_NS6detail15normal_iteratorINS8_7pointerIyNS8_11hip_rocprim5par_tENS8_11use_defaultESE_EEEENSA_INSB_IiSD_SE_SE_EEEEZNS1_13binary_searchIS3_S5_NSA_INS8_10device_ptrIyEEEESG_SI_NS1_16binary_search_opENS9_16wrapped_functionINS8_6system6detail7generic6detail18binary_search_lessEbEEEE10hipError_tPvRmT1_T2_T3_mmT4_T5_P12ihipStream_tbEUlRKyE_EESV_SZ_S10_mS11_S14_bEUlT_E_NS1_11comp_targetILNS1_3genE9ELNS1_11target_archE1100ELNS1_3gpuE3ELNS1_3repE0EEENS1_30default_config_static_selectorELNS0_4arch9wavefront6targetE0EEEvSY_.has_indirect_call, 0
	.section	.AMDGPU.csdata,"",@progbits
; Kernel info:
; codeLenInByte = 0
; TotalNumSgprs: 0
; NumVgprs: 0
; ScratchSize: 0
; MemoryBound: 0
; FloatMode: 240
; IeeeMode: 1
; LDSByteSize: 0 bytes/workgroup (compile time only)
; SGPRBlocks: 0
; VGPRBlocks: 0
; NumSGPRsForWavesPerEU: 1
; NumVGPRsForWavesPerEU: 1
; Occupancy: 16
; WaveLimiterHint : 0
; COMPUTE_PGM_RSRC2:SCRATCH_EN: 0
; COMPUTE_PGM_RSRC2:USER_SGPR: 6
; COMPUTE_PGM_RSRC2:TRAP_HANDLER: 0
; COMPUTE_PGM_RSRC2:TGID_X_EN: 1
; COMPUTE_PGM_RSRC2:TGID_Y_EN: 0
; COMPUTE_PGM_RSRC2:TGID_Z_EN: 0
; COMPUTE_PGM_RSRC2:TIDIG_COMP_CNT: 0
	.section	.text._ZN7rocprim17ROCPRIM_400000_NS6detail17trampoline_kernelINS0_14default_configENS1_29binary_search_config_selectorIyiEEZNS1_14transform_implILb0ES3_S5_N6thrust23THRUST_200600_302600_NS6detail15normal_iteratorINS8_7pointerIyNS8_11hip_rocprim5par_tENS8_11use_defaultESE_EEEENSA_INSB_IiSD_SE_SE_EEEEZNS1_13binary_searchIS3_S5_NSA_INS8_10device_ptrIyEEEESG_SI_NS1_16binary_search_opENS9_16wrapped_functionINS8_6system6detail7generic6detail18binary_search_lessEbEEEE10hipError_tPvRmT1_T2_T3_mmT4_T5_P12ihipStream_tbEUlRKyE_EESV_SZ_S10_mS11_S14_bEUlT_E_NS1_11comp_targetILNS1_3genE8ELNS1_11target_archE1030ELNS1_3gpuE2ELNS1_3repE0EEENS1_30default_config_static_selectorELNS0_4arch9wavefront6targetE0EEEvSY_,"axG",@progbits,_ZN7rocprim17ROCPRIM_400000_NS6detail17trampoline_kernelINS0_14default_configENS1_29binary_search_config_selectorIyiEEZNS1_14transform_implILb0ES3_S5_N6thrust23THRUST_200600_302600_NS6detail15normal_iteratorINS8_7pointerIyNS8_11hip_rocprim5par_tENS8_11use_defaultESE_EEEENSA_INSB_IiSD_SE_SE_EEEEZNS1_13binary_searchIS3_S5_NSA_INS8_10device_ptrIyEEEESG_SI_NS1_16binary_search_opENS9_16wrapped_functionINS8_6system6detail7generic6detail18binary_search_lessEbEEEE10hipError_tPvRmT1_T2_T3_mmT4_T5_P12ihipStream_tbEUlRKyE_EESV_SZ_S10_mS11_S14_bEUlT_E_NS1_11comp_targetILNS1_3genE8ELNS1_11target_archE1030ELNS1_3gpuE2ELNS1_3repE0EEENS1_30default_config_static_selectorELNS0_4arch9wavefront6targetE0EEEvSY_,comdat
	.protected	_ZN7rocprim17ROCPRIM_400000_NS6detail17trampoline_kernelINS0_14default_configENS1_29binary_search_config_selectorIyiEEZNS1_14transform_implILb0ES3_S5_N6thrust23THRUST_200600_302600_NS6detail15normal_iteratorINS8_7pointerIyNS8_11hip_rocprim5par_tENS8_11use_defaultESE_EEEENSA_INSB_IiSD_SE_SE_EEEEZNS1_13binary_searchIS3_S5_NSA_INS8_10device_ptrIyEEEESG_SI_NS1_16binary_search_opENS9_16wrapped_functionINS8_6system6detail7generic6detail18binary_search_lessEbEEEE10hipError_tPvRmT1_T2_T3_mmT4_T5_P12ihipStream_tbEUlRKyE_EESV_SZ_S10_mS11_S14_bEUlT_E_NS1_11comp_targetILNS1_3genE8ELNS1_11target_archE1030ELNS1_3gpuE2ELNS1_3repE0EEENS1_30default_config_static_selectorELNS0_4arch9wavefront6targetE0EEEvSY_ ; -- Begin function _ZN7rocprim17ROCPRIM_400000_NS6detail17trampoline_kernelINS0_14default_configENS1_29binary_search_config_selectorIyiEEZNS1_14transform_implILb0ES3_S5_N6thrust23THRUST_200600_302600_NS6detail15normal_iteratorINS8_7pointerIyNS8_11hip_rocprim5par_tENS8_11use_defaultESE_EEEENSA_INSB_IiSD_SE_SE_EEEEZNS1_13binary_searchIS3_S5_NSA_INS8_10device_ptrIyEEEESG_SI_NS1_16binary_search_opENS9_16wrapped_functionINS8_6system6detail7generic6detail18binary_search_lessEbEEEE10hipError_tPvRmT1_T2_T3_mmT4_T5_P12ihipStream_tbEUlRKyE_EESV_SZ_S10_mS11_S14_bEUlT_E_NS1_11comp_targetILNS1_3genE8ELNS1_11target_archE1030ELNS1_3gpuE2ELNS1_3repE0EEENS1_30default_config_static_selectorELNS0_4arch9wavefront6targetE0EEEvSY_
	.globl	_ZN7rocprim17ROCPRIM_400000_NS6detail17trampoline_kernelINS0_14default_configENS1_29binary_search_config_selectorIyiEEZNS1_14transform_implILb0ES3_S5_N6thrust23THRUST_200600_302600_NS6detail15normal_iteratorINS8_7pointerIyNS8_11hip_rocprim5par_tENS8_11use_defaultESE_EEEENSA_INSB_IiSD_SE_SE_EEEEZNS1_13binary_searchIS3_S5_NSA_INS8_10device_ptrIyEEEESG_SI_NS1_16binary_search_opENS9_16wrapped_functionINS8_6system6detail7generic6detail18binary_search_lessEbEEEE10hipError_tPvRmT1_T2_T3_mmT4_T5_P12ihipStream_tbEUlRKyE_EESV_SZ_S10_mS11_S14_bEUlT_E_NS1_11comp_targetILNS1_3genE8ELNS1_11target_archE1030ELNS1_3gpuE2ELNS1_3repE0EEENS1_30default_config_static_selectorELNS0_4arch9wavefront6targetE0EEEvSY_
	.p2align	8
	.type	_ZN7rocprim17ROCPRIM_400000_NS6detail17trampoline_kernelINS0_14default_configENS1_29binary_search_config_selectorIyiEEZNS1_14transform_implILb0ES3_S5_N6thrust23THRUST_200600_302600_NS6detail15normal_iteratorINS8_7pointerIyNS8_11hip_rocprim5par_tENS8_11use_defaultESE_EEEENSA_INSB_IiSD_SE_SE_EEEEZNS1_13binary_searchIS3_S5_NSA_INS8_10device_ptrIyEEEESG_SI_NS1_16binary_search_opENS9_16wrapped_functionINS8_6system6detail7generic6detail18binary_search_lessEbEEEE10hipError_tPvRmT1_T2_T3_mmT4_T5_P12ihipStream_tbEUlRKyE_EESV_SZ_S10_mS11_S14_bEUlT_E_NS1_11comp_targetILNS1_3genE8ELNS1_11target_archE1030ELNS1_3gpuE2ELNS1_3repE0EEENS1_30default_config_static_selectorELNS0_4arch9wavefront6targetE0EEEvSY_,@function
_ZN7rocprim17ROCPRIM_400000_NS6detail17trampoline_kernelINS0_14default_configENS1_29binary_search_config_selectorIyiEEZNS1_14transform_implILb0ES3_S5_N6thrust23THRUST_200600_302600_NS6detail15normal_iteratorINS8_7pointerIyNS8_11hip_rocprim5par_tENS8_11use_defaultESE_EEEENSA_INSB_IiSD_SE_SE_EEEEZNS1_13binary_searchIS3_S5_NSA_INS8_10device_ptrIyEEEESG_SI_NS1_16binary_search_opENS9_16wrapped_functionINS8_6system6detail7generic6detail18binary_search_lessEbEEEE10hipError_tPvRmT1_T2_T3_mmT4_T5_P12ihipStream_tbEUlRKyE_EESV_SZ_S10_mS11_S14_bEUlT_E_NS1_11comp_targetILNS1_3genE8ELNS1_11target_archE1030ELNS1_3gpuE2ELNS1_3repE0EEENS1_30default_config_static_selectorELNS0_4arch9wavefront6targetE0EEEvSY_: ; @_ZN7rocprim17ROCPRIM_400000_NS6detail17trampoline_kernelINS0_14default_configENS1_29binary_search_config_selectorIyiEEZNS1_14transform_implILb0ES3_S5_N6thrust23THRUST_200600_302600_NS6detail15normal_iteratorINS8_7pointerIyNS8_11hip_rocprim5par_tENS8_11use_defaultESE_EEEENSA_INSB_IiSD_SE_SE_EEEEZNS1_13binary_searchIS3_S5_NSA_INS8_10device_ptrIyEEEESG_SI_NS1_16binary_search_opENS9_16wrapped_functionINS8_6system6detail7generic6detail18binary_search_lessEbEEEE10hipError_tPvRmT1_T2_T3_mmT4_T5_P12ihipStream_tbEUlRKyE_EESV_SZ_S10_mS11_S14_bEUlT_E_NS1_11comp_targetILNS1_3genE8ELNS1_11target_archE1030ELNS1_3gpuE2ELNS1_3repE0EEENS1_30default_config_static_selectorELNS0_4arch9wavefront6targetE0EEEvSY_
; %bb.0:
	s_clause 0x3
	s_load_dwordx4 s[0:3], s[4:5], 0x0
	s_load_dword s12, s[4:5], 0x38
	s_load_dwordx2 s[14:15], s[4:5], 0x28
	s_load_dwordx4 s[8:11], s[4:5], 0x18
	s_mov_b32 s13, 0
	s_mov_b32 s17, -1
                                        ; kill: def $vgpr0 killed $vgpr0 def $vgpr1
                                        ; implicit-def: $vgpr2_vgpr3
                                        ; implicit-def: $vgpr4_vgpr5
	s_waitcnt lgkmcnt(0)
	s_lshl_b64 s[18:19], s[2:3], 3
	s_add_u32 s7, s0, s18
	s_addc_u32 s16, s1, s19
	s_add_i32 s0, s12, -1
	s_lshl_b32 s12, s6, 8
	s_cmp_lg_u32 s6, s0
	s_mov_b32 s6, s13
	s_mov_b32 s1, s13
	s_cbranch_scc1 .LBB670_5
; %bb.1:
	s_and_b32 vcc_lo, exec_lo, s17
	s_cbranch_vccnz .LBB670_10
.LBB670_2:
	v_mov_b32_e32 v6, 0
	s_and_saveexec_b32 s0, s6
	s_cbranch_execnz .LBB670_17
.LBB670_3:
	s_or_b32 exec_lo, exec_lo, s0
	s_and_saveexec_b32 s0, s1
	s_cbranch_execnz .LBB670_18
.LBB670_4:
	s_endpgm
.LBB670_5:
	v_lshlrev_b32_e32 v1, 3, v0
	s_lshl_b64 s[0:1], s[12:13], 3
	v_mov_b32_e32 v4, 0
	s_add_u32 s0, s7, s0
	s_addc_u32 s1, s16, s1
	v_add_co_u32 v1, s0, s0, v1
	v_add_co_ci_u32_e64 v2, null, s1, 0, s0
	v_mov_b32_e32 v5, 0
	s_cmp_eq_u64 s[14:15], 0
	flat_load_dwordx2 v[2:3], v[1:2]
	v_mov_b32_e32 v1, 0
	s_cbranch_scc1 .LBB670_9
; %bb.6:
	v_mov_b32_e32 v6, s14
	v_mov_b32_e32 v7, s15
	s_mov_b32 s1, 0
	s_inst_prefetch 0x1
	.p2align	6
.LBB670_7:                              ; =>This Inner Loop Header: Depth=1
	v_sub_co_u32 v8, vcc_lo, v6, v4
	v_sub_co_ci_u32_e64 v9, null, v7, v5, vcc_lo
	v_lshrrev_b64 v[10:11], 1, v[8:9]
	v_lshrrev_b64 v[8:9], 6, v[8:9]
	v_add_co_u32 v10, vcc_lo, v10, v4
	v_add_co_ci_u32_e64 v11, null, v11, v5, vcc_lo
	v_add_co_u32 v8, vcc_lo, v10, v8
	v_add_co_ci_u32_e64 v9, null, v11, v9, vcc_lo
	v_lshlrev_b64 v[10:11], 3, v[8:9]
	v_add_co_u32 v10, vcc_lo, s10, v10
	v_add_co_ci_u32_e64 v11, null, s11, v11, vcc_lo
	v_add_co_u32 v12, vcc_lo, v8, 1
	global_load_dwordx2 v[10:11], v[10:11], off
	s_waitcnt vmcnt(0) lgkmcnt(0)
	v_cmp_lt_u64_e64 s0, v[10:11], v[2:3]
	v_add_co_ci_u32_e64 v10, null, 0, v9, vcc_lo
	v_cndmask_b32_e64 v7, v9, v7, s0
	v_cndmask_b32_e64 v6, v8, v6, s0
	v_cndmask_b32_e64 v5, v5, v10, s0
	v_cndmask_b32_e64 v4, v4, v12, s0
	v_cmp_ge_u64_e32 vcc_lo, v[4:5], v[6:7]
	s_or_b32 s1, vcc_lo, s1
	s_andn2_b32 exec_lo, exec_lo, s1
	s_cbranch_execnz .LBB670_7
; %bb.8:
	s_inst_prefetch 0x2
	s_or_b32 exec_lo, exec_lo, s1
.LBB670_9:
	v_cmp_eq_u64_e64 s1, s[14:15], v[4:5]
	v_cmp_ne_u64_e64 s6, s[14:15], v[4:5]
	s_branch .LBB670_2
.LBB670_10:
	s_load_dword s0, s[4:5], 0x10
	s_mov_b32 s4, exec_lo
                                        ; implicit-def: $vgpr2_vgpr3
                                        ; implicit-def: $vgpr4_vgpr5
	s_waitcnt lgkmcnt(0)
	s_sub_i32 s0, s0, s12
	v_cmpx_gt_u32_e64 s0, v0
	s_cbranch_execz .LBB670_16
; %bb.11:
	v_lshlrev_b32_e32 v1, 3, v0
	s_lshl_b64 s[18:19], s[12:13], 3
	v_mov_b32_e32 v4, 0
	s_add_u32 s0, s7, s18
	s_addc_u32 s5, s16, s19
	v_add_co_u32 v1, s0, s0, v1
	s_waitcnt vmcnt(0)
	v_add_co_ci_u32_e64 v2, null, s5, 0, s0
	v_mov_b32_e32 v5, 0
	s_cmp_eq_u64 s[14:15], 0
	flat_load_dwordx2 v[2:3], v[1:2]
	v_mov_b32_e32 v1, 0
	s_cbranch_scc1 .LBB670_15
; %bb.12:
	v_mov_b32_e32 v6, s14
	v_mov_b32_e32 v7, s15
	s_mov_b32 s5, 0
	s_inst_prefetch 0x1
	.p2align	6
.LBB670_13:                             ; =>This Inner Loop Header: Depth=1
	v_sub_co_u32 v8, vcc_lo, v6, v4
	v_sub_co_ci_u32_e64 v9, null, v7, v5, vcc_lo
	v_lshrrev_b64 v[10:11], 1, v[8:9]
	v_lshrrev_b64 v[8:9], 6, v[8:9]
	v_add_co_u32 v10, vcc_lo, v10, v4
	v_add_co_ci_u32_e64 v11, null, v11, v5, vcc_lo
	v_add_co_u32 v8, vcc_lo, v10, v8
	v_add_co_ci_u32_e64 v9, null, v11, v9, vcc_lo
	v_lshlrev_b64 v[10:11], 3, v[8:9]
	v_add_co_u32 v10, vcc_lo, s10, v10
	v_add_co_ci_u32_e64 v11, null, s11, v11, vcc_lo
	v_add_co_u32 v12, vcc_lo, v8, 1
	global_load_dwordx2 v[10:11], v[10:11], off
	s_waitcnt vmcnt(0) lgkmcnt(0)
	v_cmp_lt_u64_e64 s0, v[10:11], v[2:3]
	v_add_co_ci_u32_e64 v10, null, 0, v9, vcc_lo
	v_cndmask_b32_e64 v7, v9, v7, s0
	v_cndmask_b32_e64 v6, v8, v6, s0
	;; [unrolled: 1-line block ×4, first 2 shown]
	v_cmp_ge_u64_e32 vcc_lo, v[4:5], v[6:7]
	s_or_b32 s5, vcc_lo, s5
	s_andn2_b32 exec_lo, exec_lo, s5
	s_cbranch_execnz .LBB670_13
; %bb.14:
	s_inst_prefetch 0x2
	s_or_b32 exec_lo, exec_lo, s5
.LBB670_15:
	v_cmp_eq_u64_e32 vcc_lo, s[14:15], v[4:5]
	v_cmp_ne_u64_e64 s0, s[14:15], v[4:5]
	s_andn2_b32 s1, s1, exec_lo
	s_andn2_b32 s5, s6, exec_lo
	s_and_b32 s6, vcc_lo, exec_lo
	s_and_b32 s0, s0, exec_lo
	s_or_b32 s1, s1, s6
	s_or_b32 s6, s5, s0
.LBB670_16:
	s_or_b32 exec_lo, exec_lo, s4
	v_mov_b32_e32 v6, 0
	s_and_saveexec_b32 s0, s6
	s_cbranch_execz .LBB670_3
.LBB670_17:
	v_lshlrev_b64 v[4:5], 3, v[4:5]
	s_or_b32 s1, s1, exec_lo
	v_add_co_u32 v4, vcc_lo, s10, v4
	v_add_co_ci_u32_e64 v5, null, s11, v5, vcc_lo
	global_load_dwordx2 v[4:5], v[4:5], off
	s_waitcnt vmcnt(0) lgkmcnt(0)
	v_cmp_ge_u64_e32 vcc_lo, v[2:3], v[4:5]
	v_cndmask_b32_e64 v6, 0, 1, vcc_lo
	s_or_b32 exec_lo, exec_lo, s0
	s_and_saveexec_b32 s0, s1
	s_cbranch_execz .LBB670_4
.LBB670_18:
	s_lshl_b64 s[0:1], s[2:3], 2
	v_lshlrev_b64 v[0:1], 2, v[0:1]
	s_add_u32 s2, s8, s0
	s_addc_u32 s3, s9, s1
	s_lshl_b64 s[0:1], s[12:13], 2
	s_add_u32 s0, s2, s0
	s_addc_u32 s1, s3, s1
	v_add_co_u32 v0, vcc_lo, s0, v0
	v_add_co_ci_u32_e64 v1, null, s1, v1, vcc_lo
	flat_store_dword v[0:1], v6
	s_endpgm
	.section	.rodata,"a",@progbits
	.p2align	6, 0x0
	.amdhsa_kernel _ZN7rocprim17ROCPRIM_400000_NS6detail17trampoline_kernelINS0_14default_configENS1_29binary_search_config_selectorIyiEEZNS1_14transform_implILb0ES3_S5_N6thrust23THRUST_200600_302600_NS6detail15normal_iteratorINS8_7pointerIyNS8_11hip_rocprim5par_tENS8_11use_defaultESE_EEEENSA_INSB_IiSD_SE_SE_EEEEZNS1_13binary_searchIS3_S5_NSA_INS8_10device_ptrIyEEEESG_SI_NS1_16binary_search_opENS9_16wrapped_functionINS8_6system6detail7generic6detail18binary_search_lessEbEEEE10hipError_tPvRmT1_T2_T3_mmT4_T5_P12ihipStream_tbEUlRKyE_EESV_SZ_S10_mS11_S14_bEUlT_E_NS1_11comp_targetILNS1_3genE8ELNS1_11target_archE1030ELNS1_3gpuE2ELNS1_3repE0EEENS1_30default_config_static_selectorELNS0_4arch9wavefront6targetE0EEEvSY_
		.amdhsa_group_segment_fixed_size 0
		.amdhsa_private_segment_fixed_size 0
		.amdhsa_kernarg_size 312
		.amdhsa_user_sgpr_count 6
		.amdhsa_user_sgpr_private_segment_buffer 1
		.amdhsa_user_sgpr_dispatch_ptr 0
		.amdhsa_user_sgpr_queue_ptr 0
		.amdhsa_user_sgpr_kernarg_segment_ptr 1
		.amdhsa_user_sgpr_dispatch_id 0
		.amdhsa_user_sgpr_flat_scratch_init 0
		.amdhsa_user_sgpr_private_segment_size 0
		.amdhsa_wavefront_size32 1
		.amdhsa_uses_dynamic_stack 0
		.amdhsa_system_sgpr_private_segment_wavefront_offset 0
		.amdhsa_system_sgpr_workgroup_id_x 1
		.amdhsa_system_sgpr_workgroup_id_y 0
		.amdhsa_system_sgpr_workgroup_id_z 0
		.amdhsa_system_sgpr_workgroup_info 0
		.amdhsa_system_vgpr_workitem_id 0
		.amdhsa_next_free_vgpr 13
		.amdhsa_next_free_sgpr 20
		.amdhsa_reserve_vcc 1
		.amdhsa_reserve_flat_scratch 0
		.amdhsa_float_round_mode_32 0
		.amdhsa_float_round_mode_16_64 0
		.amdhsa_float_denorm_mode_32 3
		.amdhsa_float_denorm_mode_16_64 3
		.amdhsa_dx10_clamp 1
		.amdhsa_ieee_mode 1
		.amdhsa_fp16_overflow 0
		.amdhsa_workgroup_processor_mode 1
		.amdhsa_memory_ordered 1
		.amdhsa_forward_progress 1
		.amdhsa_shared_vgpr_count 0
		.amdhsa_exception_fp_ieee_invalid_op 0
		.amdhsa_exception_fp_denorm_src 0
		.amdhsa_exception_fp_ieee_div_zero 0
		.amdhsa_exception_fp_ieee_overflow 0
		.amdhsa_exception_fp_ieee_underflow 0
		.amdhsa_exception_fp_ieee_inexact 0
		.amdhsa_exception_int_div_zero 0
	.end_amdhsa_kernel
	.section	.text._ZN7rocprim17ROCPRIM_400000_NS6detail17trampoline_kernelINS0_14default_configENS1_29binary_search_config_selectorIyiEEZNS1_14transform_implILb0ES3_S5_N6thrust23THRUST_200600_302600_NS6detail15normal_iteratorINS8_7pointerIyNS8_11hip_rocprim5par_tENS8_11use_defaultESE_EEEENSA_INSB_IiSD_SE_SE_EEEEZNS1_13binary_searchIS3_S5_NSA_INS8_10device_ptrIyEEEESG_SI_NS1_16binary_search_opENS9_16wrapped_functionINS8_6system6detail7generic6detail18binary_search_lessEbEEEE10hipError_tPvRmT1_T2_T3_mmT4_T5_P12ihipStream_tbEUlRKyE_EESV_SZ_S10_mS11_S14_bEUlT_E_NS1_11comp_targetILNS1_3genE8ELNS1_11target_archE1030ELNS1_3gpuE2ELNS1_3repE0EEENS1_30default_config_static_selectorELNS0_4arch9wavefront6targetE0EEEvSY_,"axG",@progbits,_ZN7rocprim17ROCPRIM_400000_NS6detail17trampoline_kernelINS0_14default_configENS1_29binary_search_config_selectorIyiEEZNS1_14transform_implILb0ES3_S5_N6thrust23THRUST_200600_302600_NS6detail15normal_iteratorINS8_7pointerIyNS8_11hip_rocprim5par_tENS8_11use_defaultESE_EEEENSA_INSB_IiSD_SE_SE_EEEEZNS1_13binary_searchIS3_S5_NSA_INS8_10device_ptrIyEEEESG_SI_NS1_16binary_search_opENS9_16wrapped_functionINS8_6system6detail7generic6detail18binary_search_lessEbEEEE10hipError_tPvRmT1_T2_T3_mmT4_T5_P12ihipStream_tbEUlRKyE_EESV_SZ_S10_mS11_S14_bEUlT_E_NS1_11comp_targetILNS1_3genE8ELNS1_11target_archE1030ELNS1_3gpuE2ELNS1_3repE0EEENS1_30default_config_static_selectorELNS0_4arch9wavefront6targetE0EEEvSY_,comdat
.Lfunc_end670:
	.size	_ZN7rocprim17ROCPRIM_400000_NS6detail17trampoline_kernelINS0_14default_configENS1_29binary_search_config_selectorIyiEEZNS1_14transform_implILb0ES3_S5_N6thrust23THRUST_200600_302600_NS6detail15normal_iteratorINS8_7pointerIyNS8_11hip_rocprim5par_tENS8_11use_defaultESE_EEEENSA_INSB_IiSD_SE_SE_EEEEZNS1_13binary_searchIS3_S5_NSA_INS8_10device_ptrIyEEEESG_SI_NS1_16binary_search_opENS9_16wrapped_functionINS8_6system6detail7generic6detail18binary_search_lessEbEEEE10hipError_tPvRmT1_T2_T3_mmT4_T5_P12ihipStream_tbEUlRKyE_EESV_SZ_S10_mS11_S14_bEUlT_E_NS1_11comp_targetILNS1_3genE8ELNS1_11target_archE1030ELNS1_3gpuE2ELNS1_3repE0EEENS1_30default_config_static_selectorELNS0_4arch9wavefront6targetE0EEEvSY_, .Lfunc_end670-_ZN7rocprim17ROCPRIM_400000_NS6detail17trampoline_kernelINS0_14default_configENS1_29binary_search_config_selectorIyiEEZNS1_14transform_implILb0ES3_S5_N6thrust23THRUST_200600_302600_NS6detail15normal_iteratorINS8_7pointerIyNS8_11hip_rocprim5par_tENS8_11use_defaultESE_EEEENSA_INSB_IiSD_SE_SE_EEEEZNS1_13binary_searchIS3_S5_NSA_INS8_10device_ptrIyEEEESG_SI_NS1_16binary_search_opENS9_16wrapped_functionINS8_6system6detail7generic6detail18binary_search_lessEbEEEE10hipError_tPvRmT1_T2_T3_mmT4_T5_P12ihipStream_tbEUlRKyE_EESV_SZ_S10_mS11_S14_bEUlT_E_NS1_11comp_targetILNS1_3genE8ELNS1_11target_archE1030ELNS1_3gpuE2ELNS1_3repE0EEENS1_30default_config_static_selectorELNS0_4arch9wavefront6targetE0EEEvSY_
                                        ; -- End function
	.set _ZN7rocprim17ROCPRIM_400000_NS6detail17trampoline_kernelINS0_14default_configENS1_29binary_search_config_selectorIyiEEZNS1_14transform_implILb0ES3_S5_N6thrust23THRUST_200600_302600_NS6detail15normal_iteratorINS8_7pointerIyNS8_11hip_rocprim5par_tENS8_11use_defaultESE_EEEENSA_INSB_IiSD_SE_SE_EEEEZNS1_13binary_searchIS3_S5_NSA_INS8_10device_ptrIyEEEESG_SI_NS1_16binary_search_opENS9_16wrapped_functionINS8_6system6detail7generic6detail18binary_search_lessEbEEEE10hipError_tPvRmT1_T2_T3_mmT4_T5_P12ihipStream_tbEUlRKyE_EESV_SZ_S10_mS11_S14_bEUlT_E_NS1_11comp_targetILNS1_3genE8ELNS1_11target_archE1030ELNS1_3gpuE2ELNS1_3repE0EEENS1_30default_config_static_selectorELNS0_4arch9wavefront6targetE0EEEvSY_.num_vgpr, 13
	.set _ZN7rocprim17ROCPRIM_400000_NS6detail17trampoline_kernelINS0_14default_configENS1_29binary_search_config_selectorIyiEEZNS1_14transform_implILb0ES3_S5_N6thrust23THRUST_200600_302600_NS6detail15normal_iteratorINS8_7pointerIyNS8_11hip_rocprim5par_tENS8_11use_defaultESE_EEEENSA_INSB_IiSD_SE_SE_EEEEZNS1_13binary_searchIS3_S5_NSA_INS8_10device_ptrIyEEEESG_SI_NS1_16binary_search_opENS9_16wrapped_functionINS8_6system6detail7generic6detail18binary_search_lessEbEEEE10hipError_tPvRmT1_T2_T3_mmT4_T5_P12ihipStream_tbEUlRKyE_EESV_SZ_S10_mS11_S14_bEUlT_E_NS1_11comp_targetILNS1_3genE8ELNS1_11target_archE1030ELNS1_3gpuE2ELNS1_3repE0EEENS1_30default_config_static_selectorELNS0_4arch9wavefront6targetE0EEEvSY_.num_agpr, 0
	.set _ZN7rocprim17ROCPRIM_400000_NS6detail17trampoline_kernelINS0_14default_configENS1_29binary_search_config_selectorIyiEEZNS1_14transform_implILb0ES3_S5_N6thrust23THRUST_200600_302600_NS6detail15normal_iteratorINS8_7pointerIyNS8_11hip_rocprim5par_tENS8_11use_defaultESE_EEEENSA_INSB_IiSD_SE_SE_EEEEZNS1_13binary_searchIS3_S5_NSA_INS8_10device_ptrIyEEEESG_SI_NS1_16binary_search_opENS9_16wrapped_functionINS8_6system6detail7generic6detail18binary_search_lessEbEEEE10hipError_tPvRmT1_T2_T3_mmT4_T5_P12ihipStream_tbEUlRKyE_EESV_SZ_S10_mS11_S14_bEUlT_E_NS1_11comp_targetILNS1_3genE8ELNS1_11target_archE1030ELNS1_3gpuE2ELNS1_3repE0EEENS1_30default_config_static_selectorELNS0_4arch9wavefront6targetE0EEEvSY_.numbered_sgpr, 20
	.set _ZN7rocprim17ROCPRIM_400000_NS6detail17trampoline_kernelINS0_14default_configENS1_29binary_search_config_selectorIyiEEZNS1_14transform_implILb0ES3_S5_N6thrust23THRUST_200600_302600_NS6detail15normal_iteratorINS8_7pointerIyNS8_11hip_rocprim5par_tENS8_11use_defaultESE_EEEENSA_INSB_IiSD_SE_SE_EEEEZNS1_13binary_searchIS3_S5_NSA_INS8_10device_ptrIyEEEESG_SI_NS1_16binary_search_opENS9_16wrapped_functionINS8_6system6detail7generic6detail18binary_search_lessEbEEEE10hipError_tPvRmT1_T2_T3_mmT4_T5_P12ihipStream_tbEUlRKyE_EESV_SZ_S10_mS11_S14_bEUlT_E_NS1_11comp_targetILNS1_3genE8ELNS1_11target_archE1030ELNS1_3gpuE2ELNS1_3repE0EEENS1_30default_config_static_selectorELNS0_4arch9wavefront6targetE0EEEvSY_.num_named_barrier, 0
	.set _ZN7rocprim17ROCPRIM_400000_NS6detail17trampoline_kernelINS0_14default_configENS1_29binary_search_config_selectorIyiEEZNS1_14transform_implILb0ES3_S5_N6thrust23THRUST_200600_302600_NS6detail15normal_iteratorINS8_7pointerIyNS8_11hip_rocprim5par_tENS8_11use_defaultESE_EEEENSA_INSB_IiSD_SE_SE_EEEEZNS1_13binary_searchIS3_S5_NSA_INS8_10device_ptrIyEEEESG_SI_NS1_16binary_search_opENS9_16wrapped_functionINS8_6system6detail7generic6detail18binary_search_lessEbEEEE10hipError_tPvRmT1_T2_T3_mmT4_T5_P12ihipStream_tbEUlRKyE_EESV_SZ_S10_mS11_S14_bEUlT_E_NS1_11comp_targetILNS1_3genE8ELNS1_11target_archE1030ELNS1_3gpuE2ELNS1_3repE0EEENS1_30default_config_static_selectorELNS0_4arch9wavefront6targetE0EEEvSY_.private_seg_size, 0
	.set _ZN7rocprim17ROCPRIM_400000_NS6detail17trampoline_kernelINS0_14default_configENS1_29binary_search_config_selectorIyiEEZNS1_14transform_implILb0ES3_S5_N6thrust23THRUST_200600_302600_NS6detail15normal_iteratorINS8_7pointerIyNS8_11hip_rocprim5par_tENS8_11use_defaultESE_EEEENSA_INSB_IiSD_SE_SE_EEEEZNS1_13binary_searchIS3_S5_NSA_INS8_10device_ptrIyEEEESG_SI_NS1_16binary_search_opENS9_16wrapped_functionINS8_6system6detail7generic6detail18binary_search_lessEbEEEE10hipError_tPvRmT1_T2_T3_mmT4_T5_P12ihipStream_tbEUlRKyE_EESV_SZ_S10_mS11_S14_bEUlT_E_NS1_11comp_targetILNS1_3genE8ELNS1_11target_archE1030ELNS1_3gpuE2ELNS1_3repE0EEENS1_30default_config_static_selectorELNS0_4arch9wavefront6targetE0EEEvSY_.uses_vcc, 1
	.set _ZN7rocprim17ROCPRIM_400000_NS6detail17trampoline_kernelINS0_14default_configENS1_29binary_search_config_selectorIyiEEZNS1_14transform_implILb0ES3_S5_N6thrust23THRUST_200600_302600_NS6detail15normal_iteratorINS8_7pointerIyNS8_11hip_rocprim5par_tENS8_11use_defaultESE_EEEENSA_INSB_IiSD_SE_SE_EEEEZNS1_13binary_searchIS3_S5_NSA_INS8_10device_ptrIyEEEESG_SI_NS1_16binary_search_opENS9_16wrapped_functionINS8_6system6detail7generic6detail18binary_search_lessEbEEEE10hipError_tPvRmT1_T2_T3_mmT4_T5_P12ihipStream_tbEUlRKyE_EESV_SZ_S10_mS11_S14_bEUlT_E_NS1_11comp_targetILNS1_3genE8ELNS1_11target_archE1030ELNS1_3gpuE2ELNS1_3repE0EEENS1_30default_config_static_selectorELNS0_4arch9wavefront6targetE0EEEvSY_.uses_flat_scratch, 0
	.set _ZN7rocprim17ROCPRIM_400000_NS6detail17trampoline_kernelINS0_14default_configENS1_29binary_search_config_selectorIyiEEZNS1_14transform_implILb0ES3_S5_N6thrust23THRUST_200600_302600_NS6detail15normal_iteratorINS8_7pointerIyNS8_11hip_rocprim5par_tENS8_11use_defaultESE_EEEENSA_INSB_IiSD_SE_SE_EEEEZNS1_13binary_searchIS3_S5_NSA_INS8_10device_ptrIyEEEESG_SI_NS1_16binary_search_opENS9_16wrapped_functionINS8_6system6detail7generic6detail18binary_search_lessEbEEEE10hipError_tPvRmT1_T2_T3_mmT4_T5_P12ihipStream_tbEUlRKyE_EESV_SZ_S10_mS11_S14_bEUlT_E_NS1_11comp_targetILNS1_3genE8ELNS1_11target_archE1030ELNS1_3gpuE2ELNS1_3repE0EEENS1_30default_config_static_selectorELNS0_4arch9wavefront6targetE0EEEvSY_.has_dyn_sized_stack, 0
	.set _ZN7rocprim17ROCPRIM_400000_NS6detail17trampoline_kernelINS0_14default_configENS1_29binary_search_config_selectorIyiEEZNS1_14transform_implILb0ES3_S5_N6thrust23THRUST_200600_302600_NS6detail15normal_iteratorINS8_7pointerIyNS8_11hip_rocprim5par_tENS8_11use_defaultESE_EEEENSA_INSB_IiSD_SE_SE_EEEEZNS1_13binary_searchIS3_S5_NSA_INS8_10device_ptrIyEEEESG_SI_NS1_16binary_search_opENS9_16wrapped_functionINS8_6system6detail7generic6detail18binary_search_lessEbEEEE10hipError_tPvRmT1_T2_T3_mmT4_T5_P12ihipStream_tbEUlRKyE_EESV_SZ_S10_mS11_S14_bEUlT_E_NS1_11comp_targetILNS1_3genE8ELNS1_11target_archE1030ELNS1_3gpuE2ELNS1_3repE0EEENS1_30default_config_static_selectorELNS0_4arch9wavefront6targetE0EEEvSY_.has_recursion, 0
	.set _ZN7rocprim17ROCPRIM_400000_NS6detail17trampoline_kernelINS0_14default_configENS1_29binary_search_config_selectorIyiEEZNS1_14transform_implILb0ES3_S5_N6thrust23THRUST_200600_302600_NS6detail15normal_iteratorINS8_7pointerIyNS8_11hip_rocprim5par_tENS8_11use_defaultESE_EEEENSA_INSB_IiSD_SE_SE_EEEEZNS1_13binary_searchIS3_S5_NSA_INS8_10device_ptrIyEEEESG_SI_NS1_16binary_search_opENS9_16wrapped_functionINS8_6system6detail7generic6detail18binary_search_lessEbEEEE10hipError_tPvRmT1_T2_T3_mmT4_T5_P12ihipStream_tbEUlRKyE_EESV_SZ_S10_mS11_S14_bEUlT_E_NS1_11comp_targetILNS1_3genE8ELNS1_11target_archE1030ELNS1_3gpuE2ELNS1_3repE0EEENS1_30default_config_static_selectorELNS0_4arch9wavefront6targetE0EEEvSY_.has_indirect_call, 0
	.section	.AMDGPU.csdata,"",@progbits
; Kernel info:
; codeLenInByte = 932
; TotalNumSgprs: 22
; NumVgprs: 13
; ScratchSize: 0
; MemoryBound: 0
; FloatMode: 240
; IeeeMode: 1
; LDSByteSize: 0 bytes/workgroup (compile time only)
; SGPRBlocks: 0
; VGPRBlocks: 1
; NumSGPRsForWavesPerEU: 22
; NumVGPRsForWavesPerEU: 13
; Occupancy: 16
; WaveLimiterHint : 0
; COMPUTE_PGM_RSRC2:SCRATCH_EN: 0
; COMPUTE_PGM_RSRC2:USER_SGPR: 6
; COMPUTE_PGM_RSRC2:TRAP_HANDLER: 0
; COMPUTE_PGM_RSRC2:TGID_X_EN: 1
; COMPUTE_PGM_RSRC2:TGID_Y_EN: 0
; COMPUTE_PGM_RSRC2:TGID_Z_EN: 0
; COMPUTE_PGM_RSRC2:TIDIG_COMP_CNT: 0
	.section	.text._ZN7rocprim17ROCPRIM_400000_NS6detail17trampoline_kernelINS0_14default_configENS1_29binary_search_config_selectorIjiEEZNS1_14transform_implILb0ES3_S5_N6thrust23THRUST_200600_302600_NS6detail15normal_iteratorINS8_7pointerIjNS8_11hip_rocprim5par_tENS8_11use_defaultESE_EEEENSA_INSB_IiSD_SE_SE_EEEEZNS1_13binary_searchIS3_S5_NSA_INS8_10device_ptrIjEEEESG_SI_NS1_16binary_search_opENS9_16wrapped_functionINS8_6system6detail7generic6detail18binary_search_lessEbEEEE10hipError_tPvRmT1_T2_T3_mmT4_T5_P12ihipStream_tbEUlRKjE_EESV_SZ_S10_mS11_S14_bEUlT_E_NS1_11comp_targetILNS1_3genE0ELNS1_11target_archE4294967295ELNS1_3gpuE0ELNS1_3repE0EEENS1_30default_config_static_selectorELNS0_4arch9wavefront6targetE0EEEvSY_,"axG",@progbits,_ZN7rocprim17ROCPRIM_400000_NS6detail17trampoline_kernelINS0_14default_configENS1_29binary_search_config_selectorIjiEEZNS1_14transform_implILb0ES3_S5_N6thrust23THRUST_200600_302600_NS6detail15normal_iteratorINS8_7pointerIjNS8_11hip_rocprim5par_tENS8_11use_defaultESE_EEEENSA_INSB_IiSD_SE_SE_EEEEZNS1_13binary_searchIS3_S5_NSA_INS8_10device_ptrIjEEEESG_SI_NS1_16binary_search_opENS9_16wrapped_functionINS8_6system6detail7generic6detail18binary_search_lessEbEEEE10hipError_tPvRmT1_T2_T3_mmT4_T5_P12ihipStream_tbEUlRKjE_EESV_SZ_S10_mS11_S14_bEUlT_E_NS1_11comp_targetILNS1_3genE0ELNS1_11target_archE4294967295ELNS1_3gpuE0ELNS1_3repE0EEENS1_30default_config_static_selectorELNS0_4arch9wavefront6targetE0EEEvSY_,comdat
	.protected	_ZN7rocprim17ROCPRIM_400000_NS6detail17trampoline_kernelINS0_14default_configENS1_29binary_search_config_selectorIjiEEZNS1_14transform_implILb0ES3_S5_N6thrust23THRUST_200600_302600_NS6detail15normal_iteratorINS8_7pointerIjNS8_11hip_rocprim5par_tENS8_11use_defaultESE_EEEENSA_INSB_IiSD_SE_SE_EEEEZNS1_13binary_searchIS3_S5_NSA_INS8_10device_ptrIjEEEESG_SI_NS1_16binary_search_opENS9_16wrapped_functionINS8_6system6detail7generic6detail18binary_search_lessEbEEEE10hipError_tPvRmT1_T2_T3_mmT4_T5_P12ihipStream_tbEUlRKjE_EESV_SZ_S10_mS11_S14_bEUlT_E_NS1_11comp_targetILNS1_3genE0ELNS1_11target_archE4294967295ELNS1_3gpuE0ELNS1_3repE0EEENS1_30default_config_static_selectorELNS0_4arch9wavefront6targetE0EEEvSY_ ; -- Begin function _ZN7rocprim17ROCPRIM_400000_NS6detail17trampoline_kernelINS0_14default_configENS1_29binary_search_config_selectorIjiEEZNS1_14transform_implILb0ES3_S5_N6thrust23THRUST_200600_302600_NS6detail15normal_iteratorINS8_7pointerIjNS8_11hip_rocprim5par_tENS8_11use_defaultESE_EEEENSA_INSB_IiSD_SE_SE_EEEEZNS1_13binary_searchIS3_S5_NSA_INS8_10device_ptrIjEEEESG_SI_NS1_16binary_search_opENS9_16wrapped_functionINS8_6system6detail7generic6detail18binary_search_lessEbEEEE10hipError_tPvRmT1_T2_T3_mmT4_T5_P12ihipStream_tbEUlRKjE_EESV_SZ_S10_mS11_S14_bEUlT_E_NS1_11comp_targetILNS1_3genE0ELNS1_11target_archE4294967295ELNS1_3gpuE0ELNS1_3repE0EEENS1_30default_config_static_selectorELNS0_4arch9wavefront6targetE0EEEvSY_
	.globl	_ZN7rocprim17ROCPRIM_400000_NS6detail17trampoline_kernelINS0_14default_configENS1_29binary_search_config_selectorIjiEEZNS1_14transform_implILb0ES3_S5_N6thrust23THRUST_200600_302600_NS6detail15normal_iteratorINS8_7pointerIjNS8_11hip_rocprim5par_tENS8_11use_defaultESE_EEEENSA_INSB_IiSD_SE_SE_EEEEZNS1_13binary_searchIS3_S5_NSA_INS8_10device_ptrIjEEEESG_SI_NS1_16binary_search_opENS9_16wrapped_functionINS8_6system6detail7generic6detail18binary_search_lessEbEEEE10hipError_tPvRmT1_T2_T3_mmT4_T5_P12ihipStream_tbEUlRKjE_EESV_SZ_S10_mS11_S14_bEUlT_E_NS1_11comp_targetILNS1_3genE0ELNS1_11target_archE4294967295ELNS1_3gpuE0ELNS1_3repE0EEENS1_30default_config_static_selectorELNS0_4arch9wavefront6targetE0EEEvSY_
	.p2align	8
	.type	_ZN7rocprim17ROCPRIM_400000_NS6detail17trampoline_kernelINS0_14default_configENS1_29binary_search_config_selectorIjiEEZNS1_14transform_implILb0ES3_S5_N6thrust23THRUST_200600_302600_NS6detail15normal_iteratorINS8_7pointerIjNS8_11hip_rocprim5par_tENS8_11use_defaultESE_EEEENSA_INSB_IiSD_SE_SE_EEEEZNS1_13binary_searchIS3_S5_NSA_INS8_10device_ptrIjEEEESG_SI_NS1_16binary_search_opENS9_16wrapped_functionINS8_6system6detail7generic6detail18binary_search_lessEbEEEE10hipError_tPvRmT1_T2_T3_mmT4_T5_P12ihipStream_tbEUlRKjE_EESV_SZ_S10_mS11_S14_bEUlT_E_NS1_11comp_targetILNS1_3genE0ELNS1_11target_archE4294967295ELNS1_3gpuE0ELNS1_3repE0EEENS1_30default_config_static_selectorELNS0_4arch9wavefront6targetE0EEEvSY_,@function
_ZN7rocprim17ROCPRIM_400000_NS6detail17trampoline_kernelINS0_14default_configENS1_29binary_search_config_selectorIjiEEZNS1_14transform_implILb0ES3_S5_N6thrust23THRUST_200600_302600_NS6detail15normal_iteratorINS8_7pointerIjNS8_11hip_rocprim5par_tENS8_11use_defaultESE_EEEENSA_INSB_IiSD_SE_SE_EEEEZNS1_13binary_searchIS3_S5_NSA_INS8_10device_ptrIjEEEESG_SI_NS1_16binary_search_opENS9_16wrapped_functionINS8_6system6detail7generic6detail18binary_search_lessEbEEEE10hipError_tPvRmT1_T2_T3_mmT4_T5_P12ihipStream_tbEUlRKjE_EESV_SZ_S10_mS11_S14_bEUlT_E_NS1_11comp_targetILNS1_3genE0ELNS1_11target_archE4294967295ELNS1_3gpuE0ELNS1_3repE0EEENS1_30default_config_static_selectorELNS0_4arch9wavefront6targetE0EEEvSY_: ; @_ZN7rocprim17ROCPRIM_400000_NS6detail17trampoline_kernelINS0_14default_configENS1_29binary_search_config_selectorIjiEEZNS1_14transform_implILb0ES3_S5_N6thrust23THRUST_200600_302600_NS6detail15normal_iteratorINS8_7pointerIjNS8_11hip_rocprim5par_tENS8_11use_defaultESE_EEEENSA_INSB_IiSD_SE_SE_EEEEZNS1_13binary_searchIS3_S5_NSA_INS8_10device_ptrIjEEEESG_SI_NS1_16binary_search_opENS9_16wrapped_functionINS8_6system6detail7generic6detail18binary_search_lessEbEEEE10hipError_tPvRmT1_T2_T3_mmT4_T5_P12ihipStream_tbEUlRKjE_EESV_SZ_S10_mS11_S14_bEUlT_E_NS1_11comp_targetILNS1_3genE0ELNS1_11target_archE4294967295ELNS1_3gpuE0ELNS1_3repE0EEENS1_30default_config_static_selectorELNS0_4arch9wavefront6targetE0EEEvSY_
; %bb.0:
	.section	.rodata,"a",@progbits
	.p2align	6, 0x0
	.amdhsa_kernel _ZN7rocprim17ROCPRIM_400000_NS6detail17trampoline_kernelINS0_14default_configENS1_29binary_search_config_selectorIjiEEZNS1_14transform_implILb0ES3_S5_N6thrust23THRUST_200600_302600_NS6detail15normal_iteratorINS8_7pointerIjNS8_11hip_rocprim5par_tENS8_11use_defaultESE_EEEENSA_INSB_IiSD_SE_SE_EEEEZNS1_13binary_searchIS3_S5_NSA_INS8_10device_ptrIjEEEESG_SI_NS1_16binary_search_opENS9_16wrapped_functionINS8_6system6detail7generic6detail18binary_search_lessEbEEEE10hipError_tPvRmT1_T2_T3_mmT4_T5_P12ihipStream_tbEUlRKjE_EESV_SZ_S10_mS11_S14_bEUlT_E_NS1_11comp_targetILNS1_3genE0ELNS1_11target_archE4294967295ELNS1_3gpuE0ELNS1_3repE0EEENS1_30default_config_static_selectorELNS0_4arch9wavefront6targetE0EEEvSY_
		.amdhsa_group_segment_fixed_size 0
		.amdhsa_private_segment_fixed_size 0
		.amdhsa_kernarg_size 56
		.amdhsa_user_sgpr_count 6
		.amdhsa_user_sgpr_private_segment_buffer 1
		.amdhsa_user_sgpr_dispatch_ptr 0
		.amdhsa_user_sgpr_queue_ptr 0
		.amdhsa_user_sgpr_kernarg_segment_ptr 1
		.amdhsa_user_sgpr_dispatch_id 0
		.amdhsa_user_sgpr_flat_scratch_init 0
		.amdhsa_user_sgpr_private_segment_size 0
		.amdhsa_wavefront_size32 1
		.amdhsa_uses_dynamic_stack 0
		.amdhsa_system_sgpr_private_segment_wavefront_offset 0
		.amdhsa_system_sgpr_workgroup_id_x 1
		.amdhsa_system_sgpr_workgroup_id_y 0
		.amdhsa_system_sgpr_workgroup_id_z 0
		.amdhsa_system_sgpr_workgroup_info 0
		.amdhsa_system_vgpr_workitem_id 0
		.amdhsa_next_free_vgpr 1
		.amdhsa_next_free_sgpr 1
		.amdhsa_reserve_vcc 0
		.amdhsa_reserve_flat_scratch 0
		.amdhsa_float_round_mode_32 0
		.amdhsa_float_round_mode_16_64 0
		.amdhsa_float_denorm_mode_32 3
		.amdhsa_float_denorm_mode_16_64 3
		.amdhsa_dx10_clamp 1
		.amdhsa_ieee_mode 1
		.amdhsa_fp16_overflow 0
		.amdhsa_workgroup_processor_mode 1
		.amdhsa_memory_ordered 1
		.amdhsa_forward_progress 1
		.amdhsa_shared_vgpr_count 0
		.amdhsa_exception_fp_ieee_invalid_op 0
		.amdhsa_exception_fp_denorm_src 0
		.amdhsa_exception_fp_ieee_div_zero 0
		.amdhsa_exception_fp_ieee_overflow 0
		.amdhsa_exception_fp_ieee_underflow 0
		.amdhsa_exception_fp_ieee_inexact 0
		.amdhsa_exception_int_div_zero 0
	.end_amdhsa_kernel
	.section	.text._ZN7rocprim17ROCPRIM_400000_NS6detail17trampoline_kernelINS0_14default_configENS1_29binary_search_config_selectorIjiEEZNS1_14transform_implILb0ES3_S5_N6thrust23THRUST_200600_302600_NS6detail15normal_iteratorINS8_7pointerIjNS8_11hip_rocprim5par_tENS8_11use_defaultESE_EEEENSA_INSB_IiSD_SE_SE_EEEEZNS1_13binary_searchIS3_S5_NSA_INS8_10device_ptrIjEEEESG_SI_NS1_16binary_search_opENS9_16wrapped_functionINS8_6system6detail7generic6detail18binary_search_lessEbEEEE10hipError_tPvRmT1_T2_T3_mmT4_T5_P12ihipStream_tbEUlRKjE_EESV_SZ_S10_mS11_S14_bEUlT_E_NS1_11comp_targetILNS1_3genE0ELNS1_11target_archE4294967295ELNS1_3gpuE0ELNS1_3repE0EEENS1_30default_config_static_selectorELNS0_4arch9wavefront6targetE0EEEvSY_,"axG",@progbits,_ZN7rocprim17ROCPRIM_400000_NS6detail17trampoline_kernelINS0_14default_configENS1_29binary_search_config_selectorIjiEEZNS1_14transform_implILb0ES3_S5_N6thrust23THRUST_200600_302600_NS6detail15normal_iteratorINS8_7pointerIjNS8_11hip_rocprim5par_tENS8_11use_defaultESE_EEEENSA_INSB_IiSD_SE_SE_EEEEZNS1_13binary_searchIS3_S5_NSA_INS8_10device_ptrIjEEEESG_SI_NS1_16binary_search_opENS9_16wrapped_functionINS8_6system6detail7generic6detail18binary_search_lessEbEEEE10hipError_tPvRmT1_T2_T3_mmT4_T5_P12ihipStream_tbEUlRKjE_EESV_SZ_S10_mS11_S14_bEUlT_E_NS1_11comp_targetILNS1_3genE0ELNS1_11target_archE4294967295ELNS1_3gpuE0ELNS1_3repE0EEENS1_30default_config_static_selectorELNS0_4arch9wavefront6targetE0EEEvSY_,comdat
.Lfunc_end671:
	.size	_ZN7rocprim17ROCPRIM_400000_NS6detail17trampoline_kernelINS0_14default_configENS1_29binary_search_config_selectorIjiEEZNS1_14transform_implILb0ES3_S5_N6thrust23THRUST_200600_302600_NS6detail15normal_iteratorINS8_7pointerIjNS8_11hip_rocprim5par_tENS8_11use_defaultESE_EEEENSA_INSB_IiSD_SE_SE_EEEEZNS1_13binary_searchIS3_S5_NSA_INS8_10device_ptrIjEEEESG_SI_NS1_16binary_search_opENS9_16wrapped_functionINS8_6system6detail7generic6detail18binary_search_lessEbEEEE10hipError_tPvRmT1_T2_T3_mmT4_T5_P12ihipStream_tbEUlRKjE_EESV_SZ_S10_mS11_S14_bEUlT_E_NS1_11comp_targetILNS1_3genE0ELNS1_11target_archE4294967295ELNS1_3gpuE0ELNS1_3repE0EEENS1_30default_config_static_selectorELNS0_4arch9wavefront6targetE0EEEvSY_, .Lfunc_end671-_ZN7rocprim17ROCPRIM_400000_NS6detail17trampoline_kernelINS0_14default_configENS1_29binary_search_config_selectorIjiEEZNS1_14transform_implILb0ES3_S5_N6thrust23THRUST_200600_302600_NS6detail15normal_iteratorINS8_7pointerIjNS8_11hip_rocprim5par_tENS8_11use_defaultESE_EEEENSA_INSB_IiSD_SE_SE_EEEEZNS1_13binary_searchIS3_S5_NSA_INS8_10device_ptrIjEEEESG_SI_NS1_16binary_search_opENS9_16wrapped_functionINS8_6system6detail7generic6detail18binary_search_lessEbEEEE10hipError_tPvRmT1_T2_T3_mmT4_T5_P12ihipStream_tbEUlRKjE_EESV_SZ_S10_mS11_S14_bEUlT_E_NS1_11comp_targetILNS1_3genE0ELNS1_11target_archE4294967295ELNS1_3gpuE0ELNS1_3repE0EEENS1_30default_config_static_selectorELNS0_4arch9wavefront6targetE0EEEvSY_
                                        ; -- End function
	.set _ZN7rocprim17ROCPRIM_400000_NS6detail17trampoline_kernelINS0_14default_configENS1_29binary_search_config_selectorIjiEEZNS1_14transform_implILb0ES3_S5_N6thrust23THRUST_200600_302600_NS6detail15normal_iteratorINS8_7pointerIjNS8_11hip_rocprim5par_tENS8_11use_defaultESE_EEEENSA_INSB_IiSD_SE_SE_EEEEZNS1_13binary_searchIS3_S5_NSA_INS8_10device_ptrIjEEEESG_SI_NS1_16binary_search_opENS9_16wrapped_functionINS8_6system6detail7generic6detail18binary_search_lessEbEEEE10hipError_tPvRmT1_T2_T3_mmT4_T5_P12ihipStream_tbEUlRKjE_EESV_SZ_S10_mS11_S14_bEUlT_E_NS1_11comp_targetILNS1_3genE0ELNS1_11target_archE4294967295ELNS1_3gpuE0ELNS1_3repE0EEENS1_30default_config_static_selectorELNS0_4arch9wavefront6targetE0EEEvSY_.num_vgpr, 0
	.set _ZN7rocprim17ROCPRIM_400000_NS6detail17trampoline_kernelINS0_14default_configENS1_29binary_search_config_selectorIjiEEZNS1_14transform_implILb0ES3_S5_N6thrust23THRUST_200600_302600_NS6detail15normal_iteratorINS8_7pointerIjNS8_11hip_rocprim5par_tENS8_11use_defaultESE_EEEENSA_INSB_IiSD_SE_SE_EEEEZNS1_13binary_searchIS3_S5_NSA_INS8_10device_ptrIjEEEESG_SI_NS1_16binary_search_opENS9_16wrapped_functionINS8_6system6detail7generic6detail18binary_search_lessEbEEEE10hipError_tPvRmT1_T2_T3_mmT4_T5_P12ihipStream_tbEUlRKjE_EESV_SZ_S10_mS11_S14_bEUlT_E_NS1_11comp_targetILNS1_3genE0ELNS1_11target_archE4294967295ELNS1_3gpuE0ELNS1_3repE0EEENS1_30default_config_static_selectorELNS0_4arch9wavefront6targetE0EEEvSY_.num_agpr, 0
	.set _ZN7rocprim17ROCPRIM_400000_NS6detail17trampoline_kernelINS0_14default_configENS1_29binary_search_config_selectorIjiEEZNS1_14transform_implILb0ES3_S5_N6thrust23THRUST_200600_302600_NS6detail15normal_iteratorINS8_7pointerIjNS8_11hip_rocprim5par_tENS8_11use_defaultESE_EEEENSA_INSB_IiSD_SE_SE_EEEEZNS1_13binary_searchIS3_S5_NSA_INS8_10device_ptrIjEEEESG_SI_NS1_16binary_search_opENS9_16wrapped_functionINS8_6system6detail7generic6detail18binary_search_lessEbEEEE10hipError_tPvRmT1_T2_T3_mmT4_T5_P12ihipStream_tbEUlRKjE_EESV_SZ_S10_mS11_S14_bEUlT_E_NS1_11comp_targetILNS1_3genE0ELNS1_11target_archE4294967295ELNS1_3gpuE0ELNS1_3repE0EEENS1_30default_config_static_selectorELNS0_4arch9wavefront6targetE0EEEvSY_.numbered_sgpr, 0
	.set _ZN7rocprim17ROCPRIM_400000_NS6detail17trampoline_kernelINS0_14default_configENS1_29binary_search_config_selectorIjiEEZNS1_14transform_implILb0ES3_S5_N6thrust23THRUST_200600_302600_NS6detail15normal_iteratorINS8_7pointerIjNS8_11hip_rocprim5par_tENS8_11use_defaultESE_EEEENSA_INSB_IiSD_SE_SE_EEEEZNS1_13binary_searchIS3_S5_NSA_INS8_10device_ptrIjEEEESG_SI_NS1_16binary_search_opENS9_16wrapped_functionINS8_6system6detail7generic6detail18binary_search_lessEbEEEE10hipError_tPvRmT1_T2_T3_mmT4_T5_P12ihipStream_tbEUlRKjE_EESV_SZ_S10_mS11_S14_bEUlT_E_NS1_11comp_targetILNS1_3genE0ELNS1_11target_archE4294967295ELNS1_3gpuE0ELNS1_3repE0EEENS1_30default_config_static_selectorELNS0_4arch9wavefront6targetE0EEEvSY_.num_named_barrier, 0
	.set _ZN7rocprim17ROCPRIM_400000_NS6detail17trampoline_kernelINS0_14default_configENS1_29binary_search_config_selectorIjiEEZNS1_14transform_implILb0ES3_S5_N6thrust23THRUST_200600_302600_NS6detail15normal_iteratorINS8_7pointerIjNS8_11hip_rocprim5par_tENS8_11use_defaultESE_EEEENSA_INSB_IiSD_SE_SE_EEEEZNS1_13binary_searchIS3_S5_NSA_INS8_10device_ptrIjEEEESG_SI_NS1_16binary_search_opENS9_16wrapped_functionINS8_6system6detail7generic6detail18binary_search_lessEbEEEE10hipError_tPvRmT1_T2_T3_mmT4_T5_P12ihipStream_tbEUlRKjE_EESV_SZ_S10_mS11_S14_bEUlT_E_NS1_11comp_targetILNS1_3genE0ELNS1_11target_archE4294967295ELNS1_3gpuE0ELNS1_3repE0EEENS1_30default_config_static_selectorELNS0_4arch9wavefront6targetE0EEEvSY_.private_seg_size, 0
	.set _ZN7rocprim17ROCPRIM_400000_NS6detail17trampoline_kernelINS0_14default_configENS1_29binary_search_config_selectorIjiEEZNS1_14transform_implILb0ES3_S5_N6thrust23THRUST_200600_302600_NS6detail15normal_iteratorINS8_7pointerIjNS8_11hip_rocprim5par_tENS8_11use_defaultESE_EEEENSA_INSB_IiSD_SE_SE_EEEEZNS1_13binary_searchIS3_S5_NSA_INS8_10device_ptrIjEEEESG_SI_NS1_16binary_search_opENS9_16wrapped_functionINS8_6system6detail7generic6detail18binary_search_lessEbEEEE10hipError_tPvRmT1_T2_T3_mmT4_T5_P12ihipStream_tbEUlRKjE_EESV_SZ_S10_mS11_S14_bEUlT_E_NS1_11comp_targetILNS1_3genE0ELNS1_11target_archE4294967295ELNS1_3gpuE0ELNS1_3repE0EEENS1_30default_config_static_selectorELNS0_4arch9wavefront6targetE0EEEvSY_.uses_vcc, 0
	.set _ZN7rocprim17ROCPRIM_400000_NS6detail17trampoline_kernelINS0_14default_configENS1_29binary_search_config_selectorIjiEEZNS1_14transform_implILb0ES3_S5_N6thrust23THRUST_200600_302600_NS6detail15normal_iteratorINS8_7pointerIjNS8_11hip_rocprim5par_tENS8_11use_defaultESE_EEEENSA_INSB_IiSD_SE_SE_EEEEZNS1_13binary_searchIS3_S5_NSA_INS8_10device_ptrIjEEEESG_SI_NS1_16binary_search_opENS9_16wrapped_functionINS8_6system6detail7generic6detail18binary_search_lessEbEEEE10hipError_tPvRmT1_T2_T3_mmT4_T5_P12ihipStream_tbEUlRKjE_EESV_SZ_S10_mS11_S14_bEUlT_E_NS1_11comp_targetILNS1_3genE0ELNS1_11target_archE4294967295ELNS1_3gpuE0ELNS1_3repE0EEENS1_30default_config_static_selectorELNS0_4arch9wavefront6targetE0EEEvSY_.uses_flat_scratch, 0
	.set _ZN7rocprim17ROCPRIM_400000_NS6detail17trampoline_kernelINS0_14default_configENS1_29binary_search_config_selectorIjiEEZNS1_14transform_implILb0ES3_S5_N6thrust23THRUST_200600_302600_NS6detail15normal_iteratorINS8_7pointerIjNS8_11hip_rocprim5par_tENS8_11use_defaultESE_EEEENSA_INSB_IiSD_SE_SE_EEEEZNS1_13binary_searchIS3_S5_NSA_INS8_10device_ptrIjEEEESG_SI_NS1_16binary_search_opENS9_16wrapped_functionINS8_6system6detail7generic6detail18binary_search_lessEbEEEE10hipError_tPvRmT1_T2_T3_mmT4_T5_P12ihipStream_tbEUlRKjE_EESV_SZ_S10_mS11_S14_bEUlT_E_NS1_11comp_targetILNS1_3genE0ELNS1_11target_archE4294967295ELNS1_3gpuE0ELNS1_3repE0EEENS1_30default_config_static_selectorELNS0_4arch9wavefront6targetE0EEEvSY_.has_dyn_sized_stack, 0
	.set _ZN7rocprim17ROCPRIM_400000_NS6detail17trampoline_kernelINS0_14default_configENS1_29binary_search_config_selectorIjiEEZNS1_14transform_implILb0ES3_S5_N6thrust23THRUST_200600_302600_NS6detail15normal_iteratorINS8_7pointerIjNS8_11hip_rocprim5par_tENS8_11use_defaultESE_EEEENSA_INSB_IiSD_SE_SE_EEEEZNS1_13binary_searchIS3_S5_NSA_INS8_10device_ptrIjEEEESG_SI_NS1_16binary_search_opENS9_16wrapped_functionINS8_6system6detail7generic6detail18binary_search_lessEbEEEE10hipError_tPvRmT1_T2_T3_mmT4_T5_P12ihipStream_tbEUlRKjE_EESV_SZ_S10_mS11_S14_bEUlT_E_NS1_11comp_targetILNS1_3genE0ELNS1_11target_archE4294967295ELNS1_3gpuE0ELNS1_3repE0EEENS1_30default_config_static_selectorELNS0_4arch9wavefront6targetE0EEEvSY_.has_recursion, 0
	.set _ZN7rocprim17ROCPRIM_400000_NS6detail17trampoline_kernelINS0_14default_configENS1_29binary_search_config_selectorIjiEEZNS1_14transform_implILb0ES3_S5_N6thrust23THRUST_200600_302600_NS6detail15normal_iteratorINS8_7pointerIjNS8_11hip_rocprim5par_tENS8_11use_defaultESE_EEEENSA_INSB_IiSD_SE_SE_EEEEZNS1_13binary_searchIS3_S5_NSA_INS8_10device_ptrIjEEEESG_SI_NS1_16binary_search_opENS9_16wrapped_functionINS8_6system6detail7generic6detail18binary_search_lessEbEEEE10hipError_tPvRmT1_T2_T3_mmT4_T5_P12ihipStream_tbEUlRKjE_EESV_SZ_S10_mS11_S14_bEUlT_E_NS1_11comp_targetILNS1_3genE0ELNS1_11target_archE4294967295ELNS1_3gpuE0ELNS1_3repE0EEENS1_30default_config_static_selectorELNS0_4arch9wavefront6targetE0EEEvSY_.has_indirect_call, 0
	.section	.AMDGPU.csdata,"",@progbits
; Kernel info:
; codeLenInByte = 0
; TotalNumSgprs: 0
; NumVgprs: 0
; ScratchSize: 0
; MemoryBound: 0
; FloatMode: 240
; IeeeMode: 1
; LDSByteSize: 0 bytes/workgroup (compile time only)
; SGPRBlocks: 0
; VGPRBlocks: 0
; NumSGPRsForWavesPerEU: 1
; NumVGPRsForWavesPerEU: 1
; Occupancy: 16
; WaveLimiterHint : 0
; COMPUTE_PGM_RSRC2:SCRATCH_EN: 0
; COMPUTE_PGM_RSRC2:USER_SGPR: 6
; COMPUTE_PGM_RSRC2:TRAP_HANDLER: 0
; COMPUTE_PGM_RSRC2:TGID_X_EN: 1
; COMPUTE_PGM_RSRC2:TGID_Y_EN: 0
; COMPUTE_PGM_RSRC2:TGID_Z_EN: 0
; COMPUTE_PGM_RSRC2:TIDIG_COMP_CNT: 0
	.section	.text._ZN7rocprim17ROCPRIM_400000_NS6detail17trampoline_kernelINS0_14default_configENS1_29binary_search_config_selectorIjiEEZNS1_14transform_implILb0ES3_S5_N6thrust23THRUST_200600_302600_NS6detail15normal_iteratorINS8_7pointerIjNS8_11hip_rocprim5par_tENS8_11use_defaultESE_EEEENSA_INSB_IiSD_SE_SE_EEEEZNS1_13binary_searchIS3_S5_NSA_INS8_10device_ptrIjEEEESG_SI_NS1_16binary_search_opENS9_16wrapped_functionINS8_6system6detail7generic6detail18binary_search_lessEbEEEE10hipError_tPvRmT1_T2_T3_mmT4_T5_P12ihipStream_tbEUlRKjE_EESV_SZ_S10_mS11_S14_bEUlT_E_NS1_11comp_targetILNS1_3genE5ELNS1_11target_archE942ELNS1_3gpuE9ELNS1_3repE0EEENS1_30default_config_static_selectorELNS0_4arch9wavefront6targetE0EEEvSY_,"axG",@progbits,_ZN7rocprim17ROCPRIM_400000_NS6detail17trampoline_kernelINS0_14default_configENS1_29binary_search_config_selectorIjiEEZNS1_14transform_implILb0ES3_S5_N6thrust23THRUST_200600_302600_NS6detail15normal_iteratorINS8_7pointerIjNS8_11hip_rocprim5par_tENS8_11use_defaultESE_EEEENSA_INSB_IiSD_SE_SE_EEEEZNS1_13binary_searchIS3_S5_NSA_INS8_10device_ptrIjEEEESG_SI_NS1_16binary_search_opENS9_16wrapped_functionINS8_6system6detail7generic6detail18binary_search_lessEbEEEE10hipError_tPvRmT1_T2_T3_mmT4_T5_P12ihipStream_tbEUlRKjE_EESV_SZ_S10_mS11_S14_bEUlT_E_NS1_11comp_targetILNS1_3genE5ELNS1_11target_archE942ELNS1_3gpuE9ELNS1_3repE0EEENS1_30default_config_static_selectorELNS0_4arch9wavefront6targetE0EEEvSY_,comdat
	.protected	_ZN7rocprim17ROCPRIM_400000_NS6detail17trampoline_kernelINS0_14default_configENS1_29binary_search_config_selectorIjiEEZNS1_14transform_implILb0ES3_S5_N6thrust23THRUST_200600_302600_NS6detail15normal_iteratorINS8_7pointerIjNS8_11hip_rocprim5par_tENS8_11use_defaultESE_EEEENSA_INSB_IiSD_SE_SE_EEEEZNS1_13binary_searchIS3_S5_NSA_INS8_10device_ptrIjEEEESG_SI_NS1_16binary_search_opENS9_16wrapped_functionINS8_6system6detail7generic6detail18binary_search_lessEbEEEE10hipError_tPvRmT1_T2_T3_mmT4_T5_P12ihipStream_tbEUlRKjE_EESV_SZ_S10_mS11_S14_bEUlT_E_NS1_11comp_targetILNS1_3genE5ELNS1_11target_archE942ELNS1_3gpuE9ELNS1_3repE0EEENS1_30default_config_static_selectorELNS0_4arch9wavefront6targetE0EEEvSY_ ; -- Begin function _ZN7rocprim17ROCPRIM_400000_NS6detail17trampoline_kernelINS0_14default_configENS1_29binary_search_config_selectorIjiEEZNS1_14transform_implILb0ES3_S5_N6thrust23THRUST_200600_302600_NS6detail15normal_iteratorINS8_7pointerIjNS8_11hip_rocprim5par_tENS8_11use_defaultESE_EEEENSA_INSB_IiSD_SE_SE_EEEEZNS1_13binary_searchIS3_S5_NSA_INS8_10device_ptrIjEEEESG_SI_NS1_16binary_search_opENS9_16wrapped_functionINS8_6system6detail7generic6detail18binary_search_lessEbEEEE10hipError_tPvRmT1_T2_T3_mmT4_T5_P12ihipStream_tbEUlRKjE_EESV_SZ_S10_mS11_S14_bEUlT_E_NS1_11comp_targetILNS1_3genE5ELNS1_11target_archE942ELNS1_3gpuE9ELNS1_3repE0EEENS1_30default_config_static_selectorELNS0_4arch9wavefront6targetE0EEEvSY_
	.globl	_ZN7rocprim17ROCPRIM_400000_NS6detail17trampoline_kernelINS0_14default_configENS1_29binary_search_config_selectorIjiEEZNS1_14transform_implILb0ES3_S5_N6thrust23THRUST_200600_302600_NS6detail15normal_iteratorINS8_7pointerIjNS8_11hip_rocprim5par_tENS8_11use_defaultESE_EEEENSA_INSB_IiSD_SE_SE_EEEEZNS1_13binary_searchIS3_S5_NSA_INS8_10device_ptrIjEEEESG_SI_NS1_16binary_search_opENS9_16wrapped_functionINS8_6system6detail7generic6detail18binary_search_lessEbEEEE10hipError_tPvRmT1_T2_T3_mmT4_T5_P12ihipStream_tbEUlRKjE_EESV_SZ_S10_mS11_S14_bEUlT_E_NS1_11comp_targetILNS1_3genE5ELNS1_11target_archE942ELNS1_3gpuE9ELNS1_3repE0EEENS1_30default_config_static_selectorELNS0_4arch9wavefront6targetE0EEEvSY_
	.p2align	8
	.type	_ZN7rocprim17ROCPRIM_400000_NS6detail17trampoline_kernelINS0_14default_configENS1_29binary_search_config_selectorIjiEEZNS1_14transform_implILb0ES3_S5_N6thrust23THRUST_200600_302600_NS6detail15normal_iteratorINS8_7pointerIjNS8_11hip_rocprim5par_tENS8_11use_defaultESE_EEEENSA_INSB_IiSD_SE_SE_EEEEZNS1_13binary_searchIS3_S5_NSA_INS8_10device_ptrIjEEEESG_SI_NS1_16binary_search_opENS9_16wrapped_functionINS8_6system6detail7generic6detail18binary_search_lessEbEEEE10hipError_tPvRmT1_T2_T3_mmT4_T5_P12ihipStream_tbEUlRKjE_EESV_SZ_S10_mS11_S14_bEUlT_E_NS1_11comp_targetILNS1_3genE5ELNS1_11target_archE942ELNS1_3gpuE9ELNS1_3repE0EEENS1_30default_config_static_selectorELNS0_4arch9wavefront6targetE0EEEvSY_,@function
_ZN7rocprim17ROCPRIM_400000_NS6detail17trampoline_kernelINS0_14default_configENS1_29binary_search_config_selectorIjiEEZNS1_14transform_implILb0ES3_S5_N6thrust23THRUST_200600_302600_NS6detail15normal_iteratorINS8_7pointerIjNS8_11hip_rocprim5par_tENS8_11use_defaultESE_EEEENSA_INSB_IiSD_SE_SE_EEEEZNS1_13binary_searchIS3_S5_NSA_INS8_10device_ptrIjEEEESG_SI_NS1_16binary_search_opENS9_16wrapped_functionINS8_6system6detail7generic6detail18binary_search_lessEbEEEE10hipError_tPvRmT1_T2_T3_mmT4_T5_P12ihipStream_tbEUlRKjE_EESV_SZ_S10_mS11_S14_bEUlT_E_NS1_11comp_targetILNS1_3genE5ELNS1_11target_archE942ELNS1_3gpuE9ELNS1_3repE0EEENS1_30default_config_static_selectorELNS0_4arch9wavefront6targetE0EEEvSY_: ; @_ZN7rocprim17ROCPRIM_400000_NS6detail17trampoline_kernelINS0_14default_configENS1_29binary_search_config_selectorIjiEEZNS1_14transform_implILb0ES3_S5_N6thrust23THRUST_200600_302600_NS6detail15normal_iteratorINS8_7pointerIjNS8_11hip_rocprim5par_tENS8_11use_defaultESE_EEEENSA_INSB_IiSD_SE_SE_EEEEZNS1_13binary_searchIS3_S5_NSA_INS8_10device_ptrIjEEEESG_SI_NS1_16binary_search_opENS9_16wrapped_functionINS8_6system6detail7generic6detail18binary_search_lessEbEEEE10hipError_tPvRmT1_T2_T3_mmT4_T5_P12ihipStream_tbEUlRKjE_EESV_SZ_S10_mS11_S14_bEUlT_E_NS1_11comp_targetILNS1_3genE5ELNS1_11target_archE942ELNS1_3gpuE9ELNS1_3repE0EEENS1_30default_config_static_selectorELNS0_4arch9wavefront6targetE0EEEvSY_
; %bb.0:
	.section	.rodata,"a",@progbits
	.p2align	6, 0x0
	.amdhsa_kernel _ZN7rocprim17ROCPRIM_400000_NS6detail17trampoline_kernelINS0_14default_configENS1_29binary_search_config_selectorIjiEEZNS1_14transform_implILb0ES3_S5_N6thrust23THRUST_200600_302600_NS6detail15normal_iteratorINS8_7pointerIjNS8_11hip_rocprim5par_tENS8_11use_defaultESE_EEEENSA_INSB_IiSD_SE_SE_EEEEZNS1_13binary_searchIS3_S5_NSA_INS8_10device_ptrIjEEEESG_SI_NS1_16binary_search_opENS9_16wrapped_functionINS8_6system6detail7generic6detail18binary_search_lessEbEEEE10hipError_tPvRmT1_T2_T3_mmT4_T5_P12ihipStream_tbEUlRKjE_EESV_SZ_S10_mS11_S14_bEUlT_E_NS1_11comp_targetILNS1_3genE5ELNS1_11target_archE942ELNS1_3gpuE9ELNS1_3repE0EEENS1_30default_config_static_selectorELNS0_4arch9wavefront6targetE0EEEvSY_
		.amdhsa_group_segment_fixed_size 0
		.amdhsa_private_segment_fixed_size 0
		.amdhsa_kernarg_size 56
		.amdhsa_user_sgpr_count 6
		.amdhsa_user_sgpr_private_segment_buffer 1
		.amdhsa_user_sgpr_dispatch_ptr 0
		.amdhsa_user_sgpr_queue_ptr 0
		.amdhsa_user_sgpr_kernarg_segment_ptr 1
		.amdhsa_user_sgpr_dispatch_id 0
		.amdhsa_user_sgpr_flat_scratch_init 0
		.amdhsa_user_sgpr_private_segment_size 0
		.amdhsa_wavefront_size32 1
		.amdhsa_uses_dynamic_stack 0
		.amdhsa_system_sgpr_private_segment_wavefront_offset 0
		.amdhsa_system_sgpr_workgroup_id_x 1
		.amdhsa_system_sgpr_workgroup_id_y 0
		.amdhsa_system_sgpr_workgroup_id_z 0
		.amdhsa_system_sgpr_workgroup_info 0
		.amdhsa_system_vgpr_workitem_id 0
		.amdhsa_next_free_vgpr 1
		.amdhsa_next_free_sgpr 1
		.amdhsa_reserve_vcc 0
		.amdhsa_reserve_flat_scratch 0
		.amdhsa_float_round_mode_32 0
		.amdhsa_float_round_mode_16_64 0
		.amdhsa_float_denorm_mode_32 3
		.amdhsa_float_denorm_mode_16_64 3
		.amdhsa_dx10_clamp 1
		.amdhsa_ieee_mode 1
		.amdhsa_fp16_overflow 0
		.amdhsa_workgroup_processor_mode 1
		.amdhsa_memory_ordered 1
		.amdhsa_forward_progress 1
		.amdhsa_shared_vgpr_count 0
		.amdhsa_exception_fp_ieee_invalid_op 0
		.amdhsa_exception_fp_denorm_src 0
		.amdhsa_exception_fp_ieee_div_zero 0
		.amdhsa_exception_fp_ieee_overflow 0
		.amdhsa_exception_fp_ieee_underflow 0
		.amdhsa_exception_fp_ieee_inexact 0
		.amdhsa_exception_int_div_zero 0
	.end_amdhsa_kernel
	.section	.text._ZN7rocprim17ROCPRIM_400000_NS6detail17trampoline_kernelINS0_14default_configENS1_29binary_search_config_selectorIjiEEZNS1_14transform_implILb0ES3_S5_N6thrust23THRUST_200600_302600_NS6detail15normal_iteratorINS8_7pointerIjNS8_11hip_rocprim5par_tENS8_11use_defaultESE_EEEENSA_INSB_IiSD_SE_SE_EEEEZNS1_13binary_searchIS3_S5_NSA_INS8_10device_ptrIjEEEESG_SI_NS1_16binary_search_opENS9_16wrapped_functionINS8_6system6detail7generic6detail18binary_search_lessEbEEEE10hipError_tPvRmT1_T2_T3_mmT4_T5_P12ihipStream_tbEUlRKjE_EESV_SZ_S10_mS11_S14_bEUlT_E_NS1_11comp_targetILNS1_3genE5ELNS1_11target_archE942ELNS1_3gpuE9ELNS1_3repE0EEENS1_30default_config_static_selectorELNS0_4arch9wavefront6targetE0EEEvSY_,"axG",@progbits,_ZN7rocprim17ROCPRIM_400000_NS6detail17trampoline_kernelINS0_14default_configENS1_29binary_search_config_selectorIjiEEZNS1_14transform_implILb0ES3_S5_N6thrust23THRUST_200600_302600_NS6detail15normal_iteratorINS8_7pointerIjNS8_11hip_rocprim5par_tENS8_11use_defaultESE_EEEENSA_INSB_IiSD_SE_SE_EEEEZNS1_13binary_searchIS3_S5_NSA_INS8_10device_ptrIjEEEESG_SI_NS1_16binary_search_opENS9_16wrapped_functionINS8_6system6detail7generic6detail18binary_search_lessEbEEEE10hipError_tPvRmT1_T2_T3_mmT4_T5_P12ihipStream_tbEUlRKjE_EESV_SZ_S10_mS11_S14_bEUlT_E_NS1_11comp_targetILNS1_3genE5ELNS1_11target_archE942ELNS1_3gpuE9ELNS1_3repE0EEENS1_30default_config_static_selectorELNS0_4arch9wavefront6targetE0EEEvSY_,comdat
.Lfunc_end672:
	.size	_ZN7rocprim17ROCPRIM_400000_NS6detail17trampoline_kernelINS0_14default_configENS1_29binary_search_config_selectorIjiEEZNS1_14transform_implILb0ES3_S5_N6thrust23THRUST_200600_302600_NS6detail15normal_iteratorINS8_7pointerIjNS8_11hip_rocprim5par_tENS8_11use_defaultESE_EEEENSA_INSB_IiSD_SE_SE_EEEEZNS1_13binary_searchIS3_S5_NSA_INS8_10device_ptrIjEEEESG_SI_NS1_16binary_search_opENS9_16wrapped_functionINS8_6system6detail7generic6detail18binary_search_lessEbEEEE10hipError_tPvRmT1_T2_T3_mmT4_T5_P12ihipStream_tbEUlRKjE_EESV_SZ_S10_mS11_S14_bEUlT_E_NS1_11comp_targetILNS1_3genE5ELNS1_11target_archE942ELNS1_3gpuE9ELNS1_3repE0EEENS1_30default_config_static_selectorELNS0_4arch9wavefront6targetE0EEEvSY_, .Lfunc_end672-_ZN7rocprim17ROCPRIM_400000_NS6detail17trampoline_kernelINS0_14default_configENS1_29binary_search_config_selectorIjiEEZNS1_14transform_implILb0ES3_S5_N6thrust23THRUST_200600_302600_NS6detail15normal_iteratorINS8_7pointerIjNS8_11hip_rocprim5par_tENS8_11use_defaultESE_EEEENSA_INSB_IiSD_SE_SE_EEEEZNS1_13binary_searchIS3_S5_NSA_INS8_10device_ptrIjEEEESG_SI_NS1_16binary_search_opENS9_16wrapped_functionINS8_6system6detail7generic6detail18binary_search_lessEbEEEE10hipError_tPvRmT1_T2_T3_mmT4_T5_P12ihipStream_tbEUlRKjE_EESV_SZ_S10_mS11_S14_bEUlT_E_NS1_11comp_targetILNS1_3genE5ELNS1_11target_archE942ELNS1_3gpuE9ELNS1_3repE0EEENS1_30default_config_static_selectorELNS0_4arch9wavefront6targetE0EEEvSY_
                                        ; -- End function
	.set _ZN7rocprim17ROCPRIM_400000_NS6detail17trampoline_kernelINS0_14default_configENS1_29binary_search_config_selectorIjiEEZNS1_14transform_implILb0ES3_S5_N6thrust23THRUST_200600_302600_NS6detail15normal_iteratorINS8_7pointerIjNS8_11hip_rocprim5par_tENS8_11use_defaultESE_EEEENSA_INSB_IiSD_SE_SE_EEEEZNS1_13binary_searchIS3_S5_NSA_INS8_10device_ptrIjEEEESG_SI_NS1_16binary_search_opENS9_16wrapped_functionINS8_6system6detail7generic6detail18binary_search_lessEbEEEE10hipError_tPvRmT1_T2_T3_mmT4_T5_P12ihipStream_tbEUlRKjE_EESV_SZ_S10_mS11_S14_bEUlT_E_NS1_11comp_targetILNS1_3genE5ELNS1_11target_archE942ELNS1_3gpuE9ELNS1_3repE0EEENS1_30default_config_static_selectorELNS0_4arch9wavefront6targetE0EEEvSY_.num_vgpr, 0
	.set _ZN7rocprim17ROCPRIM_400000_NS6detail17trampoline_kernelINS0_14default_configENS1_29binary_search_config_selectorIjiEEZNS1_14transform_implILb0ES3_S5_N6thrust23THRUST_200600_302600_NS6detail15normal_iteratorINS8_7pointerIjNS8_11hip_rocprim5par_tENS8_11use_defaultESE_EEEENSA_INSB_IiSD_SE_SE_EEEEZNS1_13binary_searchIS3_S5_NSA_INS8_10device_ptrIjEEEESG_SI_NS1_16binary_search_opENS9_16wrapped_functionINS8_6system6detail7generic6detail18binary_search_lessEbEEEE10hipError_tPvRmT1_T2_T3_mmT4_T5_P12ihipStream_tbEUlRKjE_EESV_SZ_S10_mS11_S14_bEUlT_E_NS1_11comp_targetILNS1_3genE5ELNS1_11target_archE942ELNS1_3gpuE9ELNS1_3repE0EEENS1_30default_config_static_selectorELNS0_4arch9wavefront6targetE0EEEvSY_.num_agpr, 0
	.set _ZN7rocprim17ROCPRIM_400000_NS6detail17trampoline_kernelINS0_14default_configENS1_29binary_search_config_selectorIjiEEZNS1_14transform_implILb0ES3_S5_N6thrust23THRUST_200600_302600_NS6detail15normal_iteratorINS8_7pointerIjNS8_11hip_rocprim5par_tENS8_11use_defaultESE_EEEENSA_INSB_IiSD_SE_SE_EEEEZNS1_13binary_searchIS3_S5_NSA_INS8_10device_ptrIjEEEESG_SI_NS1_16binary_search_opENS9_16wrapped_functionINS8_6system6detail7generic6detail18binary_search_lessEbEEEE10hipError_tPvRmT1_T2_T3_mmT4_T5_P12ihipStream_tbEUlRKjE_EESV_SZ_S10_mS11_S14_bEUlT_E_NS1_11comp_targetILNS1_3genE5ELNS1_11target_archE942ELNS1_3gpuE9ELNS1_3repE0EEENS1_30default_config_static_selectorELNS0_4arch9wavefront6targetE0EEEvSY_.numbered_sgpr, 0
	.set _ZN7rocprim17ROCPRIM_400000_NS6detail17trampoline_kernelINS0_14default_configENS1_29binary_search_config_selectorIjiEEZNS1_14transform_implILb0ES3_S5_N6thrust23THRUST_200600_302600_NS6detail15normal_iteratorINS8_7pointerIjNS8_11hip_rocprim5par_tENS8_11use_defaultESE_EEEENSA_INSB_IiSD_SE_SE_EEEEZNS1_13binary_searchIS3_S5_NSA_INS8_10device_ptrIjEEEESG_SI_NS1_16binary_search_opENS9_16wrapped_functionINS8_6system6detail7generic6detail18binary_search_lessEbEEEE10hipError_tPvRmT1_T2_T3_mmT4_T5_P12ihipStream_tbEUlRKjE_EESV_SZ_S10_mS11_S14_bEUlT_E_NS1_11comp_targetILNS1_3genE5ELNS1_11target_archE942ELNS1_3gpuE9ELNS1_3repE0EEENS1_30default_config_static_selectorELNS0_4arch9wavefront6targetE0EEEvSY_.num_named_barrier, 0
	.set _ZN7rocprim17ROCPRIM_400000_NS6detail17trampoline_kernelINS0_14default_configENS1_29binary_search_config_selectorIjiEEZNS1_14transform_implILb0ES3_S5_N6thrust23THRUST_200600_302600_NS6detail15normal_iteratorINS8_7pointerIjNS8_11hip_rocprim5par_tENS8_11use_defaultESE_EEEENSA_INSB_IiSD_SE_SE_EEEEZNS1_13binary_searchIS3_S5_NSA_INS8_10device_ptrIjEEEESG_SI_NS1_16binary_search_opENS9_16wrapped_functionINS8_6system6detail7generic6detail18binary_search_lessEbEEEE10hipError_tPvRmT1_T2_T3_mmT4_T5_P12ihipStream_tbEUlRKjE_EESV_SZ_S10_mS11_S14_bEUlT_E_NS1_11comp_targetILNS1_3genE5ELNS1_11target_archE942ELNS1_3gpuE9ELNS1_3repE0EEENS1_30default_config_static_selectorELNS0_4arch9wavefront6targetE0EEEvSY_.private_seg_size, 0
	.set _ZN7rocprim17ROCPRIM_400000_NS6detail17trampoline_kernelINS0_14default_configENS1_29binary_search_config_selectorIjiEEZNS1_14transform_implILb0ES3_S5_N6thrust23THRUST_200600_302600_NS6detail15normal_iteratorINS8_7pointerIjNS8_11hip_rocprim5par_tENS8_11use_defaultESE_EEEENSA_INSB_IiSD_SE_SE_EEEEZNS1_13binary_searchIS3_S5_NSA_INS8_10device_ptrIjEEEESG_SI_NS1_16binary_search_opENS9_16wrapped_functionINS8_6system6detail7generic6detail18binary_search_lessEbEEEE10hipError_tPvRmT1_T2_T3_mmT4_T5_P12ihipStream_tbEUlRKjE_EESV_SZ_S10_mS11_S14_bEUlT_E_NS1_11comp_targetILNS1_3genE5ELNS1_11target_archE942ELNS1_3gpuE9ELNS1_3repE0EEENS1_30default_config_static_selectorELNS0_4arch9wavefront6targetE0EEEvSY_.uses_vcc, 0
	.set _ZN7rocprim17ROCPRIM_400000_NS6detail17trampoline_kernelINS0_14default_configENS1_29binary_search_config_selectorIjiEEZNS1_14transform_implILb0ES3_S5_N6thrust23THRUST_200600_302600_NS6detail15normal_iteratorINS8_7pointerIjNS8_11hip_rocprim5par_tENS8_11use_defaultESE_EEEENSA_INSB_IiSD_SE_SE_EEEEZNS1_13binary_searchIS3_S5_NSA_INS8_10device_ptrIjEEEESG_SI_NS1_16binary_search_opENS9_16wrapped_functionINS8_6system6detail7generic6detail18binary_search_lessEbEEEE10hipError_tPvRmT1_T2_T3_mmT4_T5_P12ihipStream_tbEUlRKjE_EESV_SZ_S10_mS11_S14_bEUlT_E_NS1_11comp_targetILNS1_3genE5ELNS1_11target_archE942ELNS1_3gpuE9ELNS1_3repE0EEENS1_30default_config_static_selectorELNS0_4arch9wavefront6targetE0EEEvSY_.uses_flat_scratch, 0
	.set _ZN7rocprim17ROCPRIM_400000_NS6detail17trampoline_kernelINS0_14default_configENS1_29binary_search_config_selectorIjiEEZNS1_14transform_implILb0ES3_S5_N6thrust23THRUST_200600_302600_NS6detail15normal_iteratorINS8_7pointerIjNS8_11hip_rocprim5par_tENS8_11use_defaultESE_EEEENSA_INSB_IiSD_SE_SE_EEEEZNS1_13binary_searchIS3_S5_NSA_INS8_10device_ptrIjEEEESG_SI_NS1_16binary_search_opENS9_16wrapped_functionINS8_6system6detail7generic6detail18binary_search_lessEbEEEE10hipError_tPvRmT1_T2_T3_mmT4_T5_P12ihipStream_tbEUlRKjE_EESV_SZ_S10_mS11_S14_bEUlT_E_NS1_11comp_targetILNS1_3genE5ELNS1_11target_archE942ELNS1_3gpuE9ELNS1_3repE0EEENS1_30default_config_static_selectorELNS0_4arch9wavefront6targetE0EEEvSY_.has_dyn_sized_stack, 0
	.set _ZN7rocprim17ROCPRIM_400000_NS6detail17trampoline_kernelINS0_14default_configENS1_29binary_search_config_selectorIjiEEZNS1_14transform_implILb0ES3_S5_N6thrust23THRUST_200600_302600_NS6detail15normal_iteratorINS8_7pointerIjNS8_11hip_rocprim5par_tENS8_11use_defaultESE_EEEENSA_INSB_IiSD_SE_SE_EEEEZNS1_13binary_searchIS3_S5_NSA_INS8_10device_ptrIjEEEESG_SI_NS1_16binary_search_opENS9_16wrapped_functionINS8_6system6detail7generic6detail18binary_search_lessEbEEEE10hipError_tPvRmT1_T2_T3_mmT4_T5_P12ihipStream_tbEUlRKjE_EESV_SZ_S10_mS11_S14_bEUlT_E_NS1_11comp_targetILNS1_3genE5ELNS1_11target_archE942ELNS1_3gpuE9ELNS1_3repE0EEENS1_30default_config_static_selectorELNS0_4arch9wavefront6targetE0EEEvSY_.has_recursion, 0
	.set _ZN7rocprim17ROCPRIM_400000_NS6detail17trampoline_kernelINS0_14default_configENS1_29binary_search_config_selectorIjiEEZNS1_14transform_implILb0ES3_S5_N6thrust23THRUST_200600_302600_NS6detail15normal_iteratorINS8_7pointerIjNS8_11hip_rocprim5par_tENS8_11use_defaultESE_EEEENSA_INSB_IiSD_SE_SE_EEEEZNS1_13binary_searchIS3_S5_NSA_INS8_10device_ptrIjEEEESG_SI_NS1_16binary_search_opENS9_16wrapped_functionINS8_6system6detail7generic6detail18binary_search_lessEbEEEE10hipError_tPvRmT1_T2_T3_mmT4_T5_P12ihipStream_tbEUlRKjE_EESV_SZ_S10_mS11_S14_bEUlT_E_NS1_11comp_targetILNS1_3genE5ELNS1_11target_archE942ELNS1_3gpuE9ELNS1_3repE0EEENS1_30default_config_static_selectorELNS0_4arch9wavefront6targetE0EEEvSY_.has_indirect_call, 0
	.section	.AMDGPU.csdata,"",@progbits
; Kernel info:
; codeLenInByte = 0
; TotalNumSgprs: 0
; NumVgprs: 0
; ScratchSize: 0
; MemoryBound: 0
; FloatMode: 240
; IeeeMode: 1
; LDSByteSize: 0 bytes/workgroup (compile time only)
; SGPRBlocks: 0
; VGPRBlocks: 0
; NumSGPRsForWavesPerEU: 1
; NumVGPRsForWavesPerEU: 1
; Occupancy: 16
; WaveLimiterHint : 0
; COMPUTE_PGM_RSRC2:SCRATCH_EN: 0
; COMPUTE_PGM_RSRC2:USER_SGPR: 6
; COMPUTE_PGM_RSRC2:TRAP_HANDLER: 0
; COMPUTE_PGM_RSRC2:TGID_X_EN: 1
; COMPUTE_PGM_RSRC2:TGID_Y_EN: 0
; COMPUTE_PGM_RSRC2:TGID_Z_EN: 0
; COMPUTE_PGM_RSRC2:TIDIG_COMP_CNT: 0
	.section	.text._ZN7rocprim17ROCPRIM_400000_NS6detail17trampoline_kernelINS0_14default_configENS1_29binary_search_config_selectorIjiEEZNS1_14transform_implILb0ES3_S5_N6thrust23THRUST_200600_302600_NS6detail15normal_iteratorINS8_7pointerIjNS8_11hip_rocprim5par_tENS8_11use_defaultESE_EEEENSA_INSB_IiSD_SE_SE_EEEEZNS1_13binary_searchIS3_S5_NSA_INS8_10device_ptrIjEEEESG_SI_NS1_16binary_search_opENS9_16wrapped_functionINS8_6system6detail7generic6detail18binary_search_lessEbEEEE10hipError_tPvRmT1_T2_T3_mmT4_T5_P12ihipStream_tbEUlRKjE_EESV_SZ_S10_mS11_S14_bEUlT_E_NS1_11comp_targetILNS1_3genE4ELNS1_11target_archE910ELNS1_3gpuE8ELNS1_3repE0EEENS1_30default_config_static_selectorELNS0_4arch9wavefront6targetE0EEEvSY_,"axG",@progbits,_ZN7rocprim17ROCPRIM_400000_NS6detail17trampoline_kernelINS0_14default_configENS1_29binary_search_config_selectorIjiEEZNS1_14transform_implILb0ES3_S5_N6thrust23THRUST_200600_302600_NS6detail15normal_iteratorINS8_7pointerIjNS8_11hip_rocprim5par_tENS8_11use_defaultESE_EEEENSA_INSB_IiSD_SE_SE_EEEEZNS1_13binary_searchIS3_S5_NSA_INS8_10device_ptrIjEEEESG_SI_NS1_16binary_search_opENS9_16wrapped_functionINS8_6system6detail7generic6detail18binary_search_lessEbEEEE10hipError_tPvRmT1_T2_T3_mmT4_T5_P12ihipStream_tbEUlRKjE_EESV_SZ_S10_mS11_S14_bEUlT_E_NS1_11comp_targetILNS1_3genE4ELNS1_11target_archE910ELNS1_3gpuE8ELNS1_3repE0EEENS1_30default_config_static_selectorELNS0_4arch9wavefront6targetE0EEEvSY_,comdat
	.protected	_ZN7rocprim17ROCPRIM_400000_NS6detail17trampoline_kernelINS0_14default_configENS1_29binary_search_config_selectorIjiEEZNS1_14transform_implILb0ES3_S5_N6thrust23THRUST_200600_302600_NS6detail15normal_iteratorINS8_7pointerIjNS8_11hip_rocprim5par_tENS8_11use_defaultESE_EEEENSA_INSB_IiSD_SE_SE_EEEEZNS1_13binary_searchIS3_S5_NSA_INS8_10device_ptrIjEEEESG_SI_NS1_16binary_search_opENS9_16wrapped_functionINS8_6system6detail7generic6detail18binary_search_lessEbEEEE10hipError_tPvRmT1_T2_T3_mmT4_T5_P12ihipStream_tbEUlRKjE_EESV_SZ_S10_mS11_S14_bEUlT_E_NS1_11comp_targetILNS1_3genE4ELNS1_11target_archE910ELNS1_3gpuE8ELNS1_3repE0EEENS1_30default_config_static_selectorELNS0_4arch9wavefront6targetE0EEEvSY_ ; -- Begin function _ZN7rocprim17ROCPRIM_400000_NS6detail17trampoline_kernelINS0_14default_configENS1_29binary_search_config_selectorIjiEEZNS1_14transform_implILb0ES3_S5_N6thrust23THRUST_200600_302600_NS6detail15normal_iteratorINS8_7pointerIjNS8_11hip_rocprim5par_tENS8_11use_defaultESE_EEEENSA_INSB_IiSD_SE_SE_EEEEZNS1_13binary_searchIS3_S5_NSA_INS8_10device_ptrIjEEEESG_SI_NS1_16binary_search_opENS9_16wrapped_functionINS8_6system6detail7generic6detail18binary_search_lessEbEEEE10hipError_tPvRmT1_T2_T3_mmT4_T5_P12ihipStream_tbEUlRKjE_EESV_SZ_S10_mS11_S14_bEUlT_E_NS1_11comp_targetILNS1_3genE4ELNS1_11target_archE910ELNS1_3gpuE8ELNS1_3repE0EEENS1_30default_config_static_selectorELNS0_4arch9wavefront6targetE0EEEvSY_
	.globl	_ZN7rocprim17ROCPRIM_400000_NS6detail17trampoline_kernelINS0_14default_configENS1_29binary_search_config_selectorIjiEEZNS1_14transform_implILb0ES3_S5_N6thrust23THRUST_200600_302600_NS6detail15normal_iteratorINS8_7pointerIjNS8_11hip_rocprim5par_tENS8_11use_defaultESE_EEEENSA_INSB_IiSD_SE_SE_EEEEZNS1_13binary_searchIS3_S5_NSA_INS8_10device_ptrIjEEEESG_SI_NS1_16binary_search_opENS9_16wrapped_functionINS8_6system6detail7generic6detail18binary_search_lessEbEEEE10hipError_tPvRmT1_T2_T3_mmT4_T5_P12ihipStream_tbEUlRKjE_EESV_SZ_S10_mS11_S14_bEUlT_E_NS1_11comp_targetILNS1_3genE4ELNS1_11target_archE910ELNS1_3gpuE8ELNS1_3repE0EEENS1_30default_config_static_selectorELNS0_4arch9wavefront6targetE0EEEvSY_
	.p2align	8
	.type	_ZN7rocprim17ROCPRIM_400000_NS6detail17trampoline_kernelINS0_14default_configENS1_29binary_search_config_selectorIjiEEZNS1_14transform_implILb0ES3_S5_N6thrust23THRUST_200600_302600_NS6detail15normal_iteratorINS8_7pointerIjNS8_11hip_rocprim5par_tENS8_11use_defaultESE_EEEENSA_INSB_IiSD_SE_SE_EEEEZNS1_13binary_searchIS3_S5_NSA_INS8_10device_ptrIjEEEESG_SI_NS1_16binary_search_opENS9_16wrapped_functionINS8_6system6detail7generic6detail18binary_search_lessEbEEEE10hipError_tPvRmT1_T2_T3_mmT4_T5_P12ihipStream_tbEUlRKjE_EESV_SZ_S10_mS11_S14_bEUlT_E_NS1_11comp_targetILNS1_3genE4ELNS1_11target_archE910ELNS1_3gpuE8ELNS1_3repE0EEENS1_30default_config_static_selectorELNS0_4arch9wavefront6targetE0EEEvSY_,@function
_ZN7rocprim17ROCPRIM_400000_NS6detail17trampoline_kernelINS0_14default_configENS1_29binary_search_config_selectorIjiEEZNS1_14transform_implILb0ES3_S5_N6thrust23THRUST_200600_302600_NS6detail15normal_iteratorINS8_7pointerIjNS8_11hip_rocprim5par_tENS8_11use_defaultESE_EEEENSA_INSB_IiSD_SE_SE_EEEEZNS1_13binary_searchIS3_S5_NSA_INS8_10device_ptrIjEEEESG_SI_NS1_16binary_search_opENS9_16wrapped_functionINS8_6system6detail7generic6detail18binary_search_lessEbEEEE10hipError_tPvRmT1_T2_T3_mmT4_T5_P12ihipStream_tbEUlRKjE_EESV_SZ_S10_mS11_S14_bEUlT_E_NS1_11comp_targetILNS1_3genE4ELNS1_11target_archE910ELNS1_3gpuE8ELNS1_3repE0EEENS1_30default_config_static_selectorELNS0_4arch9wavefront6targetE0EEEvSY_: ; @_ZN7rocprim17ROCPRIM_400000_NS6detail17trampoline_kernelINS0_14default_configENS1_29binary_search_config_selectorIjiEEZNS1_14transform_implILb0ES3_S5_N6thrust23THRUST_200600_302600_NS6detail15normal_iteratorINS8_7pointerIjNS8_11hip_rocprim5par_tENS8_11use_defaultESE_EEEENSA_INSB_IiSD_SE_SE_EEEEZNS1_13binary_searchIS3_S5_NSA_INS8_10device_ptrIjEEEESG_SI_NS1_16binary_search_opENS9_16wrapped_functionINS8_6system6detail7generic6detail18binary_search_lessEbEEEE10hipError_tPvRmT1_T2_T3_mmT4_T5_P12ihipStream_tbEUlRKjE_EESV_SZ_S10_mS11_S14_bEUlT_E_NS1_11comp_targetILNS1_3genE4ELNS1_11target_archE910ELNS1_3gpuE8ELNS1_3repE0EEENS1_30default_config_static_selectorELNS0_4arch9wavefront6targetE0EEEvSY_
; %bb.0:
	.section	.rodata,"a",@progbits
	.p2align	6, 0x0
	.amdhsa_kernel _ZN7rocprim17ROCPRIM_400000_NS6detail17trampoline_kernelINS0_14default_configENS1_29binary_search_config_selectorIjiEEZNS1_14transform_implILb0ES3_S5_N6thrust23THRUST_200600_302600_NS6detail15normal_iteratorINS8_7pointerIjNS8_11hip_rocprim5par_tENS8_11use_defaultESE_EEEENSA_INSB_IiSD_SE_SE_EEEEZNS1_13binary_searchIS3_S5_NSA_INS8_10device_ptrIjEEEESG_SI_NS1_16binary_search_opENS9_16wrapped_functionINS8_6system6detail7generic6detail18binary_search_lessEbEEEE10hipError_tPvRmT1_T2_T3_mmT4_T5_P12ihipStream_tbEUlRKjE_EESV_SZ_S10_mS11_S14_bEUlT_E_NS1_11comp_targetILNS1_3genE4ELNS1_11target_archE910ELNS1_3gpuE8ELNS1_3repE0EEENS1_30default_config_static_selectorELNS0_4arch9wavefront6targetE0EEEvSY_
		.amdhsa_group_segment_fixed_size 0
		.amdhsa_private_segment_fixed_size 0
		.amdhsa_kernarg_size 56
		.amdhsa_user_sgpr_count 6
		.amdhsa_user_sgpr_private_segment_buffer 1
		.amdhsa_user_sgpr_dispatch_ptr 0
		.amdhsa_user_sgpr_queue_ptr 0
		.amdhsa_user_sgpr_kernarg_segment_ptr 1
		.amdhsa_user_sgpr_dispatch_id 0
		.amdhsa_user_sgpr_flat_scratch_init 0
		.amdhsa_user_sgpr_private_segment_size 0
		.amdhsa_wavefront_size32 1
		.amdhsa_uses_dynamic_stack 0
		.amdhsa_system_sgpr_private_segment_wavefront_offset 0
		.amdhsa_system_sgpr_workgroup_id_x 1
		.amdhsa_system_sgpr_workgroup_id_y 0
		.amdhsa_system_sgpr_workgroup_id_z 0
		.amdhsa_system_sgpr_workgroup_info 0
		.amdhsa_system_vgpr_workitem_id 0
		.amdhsa_next_free_vgpr 1
		.amdhsa_next_free_sgpr 1
		.amdhsa_reserve_vcc 0
		.amdhsa_reserve_flat_scratch 0
		.amdhsa_float_round_mode_32 0
		.amdhsa_float_round_mode_16_64 0
		.amdhsa_float_denorm_mode_32 3
		.amdhsa_float_denorm_mode_16_64 3
		.amdhsa_dx10_clamp 1
		.amdhsa_ieee_mode 1
		.amdhsa_fp16_overflow 0
		.amdhsa_workgroup_processor_mode 1
		.amdhsa_memory_ordered 1
		.amdhsa_forward_progress 1
		.amdhsa_shared_vgpr_count 0
		.amdhsa_exception_fp_ieee_invalid_op 0
		.amdhsa_exception_fp_denorm_src 0
		.amdhsa_exception_fp_ieee_div_zero 0
		.amdhsa_exception_fp_ieee_overflow 0
		.amdhsa_exception_fp_ieee_underflow 0
		.amdhsa_exception_fp_ieee_inexact 0
		.amdhsa_exception_int_div_zero 0
	.end_amdhsa_kernel
	.section	.text._ZN7rocprim17ROCPRIM_400000_NS6detail17trampoline_kernelINS0_14default_configENS1_29binary_search_config_selectorIjiEEZNS1_14transform_implILb0ES3_S5_N6thrust23THRUST_200600_302600_NS6detail15normal_iteratorINS8_7pointerIjNS8_11hip_rocprim5par_tENS8_11use_defaultESE_EEEENSA_INSB_IiSD_SE_SE_EEEEZNS1_13binary_searchIS3_S5_NSA_INS8_10device_ptrIjEEEESG_SI_NS1_16binary_search_opENS9_16wrapped_functionINS8_6system6detail7generic6detail18binary_search_lessEbEEEE10hipError_tPvRmT1_T2_T3_mmT4_T5_P12ihipStream_tbEUlRKjE_EESV_SZ_S10_mS11_S14_bEUlT_E_NS1_11comp_targetILNS1_3genE4ELNS1_11target_archE910ELNS1_3gpuE8ELNS1_3repE0EEENS1_30default_config_static_selectorELNS0_4arch9wavefront6targetE0EEEvSY_,"axG",@progbits,_ZN7rocprim17ROCPRIM_400000_NS6detail17trampoline_kernelINS0_14default_configENS1_29binary_search_config_selectorIjiEEZNS1_14transform_implILb0ES3_S5_N6thrust23THRUST_200600_302600_NS6detail15normal_iteratorINS8_7pointerIjNS8_11hip_rocprim5par_tENS8_11use_defaultESE_EEEENSA_INSB_IiSD_SE_SE_EEEEZNS1_13binary_searchIS3_S5_NSA_INS8_10device_ptrIjEEEESG_SI_NS1_16binary_search_opENS9_16wrapped_functionINS8_6system6detail7generic6detail18binary_search_lessEbEEEE10hipError_tPvRmT1_T2_T3_mmT4_T5_P12ihipStream_tbEUlRKjE_EESV_SZ_S10_mS11_S14_bEUlT_E_NS1_11comp_targetILNS1_3genE4ELNS1_11target_archE910ELNS1_3gpuE8ELNS1_3repE0EEENS1_30default_config_static_selectorELNS0_4arch9wavefront6targetE0EEEvSY_,comdat
.Lfunc_end673:
	.size	_ZN7rocprim17ROCPRIM_400000_NS6detail17trampoline_kernelINS0_14default_configENS1_29binary_search_config_selectorIjiEEZNS1_14transform_implILb0ES3_S5_N6thrust23THRUST_200600_302600_NS6detail15normal_iteratorINS8_7pointerIjNS8_11hip_rocprim5par_tENS8_11use_defaultESE_EEEENSA_INSB_IiSD_SE_SE_EEEEZNS1_13binary_searchIS3_S5_NSA_INS8_10device_ptrIjEEEESG_SI_NS1_16binary_search_opENS9_16wrapped_functionINS8_6system6detail7generic6detail18binary_search_lessEbEEEE10hipError_tPvRmT1_T2_T3_mmT4_T5_P12ihipStream_tbEUlRKjE_EESV_SZ_S10_mS11_S14_bEUlT_E_NS1_11comp_targetILNS1_3genE4ELNS1_11target_archE910ELNS1_3gpuE8ELNS1_3repE0EEENS1_30default_config_static_selectorELNS0_4arch9wavefront6targetE0EEEvSY_, .Lfunc_end673-_ZN7rocprim17ROCPRIM_400000_NS6detail17trampoline_kernelINS0_14default_configENS1_29binary_search_config_selectorIjiEEZNS1_14transform_implILb0ES3_S5_N6thrust23THRUST_200600_302600_NS6detail15normal_iteratorINS8_7pointerIjNS8_11hip_rocprim5par_tENS8_11use_defaultESE_EEEENSA_INSB_IiSD_SE_SE_EEEEZNS1_13binary_searchIS3_S5_NSA_INS8_10device_ptrIjEEEESG_SI_NS1_16binary_search_opENS9_16wrapped_functionINS8_6system6detail7generic6detail18binary_search_lessEbEEEE10hipError_tPvRmT1_T2_T3_mmT4_T5_P12ihipStream_tbEUlRKjE_EESV_SZ_S10_mS11_S14_bEUlT_E_NS1_11comp_targetILNS1_3genE4ELNS1_11target_archE910ELNS1_3gpuE8ELNS1_3repE0EEENS1_30default_config_static_selectorELNS0_4arch9wavefront6targetE0EEEvSY_
                                        ; -- End function
	.set _ZN7rocprim17ROCPRIM_400000_NS6detail17trampoline_kernelINS0_14default_configENS1_29binary_search_config_selectorIjiEEZNS1_14transform_implILb0ES3_S5_N6thrust23THRUST_200600_302600_NS6detail15normal_iteratorINS8_7pointerIjNS8_11hip_rocprim5par_tENS8_11use_defaultESE_EEEENSA_INSB_IiSD_SE_SE_EEEEZNS1_13binary_searchIS3_S5_NSA_INS8_10device_ptrIjEEEESG_SI_NS1_16binary_search_opENS9_16wrapped_functionINS8_6system6detail7generic6detail18binary_search_lessEbEEEE10hipError_tPvRmT1_T2_T3_mmT4_T5_P12ihipStream_tbEUlRKjE_EESV_SZ_S10_mS11_S14_bEUlT_E_NS1_11comp_targetILNS1_3genE4ELNS1_11target_archE910ELNS1_3gpuE8ELNS1_3repE0EEENS1_30default_config_static_selectorELNS0_4arch9wavefront6targetE0EEEvSY_.num_vgpr, 0
	.set _ZN7rocprim17ROCPRIM_400000_NS6detail17trampoline_kernelINS0_14default_configENS1_29binary_search_config_selectorIjiEEZNS1_14transform_implILb0ES3_S5_N6thrust23THRUST_200600_302600_NS6detail15normal_iteratorINS8_7pointerIjNS8_11hip_rocprim5par_tENS8_11use_defaultESE_EEEENSA_INSB_IiSD_SE_SE_EEEEZNS1_13binary_searchIS3_S5_NSA_INS8_10device_ptrIjEEEESG_SI_NS1_16binary_search_opENS9_16wrapped_functionINS8_6system6detail7generic6detail18binary_search_lessEbEEEE10hipError_tPvRmT1_T2_T3_mmT4_T5_P12ihipStream_tbEUlRKjE_EESV_SZ_S10_mS11_S14_bEUlT_E_NS1_11comp_targetILNS1_3genE4ELNS1_11target_archE910ELNS1_3gpuE8ELNS1_3repE0EEENS1_30default_config_static_selectorELNS0_4arch9wavefront6targetE0EEEvSY_.num_agpr, 0
	.set _ZN7rocprim17ROCPRIM_400000_NS6detail17trampoline_kernelINS0_14default_configENS1_29binary_search_config_selectorIjiEEZNS1_14transform_implILb0ES3_S5_N6thrust23THRUST_200600_302600_NS6detail15normal_iteratorINS8_7pointerIjNS8_11hip_rocprim5par_tENS8_11use_defaultESE_EEEENSA_INSB_IiSD_SE_SE_EEEEZNS1_13binary_searchIS3_S5_NSA_INS8_10device_ptrIjEEEESG_SI_NS1_16binary_search_opENS9_16wrapped_functionINS8_6system6detail7generic6detail18binary_search_lessEbEEEE10hipError_tPvRmT1_T2_T3_mmT4_T5_P12ihipStream_tbEUlRKjE_EESV_SZ_S10_mS11_S14_bEUlT_E_NS1_11comp_targetILNS1_3genE4ELNS1_11target_archE910ELNS1_3gpuE8ELNS1_3repE0EEENS1_30default_config_static_selectorELNS0_4arch9wavefront6targetE0EEEvSY_.numbered_sgpr, 0
	.set _ZN7rocprim17ROCPRIM_400000_NS6detail17trampoline_kernelINS0_14default_configENS1_29binary_search_config_selectorIjiEEZNS1_14transform_implILb0ES3_S5_N6thrust23THRUST_200600_302600_NS6detail15normal_iteratorINS8_7pointerIjNS8_11hip_rocprim5par_tENS8_11use_defaultESE_EEEENSA_INSB_IiSD_SE_SE_EEEEZNS1_13binary_searchIS3_S5_NSA_INS8_10device_ptrIjEEEESG_SI_NS1_16binary_search_opENS9_16wrapped_functionINS8_6system6detail7generic6detail18binary_search_lessEbEEEE10hipError_tPvRmT1_T2_T3_mmT4_T5_P12ihipStream_tbEUlRKjE_EESV_SZ_S10_mS11_S14_bEUlT_E_NS1_11comp_targetILNS1_3genE4ELNS1_11target_archE910ELNS1_3gpuE8ELNS1_3repE0EEENS1_30default_config_static_selectorELNS0_4arch9wavefront6targetE0EEEvSY_.num_named_barrier, 0
	.set _ZN7rocprim17ROCPRIM_400000_NS6detail17trampoline_kernelINS0_14default_configENS1_29binary_search_config_selectorIjiEEZNS1_14transform_implILb0ES3_S5_N6thrust23THRUST_200600_302600_NS6detail15normal_iteratorINS8_7pointerIjNS8_11hip_rocprim5par_tENS8_11use_defaultESE_EEEENSA_INSB_IiSD_SE_SE_EEEEZNS1_13binary_searchIS3_S5_NSA_INS8_10device_ptrIjEEEESG_SI_NS1_16binary_search_opENS9_16wrapped_functionINS8_6system6detail7generic6detail18binary_search_lessEbEEEE10hipError_tPvRmT1_T2_T3_mmT4_T5_P12ihipStream_tbEUlRKjE_EESV_SZ_S10_mS11_S14_bEUlT_E_NS1_11comp_targetILNS1_3genE4ELNS1_11target_archE910ELNS1_3gpuE8ELNS1_3repE0EEENS1_30default_config_static_selectorELNS0_4arch9wavefront6targetE0EEEvSY_.private_seg_size, 0
	.set _ZN7rocprim17ROCPRIM_400000_NS6detail17trampoline_kernelINS0_14default_configENS1_29binary_search_config_selectorIjiEEZNS1_14transform_implILb0ES3_S5_N6thrust23THRUST_200600_302600_NS6detail15normal_iteratorINS8_7pointerIjNS8_11hip_rocprim5par_tENS8_11use_defaultESE_EEEENSA_INSB_IiSD_SE_SE_EEEEZNS1_13binary_searchIS3_S5_NSA_INS8_10device_ptrIjEEEESG_SI_NS1_16binary_search_opENS9_16wrapped_functionINS8_6system6detail7generic6detail18binary_search_lessEbEEEE10hipError_tPvRmT1_T2_T3_mmT4_T5_P12ihipStream_tbEUlRKjE_EESV_SZ_S10_mS11_S14_bEUlT_E_NS1_11comp_targetILNS1_3genE4ELNS1_11target_archE910ELNS1_3gpuE8ELNS1_3repE0EEENS1_30default_config_static_selectorELNS0_4arch9wavefront6targetE0EEEvSY_.uses_vcc, 0
	.set _ZN7rocprim17ROCPRIM_400000_NS6detail17trampoline_kernelINS0_14default_configENS1_29binary_search_config_selectorIjiEEZNS1_14transform_implILb0ES3_S5_N6thrust23THRUST_200600_302600_NS6detail15normal_iteratorINS8_7pointerIjNS8_11hip_rocprim5par_tENS8_11use_defaultESE_EEEENSA_INSB_IiSD_SE_SE_EEEEZNS1_13binary_searchIS3_S5_NSA_INS8_10device_ptrIjEEEESG_SI_NS1_16binary_search_opENS9_16wrapped_functionINS8_6system6detail7generic6detail18binary_search_lessEbEEEE10hipError_tPvRmT1_T2_T3_mmT4_T5_P12ihipStream_tbEUlRKjE_EESV_SZ_S10_mS11_S14_bEUlT_E_NS1_11comp_targetILNS1_3genE4ELNS1_11target_archE910ELNS1_3gpuE8ELNS1_3repE0EEENS1_30default_config_static_selectorELNS0_4arch9wavefront6targetE0EEEvSY_.uses_flat_scratch, 0
	.set _ZN7rocprim17ROCPRIM_400000_NS6detail17trampoline_kernelINS0_14default_configENS1_29binary_search_config_selectorIjiEEZNS1_14transform_implILb0ES3_S5_N6thrust23THRUST_200600_302600_NS6detail15normal_iteratorINS8_7pointerIjNS8_11hip_rocprim5par_tENS8_11use_defaultESE_EEEENSA_INSB_IiSD_SE_SE_EEEEZNS1_13binary_searchIS3_S5_NSA_INS8_10device_ptrIjEEEESG_SI_NS1_16binary_search_opENS9_16wrapped_functionINS8_6system6detail7generic6detail18binary_search_lessEbEEEE10hipError_tPvRmT1_T2_T3_mmT4_T5_P12ihipStream_tbEUlRKjE_EESV_SZ_S10_mS11_S14_bEUlT_E_NS1_11comp_targetILNS1_3genE4ELNS1_11target_archE910ELNS1_3gpuE8ELNS1_3repE0EEENS1_30default_config_static_selectorELNS0_4arch9wavefront6targetE0EEEvSY_.has_dyn_sized_stack, 0
	.set _ZN7rocprim17ROCPRIM_400000_NS6detail17trampoline_kernelINS0_14default_configENS1_29binary_search_config_selectorIjiEEZNS1_14transform_implILb0ES3_S5_N6thrust23THRUST_200600_302600_NS6detail15normal_iteratorINS8_7pointerIjNS8_11hip_rocprim5par_tENS8_11use_defaultESE_EEEENSA_INSB_IiSD_SE_SE_EEEEZNS1_13binary_searchIS3_S5_NSA_INS8_10device_ptrIjEEEESG_SI_NS1_16binary_search_opENS9_16wrapped_functionINS8_6system6detail7generic6detail18binary_search_lessEbEEEE10hipError_tPvRmT1_T2_T3_mmT4_T5_P12ihipStream_tbEUlRKjE_EESV_SZ_S10_mS11_S14_bEUlT_E_NS1_11comp_targetILNS1_3genE4ELNS1_11target_archE910ELNS1_3gpuE8ELNS1_3repE0EEENS1_30default_config_static_selectorELNS0_4arch9wavefront6targetE0EEEvSY_.has_recursion, 0
	.set _ZN7rocprim17ROCPRIM_400000_NS6detail17trampoline_kernelINS0_14default_configENS1_29binary_search_config_selectorIjiEEZNS1_14transform_implILb0ES3_S5_N6thrust23THRUST_200600_302600_NS6detail15normal_iteratorINS8_7pointerIjNS8_11hip_rocprim5par_tENS8_11use_defaultESE_EEEENSA_INSB_IiSD_SE_SE_EEEEZNS1_13binary_searchIS3_S5_NSA_INS8_10device_ptrIjEEEESG_SI_NS1_16binary_search_opENS9_16wrapped_functionINS8_6system6detail7generic6detail18binary_search_lessEbEEEE10hipError_tPvRmT1_T2_T3_mmT4_T5_P12ihipStream_tbEUlRKjE_EESV_SZ_S10_mS11_S14_bEUlT_E_NS1_11comp_targetILNS1_3genE4ELNS1_11target_archE910ELNS1_3gpuE8ELNS1_3repE0EEENS1_30default_config_static_selectorELNS0_4arch9wavefront6targetE0EEEvSY_.has_indirect_call, 0
	.section	.AMDGPU.csdata,"",@progbits
; Kernel info:
; codeLenInByte = 0
; TotalNumSgprs: 0
; NumVgprs: 0
; ScratchSize: 0
; MemoryBound: 0
; FloatMode: 240
; IeeeMode: 1
; LDSByteSize: 0 bytes/workgroup (compile time only)
; SGPRBlocks: 0
; VGPRBlocks: 0
; NumSGPRsForWavesPerEU: 1
; NumVGPRsForWavesPerEU: 1
; Occupancy: 16
; WaveLimiterHint : 0
; COMPUTE_PGM_RSRC2:SCRATCH_EN: 0
; COMPUTE_PGM_RSRC2:USER_SGPR: 6
; COMPUTE_PGM_RSRC2:TRAP_HANDLER: 0
; COMPUTE_PGM_RSRC2:TGID_X_EN: 1
; COMPUTE_PGM_RSRC2:TGID_Y_EN: 0
; COMPUTE_PGM_RSRC2:TGID_Z_EN: 0
; COMPUTE_PGM_RSRC2:TIDIG_COMP_CNT: 0
	.section	.text._ZN7rocprim17ROCPRIM_400000_NS6detail17trampoline_kernelINS0_14default_configENS1_29binary_search_config_selectorIjiEEZNS1_14transform_implILb0ES3_S5_N6thrust23THRUST_200600_302600_NS6detail15normal_iteratorINS8_7pointerIjNS8_11hip_rocprim5par_tENS8_11use_defaultESE_EEEENSA_INSB_IiSD_SE_SE_EEEEZNS1_13binary_searchIS3_S5_NSA_INS8_10device_ptrIjEEEESG_SI_NS1_16binary_search_opENS9_16wrapped_functionINS8_6system6detail7generic6detail18binary_search_lessEbEEEE10hipError_tPvRmT1_T2_T3_mmT4_T5_P12ihipStream_tbEUlRKjE_EESV_SZ_S10_mS11_S14_bEUlT_E_NS1_11comp_targetILNS1_3genE3ELNS1_11target_archE908ELNS1_3gpuE7ELNS1_3repE0EEENS1_30default_config_static_selectorELNS0_4arch9wavefront6targetE0EEEvSY_,"axG",@progbits,_ZN7rocprim17ROCPRIM_400000_NS6detail17trampoline_kernelINS0_14default_configENS1_29binary_search_config_selectorIjiEEZNS1_14transform_implILb0ES3_S5_N6thrust23THRUST_200600_302600_NS6detail15normal_iteratorINS8_7pointerIjNS8_11hip_rocprim5par_tENS8_11use_defaultESE_EEEENSA_INSB_IiSD_SE_SE_EEEEZNS1_13binary_searchIS3_S5_NSA_INS8_10device_ptrIjEEEESG_SI_NS1_16binary_search_opENS9_16wrapped_functionINS8_6system6detail7generic6detail18binary_search_lessEbEEEE10hipError_tPvRmT1_T2_T3_mmT4_T5_P12ihipStream_tbEUlRKjE_EESV_SZ_S10_mS11_S14_bEUlT_E_NS1_11comp_targetILNS1_3genE3ELNS1_11target_archE908ELNS1_3gpuE7ELNS1_3repE0EEENS1_30default_config_static_selectorELNS0_4arch9wavefront6targetE0EEEvSY_,comdat
	.protected	_ZN7rocprim17ROCPRIM_400000_NS6detail17trampoline_kernelINS0_14default_configENS1_29binary_search_config_selectorIjiEEZNS1_14transform_implILb0ES3_S5_N6thrust23THRUST_200600_302600_NS6detail15normal_iteratorINS8_7pointerIjNS8_11hip_rocprim5par_tENS8_11use_defaultESE_EEEENSA_INSB_IiSD_SE_SE_EEEEZNS1_13binary_searchIS3_S5_NSA_INS8_10device_ptrIjEEEESG_SI_NS1_16binary_search_opENS9_16wrapped_functionINS8_6system6detail7generic6detail18binary_search_lessEbEEEE10hipError_tPvRmT1_T2_T3_mmT4_T5_P12ihipStream_tbEUlRKjE_EESV_SZ_S10_mS11_S14_bEUlT_E_NS1_11comp_targetILNS1_3genE3ELNS1_11target_archE908ELNS1_3gpuE7ELNS1_3repE0EEENS1_30default_config_static_selectorELNS0_4arch9wavefront6targetE0EEEvSY_ ; -- Begin function _ZN7rocprim17ROCPRIM_400000_NS6detail17trampoline_kernelINS0_14default_configENS1_29binary_search_config_selectorIjiEEZNS1_14transform_implILb0ES3_S5_N6thrust23THRUST_200600_302600_NS6detail15normal_iteratorINS8_7pointerIjNS8_11hip_rocprim5par_tENS8_11use_defaultESE_EEEENSA_INSB_IiSD_SE_SE_EEEEZNS1_13binary_searchIS3_S5_NSA_INS8_10device_ptrIjEEEESG_SI_NS1_16binary_search_opENS9_16wrapped_functionINS8_6system6detail7generic6detail18binary_search_lessEbEEEE10hipError_tPvRmT1_T2_T3_mmT4_T5_P12ihipStream_tbEUlRKjE_EESV_SZ_S10_mS11_S14_bEUlT_E_NS1_11comp_targetILNS1_3genE3ELNS1_11target_archE908ELNS1_3gpuE7ELNS1_3repE0EEENS1_30default_config_static_selectorELNS0_4arch9wavefront6targetE0EEEvSY_
	.globl	_ZN7rocprim17ROCPRIM_400000_NS6detail17trampoline_kernelINS0_14default_configENS1_29binary_search_config_selectorIjiEEZNS1_14transform_implILb0ES3_S5_N6thrust23THRUST_200600_302600_NS6detail15normal_iteratorINS8_7pointerIjNS8_11hip_rocprim5par_tENS8_11use_defaultESE_EEEENSA_INSB_IiSD_SE_SE_EEEEZNS1_13binary_searchIS3_S5_NSA_INS8_10device_ptrIjEEEESG_SI_NS1_16binary_search_opENS9_16wrapped_functionINS8_6system6detail7generic6detail18binary_search_lessEbEEEE10hipError_tPvRmT1_T2_T3_mmT4_T5_P12ihipStream_tbEUlRKjE_EESV_SZ_S10_mS11_S14_bEUlT_E_NS1_11comp_targetILNS1_3genE3ELNS1_11target_archE908ELNS1_3gpuE7ELNS1_3repE0EEENS1_30default_config_static_selectorELNS0_4arch9wavefront6targetE0EEEvSY_
	.p2align	8
	.type	_ZN7rocprim17ROCPRIM_400000_NS6detail17trampoline_kernelINS0_14default_configENS1_29binary_search_config_selectorIjiEEZNS1_14transform_implILb0ES3_S5_N6thrust23THRUST_200600_302600_NS6detail15normal_iteratorINS8_7pointerIjNS8_11hip_rocprim5par_tENS8_11use_defaultESE_EEEENSA_INSB_IiSD_SE_SE_EEEEZNS1_13binary_searchIS3_S5_NSA_INS8_10device_ptrIjEEEESG_SI_NS1_16binary_search_opENS9_16wrapped_functionINS8_6system6detail7generic6detail18binary_search_lessEbEEEE10hipError_tPvRmT1_T2_T3_mmT4_T5_P12ihipStream_tbEUlRKjE_EESV_SZ_S10_mS11_S14_bEUlT_E_NS1_11comp_targetILNS1_3genE3ELNS1_11target_archE908ELNS1_3gpuE7ELNS1_3repE0EEENS1_30default_config_static_selectorELNS0_4arch9wavefront6targetE0EEEvSY_,@function
_ZN7rocprim17ROCPRIM_400000_NS6detail17trampoline_kernelINS0_14default_configENS1_29binary_search_config_selectorIjiEEZNS1_14transform_implILb0ES3_S5_N6thrust23THRUST_200600_302600_NS6detail15normal_iteratorINS8_7pointerIjNS8_11hip_rocprim5par_tENS8_11use_defaultESE_EEEENSA_INSB_IiSD_SE_SE_EEEEZNS1_13binary_searchIS3_S5_NSA_INS8_10device_ptrIjEEEESG_SI_NS1_16binary_search_opENS9_16wrapped_functionINS8_6system6detail7generic6detail18binary_search_lessEbEEEE10hipError_tPvRmT1_T2_T3_mmT4_T5_P12ihipStream_tbEUlRKjE_EESV_SZ_S10_mS11_S14_bEUlT_E_NS1_11comp_targetILNS1_3genE3ELNS1_11target_archE908ELNS1_3gpuE7ELNS1_3repE0EEENS1_30default_config_static_selectorELNS0_4arch9wavefront6targetE0EEEvSY_: ; @_ZN7rocprim17ROCPRIM_400000_NS6detail17trampoline_kernelINS0_14default_configENS1_29binary_search_config_selectorIjiEEZNS1_14transform_implILb0ES3_S5_N6thrust23THRUST_200600_302600_NS6detail15normal_iteratorINS8_7pointerIjNS8_11hip_rocprim5par_tENS8_11use_defaultESE_EEEENSA_INSB_IiSD_SE_SE_EEEEZNS1_13binary_searchIS3_S5_NSA_INS8_10device_ptrIjEEEESG_SI_NS1_16binary_search_opENS9_16wrapped_functionINS8_6system6detail7generic6detail18binary_search_lessEbEEEE10hipError_tPvRmT1_T2_T3_mmT4_T5_P12ihipStream_tbEUlRKjE_EESV_SZ_S10_mS11_S14_bEUlT_E_NS1_11comp_targetILNS1_3genE3ELNS1_11target_archE908ELNS1_3gpuE7ELNS1_3repE0EEENS1_30default_config_static_selectorELNS0_4arch9wavefront6targetE0EEEvSY_
; %bb.0:
	.section	.rodata,"a",@progbits
	.p2align	6, 0x0
	.amdhsa_kernel _ZN7rocprim17ROCPRIM_400000_NS6detail17trampoline_kernelINS0_14default_configENS1_29binary_search_config_selectorIjiEEZNS1_14transform_implILb0ES3_S5_N6thrust23THRUST_200600_302600_NS6detail15normal_iteratorINS8_7pointerIjNS8_11hip_rocprim5par_tENS8_11use_defaultESE_EEEENSA_INSB_IiSD_SE_SE_EEEEZNS1_13binary_searchIS3_S5_NSA_INS8_10device_ptrIjEEEESG_SI_NS1_16binary_search_opENS9_16wrapped_functionINS8_6system6detail7generic6detail18binary_search_lessEbEEEE10hipError_tPvRmT1_T2_T3_mmT4_T5_P12ihipStream_tbEUlRKjE_EESV_SZ_S10_mS11_S14_bEUlT_E_NS1_11comp_targetILNS1_3genE3ELNS1_11target_archE908ELNS1_3gpuE7ELNS1_3repE0EEENS1_30default_config_static_selectorELNS0_4arch9wavefront6targetE0EEEvSY_
		.amdhsa_group_segment_fixed_size 0
		.amdhsa_private_segment_fixed_size 0
		.amdhsa_kernarg_size 56
		.amdhsa_user_sgpr_count 6
		.amdhsa_user_sgpr_private_segment_buffer 1
		.amdhsa_user_sgpr_dispatch_ptr 0
		.amdhsa_user_sgpr_queue_ptr 0
		.amdhsa_user_sgpr_kernarg_segment_ptr 1
		.amdhsa_user_sgpr_dispatch_id 0
		.amdhsa_user_sgpr_flat_scratch_init 0
		.amdhsa_user_sgpr_private_segment_size 0
		.amdhsa_wavefront_size32 1
		.amdhsa_uses_dynamic_stack 0
		.amdhsa_system_sgpr_private_segment_wavefront_offset 0
		.amdhsa_system_sgpr_workgroup_id_x 1
		.amdhsa_system_sgpr_workgroup_id_y 0
		.amdhsa_system_sgpr_workgroup_id_z 0
		.amdhsa_system_sgpr_workgroup_info 0
		.amdhsa_system_vgpr_workitem_id 0
		.amdhsa_next_free_vgpr 1
		.amdhsa_next_free_sgpr 1
		.amdhsa_reserve_vcc 0
		.amdhsa_reserve_flat_scratch 0
		.amdhsa_float_round_mode_32 0
		.amdhsa_float_round_mode_16_64 0
		.amdhsa_float_denorm_mode_32 3
		.amdhsa_float_denorm_mode_16_64 3
		.amdhsa_dx10_clamp 1
		.amdhsa_ieee_mode 1
		.amdhsa_fp16_overflow 0
		.amdhsa_workgroup_processor_mode 1
		.amdhsa_memory_ordered 1
		.amdhsa_forward_progress 1
		.amdhsa_shared_vgpr_count 0
		.amdhsa_exception_fp_ieee_invalid_op 0
		.amdhsa_exception_fp_denorm_src 0
		.amdhsa_exception_fp_ieee_div_zero 0
		.amdhsa_exception_fp_ieee_overflow 0
		.amdhsa_exception_fp_ieee_underflow 0
		.amdhsa_exception_fp_ieee_inexact 0
		.amdhsa_exception_int_div_zero 0
	.end_amdhsa_kernel
	.section	.text._ZN7rocprim17ROCPRIM_400000_NS6detail17trampoline_kernelINS0_14default_configENS1_29binary_search_config_selectorIjiEEZNS1_14transform_implILb0ES3_S5_N6thrust23THRUST_200600_302600_NS6detail15normal_iteratorINS8_7pointerIjNS8_11hip_rocprim5par_tENS8_11use_defaultESE_EEEENSA_INSB_IiSD_SE_SE_EEEEZNS1_13binary_searchIS3_S5_NSA_INS8_10device_ptrIjEEEESG_SI_NS1_16binary_search_opENS9_16wrapped_functionINS8_6system6detail7generic6detail18binary_search_lessEbEEEE10hipError_tPvRmT1_T2_T3_mmT4_T5_P12ihipStream_tbEUlRKjE_EESV_SZ_S10_mS11_S14_bEUlT_E_NS1_11comp_targetILNS1_3genE3ELNS1_11target_archE908ELNS1_3gpuE7ELNS1_3repE0EEENS1_30default_config_static_selectorELNS0_4arch9wavefront6targetE0EEEvSY_,"axG",@progbits,_ZN7rocprim17ROCPRIM_400000_NS6detail17trampoline_kernelINS0_14default_configENS1_29binary_search_config_selectorIjiEEZNS1_14transform_implILb0ES3_S5_N6thrust23THRUST_200600_302600_NS6detail15normal_iteratorINS8_7pointerIjNS8_11hip_rocprim5par_tENS8_11use_defaultESE_EEEENSA_INSB_IiSD_SE_SE_EEEEZNS1_13binary_searchIS3_S5_NSA_INS8_10device_ptrIjEEEESG_SI_NS1_16binary_search_opENS9_16wrapped_functionINS8_6system6detail7generic6detail18binary_search_lessEbEEEE10hipError_tPvRmT1_T2_T3_mmT4_T5_P12ihipStream_tbEUlRKjE_EESV_SZ_S10_mS11_S14_bEUlT_E_NS1_11comp_targetILNS1_3genE3ELNS1_11target_archE908ELNS1_3gpuE7ELNS1_3repE0EEENS1_30default_config_static_selectorELNS0_4arch9wavefront6targetE0EEEvSY_,comdat
.Lfunc_end674:
	.size	_ZN7rocprim17ROCPRIM_400000_NS6detail17trampoline_kernelINS0_14default_configENS1_29binary_search_config_selectorIjiEEZNS1_14transform_implILb0ES3_S5_N6thrust23THRUST_200600_302600_NS6detail15normal_iteratorINS8_7pointerIjNS8_11hip_rocprim5par_tENS8_11use_defaultESE_EEEENSA_INSB_IiSD_SE_SE_EEEEZNS1_13binary_searchIS3_S5_NSA_INS8_10device_ptrIjEEEESG_SI_NS1_16binary_search_opENS9_16wrapped_functionINS8_6system6detail7generic6detail18binary_search_lessEbEEEE10hipError_tPvRmT1_T2_T3_mmT4_T5_P12ihipStream_tbEUlRKjE_EESV_SZ_S10_mS11_S14_bEUlT_E_NS1_11comp_targetILNS1_3genE3ELNS1_11target_archE908ELNS1_3gpuE7ELNS1_3repE0EEENS1_30default_config_static_selectorELNS0_4arch9wavefront6targetE0EEEvSY_, .Lfunc_end674-_ZN7rocprim17ROCPRIM_400000_NS6detail17trampoline_kernelINS0_14default_configENS1_29binary_search_config_selectorIjiEEZNS1_14transform_implILb0ES3_S5_N6thrust23THRUST_200600_302600_NS6detail15normal_iteratorINS8_7pointerIjNS8_11hip_rocprim5par_tENS8_11use_defaultESE_EEEENSA_INSB_IiSD_SE_SE_EEEEZNS1_13binary_searchIS3_S5_NSA_INS8_10device_ptrIjEEEESG_SI_NS1_16binary_search_opENS9_16wrapped_functionINS8_6system6detail7generic6detail18binary_search_lessEbEEEE10hipError_tPvRmT1_T2_T3_mmT4_T5_P12ihipStream_tbEUlRKjE_EESV_SZ_S10_mS11_S14_bEUlT_E_NS1_11comp_targetILNS1_3genE3ELNS1_11target_archE908ELNS1_3gpuE7ELNS1_3repE0EEENS1_30default_config_static_selectorELNS0_4arch9wavefront6targetE0EEEvSY_
                                        ; -- End function
	.set _ZN7rocprim17ROCPRIM_400000_NS6detail17trampoline_kernelINS0_14default_configENS1_29binary_search_config_selectorIjiEEZNS1_14transform_implILb0ES3_S5_N6thrust23THRUST_200600_302600_NS6detail15normal_iteratorINS8_7pointerIjNS8_11hip_rocprim5par_tENS8_11use_defaultESE_EEEENSA_INSB_IiSD_SE_SE_EEEEZNS1_13binary_searchIS3_S5_NSA_INS8_10device_ptrIjEEEESG_SI_NS1_16binary_search_opENS9_16wrapped_functionINS8_6system6detail7generic6detail18binary_search_lessEbEEEE10hipError_tPvRmT1_T2_T3_mmT4_T5_P12ihipStream_tbEUlRKjE_EESV_SZ_S10_mS11_S14_bEUlT_E_NS1_11comp_targetILNS1_3genE3ELNS1_11target_archE908ELNS1_3gpuE7ELNS1_3repE0EEENS1_30default_config_static_selectorELNS0_4arch9wavefront6targetE0EEEvSY_.num_vgpr, 0
	.set _ZN7rocprim17ROCPRIM_400000_NS6detail17trampoline_kernelINS0_14default_configENS1_29binary_search_config_selectorIjiEEZNS1_14transform_implILb0ES3_S5_N6thrust23THRUST_200600_302600_NS6detail15normal_iteratorINS8_7pointerIjNS8_11hip_rocprim5par_tENS8_11use_defaultESE_EEEENSA_INSB_IiSD_SE_SE_EEEEZNS1_13binary_searchIS3_S5_NSA_INS8_10device_ptrIjEEEESG_SI_NS1_16binary_search_opENS9_16wrapped_functionINS8_6system6detail7generic6detail18binary_search_lessEbEEEE10hipError_tPvRmT1_T2_T3_mmT4_T5_P12ihipStream_tbEUlRKjE_EESV_SZ_S10_mS11_S14_bEUlT_E_NS1_11comp_targetILNS1_3genE3ELNS1_11target_archE908ELNS1_3gpuE7ELNS1_3repE0EEENS1_30default_config_static_selectorELNS0_4arch9wavefront6targetE0EEEvSY_.num_agpr, 0
	.set _ZN7rocprim17ROCPRIM_400000_NS6detail17trampoline_kernelINS0_14default_configENS1_29binary_search_config_selectorIjiEEZNS1_14transform_implILb0ES3_S5_N6thrust23THRUST_200600_302600_NS6detail15normal_iteratorINS8_7pointerIjNS8_11hip_rocprim5par_tENS8_11use_defaultESE_EEEENSA_INSB_IiSD_SE_SE_EEEEZNS1_13binary_searchIS3_S5_NSA_INS8_10device_ptrIjEEEESG_SI_NS1_16binary_search_opENS9_16wrapped_functionINS8_6system6detail7generic6detail18binary_search_lessEbEEEE10hipError_tPvRmT1_T2_T3_mmT4_T5_P12ihipStream_tbEUlRKjE_EESV_SZ_S10_mS11_S14_bEUlT_E_NS1_11comp_targetILNS1_3genE3ELNS1_11target_archE908ELNS1_3gpuE7ELNS1_3repE0EEENS1_30default_config_static_selectorELNS0_4arch9wavefront6targetE0EEEvSY_.numbered_sgpr, 0
	.set _ZN7rocprim17ROCPRIM_400000_NS6detail17trampoline_kernelINS0_14default_configENS1_29binary_search_config_selectorIjiEEZNS1_14transform_implILb0ES3_S5_N6thrust23THRUST_200600_302600_NS6detail15normal_iteratorINS8_7pointerIjNS8_11hip_rocprim5par_tENS8_11use_defaultESE_EEEENSA_INSB_IiSD_SE_SE_EEEEZNS1_13binary_searchIS3_S5_NSA_INS8_10device_ptrIjEEEESG_SI_NS1_16binary_search_opENS9_16wrapped_functionINS8_6system6detail7generic6detail18binary_search_lessEbEEEE10hipError_tPvRmT1_T2_T3_mmT4_T5_P12ihipStream_tbEUlRKjE_EESV_SZ_S10_mS11_S14_bEUlT_E_NS1_11comp_targetILNS1_3genE3ELNS1_11target_archE908ELNS1_3gpuE7ELNS1_3repE0EEENS1_30default_config_static_selectorELNS0_4arch9wavefront6targetE0EEEvSY_.num_named_barrier, 0
	.set _ZN7rocprim17ROCPRIM_400000_NS6detail17trampoline_kernelINS0_14default_configENS1_29binary_search_config_selectorIjiEEZNS1_14transform_implILb0ES3_S5_N6thrust23THRUST_200600_302600_NS6detail15normal_iteratorINS8_7pointerIjNS8_11hip_rocprim5par_tENS8_11use_defaultESE_EEEENSA_INSB_IiSD_SE_SE_EEEEZNS1_13binary_searchIS3_S5_NSA_INS8_10device_ptrIjEEEESG_SI_NS1_16binary_search_opENS9_16wrapped_functionINS8_6system6detail7generic6detail18binary_search_lessEbEEEE10hipError_tPvRmT1_T2_T3_mmT4_T5_P12ihipStream_tbEUlRKjE_EESV_SZ_S10_mS11_S14_bEUlT_E_NS1_11comp_targetILNS1_3genE3ELNS1_11target_archE908ELNS1_3gpuE7ELNS1_3repE0EEENS1_30default_config_static_selectorELNS0_4arch9wavefront6targetE0EEEvSY_.private_seg_size, 0
	.set _ZN7rocprim17ROCPRIM_400000_NS6detail17trampoline_kernelINS0_14default_configENS1_29binary_search_config_selectorIjiEEZNS1_14transform_implILb0ES3_S5_N6thrust23THRUST_200600_302600_NS6detail15normal_iteratorINS8_7pointerIjNS8_11hip_rocprim5par_tENS8_11use_defaultESE_EEEENSA_INSB_IiSD_SE_SE_EEEEZNS1_13binary_searchIS3_S5_NSA_INS8_10device_ptrIjEEEESG_SI_NS1_16binary_search_opENS9_16wrapped_functionINS8_6system6detail7generic6detail18binary_search_lessEbEEEE10hipError_tPvRmT1_T2_T3_mmT4_T5_P12ihipStream_tbEUlRKjE_EESV_SZ_S10_mS11_S14_bEUlT_E_NS1_11comp_targetILNS1_3genE3ELNS1_11target_archE908ELNS1_3gpuE7ELNS1_3repE0EEENS1_30default_config_static_selectorELNS0_4arch9wavefront6targetE0EEEvSY_.uses_vcc, 0
	.set _ZN7rocprim17ROCPRIM_400000_NS6detail17trampoline_kernelINS0_14default_configENS1_29binary_search_config_selectorIjiEEZNS1_14transform_implILb0ES3_S5_N6thrust23THRUST_200600_302600_NS6detail15normal_iteratorINS8_7pointerIjNS8_11hip_rocprim5par_tENS8_11use_defaultESE_EEEENSA_INSB_IiSD_SE_SE_EEEEZNS1_13binary_searchIS3_S5_NSA_INS8_10device_ptrIjEEEESG_SI_NS1_16binary_search_opENS9_16wrapped_functionINS8_6system6detail7generic6detail18binary_search_lessEbEEEE10hipError_tPvRmT1_T2_T3_mmT4_T5_P12ihipStream_tbEUlRKjE_EESV_SZ_S10_mS11_S14_bEUlT_E_NS1_11comp_targetILNS1_3genE3ELNS1_11target_archE908ELNS1_3gpuE7ELNS1_3repE0EEENS1_30default_config_static_selectorELNS0_4arch9wavefront6targetE0EEEvSY_.uses_flat_scratch, 0
	.set _ZN7rocprim17ROCPRIM_400000_NS6detail17trampoline_kernelINS0_14default_configENS1_29binary_search_config_selectorIjiEEZNS1_14transform_implILb0ES3_S5_N6thrust23THRUST_200600_302600_NS6detail15normal_iteratorINS8_7pointerIjNS8_11hip_rocprim5par_tENS8_11use_defaultESE_EEEENSA_INSB_IiSD_SE_SE_EEEEZNS1_13binary_searchIS3_S5_NSA_INS8_10device_ptrIjEEEESG_SI_NS1_16binary_search_opENS9_16wrapped_functionINS8_6system6detail7generic6detail18binary_search_lessEbEEEE10hipError_tPvRmT1_T2_T3_mmT4_T5_P12ihipStream_tbEUlRKjE_EESV_SZ_S10_mS11_S14_bEUlT_E_NS1_11comp_targetILNS1_3genE3ELNS1_11target_archE908ELNS1_3gpuE7ELNS1_3repE0EEENS1_30default_config_static_selectorELNS0_4arch9wavefront6targetE0EEEvSY_.has_dyn_sized_stack, 0
	.set _ZN7rocprim17ROCPRIM_400000_NS6detail17trampoline_kernelINS0_14default_configENS1_29binary_search_config_selectorIjiEEZNS1_14transform_implILb0ES3_S5_N6thrust23THRUST_200600_302600_NS6detail15normal_iteratorINS8_7pointerIjNS8_11hip_rocprim5par_tENS8_11use_defaultESE_EEEENSA_INSB_IiSD_SE_SE_EEEEZNS1_13binary_searchIS3_S5_NSA_INS8_10device_ptrIjEEEESG_SI_NS1_16binary_search_opENS9_16wrapped_functionINS8_6system6detail7generic6detail18binary_search_lessEbEEEE10hipError_tPvRmT1_T2_T3_mmT4_T5_P12ihipStream_tbEUlRKjE_EESV_SZ_S10_mS11_S14_bEUlT_E_NS1_11comp_targetILNS1_3genE3ELNS1_11target_archE908ELNS1_3gpuE7ELNS1_3repE0EEENS1_30default_config_static_selectorELNS0_4arch9wavefront6targetE0EEEvSY_.has_recursion, 0
	.set _ZN7rocprim17ROCPRIM_400000_NS6detail17trampoline_kernelINS0_14default_configENS1_29binary_search_config_selectorIjiEEZNS1_14transform_implILb0ES3_S5_N6thrust23THRUST_200600_302600_NS6detail15normal_iteratorINS8_7pointerIjNS8_11hip_rocprim5par_tENS8_11use_defaultESE_EEEENSA_INSB_IiSD_SE_SE_EEEEZNS1_13binary_searchIS3_S5_NSA_INS8_10device_ptrIjEEEESG_SI_NS1_16binary_search_opENS9_16wrapped_functionINS8_6system6detail7generic6detail18binary_search_lessEbEEEE10hipError_tPvRmT1_T2_T3_mmT4_T5_P12ihipStream_tbEUlRKjE_EESV_SZ_S10_mS11_S14_bEUlT_E_NS1_11comp_targetILNS1_3genE3ELNS1_11target_archE908ELNS1_3gpuE7ELNS1_3repE0EEENS1_30default_config_static_selectorELNS0_4arch9wavefront6targetE0EEEvSY_.has_indirect_call, 0
	.section	.AMDGPU.csdata,"",@progbits
; Kernel info:
; codeLenInByte = 0
; TotalNumSgprs: 0
; NumVgprs: 0
; ScratchSize: 0
; MemoryBound: 0
; FloatMode: 240
; IeeeMode: 1
; LDSByteSize: 0 bytes/workgroup (compile time only)
; SGPRBlocks: 0
; VGPRBlocks: 0
; NumSGPRsForWavesPerEU: 1
; NumVGPRsForWavesPerEU: 1
; Occupancy: 16
; WaveLimiterHint : 0
; COMPUTE_PGM_RSRC2:SCRATCH_EN: 0
; COMPUTE_PGM_RSRC2:USER_SGPR: 6
; COMPUTE_PGM_RSRC2:TRAP_HANDLER: 0
; COMPUTE_PGM_RSRC2:TGID_X_EN: 1
; COMPUTE_PGM_RSRC2:TGID_Y_EN: 0
; COMPUTE_PGM_RSRC2:TGID_Z_EN: 0
; COMPUTE_PGM_RSRC2:TIDIG_COMP_CNT: 0
	.section	.text._ZN7rocprim17ROCPRIM_400000_NS6detail17trampoline_kernelINS0_14default_configENS1_29binary_search_config_selectorIjiEEZNS1_14transform_implILb0ES3_S5_N6thrust23THRUST_200600_302600_NS6detail15normal_iteratorINS8_7pointerIjNS8_11hip_rocprim5par_tENS8_11use_defaultESE_EEEENSA_INSB_IiSD_SE_SE_EEEEZNS1_13binary_searchIS3_S5_NSA_INS8_10device_ptrIjEEEESG_SI_NS1_16binary_search_opENS9_16wrapped_functionINS8_6system6detail7generic6detail18binary_search_lessEbEEEE10hipError_tPvRmT1_T2_T3_mmT4_T5_P12ihipStream_tbEUlRKjE_EESV_SZ_S10_mS11_S14_bEUlT_E_NS1_11comp_targetILNS1_3genE2ELNS1_11target_archE906ELNS1_3gpuE6ELNS1_3repE0EEENS1_30default_config_static_selectorELNS0_4arch9wavefront6targetE0EEEvSY_,"axG",@progbits,_ZN7rocprim17ROCPRIM_400000_NS6detail17trampoline_kernelINS0_14default_configENS1_29binary_search_config_selectorIjiEEZNS1_14transform_implILb0ES3_S5_N6thrust23THRUST_200600_302600_NS6detail15normal_iteratorINS8_7pointerIjNS8_11hip_rocprim5par_tENS8_11use_defaultESE_EEEENSA_INSB_IiSD_SE_SE_EEEEZNS1_13binary_searchIS3_S5_NSA_INS8_10device_ptrIjEEEESG_SI_NS1_16binary_search_opENS9_16wrapped_functionINS8_6system6detail7generic6detail18binary_search_lessEbEEEE10hipError_tPvRmT1_T2_T3_mmT4_T5_P12ihipStream_tbEUlRKjE_EESV_SZ_S10_mS11_S14_bEUlT_E_NS1_11comp_targetILNS1_3genE2ELNS1_11target_archE906ELNS1_3gpuE6ELNS1_3repE0EEENS1_30default_config_static_selectorELNS0_4arch9wavefront6targetE0EEEvSY_,comdat
	.protected	_ZN7rocprim17ROCPRIM_400000_NS6detail17trampoline_kernelINS0_14default_configENS1_29binary_search_config_selectorIjiEEZNS1_14transform_implILb0ES3_S5_N6thrust23THRUST_200600_302600_NS6detail15normal_iteratorINS8_7pointerIjNS8_11hip_rocprim5par_tENS8_11use_defaultESE_EEEENSA_INSB_IiSD_SE_SE_EEEEZNS1_13binary_searchIS3_S5_NSA_INS8_10device_ptrIjEEEESG_SI_NS1_16binary_search_opENS9_16wrapped_functionINS8_6system6detail7generic6detail18binary_search_lessEbEEEE10hipError_tPvRmT1_T2_T3_mmT4_T5_P12ihipStream_tbEUlRKjE_EESV_SZ_S10_mS11_S14_bEUlT_E_NS1_11comp_targetILNS1_3genE2ELNS1_11target_archE906ELNS1_3gpuE6ELNS1_3repE0EEENS1_30default_config_static_selectorELNS0_4arch9wavefront6targetE0EEEvSY_ ; -- Begin function _ZN7rocprim17ROCPRIM_400000_NS6detail17trampoline_kernelINS0_14default_configENS1_29binary_search_config_selectorIjiEEZNS1_14transform_implILb0ES3_S5_N6thrust23THRUST_200600_302600_NS6detail15normal_iteratorINS8_7pointerIjNS8_11hip_rocprim5par_tENS8_11use_defaultESE_EEEENSA_INSB_IiSD_SE_SE_EEEEZNS1_13binary_searchIS3_S5_NSA_INS8_10device_ptrIjEEEESG_SI_NS1_16binary_search_opENS9_16wrapped_functionINS8_6system6detail7generic6detail18binary_search_lessEbEEEE10hipError_tPvRmT1_T2_T3_mmT4_T5_P12ihipStream_tbEUlRKjE_EESV_SZ_S10_mS11_S14_bEUlT_E_NS1_11comp_targetILNS1_3genE2ELNS1_11target_archE906ELNS1_3gpuE6ELNS1_3repE0EEENS1_30default_config_static_selectorELNS0_4arch9wavefront6targetE0EEEvSY_
	.globl	_ZN7rocprim17ROCPRIM_400000_NS6detail17trampoline_kernelINS0_14default_configENS1_29binary_search_config_selectorIjiEEZNS1_14transform_implILb0ES3_S5_N6thrust23THRUST_200600_302600_NS6detail15normal_iteratorINS8_7pointerIjNS8_11hip_rocprim5par_tENS8_11use_defaultESE_EEEENSA_INSB_IiSD_SE_SE_EEEEZNS1_13binary_searchIS3_S5_NSA_INS8_10device_ptrIjEEEESG_SI_NS1_16binary_search_opENS9_16wrapped_functionINS8_6system6detail7generic6detail18binary_search_lessEbEEEE10hipError_tPvRmT1_T2_T3_mmT4_T5_P12ihipStream_tbEUlRKjE_EESV_SZ_S10_mS11_S14_bEUlT_E_NS1_11comp_targetILNS1_3genE2ELNS1_11target_archE906ELNS1_3gpuE6ELNS1_3repE0EEENS1_30default_config_static_selectorELNS0_4arch9wavefront6targetE0EEEvSY_
	.p2align	8
	.type	_ZN7rocprim17ROCPRIM_400000_NS6detail17trampoline_kernelINS0_14default_configENS1_29binary_search_config_selectorIjiEEZNS1_14transform_implILb0ES3_S5_N6thrust23THRUST_200600_302600_NS6detail15normal_iteratorINS8_7pointerIjNS8_11hip_rocprim5par_tENS8_11use_defaultESE_EEEENSA_INSB_IiSD_SE_SE_EEEEZNS1_13binary_searchIS3_S5_NSA_INS8_10device_ptrIjEEEESG_SI_NS1_16binary_search_opENS9_16wrapped_functionINS8_6system6detail7generic6detail18binary_search_lessEbEEEE10hipError_tPvRmT1_T2_T3_mmT4_T5_P12ihipStream_tbEUlRKjE_EESV_SZ_S10_mS11_S14_bEUlT_E_NS1_11comp_targetILNS1_3genE2ELNS1_11target_archE906ELNS1_3gpuE6ELNS1_3repE0EEENS1_30default_config_static_selectorELNS0_4arch9wavefront6targetE0EEEvSY_,@function
_ZN7rocprim17ROCPRIM_400000_NS6detail17trampoline_kernelINS0_14default_configENS1_29binary_search_config_selectorIjiEEZNS1_14transform_implILb0ES3_S5_N6thrust23THRUST_200600_302600_NS6detail15normal_iteratorINS8_7pointerIjNS8_11hip_rocprim5par_tENS8_11use_defaultESE_EEEENSA_INSB_IiSD_SE_SE_EEEEZNS1_13binary_searchIS3_S5_NSA_INS8_10device_ptrIjEEEESG_SI_NS1_16binary_search_opENS9_16wrapped_functionINS8_6system6detail7generic6detail18binary_search_lessEbEEEE10hipError_tPvRmT1_T2_T3_mmT4_T5_P12ihipStream_tbEUlRKjE_EESV_SZ_S10_mS11_S14_bEUlT_E_NS1_11comp_targetILNS1_3genE2ELNS1_11target_archE906ELNS1_3gpuE6ELNS1_3repE0EEENS1_30default_config_static_selectorELNS0_4arch9wavefront6targetE0EEEvSY_: ; @_ZN7rocprim17ROCPRIM_400000_NS6detail17trampoline_kernelINS0_14default_configENS1_29binary_search_config_selectorIjiEEZNS1_14transform_implILb0ES3_S5_N6thrust23THRUST_200600_302600_NS6detail15normal_iteratorINS8_7pointerIjNS8_11hip_rocprim5par_tENS8_11use_defaultESE_EEEENSA_INSB_IiSD_SE_SE_EEEEZNS1_13binary_searchIS3_S5_NSA_INS8_10device_ptrIjEEEESG_SI_NS1_16binary_search_opENS9_16wrapped_functionINS8_6system6detail7generic6detail18binary_search_lessEbEEEE10hipError_tPvRmT1_T2_T3_mmT4_T5_P12ihipStream_tbEUlRKjE_EESV_SZ_S10_mS11_S14_bEUlT_E_NS1_11comp_targetILNS1_3genE2ELNS1_11target_archE906ELNS1_3gpuE6ELNS1_3repE0EEENS1_30default_config_static_selectorELNS0_4arch9wavefront6targetE0EEEvSY_
; %bb.0:
	.section	.rodata,"a",@progbits
	.p2align	6, 0x0
	.amdhsa_kernel _ZN7rocprim17ROCPRIM_400000_NS6detail17trampoline_kernelINS0_14default_configENS1_29binary_search_config_selectorIjiEEZNS1_14transform_implILb0ES3_S5_N6thrust23THRUST_200600_302600_NS6detail15normal_iteratorINS8_7pointerIjNS8_11hip_rocprim5par_tENS8_11use_defaultESE_EEEENSA_INSB_IiSD_SE_SE_EEEEZNS1_13binary_searchIS3_S5_NSA_INS8_10device_ptrIjEEEESG_SI_NS1_16binary_search_opENS9_16wrapped_functionINS8_6system6detail7generic6detail18binary_search_lessEbEEEE10hipError_tPvRmT1_T2_T3_mmT4_T5_P12ihipStream_tbEUlRKjE_EESV_SZ_S10_mS11_S14_bEUlT_E_NS1_11comp_targetILNS1_3genE2ELNS1_11target_archE906ELNS1_3gpuE6ELNS1_3repE0EEENS1_30default_config_static_selectorELNS0_4arch9wavefront6targetE0EEEvSY_
		.amdhsa_group_segment_fixed_size 0
		.amdhsa_private_segment_fixed_size 0
		.amdhsa_kernarg_size 56
		.amdhsa_user_sgpr_count 6
		.amdhsa_user_sgpr_private_segment_buffer 1
		.amdhsa_user_sgpr_dispatch_ptr 0
		.amdhsa_user_sgpr_queue_ptr 0
		.amdhsa_user_sgpr_kernarg_segment_ptr 1
		.amdhsa_user_sgpr_dispatch_id 0
		.amdhsa_user_sgpr_flat_scratch_init 0
		.amdhsa_user_sgpr_private_segment_size 0
		.amdhsa_wavefront_size32 1
		.amdhsa_uses_dynamic_stack 0
		.amdhsa_system_sgpr_private_segment_wavefront_offset 0
		.amdhsa_system_sgpr_workgroup_id_x 1
		.amdhsa_system_sgpr_workgroup_id_y 0
		.amdhsa_system_sgpr_workgroup_id_z 0
		.amdhsa_system_sgpr_workgroup_info 0
		.amdhsa_system_vgpr_workitem_id 0
		.amdhsa_next_free_vgpr 1
		.amdhsa_next_free_sgpr 1
		.amdhsa_reserve_vcc 0
		.amdhsa_reserve_flat_scratch 0
		.amdhsa_float_round_mode_32 0
		.amdhsa_float_round_mode_16_64 0
		.amdhsa_float_denorm_mode_32 3
		.amdhsa_float_denorm_mode_16_64 3
		.amdhsa_dx10_clamp 1
		.amdhsa_ieee_mode 1
		.amdhsa_fp16_overflow 0
		.amdhsa_workgroup_processor_mode 1
		.amdhsa_memory_ordered 1
		.amdhsa_forward_progress 1
		.amdhsa_shared_vgpr_count 0
		.amdhsa_exception_fp_ieee_invalid_op 0
		.amdhsa_exception_fp_denorm_src 0
		.amdhsa_exception_fp_ieee_div_zero 0
		.amdhsa_exception_fp_ieee_overflow 0
		.amdhsa_exception_fp_ieee_underflow 0
		.amdhsa_exception_fp_ieee_inexact 0
		.amdhsa_exception_int_div_zero 0
	.end_amdhsa_kernel
	.section	.text._ZN7rocprim17ROCPRIM_400000_NS6detail17trampoline_kernelINS0_14default_configENS1_29binary_search_config_selectorIjiEEZNS1_14transform_implILb0ES3_S5_N6thrust23THRUST_200600_302600_NS6detail15normal_iteratorINS8_7pointerIjNS8_11hip_rocprim5par_tENS8_11use_defaultESE_EEEENSA_INSB_IiSD_SE_SE_EEEEZNS1_13binary_searchIS3_S5_NSA_INS8_10device_ptrIjEEEESG_SI_NS1_16binary_search_opENS9_16wrapped_functionINS8_6system6detail7generic6detail18binary_search_lessEbEEEE10hipError_tPvRmT1_T2_T3_mmT4_T5_P12ihipStream_tbEUlRKjE_EESV_SZ_S10_mS11_S14_bEUlT_E_NS1_11comp_targetILNS1_3genE2ELNS1_11target_archE906ELNS1_3gpuE6ELNS1_3repE0EEENS1_30default_config_static_selectorELNS0_4arch9wavefront6targetE0EEEvSY_,"axG",@progbits,_ZN7rocprim17ROCPRIM_400000_NS6detail17trampoline_kernelINS0_14default_configENS1_29binary_search_config_selectorIjiEEZNS1_14transform_implILb0ES3_S5_N6thrust23THRUST_200600_302600_NS6detail15normal_iteratorINS8_7pointerIjNS8_11hip_rocprim5par_tENS8_11use_defaultESE_EEEENSA_INSB_IiSD_SE_SE_EEEEZNS1_13binary_searchIS3_S5_NSA_INS8_10device_ptrIjEEEESG_SI_NS1_16binary_search_opENS9_16wrapped_functionINS8_6system6detail7generic6detail18binary_search_lessEbEEEE10hipError_tPvRmT1_T2_T3_mmT4_T5_P12ihipStream_tbEUlRKjE_EESV_SZ_S10_mS11_S14_bEUlT_E_NS1_11comp_targetILNS1_3genE2ELNS1_11target_archE906ELNS1_3gpuE6ELNS1_3repE0EEENS1_30default_config_static_selectorELNS0_4arch9wavefront6targetE0EEEvSY_,comdat
.Lfunc_end675:
	.size	_ZN7rocprim17ROCPRIM_400000_NS6detail17trampoline_kernelINS0_14default_configENS1_29binary_search_config_selectorIjiEEZNS1_14transform_implILb0ES3_S5_N6thrust23THRUST_200600_302600_NS6detail15normal_iteratorINS8_7pointerIjNS8_11hip_rocprim5par_tENS8_11use_defaultESE_EEEENSA_INSB_IiSD_SE_SE_EEEEZNS1_13binary_searchIS3_S5_NSA_INS8_10device_ptrIjEEEESG_SI_NS1_16binary_search_opENS9_16wrapped_functionINS8_6system6detail7generic6detail18binary_search_lessEbEEEE10hipError_tPvRmT1_T2_T3_mmT4_T5_P12ihipStream_tbEUlRKjE_EESV_SZ_S10_mS11_S14_bEUlT_E_NS1_11comp_targetILNS1_3genE2ELNS1_11target_archE906ELNS1_3gpuE6ELNS1_3repE0EEENS1_30default_config_static_selectorELNS0_4arch9wavefront6targetE0EEEvSY_, .Lfunc_end675-_ZN7rocprim17ROCPRIM_400000_NS6detail17trampoline_kernelINS0_14default_configENS1_29binary_search_config_selectorIjiEEZNS1_14transform_implILb0ES3_S5_N6thrust23THRUST_200600_302600_NS6detail15normal_iteratorINS8_7pointerIjNS8_11hip_rocprim5par_tENS8_11use_defaultESE_EEEENSA_INSB_IiSD_SE_SE_EEEEZNS1_13binary_searchIS3_S5_NSA_INS8_10device_ptrIjEEEESG_SI_NS1_16binary_search_opENS9_16wrapped_functionINS8_6system6detail7generic6detail18binary_search_lessEbEEEE10hipError_tPvRmT1_T2_T3_mmT4_T5_P12ihipStream_tbEUlRKjE_EESV_SZ_S10_mS11_S14_bEUlT_E_NS1_11comp_targetILNS1_3genE2ELNS1_11target_archE906ELNS1_3gpuE6ELNS1_3repE0EEENS1_30default_config_static_selectorELNS0_4arch9wavefront6targetE0EEEvSY_
                                        ; -- End function
	.set _ZN7rocprim17ROCPRIM_400000_NS6detail17trampoline_kernelINS0_14default_configENS1_29binary_search_config_selectorIjiEEZNS1_14transform_implILb0ES3_S5_N6thrust23THRUST_200600_302600_NS6detail15normal_iteratorINS8_7pointerIjNS8_11hip_rocprim5par_tENS8_11use_defaultESE_EEEENSA_INSB_IiSD_SE_SE_EEEEZNS1_13binary_searchIS3_S5_NSA_INS8_10device_ptrIjEEEESG_SI_NS1_16binary_search_opENS9_16wrapped_functionINS8_6system6detail7generic6detail18binary_search_lessEbEEEE10hipError_tPvRmT1_T2_T3_mmT4_T5_P12ihipStream_tbEUlRKjE_EESV_SZ_S10_mS11_S14_bEUlT_E_NS1_11comp_targetILNS1_3genE2ELNS1_11target_archE906ELNS1_3gpuE6ELNS1_3repE0EEENS1_30default_config_static_selectorELNS0_4arch9wavefront6targetE0EEEvSY_.num_vgpr, 0
	.set _ZN7rocprim17ROCPRIM_400000_NS6detail17trampoline_kernelINS0_14default_configENS1_29binary_search_config_selectorIjiEEZNS1_14transform_implILb0ES3_S5_N6thrust23THRUST_200600_302600_NS6detail15normal_iteratorINS8_7pointerIjNS8_11hip_rocprim5par_tENS8_11use_defaultESE_EEEENSA_INSB_IiSD_SE_SE_EEEEZNS1_13binary_searchIS3_S5_NSA_INS8_10device_ptrIjEEEESG_SI_NS1_16binary_search_opENS9_16wrapped_functionINS8_6system6detail7generic6detail18binary_search_lessEbEEEE10hipError_tPvRmT1_T2_T3_mmT4_T5_P12ihipStream_tbEUlRKjE_EESV_SZ_S10_mS11_S14_bEUlT_E_NS1_11comp_targetILNS1_3genE2ELNS1_11target_archE906ELNS1_3gpuE6ELNS1_3repE0EEENS1_30default_config_static_selectorELNS0_4arch9wavefront6targetE0EEEvSY_.num_agpr, 0
	.set _ZN7rocprim17ROCPRIM_400000_NS6detail17trampoline_kernelINS0_14default_configENS1_29binary_search_config_selectorIjiEEZNS1_14transform_implILb0ES3_S5_N6thrust23THRUST_200600_302600_NS6detail15normal_iteratorINS8_7pointerIjNS8_11hip_rocprim5par_tENS8_11use_defaultESE_EEEENSA_INSB_IiSD_SE_SE_EEEEZNS1_13binary_searchIS3_S5_NSA_INS8_10device_ptrIjEEEESG_SI_NS1_16binary_search_opENS9_16wrapped_functionINS8_6system6detail7generic6detail18binary_search_lessEbEEEE10hipError_tPvRmT1_T2_T3_mmT4_T5_P12ihipStream_tbEUlRKjE_EESV_SZ_S10_mS11_S14_bEUlT_E_NS1_11comp_targetILNS1_3genE2ELNS1_11target_archE906ELNS1_3gpuE6ELNS1_3repE0EEENS1_30default_config_static_selectorELNS0_4arch9wavefront6targetE0EEEvSY_.numbered_sgpr, 0
	.set _ZN7rocprim17ROCPRIM_400000_NS6detail17trampoline_kernelINS0_14default_configENS1_29binary_search_config_selectorIjiEEZNS1_14transform_implILb0ES3_S5_N6thrust23THRUST_200600_302600_NS6detail15normal_iteratorINS8_7pointerIjNS8_11hip_rocprim5par_tENS8_11use_defaultESE_EEEENSA_INSB_IiSD_SE_SE_EEEEZNS1_13binary_searchIS3_S5_NSA_INS8_10device_ptrIjEEEESG_SI_NS1_16binary_search_opENS9_16wrapped_functionINS8_6system6detail7generic6detail18binary_search_lessEbEEEE10hipError_tPvRmT1_T2_T3_mmT4_T5_P12ihipStream_tbEUlRKjE_EESV_SZ_S10_mS11_S14_bEUlT_E_NS1_11comp_targetILNS1_3genE2ELNS1_11target_archE906ELNS1_3gpuE6ELNS1_3repE0EEENS1_30default_config_static_selectorELNS0_4arch9wavefront6targetE0EEEvSY_.num_named_barrier, 0
	.set _ZN7rocprim17ROCPRIM_400000_NS6detail17trampoline_kernelINS0_14default_configENS1_29binary_search_config_selectorIjiEEZNS1_14transform_implILb0ES3_S5_N6thrust23THRUST_200600_302600_NS6detail15normal_iteratorINS8_7pointerIjNS8_11hip_rocprim5par_tENS8_11use_defaultESE_EEEENSA_INSB_IiSD_SE_SE_EEEEZNS1_13binary_searchIS3_S5_NSA_INS8_10device_ptrIjEEEESG_SI_NS1_16binary_search_opENS9_16wrapped_functionINS8_6system6detail7generic6detail18binary_search_lessEbEEEE10hipError_tPvRmT1_T2_T3_mmT4_T5_P12ihipStream_tbEUlRKjE_EESV_SZ_S10_mS11_S14_bEUlT_E_NS1_11comp_targetILNS1_3genE2ELNS1_11target_archE906ELNS1_3gpuE6ELNS1_3repE0EEENS1_30default_config_static_selectorELNS0_4arch9wavefront6targetE0EEEvSY_.private_seg_size, 0
	.set _ZN7rocprim17ROCPRIM_400000_NS6detail17trampoline_kernelINS0_14default_configENS1_29binary_search_config_selectorIjiEEZNS1_14transform_implILb0ES3_S5_N6thrust23THRUST_200600_302600_NS6detail15normal_iteratorINS8_7pointerIjNS8_11hip_rocprim5par_tENS8_11use_defaultESE_EEEENSA_INSB_IiSD_SE_SE_EEEEZNS1_13binary_searchIS3_S5_NSA_INS8_10device_ptrIjEEEESG_SI_NS1_16binary_search_opENS9_16wrapped_functionINS8_6system6detail7generic6detail18binary_search_lessEbEEEE10hipError_tPvRmT1_T2_T3_mmT4_T5_P12ihipStream_tbEUlRKjE_EESV_SZ_S10_mS11_S14_bEUlT_E_NS1_11comp_targetILNS1_3genE2ELNS1_11target_archE906ELNS1_3gpuE6ELNS1_3repE0EEENS1_30default_config_static_selectorELNS0_4arch9wavefront6targetE0EEEvSY_.uses_vcc, 0
	.set _ZN7rocprim17ROCPRIM_400000_NS6detail17trampoline_kernelINS0_14default_configENS1_29binary_search_config_selectorIjiEEZNS1_14transform_implILb0ES3_S5_N6thrust23THRUST_200600_302600_NS6detail15normal_iteratorINS8_7pointerIjNS8_11hip_rocprim5par_tENS8_11use_defaultESE_EEEENSA_INSB_IiSD_SE_SE_EEEEZNS1_13binary_searchIS3_S5_NSA_INS8_10device_ptrIjEEEESG_SI_NS1_16binary_search_opENS9_16wrapped_functionINS8_6system6detail7generic6detail18binary_search_lessEbEEEE10hipError_tPvRmT1_T2_T3_mmT4_T5_P12ihipStream_tbEUlRKjE_EESV_SZ_S10_mS11_S14_bEUlT_E_NS1_11comp_targetILNS1_3genE2ELNS1_11target_archE906ELNS1_3gpuE6ELNS1_3repE0EEENS1_30default_config_static_selectorELNS0_4arch9wavefront6targetE0EEEvSY_.uses_flat_scratch, 0
	.set _ZN7rocprim17ROCPRIM_400000_NS6detail17trampoline_kernelINS0_14default_configENS1_29binary_search_config_selectorIjiEEZNS1_14transform_implILb0ES3_S5_N6thrust23THRUST_200600_302600_NS6detail15normal_iteratorINS8_7pointerIjNS8_11hip_rocprim5par_tENS8_11use_defaultESE_EEEENSA_INSB_IiSD_SE_SE_EEEEZNS1_13binary_searchIS3_S5_NSA_INS8_10device_ptrIjEEEESG_SI_NS1_16binary_search_opENS9_16wrapped_functionINS8_6system6detail7generic6detail18binary_search_lessEbEEEE10hipError_tPvRmT1_T2_T3_mmT4_T5_P12ihipStream_tbEUlRKjE_EESV_SZ_S10_mS11_S14_bEUlT_E_NS1_11comp_targetILNS1_3genE2ELNS1_11target_archE906ELNS1_3gpuE6ELNS1_3repE0EEENS1_30default_config_static_selectorELNS0_4arch9wavefront6targetE0EEEvSY_.has_dyn_sized_stack, 0
	.set _ZN7rocprim17ROCPRIM_400000_NS6detail17trampoline_kernelINS0_14default_configENS1_29binary_search_config_selectorIjiEEZNS1_14transform_implILb0ES3_S5_N6thrust23THRUST_200600_302600_NS6detail15normal_iteratorINS8_7pointerIjNS8_11hip_rocprim5par_tENS8_11use_defaultESE_EEEENSA_INSB_IiSD_SE_SE_EEEEZNS1_13binary_searchIS3_S5_NSA_INS8_10device_ptrIjEEEESG_SI_NS1_16binary_search_opENS9_16wrapped_functionINS8_6system6detail7generic6detail18binary_search_lessEbEEEE10hipError_tPvRmT1_T2_T3_mmT4_T5_P12ihipStream_tbEUlRKjE_EESV_SZ_S10_mS11_S14_bEUlT_E_NS1_11comp_targetILNS1_3genE2ELNS1_11target_archE906ELNS1_3gpuE6ELNS1_3repE0EEENS1_30default_config_static_selectorELNS0_4arch9wavefront6targetE0EEEvSY_.has_recursion, 0
	.set _ZN7rocprim17ROCPRIM_400000_NS6detail17trampoline_kernelINS0_14default_configENS1_29binary_search_config_selectorIjiEEZNS1_14transform_implILb0ES3_S5_N6thrust23THRUST_200600_302600_NS6detail15normal_iteratorINS8_7pointerIjNS8_11hip_rocprim5par_tENS8_11use_defaultESE_EEEENSA_INSB_IiSD_SE_SE_EEEEZNS1_13binary_searchIS3_S5_NSA_INS8_10device_ptrIjEEEESG_SI_NS1_16binary_search_opENS9_16wrapped_functionINS8_6system6detail7generic6detail18binary_search_lessEbEEEE10hipError_tPvRmT1_T2_T3_mmT4_T5_P12ihipStream_tbEUlRKjE_EESV_SZ_S10_mS11_S14_bEUlT_E_NS1_11comp_targetILNS1_3genE2ELNS1_11target_archE906ELNS1_3gpuE6ELNS1_3repE0EEENS1_30default_config_static_selectorELNS0_4arch9wavefront6targetE0EEEvSY_.has_indirect_call, 0
	.section	.AMDGPU.csdata,"",@progbits
; Kernel info:
; codeLenInByte = 0
; TotalNumSgprs: 0
; NumVgprs: 0
; ScratchSize: 0
; MemoryBound: 0
; FloatMode: 240
; IeeeMode: 1
; LDSByteSize: 0 bytes/workgroup (compile time only)
; SGPRBlocks: 0
; VGPRBlocks: 0
; NumSGPRsForWavesPerEU: 1
; NumVGPRsForWavesPerEU: 1
; Occupancy: 16
; WaveLimiterHint : 0
; COMPUTE_PGM_RSRC2:SCRATCH_EN: 0
; COMPUTE_PGM_RSRC2:USER_SGPR: 6
; COMPUTE_PGM_RSRC2:TRAP_HANDLER: 0
; COMPUTE_PGM_RSRC2:TGID_X_EN: 1
; COMPUTE_PGM_RSRC2:TGID_Y_EN: 0
; COMPUTE_PGM_RSRC2:TGID_Z_EN: 0
; COMPUTE_PGM_RSRC2:TIDIG_COMP_CNT: 0
	.section	.text._ZN7rocprim17ROCPRIM_400000_NS6detail17trampoline_kernelINS0_14default_configENS1_29binary_search_config_selectorIjiEEZNS1_14transform_implILb0ES3_S5_N6thrust23THRUST_200600_302600_NS6detail15normal_iteratorINS8_7pointerIjNS8_11hip_rocprim5par_tENS8_11use_defaultESE_EEEENSA_INSB_IiSD_SE_SE_EEEEZNS1_13binary_searchIS3_S5_NSA_INS8_10device_ptrIjEEEESG_SI_NS1_16binary_search_opENS9_16wrapped_functionINS8_6system6detail7generic6detail18binary_search_lessEbEEEE10hipError_tPvRmT1_T2_T3_mmT4_T5_P12ihipStream_tbEUlRKjE_EESV_SZ_S10_mS11_S14_bEUlT_E_NS1_11comp_targetILNS1_3genE10ELNS1_11target_archE1201ELNS1_3gpuE5ELNS1_3repE0EEENS1_30default_config_static_selectorELNS0_4arch9wavefront6targetE0EEEvSY_,"axG",@progbits,_ZN7rocprim17ROCPRIM_400000_NS6detail17trampoline_kernelINS0_14default_configENS1_29binary_search_config_selectorIjiEEZNS1_14transform_implILb0ES3_S5_N6thrust23THRUST_200600_302600_NS6detail15normal_iteratorINS8_7pointerIjNS8_11hip_rocprim5par_tENS8_11use_defaultESE_EEEENSA_INSB_IiSD_SE_SE_EEEEZNS1_13binary_searchIS3_S5_NSA_INS8_10device_ptrIjEEEESG_SI_NS1_16binary_search_opENS9_16wrapped_functionINS8_6system6detail7generic6detail18binary_search_lessEbEEEE10hipError_tPvRmT1_T2_T3_mmT4_T5_P12ihipStream_tbEUlRKjE_EESV_SZ_S10_mS11_S14_bEUlT_E_NS1_11comp_targetILNS1_3genE10ELNS1_11target_archE1201ELNS1_3gpuE5ELNS1_3repE0EEENS1_30default_config_static_selectorELNS0_4arch9wavefront6targetE0EEEvSY_,comdat
	.protected	_ZN7rocprim17ROCPRIM_400000_NS6detail17trampoline_kernelINS0_14default_configENS1_29binary_search_config_selectorIjiEEZNS1_14transform_implILb0ES3_S5_N6thrust23THRUST_200600_302600_NS6detail15normal_iteratorINS8_7pointerIjNS8_11hip_rocprim5par_tENS8_11use_defaultESE_EEEENSA_INSB_IiSD_SE_SE_EEEEZNS1_13binary_searchIS3_S5_NSA_INS8_10device_ptrIjEEEESG_SI_NS1_16binary_search_opENS9_16wrapped_functionINS8_6system6detail7generic6detail18binary_search_lessEbEEEE10hipError_tPvRmT1_T2_T3_mmT4_T5_P12ihipStream_tbEUlRKjE_EESV_SZ_S10_mS11_S14_bEUlT_E_NS1_11comp_targetILNS1_3genE10ELNS1_11target_archE1201ELNS1_3gpuE5ELNS1_3repE0EEENS1_30default_config_static_selectorELNS0_4arch9wavefront6targetE0EEEvSY_ ; -- Begin function _ZN7rocprim17ROCPRIM_400000_NS6detail17trampoline_kernelINS0_14default_configENS1_29binary_search_config_selectorIjiEEZNS1_14transform_implILb0ES3_S5_N6thrust23THRUST_200600_302600_NS6detail15normal_iteratorINS8_7pointerIjNS8_11hip_rocprim5par_tENS8_11use_defaultESE_EEEENSA_INSB_IiSD_SE_SE_EEEEZNS1_13binary_searchIS3_S5_NSA_INS8_10device_ptrIjEEEESG_SI_NS1_16binary_search_opENS9_16wrapped_functionINS8_6system6detail7generic6detail18binary_search_lessEbEEEE10hipError_tPvRmT1_T2_T3_mmT4_T5_P12ihipStream_tbEUlRKjE_EESV_SZ_S10_mS11_S14_bEUlT_E_NS1_11comp_targetILNS1_3genE10ELNS1_11target_archE1201ELNS1_3gpuE5ELNS1_3repE0EEENS1_30default_config_static_selectorELNS0_4arch9wavefront6targetE0EEEvSY_
	.globl	_ZN7rocprim17ROCPRIM_400000_NS6detail17trampoline_kernelINS0_14default_configENS1_29binary_search_config_selectorIjiEEZNS1_14transform_implILb0ES3_S5_N6thrust23THRUST_200600_302600_NS6detail15normal_iteratorINS8_7pointerIjNS8_11hip_rocprim5par_tENS8_11use_defaultESE_EEEENSA_INSB_IiSD_SE_SE_EEEEZNS1_13binary_searchIS3_S5_NSA_INS8_10device_ptrIjEEEESG_SI_NS1_16binary_search_opENS9_16wrapped_functionINS8_6system6detail7generic6detail18binary_search_lessEbEEEE10hipError_tPvRmT1_T2_T3_mmT4_T5_P12ihipStream_tbEUlRKjE_EESV_SZ_S10_mS11_S14_bEUlT_E_NS1_11comp_targetILNS1_3genE10ELNS1_11target_archE1201ELNS1_3gpuE5ELNS1_3repE0EEENS1_30default_config_static_selectorELNS0_4arch9wavefront6targetE0EEEvSY_
	.p2align	8
	.type	_ZN7rocprim17ROCPRIM_400000_NS6detail17trampoline_kernelINS0_14default_configENS1_29binary_search_config_selectorIjiEEZNS1_14transform_implILb0ES3_S5_N6thrust23THRUST_200600_302600_NS6detail15normal_iteratorINS8_7pointerIjNS8_11hip_rocprim5par_tENS8_11use_defaultESE_EEEENSA_INSB_IiSD_SE_SE_EEEEZNS1_13binary_searchIS3_S5_NSA_INS8_10device_ptrIjEEEESG_SI_NS1_16binary_search_opENS9_16wrapped_functionINS8_6system6detail7generic6detail18binary_search_lessEbEEEE10hipError_tPvRmT1_T2_T3_mmT4_T5_P12ihipStream_tbEUlRKjE_EESV_SZ_S10_mS11_S14_bEUlT_E_NS1_11comp_targetILNS1_3genE10ELNS1_11target_archE1201ELNS1_3gpuE5ELNS1_3repE0EEENS1_30default_config_static_selectorELNS0_4arch9wavefront6targetE0EEEvSY_,@function
_ZN7rocprim17ROCPRIM_400000_NS6detail17trampoline_kernelINS0_14default_configENS1_29binary_search_config_selectorIjiEEZNS1_14transform_implILb0ES3_S5_N6thrust23THRUST_200600_302600_NS6detail15normal_iteratorINS8_7pointerIjNS8_11hip_rocprim5par_tENS8_11use_defaultESE_EEEENSA_INSB_IiSD_SE_SE_EEEEZNS1_13binary_searchIS3_S5_NSA_INS8_10device_ptrIjEEEESG_SI_NS1_16binary_search_opENS9_16wrapped_functionINS8_6system6detail7generic6detail18binary_search_lessEbEEEE10hipError_tPvRmT1_T2_T3_mmT4_T5_P12ihipStream_tbEUlRKjE_EESV_SZ_S10_mS11_S14_bEUlT_E_NS1_11comp_targetILNS1_3genE10ELNS1_11target_archE1201ELNS1_3gpuE5ELNS1_3repE0EEENS1_30default_config_static_selectorELNS0_4arch9wavefront6targetE0EEEvSY_: ; @_ZN7rocprim17ROCPRIM_400000_NS6detail17trampoline_kernelINS0_14default_configENS1_29binary_search_config_selectorIjiEEZNS1_14transform_implILb0ES3_S5_N6thrust23THRUST_200600_302600_NS6detail15normal_iteratorINS8_7pointerIjNS8_11hip_rocprim5par_tENS8_11use_defaultESE_EEEENSA_INSB_IiSD_SE_SE_EEEEZNS1_13binary_searchIS3_S5_NSA_INS8_10device_ptrIjEEEESG_SI_NS1_16binary_search_opENS9_16wrapped_functionINS8_6system6detail7generic6detail18binary_search_lessEbEEEE10hipError_tPvRmT1_T2_T3_mmT4_T5_P12ihipStream_tbEUlRKjE_EESV_SZ_S10_mS11_S14_bEUlT_E_NS1_11comp_targetILNS1_3genE10ELNS1_11target_archE1201ELNS1_3gpuE5ELNS1_3repE0EEENS1_30default_config_static_selectorELNS0_4arch9wavefront6targetE0EEEvSY_
; %bb.0:
	.section	.rodata,"a",@progbits
	.p2align	6, 0x0
	.amdhsa_kernel _ZN7rocprim17ROCPRIM_400000_NS6detail17trampoline_kernelINS0_14default_configENS1_29binary_search_config_selectorIjiEEZNS1_14transform_implILb0ES3_S5_N6thrust23THRUST_200600_302600_NS6detail15normal_iteratorINS8_7pointerIjNS8_11hip_rocprim5par_tENS8_11use_defaultESE_EEEENSA_INSB_IiSD_SE_SE_EEEEZNS1_13binary_searchIS3_S5_NSA_INS8_10device_ptrIjEEEESG_SI_NS1_16binary_search_opENS9_16wrapped_functionINS8_6system6detail7generic6detail18binary_search_lessEbEEEE10hipError_tPvRmT1_T2_T3_mmT4_T5_P12ihipStream_tbEUlRKjE_EESV_SZ_S10_mS11_S14_bEUlT_E_NS1_11comp_targetILNS1_3genE10ELNS1_11target_archE1201ELNS1_3gpuE5ELNS1_3repE0EEENS1_30default_config_static_selectorELNS0_4arch9wavefront6targetE0EEEvSY_
		.amdhsa_group_segment_fixed_size 0
		.amdhsa_private_segment_fixed_size 0
		.amdhsa_kernarg_size 56
		.amdhsa_user_sgpr_count 6
		.amdhsa_user_sgpr_private_segment_buffer 1
		.amdhsa_user_sgpr_dispatch_ptr 0
		.amdhsa_user_sgpr_queue_ptr 0
		.amdhsa_user_sgpr_kernarg_segment_ptr 1
		.amdhsa_user_sgpr_dispatch_id 0
		.amdhsa_user_sgpr_flat_scratch_init 0
		.amdhsa_user_sgpr_private_segment_size 0
		.amdhsa_wavefront_size32 1
		.amdhsa_uses_dynamic_stack 0
		.amdhsa_system_sgpr_private_segment_wavefront_offset 0
		.amdhsa_system_sgpr_workgroup_id_x 1
		.amdhsa_system_sgpr_workgroup_id_y 0
		.amdhsa_system_sgpr_workgroup_id_z 0
		.amdhsa_system_sgpr_workgroup_info 0
		.amdhsa_system_vgpr_workitem_id 0
		.amdhsa_next_free_vgpr 1
		.amdhsa_next_free_sgpr 1
		.amdhsa_reserve_vcc 0
		.amdhsa_reserve_flat_scratch 0
		.amdhsa_float_round_mode_32 0
		.amdhsa_float_round_mode_16_64 0
		.amdhsa_float_denorm_mode_32 3
		.amdhsa_float_denorm_mode_16_64 3
		.amdhsa_dx10_clamp 1
		.amdhsa_ieee_mode 1
		.amdhsa_fp16_overflow 0
		.amdhsa_workgroup_processor_mode 1
		.amdhsa_memory_ordered 1
		.amdhsa_forward_progress 1
		.amdhsa_shared_vgpr_count 0
		.amdhsa_exception_fp_ieee_invalid_op 0
		.amdhsa_exception_fp_denorm_src 0
		.amdhsa_exception_fp_ieee_div_zero 0
		.amdhsa_exception_fp_ieee_overflow 0
		.amdhsa_exception_fp_ieee_underflow 0
		.amdhsa_exception_fp_ieee_inexact 0
		.amdhsa_exception_int_div_zero 0
	.end_amdhsa_kernel
	.section	.text._ZN7rocprim17ROCPRIM_400000_NS6detail17trampoline_kernelINS0_14default_configENS1_29binary_search_config_selectorIjiEEZNS1_14transform_implILb0ES3_S5_N6thrust23THRUST_200600_302600_NS6detail15normal_iteratorINS8_7pointerIjNS8_11hip_rocprim5par_tENS8_11use_defaultESE_EEEENSA_INSB_IiSD_SE_SE_EEEEZNS1_13binary_searchIS3_S5_NSA_INS8_10device_ptrIjEEEESG_SI_NS1_16binary_search_opENS9_16wrapped_functionINS8_6system6detail7generic6detail18binary_search_lessEbEEEE10hipError_tPvRmT1_T2_T3_mmT4_T5_P12ihipStream_tbEUlRKjE_EESV_SZ_S10_mS11_S14_bEUlT_E_NS1_11comp_targetILNS1_3genE10ELNS1_11target_archE1201ELNS1_3gpuE5ELNS1_3repE0EEENS1_30default_config_static_selectorELNS0_4arch9wavefront6targetE0EEEvSY_,"axG",@progbits,_ZN7rocprim17ROCPRIM_400000_NS6detail17trampoline_kernelINS0_14default_configENS1_29binary_search_config_selectorIjiEEZNS1_14transform_implILb0ES3_S5_N6thrust23THRUST_200600_302600_NS6detail15normal_iteratorINS8_7pointerIjNS8_11hip_rocprim5par_tENS8_11use_defaultESE_EEEENSA_INSB_IiSD_SE_SE_EEEEZNS1_13binary_searchIS3_S5_NSA_INS8_10device_ptrIjEEEESG_SI_NS1_16binary_search_opENS9_16wrapped_functionINS8_6system6detail7generic6detail18binary_search_lessEbEEEE10hipError_tPvRmT1_T2_T3_mmT4_T5_P12ihipStream_tbEUlRKjE_EESV_SZ_S10_mS11_S14_bEUlT_E_NS1_11comp_targetILNS1_3genE10ELNS1_11target_archE1201ELNS1_3gpuE5ELNS1_3repE0EEENS1_30default_config_static_selectorELNS0_4arch9wavefront6targetE0EEEvSY_,comdat
.Lfunc_end676:
	.size	_ZN7rocprim17ROCPRIM_400000_NS6detail17trampoline_kernelINS0_14default_configENS1_29binary_search_config_selectorIjiEEZNS1_14transform_implILb0ES3_S5_N6thrust23THRUST_200600_302600_NS6detail15normal_iteratorINS8_7pointerIjNS8_11hip_rocprim5par_tENS8_11use_defaultESE_EEEENSA_INSB_IiSD_SE_SE_EEEEZNS1_13binary_searchIS3_S5_NSA_INS8_10device_ptrIjEEEESG_SI_NS1_16binary_search_opENS9_16wrapped_functionINS8_6system6detail7generic6detail18binary_search_lessEbEEEE10hipError_tPvRmT1_T2_T3_mmT4_T5_P12ihipStream_tbEUlRKjE_EESV_SZ_S10_mS11_S14_bEUlT_E_NS1_11comp_targetILNS1_3genE10ELNS1_11target_archE1201ELNS1_3gpuE5ELNS1_3repE0EEENS1_30default_config_static_selectorELNS0_4arch9wavefront6targetE0EEEvSY_, .Lfunc_end676-_ZN7rocprim17ROCPRIM_400000_NS6detail17trampoline_kernelINS0_14default_configENS1_29binary_search_config_selectorIjiEEZNS1_14transform_implILb0ES3_S5_N6thrust23THRUST_200600_302600_NS6detail15normal_iteratorINS8_7pointerIjNS8_11hip_rocprim5par_tENS8_11use_defaultESE_EEEENSA_INSB_IiSD_SE_SE_EEEEZNS1_13binary_searchIS3_S5_NSA_INS8_10device_ptrIjEEEESG_SI_NS1_16binary_search_opENS9_16wrapped_functionINS8_6system6detail7generic6detail18binary_search_lessEbEEEE10hipError_tPvRmT1_T2_T3_mmT4_T5_P12ihipStream_tbEUlRKjE_EESV_SZ_S10_mS11_S14_bEUlT_E_NS1_11comp_targetILNS1_3genE10ELNS1_11target_archE1201ELNS1_3gpuE5ELNS1_3repE0EEENS1_30default_config_static_selectorELNS0_4arch9wavefront6targetE0EEEvSY_
                                        ; -- End function
	.set _ZN7rocprim17ROCPRIM_400000_NS6detail17trampoline_kernelINS0_14default_configENS1_29binary_search_config_selectorIjiEEZNS1_14transform_implILb0ES3_S5_N6thrust23THRUST_200600_302600_NS6detail15normal_iteratorINS8_7pointerIjNS8_11hip_rocprim5par_tENS8_11use_defaultESE_EEEENSA_INSB_IiSD_SE_SE_EEEEZNS1_13binary_searchIS3_S5_NSA_INS8_10device_ptrIjEEEESG_SI_NS1_16binary_search_opENS9_16wrapped_functionINS8_6system6detail7generic6detail18binary_search_lessEbEEEE10hipError_tPvRmT1_T2_T3_mmT4_T5_P12ihipStream_tbEUlRKjE_EESV_SZ_S10_mS11_S14_bEUlT_E_NS1_11comp_targetILNS1_3genE10ELNS1_11target_archE1201ELNS1_3gpuE5ELNS1_3repE0EEENS1_30default_config_static_selectorELNS0_4arch9wavefront6targetE0EEEvSY_.num_vgpr, 0
	.set _ZN7rocprim17ROCPRIM_400000_NS6detail17trampoline_kernelINS0_14default_configENS1_29binary_search_config_selectorIjiEEZNS1_14transform_implILb0ES3_S5_N6thrust23THRUST_200600_302600_NS6detail15normal_iteratorINS8_7pointerIjNS8_11hip_rocprim5par_tENS8_11use_defaultESE_EEEENSA_INSB_IiSD_SE_SE_EEEEZNS1_13binary_searchIS3_S5_NSA_INS8_10device_ptrIjEEEESG_SI_NS1_16binary_search_opENS9_16wrapped_functionINS8_6system6detail7generic6detail18binary_search_lessEbEEEE10hipError_tPvRmT1_T2_T3_mmT4_T5_P12ihipStream_tbEUlRKjE_EESV_SZ_S10_mS11_S14_bEUlT_E_NS1_11comp_targetILNS1_3genE10ELNS1_11target_archE1201ELNS1_3gpuE5ELNS1_3repE0EEENS1_30default_config_static_selectorELNS0_4arch9wavefront6targetE0EEEvSY_.num_agpr, 0
	.set _ZN7rocprim17ROCPRIM_400000_NS6detail17trampoline_kernelINS0_14default_configENS1_29binary_search_config_selectorIjiEEZNS1_14transform_implILb0ES3_S5_N6thrust23THRUST_200600_302600_NS6detail15normal_iteratorINS8_7pointerIjNS8_11hip_rocprim5par_tENS8_11use_defaultESE_EEEENSA_INSB_IiSD_SE_SE_EEEEZNS1_13binary_searchIS3_S5_NSA_INS8_10device_ptrIjEEEESG_SI_NS1_16binary_search_opENS9_16wrapped_functionINS8_6system6detail7generic6detail18binary_search_lessEbEEEE10hipError_tPvRmT1_T2_T3_mmT4_T5_P12ihipStream_tbEUlRKjE_EESV_SZ_S10_mS11_S14_bEUlT_E_NS1_11comp_targetILNS1_3genE10ELNS1_11target_archE1201ELNS1_3gpuE5ELNS1_3repE0EEENS1_30default_config_static_selectorELNS0_4arch9wavefront6targetE0EEEvSY_.numbered_sgpr, 0
	.set _ZN7rocprim17ROCPRIM_400000_NS6detail17trampoline_kernelINS0_14default_configENS1_29binary_search_config_selectorIjiEEZNS1_14transform_implILb0ES3_S5_N6thrust23THRUST_200600_302600_NS6detail15normal_iteratorINS8_7pointerIjNS8_11hip_rocprim5par_tENS8_11use_defaultESE_EEEENSA_INSB_IiSD_SE_SE_EEEEZNS1_13binary_searchIS3_S5_NSA_INS8_10device_ptrIjEEEESG_SI_NS1_16binary_search_opENS9_16wrapped_functionINS8_6system6detail7generic6detail18binary_search_lessEbEEEE10hipError_tPvRmT1_T2_T3_mmT4_T5_P12ihipStream_tbEUlRKjE_EESV_SZ_S10_mS11_S14_bEUlT_E_NS1_11comp_targetILNS1_3genE10ELNS1_11target_archE1201ELNS1_3gpuE5ELNS1_3repE0EEENS1_30default_config_static_selectorELNS0_4arch9wavefront6targetE0EEEvSY_.num_named_barrier, 0
	.set _ZN7rocprim17ROCPRIM_400000_NS6detail17trampoline_kernelINS0_14default_configENS1_29binary_search_config_selectorIjiEEZNS1_14transform_implILb0ES3_S5_N6thrust23THRUST_200600_302600_NS6detail15normal_iteratorINS8_7pointerIjNS8_11hip_rocprim5par_tENS8_11use_defaultESE_EEEENSA_INSB_IiSD_SE_SE_EEEEZNS1_13binary_searchIS3_S5_NSA_INS8_10device_ptrIjEEEESG_SI_NS1_16binary_search_opENS9_16wrapped_functionINS8_6system6detail7generic6detail18binary_search_lessEbEEEE10hipError_tPvRmT1_T2_T3_mmT4_T5_P12ihipStream_tbEUlRKjE_EESV_SZ_S10_mS11_S14_bEUlT_E_NS1_11comp_targetILNS1_3genE10ELNS1_11target_archE1201ELNS1_3gpuE5ELNS1_3repE0EEENS1_30default_config_static_selectorELNS0_4arch9wavefront6targetE0EEEvSY_.private_seg_size, 0
	.set _ZN7rocprim17ROCPRIM_400000_NS6detail17trampoline_kernelINS0_14default_configENS1_29binary_search_config_selectorIjiEEZNS1_14transform_implILb0ES3_S5_N6thrust23THRUST_200600_302600_NS6detail15normal_iteratorINS8_7pointerIjNS8_11hip_rocprim5par_tENS8_11use_defaultESE_EEEENSA_INSB_IiSD_SE_SE_EEEEZNS1_13binary_searchIS3_S5_NSA_INS8_10device_ptrIjEEEESG_SI_NS1_16binary_search_opENS9_16wrapped_functionINS8_6system6detail7generic6detail18binary_search_lessEbEEEE10hipError_tPvRmT1_T2_T3_mmT4_T5_P12ihipStream_tbEUlRKjE_EESV_SZ_S10_mS11_S14_bEUlT_E_NS1_11comp_targetILNS1_3genE10ELNS1_11target_archE1201ELNS1_3gpuE5ELNS1_3repE0EEENS1_30default_config_static_selectorELNS0_4arch9wavefront6targetE0EEEvSY_.uses_vcc, 0
	.set _ZN7rocprim17ROCPRIM_400000_NS6detail17trampoline_kernelINS0_14default_configENS1_29binary_search_config_selectorIjiEEZNS1_14transform_implILb0ES3_S5_N6thrust23THRUST_200600_302600_NS6detail15normal_iteratorINS8_7pointerIjNS8_11hip_rocprim5par_tENS8_11use_defaultESE_EEEENSA_INSB_IiSD_SE_SE_EEEEZNS1_13binary_searchIS3_S5_NSA_INS8_10device_ptrIjEEEESG_SI_NS1_16binary_search_opENS9_16wrapped_functionINS8_6system6detail7generic6detail18binary_search_lessEbEEEE10hipError_tPvRmT1_T2_T3_mmT4_T5_P12ihipStream_tbEUlRKjE_EESV_SZ_S10_mS11_S14_bEUlT_E_NS1_11comp_targetILNS1_3genE10ELNS1_11target_archE1201ELNS1_3gpuE5ELNS1_3repE0EEENS1_30default_config_static_selectorELNS0_4arch9wavefront6targetE0EEEvSY_.uses_flat_scratch, 0
	.set _ZN7rocprim17ROCPRIM_400000_NS6detail17trampoline_kernelINS0_14default_configENS1_29binary_search_config_selectorIjiEEZNS1_14transform_implILb0ES3_S5_N6thrust23THRUST_200600_302600_NS6detail15normal_iteratorINS8_7pointerIjNS8_11hip_rocprim5par_tENS8_11use_defaultESE_EEEENSA_INSB_IiSD_SE_SE_EEEEZNS1_13binary_searchIS3_S5_NSA_INS8_10device_ptrIjEEEESG_SI_NS1_16binary_search_opENS9_16wrapped_functionINS8_6system6detail7generic6detail18binary_search_lessEbEEEE10hipError_tPvRmT1_T2_T3_mmT4_T5_P12ihipStream_tbEUlRKjE_EESV_SZ_S10_mS11_S14_bEUlT_E_NS1_11comp_targetILNS1_3genE10ELNS1_11target_archE1201ELNS1_3gpuE5ELNS1_3repE0EEENS1_30default_config_static_selectorELNS0_4arch9wavefront6targetE0EEEvSY_.has_dyn_sized_stack, 0
	.set _ZN7rocprim17ROCPRIM_400000_NS6detail17trampoline_kernelINS0_14default_configENS1_29binary_search_config_selectorIjiEEZNS1_14transform_implILb0ES3_S5_N6thrust23THRUST_200600_302600_NS6detail15normal_iteratorINS8_7pointerIjNS8_11hip_rocprim5par_tENS8_11use_defaultESE_EEEENSA_INSB_IiSD_SE_SE_EEEEZNS1_13binary_searchIS3_S5_NSA_INS8_10device_ptrIjEEEESG_SI_NS1_16binary_search_opENS9_16wrapped_functionINS8_6system6detail7generic6detail18binary_search_lessEbEEEE10hipError_tPvRmT1_T2_T3_mmT4_T5_P12ihipStream_tbEUlRKjE_EESV_SZ_S10_mS11_S14_bEUlT_E_NS1_11comp_targetILNS1_3genE10ELNS1_11target_archE1201ELNS1_3gpuE5ELNS1_3repE0EEENS1_30default_config_static_selectorELNS0_4arch9wavefront6targetE0EEEvSY_.has_recursion, 0
	.set _ZN7rocprim17ROCPRIM_400000_NS6detail17trampoline_kernelINS0_14default_configENS1_29binary_search_config_selectorIjiEEZNS1_14transform_implILb0ES3_S5_N6thrust23THRUST_200600_302600_NS6detail15normal_iteratorINS8_7pointerIjNS8_11hip_rocprim5par_tENS8_11use_defaultESE_EEEENSA_INSB_IiSD_SE_SE_EEEEZNS1_13binary_searchIS3_S5_NSA_INS8_10device_ptrIjEEEESG_SI_NS1_16binary_search_opENS9_16wrapped_functionINS8_6system6detail7generic6detail18binary_search_lessEbEEEE10hipError_tPvRmT1_T2_T3_mmT4_T5_P12ihipStream_tbEUlRKjE_EESV_SZ_S10_mS11_S14_bEUlT_E_NS1_11comp_targetILNS1_3genE10ELNS1_11target_archE1201ELNS1_3gpuE5ELNS1_3repE0EEENS1_30default_config_static_selectorELNS0_4arch9wavefront6targetE0EEEvSY_.has_indirect_call, 0
	.section	.AMDGPU.csdata,"",@progbits
; Kernel info:
; codeLenInByte = 0
; TotalNumSgprs: 0
; NumVgprs: 0
; ScratchSize: 0
; MemoryBound: 0
; FloatMode: 240
; IeeeMode: 1
; LDSByteSize: 0 bytes/workgroup (compile time only)
; SGPRBlocks: 0
; VGPRBlocks: 0
; NumSGPRsForWavesPerEU: 1
; NumVGPRsForWavesPerEU: 1
; Occupancy: 16
; WaveLimiterHint : 0
; COMPUTE_PGM_RSRC2:SCRATCH_EN: 0
; COMPUTE_PGM_RSRC2:USER_SGPR: 6
; COMPUTE_PGM_RSRC2:TRAP_HANDLER: 0
; COMPUTE_PGM_RSRC2:TGID_X_EN: 1
; COMPUTE_PGM_RSRC2:TGID_Y_EN: 0
; COMPUTE_PGM_RSRC2:TGID_Z_EN: 0
; COMPUTE_PGM_RSRC2:TIDIG_COMP_CNT: 0
	.section	.text._ZN7rocprim17ROCPRIM_400000_NS6detail17trampoline_kernelINS0_14default_configENS1_29binary_search_config_selectorIjiEEZNS1_14transform_implILb0ES3_S5_N6thrust23THRUST_200600_302600_NS6detail15normal_iteratorINS8_7pointerIjNS8_11hip_rocprim5par_tENS8_11use_defaultESE_EEEENSA_INSB_IiSD_SE_SE_EEEEZNS1_13binary_searchIS3_S5_NSA_INS8_10device_ptrIjEEEESG_SI_NS1_16binary_search_opENS9_16wrapped_functionINS8_6system6detail7generic6detail18binary_search_lessEbEEEE10hipError_tPvRmT1_T2_T3_mmT4_T5_P12ihipStream_tbEUlRKjE_EESV_SZ_S10_mS11_S14_bEUlT_E_NS1_11comp_targetILNS1_3genE10ELNS1_11target_archE1200ELNS1_3gpuE4ELNS1_3repE0EEENS1_30default_config_static_selectorELNS0_4arch9wavefront6targetE0EEEvSY_,"axG",@progbits,_ZN7rocprim17ROCPRIM_400000_NS6detail17trampoline_kernelINS0_14default_configENS1_29binary_search_config_selectorIjiEEZNS1_14transform_implILb0ES3_S5_N6thrust23THRUST_200600_302600_NS6detail15normal_iteratorINS8_7pointerIjNS8_11hip_rocprim5par_tENS8_11use_defaultESE_EEEENSA_INSB_IiSD_SE_SE_EEEEZNS1_13binary_searchIS3_S5_NSA_INS8_10device_ptrIjEEEESG_SI_NS1_16binary_search_opENS9_16wrapped_functionINS8_6system6detail7generic6detail18binary_search_lessEbEEEE10hipError_tPvRmT1_T2_T3_mmT4_T5_P12ihipStream_tbEUlRKjE_EESV_SZ_S10_mS11_S14_bEUlT_E_NS1_11comp_targetILNS1_3genE10ELNS1_11target_archE1200ELNS1_3gpuE4ELNS1_3repE0EEENS1_30default_config_static_selectorELNS0_4arch9wavefront6targetE0EEEvSY_,comdat
	.protected	_ZN7rocprim17ROCPRIM_400000_NS6detail17trampoline_kernelINS0_14default_configENS1_29binary_search_config_selectorIjiEEZNS1_14transform_implILb0ES3_S5_N6thrust23THRUST_200600_302600_NS6detail15normal_iteratorINS8_7pointerIjNS8_11hip_rocprim5par_tENS8_11use_defaultESE_EEEENSA_INSB_IiSD_SE_SE_EEEEZNS1_13binary_searchIS3_S5_NSA_INS8_10device_ptrIjEEEESG_SI_NS1_16binary_search_opENS9_16wrapped_functionINS8_6system6detail7generic6detail18binary_search_lessEbEEEE10hipError_tPvRmT1_T2_T3_mmT4_T5_P12ihipStream_tbEUlRKjE_EESV_SZ_S10_mS11_S14_bEUlT_E_NS1_11comp_targetILNS1_3genE10ELNS1_11target_archE1200ELNS1_3gpuE4ELNS1_3repE0EEENS1_30default_config_static_selectorELNS0_4arch9wavefront6targetE0EEEvSY_ ; -- Begin function _ZN7rocprim17ROCPRIM_400000_NS6detail17trampoline_kernelINS0_14default_configENS1_29binary_search_config_selectorIjiEEZNS1_14transform_implILb0ES3_S5_N6thrust23THRUST_200600_302600_NS6detail15normal_iteratorINS8_7pointerIjNS8_11hip_rocprim5par_tENS8_11use_defaultESE_EEEENSA_INSB_IiSD_SE_SE_EEEEZNS1_13binary_searchIS3_S5_NSA_INS8_10device_ptrIjEEEESG_SI_NS1_16binary_search_opENS9_16wrapped_functionINS8_6system6detail7generic6detail18binary_search_lessEbEEEE10hipError_tPvRmT1_T2_T3_mmT4_T5_P12ihipStream_tbEUlRKjE_EESV_SZ_S10_mS11_S14_bEUlT_E_NS1_11comp_targetILNS1_3genE10ELNS1_11target_archE1200ELNS1_3gpuE4ELNS1_3repE0EEENS1_30default_config_static_selectorELNS0_4arch9wavefront6targetE0EEEvSY_
	.globl	_ZN7rocprim17ROCPRIM_400000_NS6detail17trampoline_kernelINS0_14default_configENS1_29binary_search_config_selectorIjiEEZNS1_14transform_implILb0ES3_S5_N6thrust23THRUST_200600_302600_NS6detail15normal_iteratorINS8_7pointerIjNS8_11hip_rocprim5par_tENS8_11use_defaultESE_EEEENSA_INSB_IiSD_SE_SE_EEEEZNS1_13binary_searchIS3_S5_NSA_INS8_10device_ptrIjEEEESG_SI_NS1_16binary_search_opENS9_16wrapped_functionINS8_6system6detail7generic6detail18binary_search_lessEbEEEE10hipError_tPvRmT1_T2_T3_mmT4_T5_P12ihipStream_tbEUlRKjE_EESV_SZ_S10_mS11_S14_bEUlT_E_NS1_11comp_targetILNS1_3genE10ELNS1_11target_archE1200ELNS1_3gpuE4ELNS1_3repE0EEENS1_30default_config_static_selectorELNS0_4arch9wavefront6targetE0EEEvSY_
	.p2align	8
	.type	_ZN7rocprim17ROCPRIM_400000_NS6detail17trampoline_kernelINS0_14default_configENS1_29binary_search_config_selectorIjiEEZNS1_14transform_implILb0ES3_S5_N6thrust23THRUST_200600_302600_NS6detail15normal_iteratorINS8_7pointerIjNS8_11hip_rocprim5par_tENS8_11use_defaultESE_EEEENSA_INSB_IiSD_SE_SE_EEEEZNS1_13binary_searchIS3_S5_NSA_INS8_10device_ptrIjEEEESG_SI_NS1_16binary_search_opENS9_16wrapped_functionINS8_6system6detail7generic6detail18binary_search_lessEbEEEE10hipError_tPvRmT1_T2_T3_mmT4_T5_P12ihipStream_tbEUlRKjE_EESV_SZ_S10_mS11_S14_bEUlT_E_NS1_11comp_targetILNS1_3genE10ELNS1_11target_archE1200ELNS1_3gpuE4ELNS1_3repE0EEENS1_30default_config_static_selectorELNS0_4arch9wavefront6targetE0EEEvSY_,@function
_ZN7rocprim17ROCPRIM_400000_NS6detail17trampoline_kernelINS0_14default_configENS1_29binary_search_config_selectorIjiEEZNS1_14transform_implILb0ES3_S5_N6thrust23THRUST_200600_302600_NS6detail15normal_iteratorINS8_7pointerIjNS8_11hip_rocprim5par_tENS8_11use_defaultESE_EEEENSA_INSB_IiSD_SE_SE_EEEEZNS1_13binary_searchIS3_S5_NSA_INS8_10device_ptrIjEEEESG_SI_NS1_16binary_search_opENS9_16wrapped_functionINS8_6system6detail7generic6detail18binary_search_lessEbEEEE10hipError_tPvRmT1_T2_T3_mmT4_T5_P12ihipStream_tbEUlRKjE_EESV_SZ_S10_mS11_S14_bEUlT_E_NS1_11comp_targetILNS1_3genE10ELNS1_11target_archE1200ELNS1_3gpuE4ELNS1_3repE0EEENS1_30default_config_static_selectorELNS0_4arch9wavefront6targetE0EEEvSY_: ; @_ZN7rocprim17ROCPRIM_400000_NS6detail17trampoline_kernelINS0_14default_configENS1_29binary_search_config_selectorIjiEEZNS1_14transform_implILb0ES3_S5_N6thrust23THRUST_200600_302600_NS6detail15normal_iteratorINS8_7pointerIjNS8_11hip_rocprim5par_tENS8_11use_defaultESE_EEEENSA_INSB_IiSD_SE_SE_EEEEZNS1_13binary_searchIS3_S5_NSA_INS8_10device_ptrIjEEEESG_SI_NS1_16binary_search_opENS9_16wrapped_functionINS8_6system6detail7generic6detail18binary_search_lessEbEEEE10hipError_tPvRmT1_T2_T3_mmT4_T5_P12ihipStream_tbEUlRKjE_EESV_SZ_S10_mS11_S14_bEUlT_E_NS1_11comp_targetILNS1_3genE10ELNS1_11target_archE1200ELNS1_3gpuE4ELNS1_3repE0EEENS1_30default_config_static_selectorELNS0_4arch9wavefront6targetE0EEEvSY_
; %bb.0:
	.section	.rodata,"a",@progbits
	.p2align	6, 0x0
	.amdhsa_kernel _ZN7rocprim17ROCPRIM_400000_NS6detail17trampoline_kernelINS0_14default_configENS1_29binary_search_config_selectorIjiEEZNS1_14transform_implILb0ES3_S5_N6thrust23THRUST_200600_302600_NS6detail15normal_iteratorINS8_7pointerIjNS8_11hip_rocprim5par_tENS8_11use_defaultESE_EEEENSA_INSB_IiSD_SE_SE_EEEEZNS1_13binary_searchIS3_S5_NSA_INS8_10device_ptrIjEEEESG_SI_NS1_16binary_search_opENS9_16wrapped_functionINS8_6system6detail7generic6detail18binary_search_lessEbEEEE10hipError_tPvRmT1_T2_T3_mmT4_T5_P12ihipStream_tbEUlRKjE_EESV_SZ_S10_mS11_S14_bEUlT_E_NS1_11comp_targetILNS1_3genE10ELNS1_11target_archE1200ELNS1_3gpuE4ELNS1_3repE0EEENS1_30default_config_static_selectorELNS0_4arch9wavefront6targetE0EEEvSY_
		.amdhsa_group_segment_fixed_size 0
		.amdhsa_private_segment_fixed_size 0
		.amdhsa_kernarg_size 56
		.amdhsa_user_sgpr_count 6
		.amdhsa_user_sgpr_private_segment_buffer 1
		.amdhsa_user_sgpr_dispatch_ptr 0
		.amdhsa_user_sgpr_queue_ptr 0
		.amdhsa_user_sgpr_kernarg_segment_ptr 1
		.amdhsa_user_sgpr_dispatch_id 0
		.amdhsa_user_sgpr_flat_scratch_init 0
		.amdhsa_user_sgpr_private_segment_size 0
		.amdhsa_wavefront_size32 1
		.amdhsa_uses_dynamic_stack 0
		.amdhsa_system_sgpr_private_segment_wavefront_offset 0
		.amdhsa_system_sgpr_workgroup_id_x 1
		.amdhsa_system_sgpr_workgroup_id_y 0
		.amdhsa_system_sgpr_workgroup_id_z 0
		.amdhsa_system_sgpr_workgroup_info 0
		.amdhsa_system_vgpr_workitem_id 0
		.amdhsa_next_free_vgpr 1
		.amdhsa_next_free_sgpr 1
		.amdhsa_reserve_vcc 0
		.amdhsa_reserve_flat_scratch 0
		.amdhsa_float_round_mode_32 0
		.amdhsa_float_round_mode_16_64 0
		.amdhsa_float_denorm_mode_32 3
		.amdhsa_float_denorm_mode_16_64 3
		.amdhsa_dx10_clamp 1
		.amdhsa_ieee_mode 1
		.amdhsa_fp16_overflow 0
		.amdhsa_workgroup_processor_mode 1
		.amdhsa_memory_ordered 1
		.amdhsa_forward_progress 1
		.amdhsa_shared_vgpr_count 0
		.amdhsa_exception_fp_ieee_invalid_op 0
		.amdhsa_exception_fp_denorm_src 0
		.amdhsa_exception_fp_ieee_div_zero 0
		.amdhsa_exception_fp_ieee_overflow 0
		.amdhsa_exception_fp_ieee_underflow 0
		.amdhsa_exception_fp_ieee_inexact 0
		.amdhsa_exception_int_div_zero 0
	.end_amdhsa_kernel
	.section	.text._ZN7rocprim17ROCPRIM_400000_NS6detail17trampoline_kernelINS0_14default_configENS1_29binary_search_config_selectorIjiEEZNS1_14transform_implILb0ES3_S5_N6thrust23THRUST_200600_302600_NS6detail15normal_iteratorINS8_7pointerIjNS8_11hip_rocprim5par_tENS8_11use_defaultESE_EEEENSA_INSB_IiSD_SE_SE_EEEEZNS1_13binary_searchIS3_S5_NSA_INS8_10device_ptrIjEEEESG_SI_NS1_16binary_search_opENS9_16wrapped_functionINS8_6system6detail7generic6detail18binary_search_lessEbEEEE10hipError_tPvRmT1_T2_T3_mmT4_T5_P12ihipStream_tbEUlRKjE_EESV_SZ_S10_mS11_S14_bEUlT_E_NS1_11comp_targetILNS1_3genE10ELNS1_11target_archE1200ELNS1_3gpuE4ELNS1_3repE0EEENS1_30default_config_static_selectorELNS0_4arch9wavefront6targetE0EEEvSY_,"axG",@progbits,_ZN7rocprim17ROCPRIM_400000_NS6detail17trampoline_kernelINS0_14default_configENS1_29binary_search_config_selectorIjiEEZNS1_14transform_implILb0ES3_S5_N6thrust23THRUST_200600_302600_NS6detail15normal_iteratorINS8_7pointerIjNS8_11hip_rocprim5par_tENS8_11use_defaultESE_EEEENSA_INSB_IiSD_SE_SE_EEEEZNS1_13binary_searchIS3_S5_NSA_INS8_10device_ptrIjEEEESG_SI_NS1_16binary_search_opENS9_16wrapped_functionINS8_6system6detail7generic6detail18binary_search_lessEbEEEE10hipError_tPvRmT1_T2_T3_mmT4_T5_P12ihipStream_tbEUlRKjE_EESV_SZ_S10_mS11_S14_bEUlT_E_NS1_11comp_targetILNS1_3genE10ELNS1_11target_archE1200ELNS1_3gpuE4ELNS1_3repE0EEENS1_30default_config_static_selectorELNS0_4arch9wavefront6targetE0EEEvSY_,comdat
.Lfunc_end677:
	.size	_ZN7rocprim17ROCPRIM_400000_NS6detail17trampoline_kernelINS0_14default_configENS1_29binary_search_config_selectorIjiEEZNS1_14transform_implILb0ES3_S5_N6thrust23THRUST_200600_302600_NS6detail15normal_iteratorINS8_7pointerIjNS8_11hip_rocprim5par_tENS8_11use_defaultESE_EEEENSA_INSB_IiSD_SE_SE_EEEEZNS1_13binary_searchIS3_S5_NSA_INS8_10device_ptrIjEEEESG_SI_NS1_16binary_search_opENS9_16wrapped_functionINS8_6system6detail7generic6detail18binary_search_lessEbEEEE10hipError_tPvRmT1_T2_T3_mmT4_T5_P12ihipStream_tbEUlRKjE_EESV_SZ_S10_mS11_S14_bEUlT_E_NS1_11comp_targetILNS1_3genE10ELNS1_11target_archE1200ELNS1_3gpuE4ELNS1_3repE0EEENS1_30default_config_static_selectorELNS0_4arch9wavefront6targetE0EEEvSY_, .Lfunc_end677-_ZN7rocprim17ROCPRIM_400000_NS6detail17trampoline_kernelINS0_14default_configENS1_29binary_search_config_selectorIjiEEZNS1_14transform_implILb0ES3_S5_N6thrust23THRUST_200600_302600_NS6detail15normal_iteratorINS8_7pointerIjNS8_11hip_rocprim5par_tENS8_11use_defaultESE_EEEENSA_INSB_IiSD_SE_SE_EEEEZNS1_13binary_searchIS3_S5_NSA_INS8_10device_ptrIjEEEESG_SI_NS1_16binary_search_opENS9_16wrapped_functionINS8_6system6detail7generic6detail18binary_search_lessEbEEEE10hipError_tPvRmT1_T2_T3_mmT4_T5_P12ihipStream_tbEUlRKjE_EESV_SZ_S10_mS11_S14_bEUlT_E_NS1_11comp_targetILNS1_3genE10ELNS1_11target_archE1200ELNS1_3gpuE4ELNS1_3repE0EEENS1_30default_config_static_selectorELNS0_4arch9wavefront6targetE0EEEvSY_
                                        ; -- End function
	.set _ZN7rocprim17ROCPRIM_400000_NS6detail17trampoline_kernelINS0_14default_configENS1_29binary_search_config_selectorIjiEEZNS1_14transform_implILb0ES3_S5_N6thrust23THRUST_200600_302600_NS6detail15normal_iteratorINS8_7pointerIjNS8_11hip_rocprim5par_tENS8_11use_defaultESE_EEEENSA_INSB_IiSD_SE_SE_EEEEZNS1_13binary_searchIS3_S5_NSA_INS8_10device_ptrIjEEEESG_SI_NS1_16binary_search_opENS9_16wrapped_functionINS8_6system6detail7generic6detail18binary_search_lessEbEEEE10hipError_tPvRmT1_T2_T3_mmT4_T5_P12ihipStream_tbEUlRKjE_EESV_SZ_S10_mS11_S14_bEUlT_E_NS1_11comp_targetILNS1_3genE10ELNS1_11target_archE1200ELNS1_3gpuE4ELNS1_3repE0EEENS1_30default_config_static_selectorELNS0_4arch9wavefront6targetE0EEEvSY_.num_vgpr, 0
	.set _ZN7rocprim17ROCPRIM_400000_NS6detail17trampoline_kernelINS0_14default_configENS1_29binary_search_config_selectorIjiEEZNS1_14transform_implILb0ES3_S5_N6thrust23THRUST_200600_302600_NS6detail15normal_iteratorINS8_7pointerIjNS8_11hip_rocprim5par_tENS8_11use_defaultESE_EEEENSA_INSB_IiSD_SE_SE_EEEEZNS1_13binary_searchIS3_S5_NSA_INS8_10device_ptrIjEEEESG_SI_NS1_16binary_search_opENS9_16wrapped_functionINS8_6system6detail7generic6detail18binary_search_lessEbEEEE10hipError_tPvRmT1_T2_T3_mmT4_T5_P12ihipStream_tbEUlRKjE_EESV_SZ_S10_mS11_S14_bEUlT_E_NS1_11comp_targetILNS1_3genE10ELNS1_11target_archE1200ELNS1_3gpuE4ELNS1_3repE0EEENS1_30default_config_static_selectorELNS0_4arch9wavefront6targetE0EEEvSY_.num_agpr, 0
	.set _ZN7rocprim17ROCPRIM_400000_NS6detail17trampoline_kernelINS0_14default_configENS1_29binary_search_config_selectorIjiEEZNS1_14transform_implILb0ES3_S5_N6thrust23THRUST_200600_302600_NS6detail15normal_iteratorINS8_7pointerIjNS8_11hip_rocprim5par_tENS8_11use_defaultESE_EEEENSA_INSB_IiSD_SE_SE_EEEEZNS1_13binary_searchIS3_S5_NSA_INS8_10device_ptrIjEEEESG_SI_NS1_16binary_search_opENS9_16wrapped_functionINS8_6system6detail7generic6detail18binary_search_lessEbEEEE10hipError_tPvRmT1_T2_T3_mmT4_T5_P12ihipStream_tbEUlRKjE_EESV_SZ_S10_mS11_S14_bEUlT_E_NS1_11comp_targetILNS1_3genE10ELNS1_11target_archE1200ELNS1_3gpuE4ELNS1_3repE0EEENS1_30default_config_static_selectorELNS0_4arch9wavefront6targetE0EEEvSY_.numbered_sgpr, 0
	.set _ZN7rocprim17ROCPRIM_400000_NS6detail17trampoline_kernelINS0_14default_configENS1_29binary_search_config_selectorIjiEEZNS1_14transform_implILb0ES3_S5_N6thrust23THRUST_200600_302600_NS6detail15normal_iteratorINS8_7pointerIjNS8_11hip_rocprim5par_tENS8_11use_defaultESE_EEEENSA_INSB_IiSD_SE_SE_EEEEZNS1_13binary_searchIS3_S5_NSA_INS8_10device_ptrIjEEEESG_SI_NS1_16binary_search_opENS9_16wrapped_functionINS8_6system6detail7generic6detail18binary_search_lessEbEEEE10hipError_tPvRmT1_T2_T3_mmT4_T5_P12ihipStream_tbEUlRKjE_EESV_SZ_S10_mS11_S14_bEUlT_E_NS1_11comp_targetILNS1_3genE10ELNS1_11target_archE1200ELNS1_3gpuE4ELNS1_3repE0EEENS1_30default_config_static_selectorELNS0_4arch9wavefront6targetE0EEEvSY_.num_named_barrier, 0
	.set _ZN7rocprim17ROCPRIM_400000_NS6detail17trampoline_kernelINS0_14default_configENS1_29binary_search_config_selectorIjiEEZNS1_14transform_implILb0ES3_S5_N6thrust23THRUST_200600_302600_NS6detail15normal_iteratorINS8_7pointerIjNS8_11hip_rocprim5par_tENS8_11use_defaultESE_EEEENSA_INSB_IiSD_SE_SE_EEEEZNS1_13binary_searchIS3_S5_NSA_INS8_10device_ptrIjEEEESG_SI_NS1_16binary_search_opENS9_16wrapped_functionINS8_6system6detail7generic6detail18binary_search_lessEbEEEE10hipError_tPvRmT1_T2_T3_mmT4_T5_P12ihipStream_tbEUlRKjE_EESV_SZ_S10_mS11_S14_bEUlT_E_NS1_11comp_targetILNS1_3genE10ELNS1_11target_archE1200ELNS1_3gpuE4ELNS1_3repE0EEENS1_30default_config_static_selectorELNS0_4arch9wavefront6targetE0EEEvSY_.private_seg_size, 0
	.set _ZN7rocprim17ROCPRIM_400000_NS6detail17trampoline_kernelINS0_14default_configENS1_29binary_search_config_selectorIjiEEZNS1_14transform_implILb0ES3_S5_N6thrust23THRUST_200600_302600_NS6detail15normal_iteratorINS8_7pointerIjNS8_11hip_rocprim5par_tENS8_11use_defaultESE_EEEENSA_INSB_IiSD_SE_SE_EEEEZNS1_13binary_searchIS3_S5_NSA_INS8_10device_ptrIjEEEESG_SI_NS1_16binary_search_opENS9_16wrapped_functionINS8_6system6detail7generic6detail18binary_search_lessEbEEEE10hipError_tPvRmT1_T2_T3_mmT4_T5_P12ihipStream_tbEUlRKjE_EESV_SZ_S10_mS11_S14_bEUlT_E_NS1_11comp_targetILNS1_3genE10ELNS1_11target_archE1200ELNS1_3gpuE4ELNS1_3repE0EEENS1_30default_config_static_selectorELNS0_4arch9wavefront6targetE0EEEvSY_.uses_vcc, 0
	.set _ZN7rocprim17ROCPRIM_400000_NS6detail17trampoline_kernelINS0_14default_configENS1_29binary_search_config_selectorIjiEEZNS1_14transform_implILb0ES3_S5_N6thrust23THRUST_200600_302600_NS6detail15normal_iteratorINS8_7pointerIjNS8_11hip_rocprim5par_tENS8_11use_defaultESE_EEEENSA_INSB_IiSD_SE_SE_EEEEZNS1_13binary_searchIS3_S5_NSA_INS8_10device_ptrIjEEEESG_SI_NS1_16binary_search_opENS9_16wrapped_functionINS8_6system6detail7generic6detail18binary_search_lessEbEEEE10hipError_tPvRmT1_T2_T3_mmT4_T5_P12ihipStream_tbEUlRKjE_EESV_SZ_S10_mS11_S14_bEUlT_E_NS1_11comp_targetILNS1_3genE10ELNS1_11target_archE1200ELNS1_3gpuE4ELNS1_3repE0EEENS1_30default_config_static_selectorELNS0_4arch9wavefront6targetE0EEEvSY_.uses_flat_scratch, 0
	.set _ZN7rocprim17ROCPRIM_400000_NS6detail17trampoline_kernelINS0_14default_configENS1_29binary_search_config_selectorIjiEEZNS1_14transform_implILb0ES3_S5_N6thrust23THRUST_200600_302600_NS6detail15normal_iteratorINS8_7pointerIjNS8_11hip_rocprim5par_tENS8_11use_defaultESE_EEEENSA_INSB_IiSD_SE_SE_EEEEZNS1_13binary_searchIS3_S5_NSA_INS8_10device_ptrIjEEEESG_SI_NS1_16binary_search_opENS9_16wrapped_functionINS8_6system6detail7generic6detail18binary_search_lessEbEEEE10hipError_tPvRmT1_T2_T3_mmT4_T5_P12ihipStream_tbEUlRKjE_EESV_SZ_S10_mS11_S14_bEUlT_E_NS1_11comp_targetILNS1_3genE10ELNS1_11target_archE1200ELNS1_3gpuE4ELNS1_3repE0EEENS1_30default_config_static_selectorELNS0_4arch9wavefront6targetE0EEEvSY_.has_dyn_sized_stack, 0
	.set _ZN7rocprim17ROCPRIM_400000_NS6detail17trampoline_kernelINS0_14default_configENS1_29binary_search_config_selectorIjiEEZNS1_14transform_implILb0ES3_S5_N6thrust23THRUST_200600_302600_NS6detail15normal_iteratorINS8_7pointerIjNS8_11hip_rocprim5par_tENS8_11use_defaultESE_EEEENSA_INSB_IiSD_SE_SE_EEEEZNS1_13binary_searchIS3_S5_NSA_INS8_10device_ptrIjEEEESG_SI_NS1_16binary_search_opENS9_16wrapped_functionINS8_6system6detail7generic6detail18binary_search_lessEbEEEE10hipError_tPvRmT1_T2_T3_mmT4_T5_P12ihipStream_tbEUlRKjE_EESV_SZ_S10_mS11_S14_bEUlT_E_NS1_11comp_targetILNS1_3genE10ELNS1_11target_archE1200ELNS1_3gpuE4ELNS1_3repE0EEENS1_30default_config_static_selectorELNS0_4arch9wavefront6targetE0EEEvSY_.has_recursion, 0
	.set _ZN7rocprim17ROCPRIM_400000_NS6detail17trampoline_kernelINS0_14default_configENS1_29binary_search_config_selectorIjiEEZNS1_14transform_implILb0ES3_S5_N6thrust23THRUST_200600_302600_NS6detail15normal_iteratorINS8_7pointerIjNS8_11hip_rocprim5par_tENS8_11use_defaultESE_EEEENSA_INSB_IiSD_SE_SE_EEEEZNS1_13binary_searchIS3_S5_NSA_INS8_10device_ptrIjEEEESG_SI_NS1_16binary_search_opENS9_16wrapped_functionINS8_6system6detail7generic6detail18binary_search_lessEbEEEE10hipError_tPvRmT1_T2_T3_mmT4_T5_P12ihipStream_tbEUlRKjE_EESV_SZ_S10_mS11_S14_bEUlT_E_NS1_11comp_targetILNS1_3genE10ELNS1_11target_archE1200ELNS1_3gpuE4ELNS1_3repE0EEENS1_30default_config_static_selectorELNS0_4arch9wavefront6targetE0EEEvSY_.has_indirect_call, 0
	.section	.AMDGPU.csdata,"",@progbits
; Kernel info:
; codeLenInByte = 0
; TotalNumSgprs: 0
; NumVgprs: 0
; ScratchSize: 0
; MemoryBound: 0
; FloatMode: 240
; IeeeMode: 1
; LDSByteSize: 0 bytes/workgroup (compile time only)
; SGPRBlocks: 0
; VGPRBlocks: 0
; NumSGPRsForWavesPerEU: 1
; NumVGPRsForWavesPerEU: 1
; Occupancy: 16
; WaveLimiterHint : 0
; COMPUTE_PGM_RSRC2:SCRATCH_EN: 0
; COMPUTE_PGM_RSRC2:USER_SGPR: 6
; COMPUTE_PGM_RSRC2:TRAP_HANDLER: 0
; COMPUTE_PGM_RSRC2:TGID_X_EN: 1
; COMPUTE_PGM_RSRC2:TGID_Y_EN: 0
; COMPUTE_PGM_RSRC2:TGID_Z_EN: 0
; COMPUTE_PGM_RSRC2:TIDIG_COMP_CNT: 0
	.section	.text._ZN7rocprim17ROCPRIM_400000_NS6detail17trampoline_kernelINS0_14default_configENS1_29binary_search_config_selectorIjiEEZNS1_14transform_implILb0ES3_S5_N6thrust23THRUST_200600_302600_NS6detail15normal_iteratorINS8_7pointerIjNS8_11hip_rocprim5par_tENS8_11use_defaultESE_EEEENSA_INSB_IiSD_SE_SE_EEEEZNS1_13binary_searchIS3_S5_NSA_INS8_10device_ptrIjEEEESG_SI_NS1_16binary_search_opENS9_16wrapped_functionINS8_6system6detail7generic6detail18binary_search_lessEbEEEE10hipError_tPvRmT1_T2_T3_mmT4_T5_P12ihipStream_tbEUlRKjE_EESV_SZ_S10_mS11_S14_bEUlT_E_NS1_11comp_targetILNS1_3genE9ELNS1_11target_archE1100ELNS1_3gpuE3ELNS1_3repE0EEENS1_30default_config_static_selectorELNS0_4arch9wavefront6targetE0EEEvSY_,"axG",@progbits,_ZN7rocprim17ROCPRIM_400000_NS6detail17trampoline_kernelINS0_14default_configENS1_29binary_search_config_selectorIjiEEZNS1_14transform_implILb0ES3_S5_N6thrust23THRUST_200600_302600_NS6detail15normal_iteratorINS8_7pointerIjNS8_11hip_rocprim5par_tENS8_11use_defaultESE_EEEENSA_INSB_IiSD_SE_SE_EEEEZNS1_13binary_searchIS3_S5_NSA_INS8_10device_ptrIjEEEESG_SI_NS1_16binary_search_opENS9_16wrapped_functionINS8_6system6detail7generic6detail18binary_search_lessEbEEEE10hipError_tPvRmT1_T2_T3_mmT4_T5_P12ihipStream_tbEUlRKjE_EESV_SZ_S10_mS11_S14_bEUlT_E_NS1_11comp_targetILNS1_3genE9ELNS1_11target_archE1100ELNS1_3gpuE3ELNS1_3repE0EEENS1_30default_config_static_selectorELNS0_4arch9wavefront6targetE0EEEvSY_,comdat
	.protected	_ZN7rocprim17ROCPRIM_400000_NS6detail17trampoline_kernelINS0_14default_configENS1_29binary_search_config_selectorIjiEEZNS1_14transform_implILb0ES3_S5_N6thrust23THRUST_200600_302600_NS6detail15normal_iteratorINS8_7pointerIjNS8_11hip_rocprim5par_tENS8_11use_defaultESE_EEEENSA_INSB_IiSD_SE_SE_EEEEZNS1_13binary_searchIS3_S5_NSA_INS8_10device_ptrIjEEEESG_SI_NS1_16binary_search_opENS9_16wrapped_functionINS8_6system6detail7generic6detail18binary_search_lessEbEEEE10hipError_tPvRmT1_T2_T3_mmT4_T5_P12ihipStream_tbEUlRKjE_EESV_SZ_S10_mS11_S14_bEUlT_E_NS1_11comp_targetILNS1_3genE9ELNS1_11target_archE1100ELNS1_3gpuE3ELNS1_3repE0EEENS1_30default_config_static_selectorELNS0_4arch9wavefront6targetE0EEEvSY_ ; -- Begin function _ZN7rocprim17ROCPRIM_400000_NS6detail17trampoline_kernelINS0_14default_configENS1_29binary_search_config_selectorIjiEEZNS1_14transform_implILb0ES3_S5_N6thrust23THRUST_200600_302600_NS6detail15normal_iteratorINS8_7pointerIjNS8_11hip_rocprim5par_tENS8_11use_defaultESE_EEEENSA_INSB_IiSD_SE_SE_EEEEZNS1_13binary_searchIS3_S5_NSA_INS8_10device_ptrIjEEEESG_SI_NS1_16binary_search_opENS9_16wrapped_functionINS8_6system6detail7generic6detail18binary_search_lessEbEEEE10hipError_tPvRmT1_T2_T3_mmT4_T5_P12ihipStream_tbEUlRKjE_EESV_SZ_S10_mS11_S14_bEUlT_E_NS1_11comp_targetILNS1_3genE9ELNS1_11target_archE1100ELNS1_3gpuE3ELNS1_3repE0EEENS1_30default_config_static_selectorELNS0_4arch9wavefront6targetE0EEEvSY_
	.globl	_ZN7rocprim17ROCPRIM_400000_NS6detail17trampoline_kernelINS0_14default_configENS1_29binary_search_config_selectorIjiEEZNS1_14transform_implILb0ES3_S5_N6thrust23THRUST_200600_302600_NS6detail15normal_iteratorINS8_7pointerIjNS8_11hip_rocprim5par_tENS8_11use_defaultESE_EEEENSA_INSB_IiSD_SE_SE_EEEEZNS1_13binary_searchIS3_S5_NSA_INS8_10device_ptrIjEEEESG_SI_NS1_16binary_search_opENS9_16wrapped_functionINS8_6system6detail7generic6detail18binary_search_lessEbEEEE10hipError_tPvRmT1_T2_T3_mmT4_T5_P12ihipStream_tbEUlRKjE_EESV_SZ_S10_mS11_S14_bEUlT_E_NS1_11comp_targetILNS1_3genE9ELNS1_11target_archE1100ELNS1_3gpuE3ELNS1_3repE0EEENS1_30default_config_static_selectorELNS0_4arch9wavefront6targetE0EEEvSY_
	.p2align	8
	.type	_ZN7rocprim17ROCPRIM_400000_NS6detail17trampoline_kernelINS0_14default_configENS1_29binary_search_config_selectorIjiEEZNS1_14transform_implILb0ES3_S5_N6thrust23THRUST_200600_302600_NS6detail15normal_iteratorINS8_7pointerIjNS8_11hip_rocprim5par_tENS8_11use_defaultESE_EEEENSA_INSB_IiSD_SE_SE_EEEEZNS1_13binary_searchIS3_S5_NSA_INS8_10device_ptrIjEEEESG_SI_NS1_16binary_search_opENS9_16wrapped_functionINS8_6system6detail7generic6detail18binary_search_lessEbEEEE10hipError_tPvRmT1_T2_T3_mmT4_T5_P12ihipStream_tbEUlRKjE_EESV_SZ_S10_mS11_S14_bEUlT_E_NS1_11comp_targetILNS1_3genE9ELNS1_11target_archE1100ELNS1_3gpuE3ELNS1_3repE0EEENS1_30default_config_static_selectorELNS0_4arch9wavefront6targetE0EEEvSY_,@function
_ZN7rocprim17ROCPRIM_400000_NS6detail17trampoline_kernelINS0_14default_configENS1_29binary_search_config_selectorIjiEEZNS1_14transform_implILb0ES3_S5_N6thrust23THRUST_200600_302600_NS6detail15normal_iteratorINS8_7pointerIjNS8_11hip_rocprim5par_tENS8_11use_defaultESE_EEEENSA_INSB_IiSD_SE_SE_EEEEZNS1_13binary_searchIS3_S5_NSA_INS8_10device_ptrIjEEEESG_SI_NS1_16binary_search_opENS9_16wrapped_functionINS8_6system6detail7generic6detail18binary_search_lessEbEEEE10hipError_tPvRmT1_T2_T3_mmT4_T5_P12ihipStream_tbEUlRKjE_EESV_SZ_S10_mS11_S14_bEUlT_E_NS1_11comp_targetILNS1_3genE9ELNS1_11target_archE1100ELNS1_3gpuE3ELNS1_3repE0EEENS1_30default_config_static_selectorELNS0_4arch9wavefront6targetE0EEEvSY_: ; @_ZN7rocprim17ROCPRIM_400000_NS6detail17trampoline_kernelINS0_14default_configENS1_29binary_search_config_selectorIjiEEZNS1_14transform_implILb0ES3_S5_N6thrust23THRUST_200600_302600_NS6detail15normal_iteratorINS8_7pointerIjNS8_11hip_rocprim5par_tENS8_11use_defaultESE_EEEENSA_INSB_IiSD_SE_SE_EEEEZNS1_13binary_searchIS3_S5_NSA_INS8_10device_ptrIjEEEESG_SI_NS1_16binary_search_opENS9_16wrapped_functionINS8_6system6detail7generic6detail18binary_search_lessEbEEEE10hipError_tPvRmT1_T2_T3_mmT4_T5_P12ihipStream_tbEUlRKjE_EESV_SZ_S10_mS11_S14_bEUlT_E_NS1_11comp_targetILNS1_3genE9ELNS1_11target_archE1100ELNS1_3gpuE3ELNS1_3repE0EEENS1_30default_config_static_selectorELNS0_4arch9wavefront6targetE0EEEvSY_
; %bb.0:
	.section	.rodata,"a",@progbits
	.p2align	6, 0x0
	.amdhsa_kernel _ZN7rocprim17ROCPRIM_400000_NS6detail17trampoline_kernelINS0_14default_configENS1_29binary_search_config_selectorIjiEEZNS1_14transform_implILb0ES3_S5_N6thrust23THRUST_200600_302600_NS6detail15normal_iteratorINS8_7pointerIjNS8_11hip_rocprim5par_tENS8_11use_defaultESE_EEEENSA_INSB_IiSD_SE_SE_EEEEZNS1_13binary_searchIS3_S5_NSA_INS8_10device_ptrIjEEEESG_SI_NS1_16binary_search_opENS9_16wrapped_functionINS8_6system6detail7generic6detail18binary_search_lessEbEEEE10hipError_tPvRmT1_T2_T3_mmT4_T5_P12ihipStream_tbEUlRKjE_EESV_SZ_S10_mS11_S14_bEUlT_E_NS1_11comp_targetILNS1_3genE9ELNS1_11target_archE1100ELNS1_3gpuE3ELNS1_3repE0EEENS1_30default_config_static_selectorELNS0_4arch9wavefront6targetE0EEEvSY_
		.amdhsa_group_segment_fixed_size 0
		.amdhsa_private_segment_fixed_size 0
		.amdhsa_kernarg_size 56
		.amdhsa_user_sgpr_count 6
		.amdhsa_user_sgpr_private_segment_buffer 1
		.amdhsa_user_sgpr_dispatch_ptr 0
		.amdhsa_user_sgpr_queue_ptr 0
		.amdhsa_user_sgpr_kernarg_segment_ptr 1
		.amdhsa_user_sgpr_dispatch_id 0
		.amdhsa_user_sgpr_flat_scratch_init 0
		.amdhsa_user_sgpr_private_segment_size 0
		.amdhsa_wavefront_size32 1
		.amdhsa_uses_dynamic_stack 0
		.amdhsa_system_sgpr_private_segment_wavefront_offset 0
		.amdhsa_system_sgpr_workgroup_id_x 1
		.amdhsa_system_sgpr_workgroup_id_y 0
		.amdhsa_system_sgpr_workgroup_id_z 0
		.amdhsa_system_sgpr_workgroup_info 0
		.amdhsa_system_vgpr_workitem_id 0
		.amdhsa_next_free_vgpr 1
		.amdhsa_next_free_sgpr 1
		.amdhsa_reserve_vcc 0
		.amdhsa_reserve_flat_scratch 0
		.amdhsa_float_round_mode_32 0
		.amdhsa_float_round_mode_16_64 0
		.amdhsa_float_denorm_mode_32 3
		.amdhsa_float_denorm_mode_16_64 3
		.amdhsa_dx10_clamp 1
		.amdhsa_ieee_mode 1
		.amdhsa_fp16_overflow 0
		.amdhsa_workgroup_processor_mode 1
		.amdhsa_memory_ordered 1
		.amdhsa_forward_progress 1
		.amdhsa_shared_vgpr_count 0
		.amdhsa_exception_fp_ieee_invalid_op 0
		.amdhsa_exception_fp_denorm_src 0
		.amdhsa_exception_fp_ieee_div_zero 0
		.amdhsa_exception_fp_ieee_overflow 0
		.amdhsa_exception_fp_ieee_underflow 0
		.amdhsa_exception_fp_ieee_inexact 0
		.amdhsa_exception_int_div_zero 0
	.end_amdhsa_kernel
	.section	.text._ZN7rocprim17ROCPRIM_400000_NS6detail17trampoline_kernelINS0_14default_configENS1_29binary_search_config_selectorIjiEEZNS1_14transform_implILb0ES3_S5_N6thrust23THRUST_200600_302600_NS6detail15normal_iteratorINS8_7pointerIjNS8_11hip_rocprim5par_tENS8_11use_defaultESE_EEEENSA_INSB_IiSD_SE_SE_EEEEZNS1_13binary_searchIS3_S5_NSA_INS8_10device_ptrIjEEEESG_SI_NS1_16binary_search_opENS9_16wrapped_functionINS8_6system6detail7generic6detail18binary_search_lessEbEEEE10hipError_tPvRmT1_T2_T3_mmT4_T5_P12ihipStream_tbEUlRKjE_EESV_SZ_S10_mS11_S14_bEUlT_E_NS1_11comp_targetILNS1_3genE9ELNS1_11target_archE1100ELNS1_3gpuE3ELNS1_3repE0EEENS1_30default_config_static_selectorELNS0_4arch9wavefront6targetE0EEEvSY_,"axG",@progbits,_ZN7rocprim17ROCPRIM_400000_NS6detail17trampoline_kernelINS0_14default_configENS1_29binary_search_config_selectorIjiEEZNS1_14transform_implILb0ES3_S5_N6thrust23THRUST_200600_302600_NS6detail15normal_iteratorINS8_7pointerIjNS8_11hip_rocprim5par_tENS8_11use_defaultESE_EEEENSA_INSB_IiSD_SE_SE_EEEEZNS1_13binary_searchIS3_S5_NSA_INS8_10device_ptrIjEEEESG_SI_NS1_16binary_search_opENS9_16wrapped_functionINS8_6system6detail7generic6detail18binary_search_lessEbEEEE10hipError_tPvRmT1_T2_T3_mmT4_T5_P12ihipStream_tbEUlRKjE_EESV_SZ_S10_mS11_S14_bEUlT_E_NS1_11comp_targetILNS1_3genE9ELNS1_11target_archE1100ELNS1_3gpuE3ELNS1_3repE0EEENS1_30default_config_static_selectorELNS0_4arch9wavefront6targetE0EEEvSY_,comdat
.Lfunc_end678:
	.size	_ZN7rocprim17ROCPRIM_400000_NS6detail17trampoline_kernelINS0_14default_configENS1_29binary_search_config_selectorIjiEEZNS1_14transform_implILb0ES3_S5_N6thrust23THRUST_200600_302600_NS6detail15normal_iteratorINS8_7pointerIjNS8_11hip_rocprim5par_tENS8_11use_defaultESE_EEEENSA_INSB_IiSD_SE_SE_EEEEZNS1_13binary_searchIS3_S5_NSA_INS8_10device_ptrIjEEEESG_SI_NS1_16binary_search_opENS9_16wrapped_functionINS8_6system6detail7generic6detail18binary_search_lessEbEEEE10hipError_tPvRmT1_T2_T3_mmT4_T5_P12ihipStream_tbEUlRKjE_EESV_SZ_S10_mS11_S14_bEUlT_E_NS1_11comp_targetILNS1_3genE9ELNS1_11target_archE1100ELNS1_3gpuE3ELNS1_3repE0EEENS1_30default_config_static_selectorELNS0_4arch9wavefront6targetE0EEEvSY_, .Lfunc_end678-_ZN7rocprim17ROCPRIM_400000_NS6detail17trampoline_kernelINS0_14default_configENS1_29binary_search_config_selectorIjiEEZNS1_14transform_implILb0ES3_S5_N6thrust23THRUST_200600_302600_NS6detail15normal_iteratorINS8_7pointerIjNS8_11hip_rocprim5par_tENS8_11use_defaultESE_EEEENSA_INSB_IiSD_SE_SE_EEEEZNS1_13binary_searchIS3_S5_NSA_INS8_10device_ptrIjEEEESG_SI_NS1_16binary_search_opENS9_16wrapped_functionINS8_6system6detail7generic6detail18binary_search_lessEbEEEE10hipError_tPvRmT1_T2_T3_mmT4_T5_P12ihipStream_tbEUlRKjE_EESV_SZ_S10_mS11_S14_bEUlT_E_NS1_11comp_targetILNS1_3genE9ELNS1_11target_archE1100ELNS1_3gpuE3ELNS1_3repE0EEENS1_30default_config_static_selectorELNS0_4arch9wavefront6targetE0EEEvSY_
                                        ; -- End function
	.set _ZN7rocprim17ROCPRIM_400000_NS6detail17trampoline_kernelINS0_14default_configENS1_29binary_search_config_selectorIjiEEZNS1_14transform_implILb0ES3_S5_N6thrust23THRUST_200600_302600_NS6detail15normal_iteratorINS8_7pointerIjNS8_11hip_rocprim5par_tENS8_11use_defaultESE_EEEENSA_INSB_IiSD_SE_SE_EEEEZNS1_13binary_searchIS3_S5_NSA_INS8_10device_ptrIjEEEESG_SI_NS1_16binary_search_opENS9_16wrapped_functionINS8_6system6detail7generic6detail18binary_search_lessEbEEEE10hipError_tPvRmT1_T2_T3_mmT4_T5_P12ihipStream_tbEUlRKjE_EESV_SZ_S10_mS11_S14_bEUlT_E_NS1_11comp_targetILNS1_3genE9ELNS1_11target_archE1100ELNS1_3gpuE3ELNS1_3repE0EEENS1_30default_config_static_selectorELNS0_4arch9wavefront6targetE0EEEvSY_.num_vgpr, 0
	.set _ZN7rocprim17ROCPRIM_400000_NS6detail17trampoline_kernelINS0_14default_configENS1_29binary_search_config_selectorIjiEEZNS1_14transform_implILb0ES3_S5_N6thrust23THRUST_200600_302600_NS6detail15normal_iteratorINS8_7pointerIjNS8_11hip_rocprim5par_tENS8_11use_defaultESE_EEEENSA_INSB_IiSD_SE_SE_EEEEZNS1_13binary_searchIS3_S5_NSA_INS8_10device_ptrIjEEEESG_SI_NS1_16binary_search_opENS9_16wrapped_functionINS8_6system6detail7generic6detail18binary_search_lessEbEEEE10hipError_tPvRmT1_T2_T3_mmT4_T5_P12ihipStream_tbEUlRKjE_EESV_SZ_S10_mS11_S14_bEUlT_E_NS1_11comp_targetILNS1_3genE9ELNS1_11target_archE1100ELNS1_3gpuE3ELNS1_3repE0EEENS1_30default_config_static_selectorELNS0_4arch9wavefront6targetE0EEEvSY_.num_agpr, 0
	.set _ZN7rocprim17ROCPRIM_400000_NS6detail17trampoline_kernelINS0_14default_configENS1_29binary_search_config_selectorIjiEEZNS1_14transform_implILb0ES3_S5_N6thrust23THRUST_200600_302600_NS6detail15normal_iteratorINS8_7pointerIjNS8_11hip_rocprim5par_tENS8_11use_defaultESE_EEEENSA_INSB_IiSD_SE_SE_EEEEZNS1_13binary_searchIS3_S5_NSA_INS8_10device_ptrIjEEEESG_SI_NS1_16binary_search_opENS9_16wrapped_functionINS8_6system6detail7generic6detail18binary_search_lessEbEEEE10hipError_tPvRmT1_T2_T3_mmT4_T5_P12ihipStream_tbEUlRKjE_EESV_SZ_S10_mS11_S14_bEUlT_E_NS1_11comp_targetILNS1_3genE9ELNS1_11target_archE1100ELNS1_3gpuE3ELNS1_3repE0EEENS1_30default_config_static_selectorELNS0_4arch9wavefront6targetE0EEEvSY_.numbered_sgpr, 0
	.set _ZN7rocprim17ROCPRIM_400000_NS6detail17trampoline_kernelINS0_14default_configENS1_29binary_search_config_selectorIjiEEZNS1_14transform_implILb0ES3_S5_N6thrust23THRUST_200600_302600_NS6detail15normal_iteratorINS8_7pointerIjNS8_11hip_rocprim5par_tENS8_11use_defaultESE_EEEENSA_INSB_IiSD_SE_SE_EEEEZNS1_13binary_searchIS3_S5_NSA_INS8_10device_ptrIjEEEESG_SI_NS1_16binary_search_opENS9_16wrapped_functionINS8_6system6detail7generic6detail18binary_search_lessEbEEEE10hipError_tPvRmT1_T2_T3_mmT4_T5_P12ihipStream_tbEUlRKjE_EESV_SZ_S10_mS11_S14_bEUlT_E_NS1_11comp_targetILNS1_3genE9ELNS1_11target_archE1100ELNS1_3gpuE3ELNS1_3repE0EEENS1_30default_config_static_selectorELNS0_4arch9wavefront6targetE0EEEvSY_.num_named_barrier, 0
	.set _ZN7rocprim17ROCPRIM_400000_NS6detail17trampoline_kernelINS0_14default_configENS1_29binary_search_config_selectorIjiEEZNS1_14transform_implILb0ES3_S5_N6thrust23THRUST_200600_302600_NS6detail15normal_iteratorINS8_7pointerIjNS8_11hip_rocprim5par_tENS8_11use_defaultESE_EEEENSA_INSB_IiSD_SE_SE_EEEEZNS1_13binary_searchIS3_S5_NSA_INS8_10device_ptrIjEEEESG_SI_NS1_16binary_search_opENS9_16wrapped_functionINS8_6system6detail7generic6detail18binary_search_lessEbEEEE10hipError_tPvRmT1_T2_T3_mmT4_T5_P12ihipStream_tbEUlRKjE_EESV_SZ_S10_mS11_S14_bEUlT_E_NS1_11comp_targetILNS1_3genE9ELNS1_11target_archE1100ELNS1_3gpuE3ELNS1_3repE0EEENS1_30default_config_static_selectorELNS0_4arch9wavefront6targetE0EEEvSY_.private_seg_size, 0
	.set _ZN7rocprim17ROCPRIM_400000_NS6detail17trampoline_kernelINS0_14default_configENS1_29binary_search_config_selectorIjiEEZNS1_14transform_implILb0ES3_S5_N6thrust23THRUST_200600_302600_NS6detail15normal_iteratorINS8_7pointerIjNS8_11hip_rocprim5par_tENS8_11use_defaultESE_EEEENSA_INSB_IiSD_SE_SE_EEEEZNS1_13binary_searchIS3_S5_NSA_INS8_10device_ptrIjEEEESG_SI_NS1_16binary_search_opENS9_16wrapped_functionINS8_6system6detail7generic6detail18binary_search_lessEbEEEE10hipError_tPvRmT1_T2_T3_mmT4_T5_P12ihipStream_tbEUlRKjE_EESV_SZ_S10_mS11_S14_bEUlT_E_NS1_11comp_targetILNS1_3genE9ELNS1_11target_archE1100ELNS1_3gpuE3ELNS1_3repE0EEENS1_30default_config_static_selectorELNS0_4arch9wavefront6targetE0EEEvSY_.uses_vcc, 0
	.set _ZN7rocprim17ROCPRIM_400000_NS6detail17trampoline_kernelINS0_14default_configENS1_29binary_search_config_selectorIjiEEZNS1_14transform_implILb0ES3_S5_N6thrust23THRUST_200600_302600_NS6detail15normal_iteratorINS8_7pointerIjNS8_11hip_rocprim5par_tENS8_11use_defaultESE_EEEENSA_INSB_IiSD_SE_SE_EEEEZNS1_13binary_searchIS3_S5_NSA_INS8_10device_ptrIjEEEESG_SI_NS1_16binary_search_opENS9_16wrapped_functionINS8_6system6detail7generic6detail18binary_search_lessEbEEEE10hipError_tPvRmT1_T2_T3_mmT4_T5_P12ihipStream_tbEUlRKjE_EESV_SZ_S10_mS11_S14_bEUlT_E_NS1_11comp_targetILNS1_3genE9ELNS1_11target_archE1100ELNS1_3gpuE3ELNS1_3repE0EEENS1_30default_config_static_selectorELNS0_4arch9wavefront6targetE0EEEvSY_.uses_flat_scratch, 0
	.set _ZN7rocprim17ROCPRIM_400000_NS6detail17trampoline_kernelINS0_14default_configENS1_29binary_search_config_selectorIjiEEZNS1_14transform_implILb0ES3_S5_N6thrust23THRUST_200600_302600_NS6detail15normal_iteratorINS8_7pointerIjNS8_11hip_rocprim5par_tENS8_11use_defaultESE_EEEENSA_INSB_IiSD_SE_SE_EEEEZNS1_13binary_searchIS3_S5_NSA_INS8_10device_ptrIjEEEESG_SI_NS1_16binary_search_opENS9_16wrapped_functionINS8_6system6detail7generic6detail18binary_search_lessEbEEEE10hipError_tPvRmT1_T2_T3_mmT4_T5_P12ihipStream_tbEUlRKjE_EESV_SZ_S10_mS11_S14_bEUlT_E_NS1_11comp_targetILNS1_3genE9ELNS1_11target_archE1100ELNS1_3gpuE3ELNS1_3repE0EEENS1_30default_config_static_selectorELNS0_4arch9wavefront6targetE0EEEvSY_.has_dyn_sized_stack, 0
	.set _ZN7rocprim17ROCPRIM_400000_NS6detail17trampoline_kernelINS0_14default_configENS1_29binary_search_config_selectorIjiEEZNS1_14transform_implILb0ES3_S5_N6thrust23THRUST_200600_302600_NS6detail15normal_iteratorINS8_7pointerIjNS8_11hip_rocprim5par_tENS8_11use_defaultESE_EEEENSA_INSB_IiSD_SE_SE_EEEEZNS1_13binary_searchIS3_S5_NSA_INS8_10device_ptrIjEEEESG_SI_NS1_16binary_search_opENS9_16wrapped_functionINS8_6system6detail7generic6detail18binary_search_lessEbEEEE10hipError_tPvRmT1_T2_T3_mmT4_T5_P12ihipStream_tbEUlRKjE_EESV_SZ_S10_mS11_S14_bEUlT_E_NS1_11comp_targetILNS1_3genE9ELNS1_11target_archE1100ELNS1_3gpuE3ELNS1_3repE0EEENS1_30default_config_static_selectorELNS0_4arch9wavefront6targetE0EEEvSY_.has_recursion, 0
	.set _ZN7rocprim17ROCPRIM_400000_NS6detail17trampoline_kernelINS0_14default_configENS1_29binary_search_config_selectorIjiEEZNS1_14transform_implILb0ES3_S5_N6thrust23THRUST_200600_302600_NS6detail15normal_iteratorINS8_7pointerIjNS8_11hip_rocprim5par_tENS8_11use_defaultESE_EEEENSA_INSB_IiSD_SE_SE_EEEEZNS1_13binary_searchIS3_S5_NSA_INS8_10device_ptrIjEEEESG_SI_NS1_16binary_search_opENS9_16wrapped_functionINS8_6system6detail7generic6detail18binary_search_lessEbEEEE10hipError_tPvRmT1_T2_T3_mmT4_T5_P12ihipStream_tbEUlRKjE_EESV_SZ_S10_mS11_S14_bEUlT_E_NS1_11comp_targetILNS1_3genE9ELNS1_11target_archE1100ELNS1_3gpuE3ELNS1_3repE0EEENS1_30default_config_static_selectorELNS0_4arch9wavefront6targetE0EEEvSY_.has_indirect_call, 0
	.section	.AMDGPU.csdata,"",@progbits
; Kernel info:
; codeLenInByte = 0
; TotalNumSgprs: 0
; NumVgprs: 0
; ScratchSize: 0
; MemoryBound: 0
; FloatMode: 240
; IeeeMode: 1
; LDSByteSize: 0 bytes/workgroup (compile time only)
; SGPRBlocks: 0
; VGPRBlocks: 0
; NumSGPRsForWavesPerEU: 1
; NumVGPRsForWavesPerEU: 1
; Occupancy: 16
; WaveLimiterHint : 0
; COMPUTE_PGM_RSRC2:SCRATCH_EN: 0
; COMPUTE_PGM_RSRC2:USER_SGPR: 6
; COMPUTE_PGM_RSRC2:TRAP_HANDLER: 0
; COMPUTE_PGM_RSRC2:TGID_X_EN: 1
; COMPUTE_PGM_RSRC2:TGID_Y_EN: 0
; COMPUTE_PGM_RSRC2:TGID_Z_EN: 0
; COMPUTE_PGM_RSRC2:TIDIG_COMP_CNT: 0
	.section	.text._ZN7rocprim17ROCPRIM_400000_NS6detail17trampoline_kernelINS0_14default_configENS1_29binary_search_config_selectorIjiEEZNS1_14transform_implILb0ES3_S5_N6thrust23THRUST_200600_302600_NS6detail15normal_iteratorINS8_7pointerIjNS8_11hip_rocprim5par_tENS8_11use_defaultESE_EEEENSA_INSB_IiSD_SE_SE_EEEEZNS1_13binary_searchIS3_S5_NSA_INS8_10device_ptrIjEEEESG_SI_NS1_16binary_search_opENS9_16wrapped_functionINS8_6system6detail7generic6detail18binary_search_lessEbEEEE10hipError_tPvRmT1_T2_T3_mmT4_T5_P12ihipStream_tbEUlRKjE_EESV_SZ_S10_mS11_S14_bEUlT_E_NS1_11comp_targetILNS1_3genE8ELNS1_11target_archE1030ELNS1_3gpuE2ELNS1_3repE0EEENS1_30default_config_static_selectorELNS0_4arch9wavefront6targetE0EEEvSY_,"axG",@progbits,_ZN7rocprim17ROCPRIM_400000_NS6detail17trampoline_kernelINS0_14default_configENS1_29binary_search_config_selectorIjiEEZNS1_14transform_implILb0ES3_S5_N6thrust23THRUST_200600_302600_NS6detail15normal_iteratorINS8_7pointerIjNS8_11hip_rocprim5par_tENS8_11use_defaultESE_EEEENSA_INSB_IiSD_SE_SE_EEEEZNS1_13binary_searchIS3_S5_NSA_INS8_10device_ptrIjEEEESG_SI_NS1_16binary_search_opENS9_16wrapped_functionINS8_6system6detail7generic6detail18binary_search_lessEbEEEE10hipError_tPvRmT1_T2_T3_mmT4_T5_P12ihipStream_tbEUlRKjE_EESV_SZ_S10_mS11_S14_bEUlT_E_NS1_11comp_targetILNS1_3genE8ELNS1_11target_archE1030ELNS1_3gpuE2ELNS1_3repE0EEENS1_30default_config_static_selectorELNS0_4arch9wavefront6targetE0EEEvSY_,comdat
	.protected	_ZN7rocprim17ROCPRIM_400000_NS6detail17trampoline_kernelINS0_14default_configENS1_29binary_search_config_selectorIjiEEZNS1_14transform_implILb0ES3_S5_N6thrust23THRUST_200600_302600_NS6detail15normal_iteratorINS8_7pointerIjNS8_11hip_rocprim5par_tENS8_11use_defaultESE_EEEENSA_INSB_IiSD_SE_SE_EEEEZNS1_13binary_searchIS3_S5_NSA_INS8_10device_ptrIjEEEESG_SI_NS1_16binary_search_opENS9_16wrapped_functionINS8_6system6detail7generic6detail18binary_search_lessEbEEEE10hipError_tPvRmT1_T2_T3_mmT4_T5_P12ihipStream_tbEUlRKjE_EESV_SZ_S10_mS11_S14_bEUlT_E_NS1_11comp_targetILNS1_3genE8ELNS1_11target_archE1030ELNS1_3gpuE2ELNS1_3repE0EEENS1_30default_config_static_selectorELNS0_4arch9wavefront6targetE0EEEvSY_ ; -- Begin function _ZN7rocprim17ROCPRIM_400000_NS6detail17trampoline_kernelINS0_14default_configENS1_29binary_search_config_selectorIjiEEZNS1_14transform_implILb0ES3_S5_N6thrust23THRUST_200600_302600_NS6detail15normal_iteratorINS8_7pointerIjNS8_11hip_rocprim5par_tENS8_11use_defaultESE_EEEENSA_INSB_IiSD_SE_SE_EEEEZNS1_13binary_searchIS3_S5_NSA_INS8_10device_ptrIjEEEESG_SI_NS1_16binary_search_opENS9_16wrapped_functionINS8_6system6detail7generic6detail18binary_search_lessEbEEEE10hipError_tPvRmT1_T2_T3_mmT4_T5_P12ihipStream_tbEUlRKjE_EESV_SZ_S10_mS11_S14_bEUlT_E_NS1_11comp_targetILNS1_3genE8ELNS1_11target_archE1030ELNS1_3gpuE2ELNS1_3repE0EEENS1_30default_config_static_selectorELNS0_4arch9wavefront6targetE0EEEvSY_
	.globl	_ZN7rocprim17ROCPRIM_400000_NS6detail17trampoline_kernelINS0_14default_configENS1_29binary_search_config_selectorIjiEEZNS1_14transform_implILb0ES3_S5_N6thrust23THRUST_200600_302600_NS6detail15normal_iteratorINS8_7pointerIjNS8_11hip_rocprim5par_tENS8_11use_defaultESE_EEEENSA_INSB_IiSD_SE_SE_EEEEZNS1_13binary_searchIS3_S5_NSA_INS8_10device_ptrIjEEEESG_SI_NS1_16binary_search_opENS9_16wrapped_functionINS8_6system6detail7generic6detail18binary_search_lessEbEEEE10hipError_tPvRmT1_T2_T3_mmT4_T5_P12ihipStream_tbEUlRKjE_EESV_SZ_S10_mS11_S14_bEUlT_E_NS1_11comp_targetILNS1_3genE8ELNS1_11target_archE1030ELNS1_3gpuE2ELNS1_3repE0EEENS1_30default_config_static_selectorELNS0_4arch9wavefront6targetE0EEEvSY_
	.p2align	8
	.type	_ZN7rocprim17ROCPRIM_400000_NS6detail17trampoline_kernelINS0_14default_configENS1_29binary_search_config_selectorIjiEEZNS1_14transform_implILb0ES3_S5_N6thrust23THRUST_200600_302600_NS6detail15normal_iteratorINS8_7pointerIjNS8_11hip_rocprim5par_tENS8_11use_defaultESE_EEEENSA_INSB_IiSD_SE_SE_EEEEZNS1_13binary_searchIS3_S5_NSA_INS8_10device_ptrIjEEEESG_SI_NS1_16binary_search_opENS9_16wrapped_functionINS8_6system6detail7generic6detail18binary_search_lessEbEEEE10hipError_tPvRmT1_T2_T3_mmT4_T5_P12ihipStream_tbEUlRKjE_EESV_SZ_S10_mS11_S14_bEUlT_E_NS1_11comp_targetILNS1_3genE8ELNS1_11target_archE1030ELNS1_3gpuE2ELNS1_3repE0EEENS1_30default_config_static_selectorELNS0_4arch9wavefront6targetE0EEEvSY_,@function
_ZN7rocprim17ROCPRIM_400000_NS6detail17trampoline_kernelINS0_14default_configENS1_29binary_search_config_selectorIjiEEZNS1_14transform_implILb0ES3_S5_N6thrust23THRUST_200600_302600_NS6detail15normal_iteratorINS8_7pointerIjNS8_11hip_rocprim5par_tENS8_11use_defaultESE_EEEENSA_INSB_IiSD_SE_SE_EEEEZNS1_13binary_searchIS3_S5_NSA_INS8_10device_ptrIjEEEESG_SI_NS1_16binary_search_opENS9_16wrapped_functionINS8_6system6detail7generic6detail18binary_search_lessEbEEEE10hipError_tPvRmT1_T2_T3_mmT4_T5_P12ihipStream_tbEUlRKjE_EESV_SZ_S10_mS11_S14_bEUlT_E_NS1_11comp_targetILNS1_3genE8ELNS1_11target_archE1030ELNS1_3gpuE2ELNS1_3repE0EEENS1_30default_config_static_selectorELNS0_4arch9wavefront6targetE0EEEvSY_: ; @_ZN7rocprim17ROCPRIM_400000_NS6detail17trampoline_kernelINS0_14default_configENS1_29binary_search_config_selectorIjiEEZNS1_14transform_implILb0ES3_S5_N6thrust23THRUST_200600_302600_NS6detail15normal_iteratorINS8_7pointerIjNS8_11hip_rocprim5par_tENS8_11use_defaultESE_EEEENSA_INSB_IiSD_SE_SE_EEEEZNS1_13binary_searchIS3_S5_NSA_INS8_10device_ptrIjEEEESG_SI_NS1_16binary_search_opENS9_16wrapped_functionINS8_6system6detail7generic6detail18binary_search_lessEbEEEE10hipError_tPvRmT1_T2_T3_mmT4_T5_P12ihipStream_tbEUlRKjE_EESV_SZ_S10_mS11_S14_bEUlT_E_NS1_11comp_targetILNS1_3genE8ELNS1_11target_archE1030ELNS1_3gpuE2ELNS1_3repE0EEENS1_30default_config_static_selectorELNS0_4arch9wavefront6targetE0EEEvSY_
; %bb.0:
	s_clause 0x3
	s_load_dwordx4 s[16:19], s[4:5], 0x0
	s_load_dword s3, s[4:5], 0x38
	s_load_dwordx2 s[0:1], s[4:5], 0x28
	s_load_dwordx4 s[8:11], s[4:5], 0x18
	s_waitcnt lgkmcnt(0)
	s_lshl_b64 s[12:13], s[18:19], 2
	s_add_u32 s14, s16, s12
	s_addc_u32 s15, s17, s13
	s_add_i32 s7, s3, -1
	s_lshl_b32 s2, s6, 8
	s_mov_b32 s3, 0
	s_cmp_lg_u32 s6, s7
	s_mov_b32 s16, -1
	s_cbranch_scc0 .LBB679_6
; %bb.1:
	v_lshlrev_b32_e32 v1, 2, v0
	s_lshl_b64 s[6:7], s[2:3], 2
	s_add_u32 s6, s14, s6
	s_addc_u32 s7, s15, s7
	v_add_co_u32 v1, s6, s6, v1
	v_add_co_ci_u32_e64 v2, null, s7, 0, s6
	s_cmp_eq_u64 s[0:1], 0
	flat_load_dword v6, v[1:2]
	v_mov_b32_e32 v2, 0
	v_mov_b32_e32 v1, 0
	;; [unrolled: 1-line block ×3, first 2 shown]
	s_cbranch_scc1 .LBB679_5
; %bb.2:
	v_mov_b32_e32 v5, s1
	v_mov_b32_e32 v4, s0
	s_mov_b32 s6, 0
	s_inst_prefetch 0x1
	.p2align	6
.LBB679_3:                              ; =>This Inner Loop Header: Depth=1
	v_sub_co_u32 v7, vcc_lo, v4, v2
	v_sub_co_ci_u32_e64 v8, null, v5, v3, vcc_lo
	v_lshrrev_b64 v[9:10], 1, v[7:8]
	v_lshrrev_b64 v[7:8], 6, v[7:8]
	v_add_co_u32 v9, vcc_lo, v9, v2
	v_add_co_ci_u32_e64 v10, null, v10, v3, vcc_lo
	v_add_co_u32 v7, vcc_lo, v9, v7
	v_add_co_ci_u32_e64 v8, null, v10, v8, vcc_lo
	v_lshlrev_b64 v[9:10], 2, v[7:8]
	v_add_co_u32 v9, vcc_lo, s10, v9
	v_add_co_ci_u32_e64 v10, null, s11, v10, vcc_lo
	global_load_dword v9, v[9:10], off
	v_add_co_u32 v10, vcc_lo, v7, 1
	v_add_co_ci_u32_e64 v11, null, 0, v8, vcc_lo
	s_waitcnt vmcnt(0) lgkmcnt(0)
	v_cmp_lt_u32_e32 vcc_lo, v9, v6
	v_cndmask_b32_e32 v5, v8, v5, vcc_lo
	v_cndmask_b32_e32 v4, v7, v4, vcc_lo
	;; [unrolled: 1-line block ×4, first 2 shown]
	v_cmp_ge_u64_e32 vcc_lo, v[2:3], v[4:5]
	s_or_b32 s6, vcc_lo, s6
	s_andn2_b32 exec_lo, exec_lo, s6
	s_cbranch_execnz .LBB679_3
; %bb.4:
	s_inst_prefetch 0x2
	s_or_b32 exec_lo, exec_lo, s6
.LBB679_5:
	v_cmp_eq_u64_e64 s6, s[0:1], v[2:3]
	v_cmp_ne_u64_e64 s7, s[0:1], v[2:3]
	s_branch .LBB679_14
.LBB679_6:
	s_mov_b32 s7, s3
	s_mov_b32 s6, s3
                                        ; implicit-def: $vgpr6
                                        ; implicit-def: $vgpr2_vgpr3
	s_and_b32 vcc_lo, exec_lo, s16
	s_cbranch_vccz .LBB679_14
; %bb.7:
	s_load_dword s4, s[4:5], 0x10
                                        ; implicit-def: $vgpr6
                                        ; implicit-def: $vgpr2_vgpr3
	s_waitcnt lgkmcnt(0)
	s_sub_i32 s4, s4, s2
	v_cmp_gt_u32_e32 vcc_lo, s4, v0
	s_and_saveexec_b32 s4, vcc_lo
	s_cbranch_execz .LBB679_13
; %bb.8:
	v_lshlrev_b32_e32 v1, 2, v0
	s_lshl_b64 s[16:17], s[2:3], 2
	s_add_u32 s5, s14, s16
	s_addc_u32 s14, s15, s17
	v_add_co_u32 v1, s5, s5, v1
	v_add_co_ci_u32_e64 v2, null, s14, 0, s5
	s_cmp_eq_u64 s[0:1], 0
	s_waitcnt vmcnt(0)
	flat_load_dword v6, v[1:2]
	v_mov_b32_e32 v2, 0
	v_mov_b32_e32 v1, 0
	;; [unrolled: 1-line block ×3, first 2 shown]
	s_cbranch_scc1 .LBB679_12
; %bb.9:
	v_mov_b32_e32 v5, s1
	v_mov_b32_e32 v4, s0
	s_mov_b32 s5, 0
	s_inst_prefetch 0x1
	.p2align	6
.LBB679_10:                             ; =>This Inner Loop Header: Depth=1
	v_sub_co_u32 v7, vcc_lo, v4, v2
	v_sub_co_ci_u32_e64 v8, null, v5, v3, vcc_lo
	v_lshrrev_b64 v[9:10], 1, v[7:8]
	v_lshrrev_b64 v[7:8], 6, v[7:8]
	v_add_co_u32 v9, vcc_lo, v9, v2
	v_add_co_ci_u32_e64 v10, null, v10, v3, vcc_lo
	v_add_co_u32 v7, vcc_lo, v9, v7
	v_add_co_ci_u32_e64 v8, null, v10, v8, vcc_lo
	v_lshlrev_b64 v[9:10], 2, v[7:8]
	v_add_co_u32 v9, vcc_lo, s10, v9
	v_add_co_ci_u32_e64 v10, null, s11, v10, vcc_lo
	global_load_dword v9, v[9:10], off
	v_add_co_u32 v10, vcc_lo, v7, 1
	v_add_co_ci_u32_e64 v11, null, 0, v8, vcc_lo
	s_waitcnt vmcnt(0) lgkmcnt(0)
	v_cmp_lt_u32_e32 vcc_lo, v9, v6
	v_cndmask_b32_e32 v5, v8, v5, vcc_lo
	v_cndmask_b32_e32 v4, v7, v4, vcc_lo
	;; [unrolled: 1-line block ×4, first 2 shown]
	v_cmp_ge_u64_e32 vcc_lo, v[2:3], v[4:5]
	s_or_b32 s5, vcc_lo, s5
	s_andn2_b32 exec_lo, exec_lo, s5
	s_cbranch_execnz .LBB679_10
; %bb.11:
	s_inst_prefetch 0x2
	s_or_b32 exec_lo, exec_lo, s5
.LBB679_12:
	v_cmp_eq_u64_e32 vcc_lo, s[0:1], v[2:3]
	v_cmp_ne_u64_e64 s0, s[0:1], v[2:3]
	s_andn2_b32 s1, s6, exec_lo
	s_andn2_b32 s5, s7, exec_lo
	s_and_b32 s6, vcc_lo, exec_lo
	s_and_b32 s0, s0, exec_lo
	s_or_b32 s6, s1, s6
	s_or_b32 s7, s5, s0
.LBB679_13:
	s_or_b32 exec_lo, exec_lo, s4
.LBB679_14:
	v_mov_b32_e32 v4, 0
	s_and_saveexec_b32 s0, s7
	s_cbranch_execnz .LBB679_17
; %bb.15:
	s_or_b32 exec_lo, exec_lo, s0
	s_and_saveexec_b32 s0, s6
	s_cbranch_execnz .LBB679_18
.LBB679_16:
	s_endpgm
.LBB679_17:
	v_lshlrev_b64 v[2:3], 2, v[2:3]
	s_or_b32 s6, s6, exec_lo
	v_add_co_u32 v2, vcc_lo, s10, v2
	v_add_co_ci_u32_e64 v3, null, s11, v3, vcc_lo
	global_load_dword v2, v[2:3], off
	s_waitcnt vmcnt(0) lgkmcnt(0)
	v_cmp_ge_u32_e32 vcc_lo, v6, v2
	v_cndmask_b32_e64 v4, 0, 1, vcc_lo
	s_or_b32 exec_lo, exec_lo, s0
	s_and_saveexec_b32 s0, s6
	s_cbranch_execz .LBB679_16
.LBB679_18:
	v_lshlrev_b64 v[0:1], 2, v[0:1]
	s_add_u32 s4, s8, s12
	s_addc_u32 s5, s9, s13
	s_lshl_b64 s[0:1], s[2:3], 2
	s_add_u32 s0, s4, s0
	s_addc_u32 s1, s5, s1
	v_add_co_u32 v0, vcc_lo, s0, v0
	v_add_co_ci_u32_e64 v1, null, s1, v1, vcc_lo
	flat_store_dword v[0:1], v4
	s_endpgm
	.section	.rodata,"a",@progbits
	.p2align	6, 0x0
	.amdhsa_kernel _ZN7rocprim17ROCPRIM_400000_NS6detail17trampoline_kernelINS0_14default_configENS1_29binary_search_config_selectorIjiEEZNS1_14transform_implILb0ES3_S5_N6thrust23THRUST_200600_302600_NS6detail15normal_iteratorINS8_7pointerIjNS8_11hip_rocprim5par_tENS8_11use_defaultESE_EEEENSA_INSB_IiSD_SE_SE_EEEEZNS1_13binary_searchIS3_S5_NSA_INS8_10device_ptrIjEEEESG_SI_NS1_16binary_search_opENS9_16wrapped_functionINS8_6system6detail7generic6detail18binary_search_lessEbEEEE10hipError_tPvRmT1_T2_T3_mmT4_T5_P12ihipStream_tbEUlRKjE_EESV_SZ_S10_mS11_S14_bEUlT_E_NS1_11comp_targetILNS1_3genE8ELNS1_11target_archE1030ELNS1_3gpuE2ELNS1_3repE0EEENS1_30default_config_static_selectorELNS0_4arch9wavefront6targetE0EEEvSY_
		.amdhsa_group_segment_fixed_size 0
		.amdhsa_private_segment_fixed_size 0
		.amdhsa_kernarg_size 312
		.amdhsa_user_sgpr_count 6
		.amdhsa_user_sgpr_private_segment_buffer 1
		.amdhsa_user_sgpr_dispatch_ptr 0
		.amdhsa_user_sgpr_queue_ptr 0
		.amdhsa_user_sgpr_kernarg_segment_ptr 1
		.amdhsa_user_sgpr_dispatch_id 0
		.amdhsa_user_sgpr_flat_scratch_init 0
		.amdhsa_user_sgpr_private_segment_size 0
		.amdhsa_wavefront_size32 1
		.amdhsa_uses_dynamic_stack 0
		.amdhsa_system_sgpr_private_segment_wavefront_offset 0
		.amdhsa_system_sgpr_workgroup_id_x 1
		.amdhsa_system_sgpr_workgroup_id_y 0
		.amdhsa_system_sgpr_workgroup_id_z 0
		.amdhsa_system_sgpr_workgroup_info 0
		.amdhsa_system_vgpr_workitem_id 0
		.amdhsa_next_free_vgpr 12
		.amdhsa_next_free_sgpr 20
		.amdhsa_reserve_vcc 1
		.amdhsa_reserve_flat_scratch 0
		.amdhsa_float_round_mode_32 0
		.amdhsa_float_round_mode_16_64 0
		.amdhsa_float_denorm_mode_32 3
		.amdhsa_float_denorm_mode_16_64 3
		.amdhsa_dx10_clamp 1
		.amdhsa_ieee_mode 1
		.amdhsa_fp16_overflow 0
		.amdhsa_workgroup_processor_mode 1
		.amdhsa_memory_ordered 1
		.amdhsa_forward_progress 1
		.amdhsa_shared_vgpr_count 0
		.amdhsa_exception_fp_ieee_invalid_op 0
		.amdhsa_exception_fp_denorm_src 0
		.amdhsa_exception_fp_ieee_div_zero 0
		.amdhsa_exception_fp_ieee_overflow 0
		.amdhsa_exception_fp_ieee_underflow 0
		.amdhsa_exception_fp_ieee_inexact 0
		.amdhsa_exception_int_div_zero 0
	.end_amdhsa_kernel
	.section	.text._ZN7rocprim17ROCPRIM_400000_NS6detail17trampoline_kernelINS0_14default_configENS1_29binary_search_config_selectorIjiEEZNS1_14transform_implILb0ES3_S5_N6thrust23THRUST_200600_302600_NS6detail15normal_iteratorINS8_7pointerIjNS8_11hip_rocprim5par_tENS8_11use_defaultESE_EEEENSA_INSB_IiSD_SE_SE_EEEEZNS1_13binary_searchIS3_S5_NSA_INS8_10device_ptrIjEEEESG_SI_NS1_16binary_search_opENS9_16wrapped_functionINS8_6system6detail7generic6detail18binary_search_lessEbEEEE10hipError_tPvRmT1_T2_T3_mmT4_T5_P12ihipStream_tbEUlRKjE_EESV_SZ_S10_mS11_S14_bEUlT_E_NS1_11comp_targetILNS1_3genE8ELNS1_11target_archE1030ELNS1_3gpuE2ELNS1_3repE0EEENS1_30default_config_static_selectorELNS0_4arch9wavefront6targetE0EEEvSY_,"axG",@progbits,_ZN7rocprim17ROCPRIM_400000_NS6detail17trampoline_kernelINS0_14default_configENS1_29binary_search_config_selectorIjiEEZNS1_14transform_implILb0ES3_S5_N6thrust23THRUST_200600_302600_NS6detail15normal_iteratorINS8_7pointerIjNS8_11hip_rocprim5par_tENS8_11use_defaultESE_EEEENSA_INSB_IiSD_SE_SE_EEEEZNS1_13binary_searchIS3_S5_NSA_INS8_10device_ptrIjEEEESG_SI_NS1_16binary_search_opENS9_16wrapped_functionINS8_6system6detail7generic6detail18binary_search_lessEbEEEE10hipError_tPvRmT1_T2_T3_mmT4_T5_P12ihipStream_tbEUlRKjE_EESV_SZ_S10_mS11_S14_bEUlT_E_NS1_11comp_targetILNS1_3genE8ELNS1_11target_archE1030ELNS1_3gpuE2ELNS1_3repE0EEENS1_30default_config_static_selectorELNS0_4arch9wavefront6targetE0EEEvSY_,comdat
.Lfunc_end679:
	.size	_ZN7rocprim17ROCPRIM_400000_NS6detail17trampoline_kernelINS0_14default_configENS1_29binary_search_config_selectorIjiEEZNS1_14transform_implILb0ES3_S5_N6thrust23THRUST_200600_302600_NS6detail15normal_iteratorINS8_7pointerIjNS8_11hip_rocprim5par_tENS8_11use_defaultESE_EEEENSA_INSB_IiSD_SE_SE_EEEEZNS1_13binary_searchIS3_S5_NSA_INS8_10device_ptrIjEEEESG_SI_NS1_16binary_search_opENS9_16wrapped_functionINS8_6system6detail7generic6detail18binary_search_lessEbEEEE10hipError_tPvRmT1_T2_T3_mmT4_T5_P12ihipStream_tbEUlRKjE_EESV_SZ_S10_mS11_S14_bEUlT_E_NS1_11comp_targetILNS1_3genE8ELNS1_11target_archE1030ELNS1_3gpuE2ELNS1_3repE0EEENS1_30default_config_static_selectorELNS0_4arch9wavefront6targetE0EEEvSY_, .Lfunc_end679-_ZN7rocprim17ROCPRIM_400000_NS6detail17trampoline_kernelINS0_14default_configENS1_29binary_search_config_selectorIjiEEZNS1_14transform_implILb0ES3_S5_N6thrust23THRUST_200600_302600_NS6detail15normal_iteratorINS8_7pointerIjNS8_11hip_rocprim5par_tENS8_11use_defaultESE_EEEENSA_INSB_IiSD_SE_SE_EEEEZNS1_13binary_searchIS3_S5_NSA_INS8_10device_ptrIjEEEESG_SI_NS1_16binary_search_opENS9_16wrapped_functionINS8_6system6detail7generic6detail18binary_search_lessEbEEEE10hipError_tPvRmT1_T2_T3_mmT4_T5_P12ihipStream_tbEUlRKjE_EESV_SZ_S10_mS11_S14_bEUlT_E_NS1_11comp_targetILNS1_3genE8ELNS1_11target_archE1030ELNS1_3gpuE2ELNS1_3repE0EEENS1_30default_config_static_selectorELNS0_4arch9wavefront6targetE0EEEvSY_
                                        ; -- End function
	.set _ZN7rocprim17ROCPRIM_400000_NS6detail17trampoline_kernelINS0_14default_configENS1_29binary_search_config_selectorIjiEEZNS1_14transform_implILb0ES3_S5_N6thrust23THRUST_200600_302600_NS6detail15normal_iteratorINS8_7pointerIjNS8_11hip_rocprim5par_tENS8_11use_defaultESE_EEEENSA_INSB_IiSD_SE_SE_EEEEZNS1_13binary_searchIS3_S5_NSA_INS8_10device_ptrIjEEEESG_SI_NS1_16binary_search_opENS9_16wrapped_functionINS8_6system6detail7generic6detail18binary_search_lessEbEEEE10hipError_tPvRmT1_T2_T3_mmT4_T5_P12ihipStream_tbEUlRKjE_EESV_SZ_S10_mS11_S14_bEUlT_E_NS1_11comp_targetILNS1_3genE8ELNS1_11target_archE1030ELNS1_3gpuE2ELNS1_3repE0EEENS1_30default_config_static_selectorELNS0_4arch9wavefront6targetE0EEEvSY_.num_vgpr, 12
	.set _ZN7rocprim17ROCPRIM_400000_NS6detail17trampoline_kernelINS0_14default_configENS1_29binary_search_config_selectorIjiEEZNS1_14transform_implILb0ES3_S5_N6thrust23THRUST_200600_302600_NS6detail15normal_iteratorINS8_7pointerIjNS8_11hip_rocprim5par_tENS8_11use_defaultESE_EEEENSA_INSB_IiSD_SE_SE_EEEEZNS1_13binary_searchIS3_S5_NSA_INS8_10device_ptrIjEEEESG_SI_NS1_16binary_search_opENS9_16wrapped_functionINS8_6system6detail7generic6detail18binary_search_lessEbEEEE10hipError_tPvRmT1_T2_T3_mmT4_T5_P12ihipStream_tbEUlRKjE_EESV_SZ_S10_mS11_S14_bEUlT_E_NS1_11comp_targetILNS1_3genE8ELNS1_11target_archE1030ELNS1_3gpuE2ELNS1_3repE0EEENS1_30default_config_static_selectorELNS0_4arch9wavefront6targetE0EEEvSY_.num_agpr, 0
	.set _ZN7rocprim17ROCPRIM_400000_NS6detail17trampoline_kernelINS0_14default_configENS1_29binary_search_config_selectorIjiEEZNS1_14transform_implILb0ES3_S5_N6thrust23THRUST_200600_302600_NS6detail15normal_iteratorINS8_7pointerIjNS8_11hip_rocprim5par_tENS8_11use_defaultESE_EEEENSA_INSB_IiSD_SE_SE_EEEEZNS1_13binary_searchIS3_S5_NSA_INS8_10device_ptrIjEEEESG_SI_NS1_16binary_search_opENS9_16wrapped_functionINS8_6system6detail7generic6detail18binary_search_lessEbEEEE10hipError_tPvRmT1_T2_T3_mmT4_T5_P12ihipStream_tbEUlRKjE_EESV_SZ_S10_mS11_S14_bEUlT_E_NS1_11comp_targetILNS1_3genE8ELNS1_11target_archE1030ELNS1_3gpuE2ELNS1_3repE0EEENS1_30default_config_static_selectorELNS0_4arch9wavefront6targetE0EEEvSY_.numbered_sgpr, 20
	.set _ZN7rocprim17ROCPRIM_400000_NS6detail17trampoline_kernelINS0_14default_configENS1_29binary_search_config_selectorIjiEEZNS1_14transform_implILb0ES3_S5_N6thrust23THRUST_200600_302600_NS6detail15normal_iteratorINS8_7pointerIjNS8_11hip_rocprim5par_tENS8_11use_defaultESE_EEEENSA_INSB_IiSD_SE_SE_EEEEZNS1_13binary_searchIS3_S5_NSA_INS8_10device_ptrIjEEEESG_SI_NS1_16binary_search_opENS9_16wrapped_functionINS8_6system6detail7generic6detail18binary_search_lessEbEEEE10hipError_tPvRmT1_T2_T3_mmT4_T5_P12ihipStream_tbEUlRKjE_EESV_SZ_S10_mS11_S14_bEUlT_E_NS1_11comp_targetILNS1_3genE8ELNS1_11target_archE1030ELNS1_3gpuE2ELNS1_3repE0EEENS1_30default_config_static_selectorELNS0_4arch9wavefront6targetE0EEEvSY_.num_named_barrier, 0
	.set _ZN7rocprim17ROCPRIM_400000_NS6detail17trampoline_kernelINS0_14default_configENS1_29binary_search_config_selectorIjiEEZNS1_14transform_implILb0ES3_S5_N6thrust23THRUST_200600_302600_NS6detail15normal_iteratorINS8_7pointerIjNS8_11hip_rocprim5par_tENS8_11use_defaultESE_EEEENSA_INSB_IiSD_SE_SE_EEEEZNS1_13binary_searchIS3_S5_NSA_INS8_10device_ptrIjEEEESG_SI_NS1_16binary_search_opENS9_16wrapped_functionINS8_6system6detail7generic6detail18binary_search_lessEbEEEE10hipError_tPvRmT1_T2_T3_mmT4_T5_P12ihipStream_tbEUlRKjE_EESV_SZ_S10_mS11_S14_bEUlT_E_NS1_11comp_targetILNS1_3genE8ELNS1_11target_archE1030ELNS1_3gpuE2ELNS1_3repE0EEENS1_30default_config_static_selectorELNS0_4arch9wavefront6targetE0EEEvSY_.private_seg_size, 0
	.set _ZN7rocprim17ROCPRIM_400000_NS6detail17trampoline_kernelINS0_14default_configENS1_29binary_search_config_selectorIjiEEZNS1_14transform_implILb0ES3_S5_N6thrust23THRUST_200600_302600_NS6detail15normal_iteratorINS8_7pointerIjNS8_11hip_rocprim5par_tENS8_11use_defaultESE_EEEENSA_INSB_IiSD_SE_SE_EEEEZNS1_13binary_searchIS3_S5_NSA_INS8_10device_ptrIjEEEESG_SI_NS1_16binary_search_opENS9_16wrapped_functionINS8_6system6detail7generic6detail18binary_search_lessEbEEEE10hipError_tPvRmT1_T2_T3_mmT4_T5_P12ihipStream_tbEUlRKjE_EESV_SZ_S10_mS11_S14_bEUlT_E_NS1_11comp_targetILNS1_3genE8ELNS1_11target_archE1030ELNS1_3gpuE2ELNS1_3repE0EEENS1_30default_config_static_selectorELNS0_4arch9wavefront6targetE0EEEvSY_.uses_vcc, 1
	.set _ZN7rocprim17ROCPRIM_400000_NS6detail17trampoline_kernelINS0_14default_configENS1_29binary_search_config_selectorIjiEEZNS1_14transform_implILb0ES3_S5_N6thrust23THRUST_200600_302600_NS6detail15normal_iteratorINS8_7pointerIjNS8_11hip_rocprim5par_tENS8_11use_defaultESE_EEEENSA_INSB_IiSD_SE_SE_EEEEZNS1_13binary_searchIS3_S5_NSA_INS8_10device_ptrIjEEEESG_SI_NS1_16binary_search_opENS9_16wrapped_functionINS8_6system6detail7generic6detail18binary_search_lessEbEEEE10hipError_tPvRmT1_T2_T3_mmT4_T5_P12ihipStream_tbEUlRKjE_EESV_SZ_S10_mS11_S14_bEUlT_E_NS1_11comp_targetILNS1_3genE8ELNS1_11target_archE1030ELNS1_3gpuE2ELNS1_3repE0EEENS1_30default_config_static_selectorELNS0_4arch9wavefront6targetE0EEEvSY_.uses_flat_scratch, 0
	.set _ZN7rocprim17ROCPRIM_400000_NS6detail17trampoline_kernelINS0_14default_configENS1_29binary_search_config_selectorIjiEEZNS1_14transform_implILb0ES3_S5_N6thrust23THRUST_200600_302600_NS6detail15normal_iteratorINS8_7pointerIjNS8_11hip_rocprim5par_tENS8_11use_defaultESE_EEEENSA_INSB_IiSD_SE_SE_EEEEZNS1_13binary_searchIS3_S5_NSA_INS8_10device_ptrIjEEEESG_SI_NS1_16binary_search_opENS9_16wrapped_functionINS8_6system6detail7generic6detail18binary_search_lessEbEEEE10hipError_tPvRmT1_T2_T3_mmT4_T5_P12ihipStream_tbEUlRKjE_EESV_SZ_S10_mS11_S14_bEUlT_E_NS1_11comp_targetILNS1_3genE8ELNS1_11target_archE1030ELNS1_3gpuE2ELNS1_3repE0EEENS1_30default_config_static_selectorELNS0_4arch9wavefront6targetE0EEEvSY_.has_dyn_sized_stack, 0
	.set _ZN7rocprim17ROCPRIM_400000_NS6detail17trampoline_kernelINS0_14default_configENS1_29binary_search_config_selectorIjiEEZNS1_14transform_implILb0ES3_S5_N6thrust23THRUST_200600_302600_NS6detail15normal_iteratorINS8_7pointerIjNS8_11hip_rocprim5par_tENS8_11use_defaultESE_EEEENSA_INSB_IiSD_SE_SE_EEEEZNS1_13binary_searchIS3_S5_NSA_INS8_10device_ptrIjEEEESG_SI_NS1_16binary_search_opENS9_16wrapped_functionINS8_6system6detail7generic6detail18binary_search_lessEbEEEE10hipError_tPvRmT1_T2_T3_mmT4_T5_P12ihipStream_tbEUlRKjE_EESV_SZ_S10_mS11_S14_bEUlT_E_NS1_11comp_targetILNS1_3genE8ELNS1_11target_archE1030ELNS1_3gpuE2ELNS1_3repE0EEENS1_30default_config_static_selectorELNS0_4arch9wavefront6targetE0EEEvSY_.has_recursion, 0
	.set _ZN7rocprim17ROCPRIM_400000_NS6detail17trampoline_kernelINS0_14default_configENS1_29binary_search_config_selectorIjiEEZNS1_14transform_implILb0ES3_S5_N6thrust23THRUST_200600_302600_NS6detail15normal_iteratorINS8_7pointerIjNS8_11hip_rocprim5par_tENS8_11use_defaultESE_EEEENSA_INSB_IiSD_SE_SE_EEEEZNS1_13binary_searchIS3_S5_NSA_INS8_10device_ptrIjEEEESG_SI_NS1_16binary_search_opENS9_16wrapped_functionINS8_6system6detail7generic6detail18binary_search_lessEbEEEE10hipError_tPvRmT1_T2_T3_mmT4_T5_P12ihipStream_tbEUlRKjE_EESV_SZ_S10_mS11_S14_bEUlT_E_NS1_11comp_targetILNS1_3genE8ELNS1_11target_archE1030ELNS1_3gpuE2ELNS1_3repE0EEENS1_30default_config_static_selectorELNS0_4arch9wavefront6targetE0EEEvSY_.has_indirect_call, 0
	.section	.AMDGPU.csdata,"",@progbits
; Kernel info:
; codeLenInByte = 860
; TotalNumSgprs: 22
; NumVgprs: 12
; ScratchSize: 0
; MemoryBound: 0
; FloatMode: 240
; IeeeMode: 1
; LDSByteSize: 0 bytes/workgroup (compile time only)
; SGPRBlocks: 0
; VGPRBlocks: 1
; NumSGPRsForWavesPerEU: 22
; NumVGPRsForWavesPerEU: 12
; Occupancy: 16
; WaveLimiterHint : 0
; COMPUTE_PGM_RSRC2:SCRATCH_EN: 0
; COMPUTE_PGM_RSRC2:USER_SGPR: 6
; COMPUTE_PGM_RSRC2:TRAP_HANDLER: 0
; COMPUTE_PGM_RSRC2:TGID_X_EN: 1
; COMPUTE_PGM_RSRC2:TGID_Y_EN: 0
; COMPUTE_PGM_RSRC2:TGID_Z_EN: 0
; COMPUTE_PGM_RSRC2:TIDIG_COMP_CNT: 0
	.section	.text._ZN7rocprim17ROCPRIM_400000_NS6detail17trampoline_kernelINS0_14default_configENS1_29binary_search_config_selectorItiEEZNS1_14transform_implILb0ES3_S5_N6thrust23THRUST_200600_302600_NS6detail15normal_iteratorINS8_7pointerItNS8_11hip_rocprim5par_tENS8_11use_defaultESE_EEEENSA_INSB_IiSD_SE_SE_EEEEZNS1_13binary_searchIS3_S5_NSA_INS8_10device_ptrItEEEESG_SI_NS1_16binary_search_opENS9_16wrapped_functionINS8_6system6detail7generic6detail18binary_search_lessEbEEEE10hipError_tPvRmT1_T2_T3_mmT4_T5_P12ihipStream_tbEUlRKtE_EESV_SZ_S10_mS11_S14_bEUlT_E_NS1_11comp_targetILNS1_3genE0ELNS1_11target_archE4294967295ELNS1_3gpuE0ELNS1_3repE0EEENS1_30default_config_static_selectorELNS0_4arch9wavefront6targetE0EEEvSY_,"axG",@progbits,_ZN7rocprim17ROCPRIM_400000_NS6detail17trampoline_kernelINS0_14default_configENS1_29binary_search_config_selectorItiEEZNS1_14transform_implILb0ES3_S5_N6thrust23THRUST_200600_302600_NS6detail15normal_iteratorINS8_7pointerItNS8_11hip_rocprim5par_tENS8_11use_defaultESE_EEEENSA_INSB_IiSD_SE_SE_EEEEZNS1_13binary_searchIS3_S5_NSA_INS8_10device_ptrItEEEESG_SI_NS1_16binary_search_opENS9_16wrapped_functionINS8_6system6detail7generic6detail18binary_search_lessEbEEEE10hipError_tPvRmT1_T2_T3_mmT4_T5_P12ihipStream_tbEUlRKtE_EESV_SZ_S10_mS11_S14_bEUlT_E_NS1_11comp_targetILNS1_3genE0ELNS1_11target_archE4294967295ELNS1_3gpuE0ELNS1_3repE0EEENS1_30default_config_static_selectorELNS0_4arch9wavefront6targetE0EEEvSY_,comdat
	.protected	_ZN7rocprim17ROCPRIM_400000_NS6detail17trampoline_kernelINS0_14default_configENS1_29binary_search_config_selectorItiEEZNS1_14transform_implILb0ES3_S5_N6thrust23THRUST_200600_302600_NS6detail15normal_iteratorINS8_7pointerItNS8_11hip_rocprim5par_tENS8_11use_defaultESE_EEEENSA_INSB_IiSD_SE_SE_EEEEZNS1_13binary_searchIS3_S5_NSA_INS8_10device_ptrItEEEESG_SI_NS1_16binary_search_opENS9_16wrapped_functionINS8_6system6detail7generic6detail18binary_search_lessEbEEEE10hipError_tPvRmT1_T2_T3_mmT4_T5_P12ihipStream_tbEUlRKtE_EESV_SZ_S10_mS11_S14_bEUlT_E_NS1_11comp_targetILNS1_3genE0ELNS1_11target_archE4294967295ELNS1_3gpuE0ELNS1_3repE0EEENS1_30default_config_static_selectorELNS0_4arch9wavefront6targetE0EEEvSY_ ; -- Begin function _ZN7rocprim17ROCPRIM_400000_NS6detail17trampoline_kernelINS0_14default_configENS1_29binary_search_config_selectorItiEEZNS1_14transform_implILb0ES3_S5_N6thrust23THRUST_200600_302600_NS6detail15normal_iteratorINS8_7pointerItNS8_11hip_rocprim5par_tENS8_11use_defaultESE_EEEENSA_INSB_IiSD_SE_SE_EEEEZNS1_13binary_searchIS3_S5_NSA_INS8_10device_ptrItEEEESG_SI_NS1_16binary_search_opENS9_16wrapped_functionINS8_6system6detail7generic6detail18binary_search_lessEbEEEE10hipError_tPvRmT1_T2_T3_mmT4_T5_P12ihipStream_tbEUlRKtE_EESV_SZ_S10_mS11_S14_bEUlT_E_NS1_11comp_targetILNS1_3genE0ELNS1_11target_archE4294967295ELNS1_3gpuE0ELNS1_3repE0EEENS1_30default_config_static_selectorELNS0_4arch9wavefront6targetE0EEEvSY_
	.globl	_ZN7rocprim17ROCPRIM_400000_NS6detail17trampoline_kernelINS0_14default_configENS1_29binary_search_config_selectorItiEEZNS1_14transform_implILb0ES3_S5_N6thrust23THRUST_200600_302600_NS6detail15normal_iteratorINS8_7pointerItNS8_11hip_rocprim5par_tENS8_11use_defaultESE_EEEENSA_INSB_IiSD_SE_SE_EEEEZNS1_13binary_searchIS3_S5_NSA_INS8_10device_ptrItEEEESG_SI_NS1_16binary_search_opENS9_16wrapped_functionINS8_6system6detail7generic6detail18binary_search_lessEbEEEE10hipError_tPvRmT1_T2_T3_mmT4_T5_P12ihipStream_tbEUlRKtE_EESV_SZ_S10_mS11_S14_bEUlT_E_NS1_11comp_targetILNS1_3genE0ELNS1_11target_archE4294967295ELNS1_3gpuE0ELNS1_3repE0EEENS1_30default_config_static_selectorELNS0_4arch9wavefront6targetE0EEEvSY_
	.p2align	8
	.type	_ZN7rocprim17ROCPRIM_400000_NS6detail17trampoline_kernelINS0_14default_configENS1_29binary_search_config_selectorItiEEZNS1_14transform_implILb0ES3_S5_N6thrust23THRUST_200600_302600_NS6detail15normal_iteratorINS8_7pointerItNS8_11hip_rocprim5par_tENS8_11use_defaultESE_EEEENSA_INSB_IiSD_SE_SE_EEEEZNS1_13binary_searchIS3_S5_NSA_INS8_10device_ptrItEEEESG_SI_NS1_16binary_search_opENS9_16wrapped_functionINS8_6system6detail7generic6detail18binary_search_lessEbEEEE10hipError_tPvRmT1_T2_T3_mmT4_T5_P12ihipStream_tbEUlRKtE_EESV_SZ_S10_mS11_S14_bEUlT_E_NS1_11comp_targetILNS1_3genE0ELNS1_11target_archE4294967295ELNS1_3gpuE0ELNS1_3repE0EEENS1_30default_config_static_selectorELNS0_4arch9wavefront6targetE0EEEvSY_,@function
_ZN7rocprim17ROCPRIM_400000_NS6detail17trampoline_kernelINS0_14default_configENS1_29binary_search_config_selectorItiEEZNS1_14transform_implILb0ES3_S5_N6thrust23THRUST_200600_302600_NS6detail15normal_iteratorINS8_7pointerItNS8_11hip_rocprim5par_tENS8_11use_defaultESE_EEEENSA_INSB_IiSD_SE_SE_EEEEZNS1_13binary_searchIS3_S5_NSA_INS8_10device_ptrItEEEESG_SI_NS1_16binary_search_opENS9_16wrapped_functionINS8_6system6detail7generic6detail18binary_search_lessEbEEEE10hipError_tPvRmT1_T2_T3_mmT4_T5_P12ihipStream_tbEUlRKtE_EESV_SZ_S10_mS11_S14_bEUlT_E_NS1_11comp_targetILNS1_3genE0ELNS1_11target_archE4294967295ELNS1_3gpuE0ELNS1_3repE0EEENS1_30default_config_static_selectorELNS0_4arch9wavefront6targetE0EEEvSY_: ; @_ZN7rocprim17ROCPRIM_400000_NS6detail17trampoline_kernelINS0_14default_configENS1_29binary_search_config_selectorItiEEZNS1_14transform_implILb0ES3_S5_N6thrust23THRUST_200600_302600_NS6detail15normal_iteratorINS8_7pointerItNS8_11hip_rocprim5par_tENS8_11use_defaultESE_EEEENSA_INSB_IiSD_SE_SE_EEEEZNS1_13binary_searchIS3_S5_NSA_INS8_10device_ptrItEEEESG_SI_NS1_16binary_search_opENS9_16wrapped_functionINS8_6system6detail7generic6detail18binary_search_lessEbEEEE10hipError_tPvRmT1_T2_T3_mmT4_T5_P12ihipStream_tbEUlRKtE_EESV_SZ_S10_mS11_S14_bEUlT_E_NS1_11comp_targetILNS1_3genE0ELNS1_11target_archE4294967295ELNS1_3gpuE0ELNS1_3repE0EEENS1_30default_config_static_selectorELNS0_4arch9wavefront6targetE0EEEvSY_
; %bb.0:
	.section	.rodata,"a",@progbits
	.p2align	6, 0x0
	.amdhsa_kernel _ZN7rocprim17ROCPRIM_400000_NS6detail17trampoline_kernelINS0_14default_configENS1_29binary_search_config_selectorItiEEZNS1_14transform_implILb0ES3_S5_N6thrust23THRUST_200600_302600_NS6detail15normal_iteratorINS8_7pointerItNS8_11hip_rocprim5par_tENS8_11use_defaultESE_EEEENSA_INSB_IiSD_SE_SE_EEEEZNS1_13binary_searchIS3_S5_NSA_INS8_10device_ptrItEEEESG_SI_NS1_16binary_search_opENS9_16wrapped_functionINS8_6system6detail7generic6detail18binary_search_lessEbEEEE10hipError_tPvRmT1_T2_T3_mmT4_T5_P12ihipStream_tbEUlRKtE_EESV_SZ_S10_mS11_S14_bEUlT_E_NS1_11comp_targetILNS1_3genE0ELNS1_11target_archE4294967295ELNS1_3gpuE0ELNS1_3repE0EEENS1_30default_config_static_selectorELNS0_4arch9wavefront6targetE0EEEvSY_
		.amdhsa_group_segment_fixed_size 0
		.amdhsa_private_segment_fixed_size 0
		.amdhsa_kernarg_size 56
		.amdhsa_user_sgpr_count 6
		.amdhsa_user_sgpr_private_segment_buffer 1
		.amdhsa_user_sgpr_dispatch_ptr 0
		.amdhsa_user_sgpr_queue_ptr 0
		.amdhsa_user_sgpr_kernarg_segment_ptr 1
		.amdhsa_user_sgpr_dispatch_id 0
		.amdhsa_user_sgpr_flat_scratch_init 0
		.amdhsa_user_sgpr_private_segment_size 0
		.amdhsa_wavefront_size32 1
		.amdhsa_uses_dynamic_stack 0
		.amdhsa_system_sgpr_private_segment_wavefront_offset 0
		.amdhsa_system_sgpr_workgroup_id_x 1
		.amdhsa_system_sgpr_workgroup_id_y 0
		.amdhsa_system_sgpr_workgroup_id_z 0
		.amdhsa_system_sgpr_workgroup_info 0
		.amdhsa_system_vgpr_workitem_id 0
		.amdhsa_next_free_vgpr 1
		.amdhsa_next_free_sgpr 1
		.amdhsa_reserve_vcc 0
		.amdhsa_reserve_flat_scratch 0
		.amdhsa_float_round_mode_32 0
		.amdhsa_float_round_mode_16_64 0
		.amdhsa_float_denorm_mode_32 3
		.amdhsa_float_denorm_mode_16_64 3
		.amdhsa_dx10_clamp 1
		.amdhsa_ieee_mode 1
		.amdhsa_fp16_overflow 0
		.amdhsa_workgroup_processor_mode 1
		.amdhsa_memory_ordered 1
		.amdhsa_forward_progress 1
		.amdhsa_shared_vgpr_count 0
		.amdhsa_exception_fp_ieee_invalid_op 0
		.amdhsa_exception_fp_denorm_src 0
		.amdhsa_exception_fp_ieee_div_zero 0
		.amdhsa_exception_fp_ieee_overflow 0
		.amdhsa_exception_fp_ieee_underflow 0
		.amdhsa_exception_fp_ieee_inexact 0
		.amdhsa_exception_int_div_zero 0
	.end_amdhsa_kernel
	.section	.text._ZN7rocprim17ROCPRIM_400000_NS6detail17trampoline_kernelINS0_14default_configENS1_29binary_search_config_selectorItiEEZNS1_14transform_implILb0ES3_S5_N6thrust23THRUST_200600_302600_NS6detail15normal_iteratorINS8_7pointerItNS8_11hip_rocprim5par_tENS8_11use_defaultESE_EEEENSA_INSB_IiSD_SE_SE_EEEEZNS1_13binary_searchIS3_S5_NSA_INS8_10device_ptrItEEEESG_SI_NS1_16binary_search_opENS9_16wrapped_functionINS8_6system6detail7generic6detail18binary_search_lessEbEEEE10hipError_tPvRmT1_T2_T3_mmT4_T5_P12ihipStream_tbEUlRKtE_EESV_SZ_S10_mS11_S14_bEUlT_E_NS1_11comp_targetILNS1_3genE0ELNS1_11target_archE4294967295ELNS1_3gpuE0ELNS1_3repE0EEENS1_30default_config_static_selectorELNS0_4arch9wavefront6targetE0EEEvSY_,"axG",@progbits,_ZN7rocprim17ROCPRIM_400000_NS6detail17trampoline_kernelINS0_14default_configENS1_29binary_search_config_selectorItiEEZNS1_14transform_implILb0ES3_S5_N6thrust23THRUST_200600_302600_NS6detail15normal_iteratorINS8_7pointerItNS8_11hip_rocprim5par_tENS8_11use_defaultESE_EEEENSA_INSB_IiSD_SE_SE_EEEEZNS1_13binary_searchIS3_S5_NSA_INS8_10device_ptrItEEEESG_SI_NS1_16binary_search_opENS9_16wrapped_functionINS8_6system6detail7generic6detail18binary_search_lessEbEEEE10hipError_tPvRmT1_T2_T3_mmT4_T5_P12ihipStream_tbEUlRKtE_EESV_SZ_S10_mS11_S14_bEUlT_E_NS1_11comp_targetILNS1_3genE0ELNS1_11target_archE4294967295ELNS1_3gpuE0ELNS1_3repE0EEENS1_30default_config_static_selectorELNS0_4arch9wavefront6targetE0EEEvSY_,comdat
.Lfunc_end680:
	.size	_ZN7rocprim17ROCPRIM_400000_NS6detail17trampoline_kernelINS0_14default_configENS1_29binary_search_config_selectorItiEEZNS1_14transform_implILb0ES3_S5_N6thrust23THRUST_200600_302600_NS6detail15normal_iteratorINS8_7pointerItNS8_11hip_rocprim5par_tENS8_11use_defaultESE_EEEENSA_INSB_IiSD_SE_SE_EEEEZNS1_13binary_searchIS3_S5_NSA_INS8_10device_ptrItEEEESG_SI_NS1_16binary_search_opENS9_16wrapped_functionINS8_6system6detail7generic6detail18binary_search_lessEbEEEE10hipError_tPvRmT1_T2_T3_mmT4_T5_P12ihipStream_tbEUlRKtE_EESV_SZ_S10_mS11_S14_bEUlT_E_NS1_11comp_targetILNS1_3genE0ELNS1_11target_archE4294967295ELNS1_3gpuE0ELNS1_3repE0EEENS1_30default_config_static_selectorELNS0_4arch9wavefront6targetE0EEEvSY_, .Lfunc_end680-_ZN7rocprim17ROCPRIM_400000_NS6detail17trampoline_kernelINS0_14default_configENS1_29binary_search_config_selectorItiEEZNS1_14transform_implILb0ES3_S5_N6thrust23THRUST_200600_302600_NS6detail15normal_iteratorINS8_7pointerItNS8_11hip_rocprim5par_tENS8_11use_defaultESE_EEEENSA_INSB_IiSD_SE_SE_EEEEZNS1_13binary_searchIS3_S5_NSA_INS8_10device_ptrItEEEESG_SI_NS1_16binary_search_opENS9_16wrapped_functionINS8_6system6detail7generic6detail18binary_search_lessEbEEEE10hipError_tPvRmT1_T2_T3_mmT4_T5_P12ihipStream_tbEUlRKtE_EESV_SZ_S10_mS11_S14_bEUlT_E_NS1_11comp_targetILNS1_3genE0ELNS1_11target_archE4294967295ELNS1_3gpuE0ELNS1_3repE0EEENS1_30default_config_static_selectorELNS0_4arch9wavefront6targetE0EEEvSY_
                                        ; -- End function
	.set _ZN7rocprim17ROCPRIM_400000_NS6detail17trampoline_kernelINS0_14default_configENS1_29binary_search_config_selectorItiEEZNS1_14transform_implILb0ES3_S5_N6thrust23THRUST_200600_302600_NS6detail15normal_iteratorINS8_7pointerItNS8_11hip_rocprim5par_tENS8_11use_defaultESE_EEEENSA_INSB_IiSD_SE_SE_EEEEZNS1_13binary_searchIS3_S5_NSA_INS8_10device_ptrItEEEESG_SI_NS1_16binary_search_opENS9_16wrapped_functionINS8_6system6detail7generic6detail18binary_search_lessEbEEEE10hipError_tPvRmT1_T2_T3_mmT4_T5_P12ihipStream_tbEUlRKtE_EESV_SZ_S10_mS11_S14_bEUlT_E_NS1_11comp_targetILNS1_3genE0ELNS1_11target_archE4294967295ELNS1_3gpuE0ELNS1_3repE0EEENS1_30default_config_static_selectorELNS0_4arch9wavefront6targetE0EEEvSY_.num_vgpr, 0
	.set _ZN7rocprim17ROCPRIM_400000_NS6detail17trampoline_kernelINS0_14default_configENS1_29binary_search_config_selectorItiEEZNS1_14transform_implILb0ES3_S5_N6thrust23THRUST_200600_302600_NS6detail15normal_iteratorINS8_7pointerItNS8_11hip_rocprim5par_tENS8_11use_defaultESE_EEEENSA_INSB_IiSD_SE_SE_EEEEZNS1_13binary_searchIS3_S5_NSA_INS8_10device_ptrItEEEESG_SI_NS1_16binary_search_opENS9_16wrapped_functionINS8_6system6detail7generic6detail18binary_search_lessEbEEEE10hipError_tPvRmT1_T2_T3_mmT4_T5_P12ihipStream_tbEUlRKtE_EESV_SZ_S10_mS11_S14_bEUlT_E_NS1_11comp_targetILNS1_3genE0ELNS1_11target_archE4294967295ELNS1_3gpuE0ELNS1_3repE0EEENS1_30default_config_static_selectorELNS0_4arch9wavefront6targetE0EEEvSY_.num_agpr, 0
	.set _ZN7rocprim17ROCPRIM_400000_NS6detail17trampoline_kernelINS0_14default_configENS1_29binary_search_config_selectorItiEEZNS1_14transform_implILb0ES3_S5_N6thrust23THRUST_200600_302600_NS6detail15normal_iteratorINS8_7pointerItNS8_11hip_rocprim5par_tENS8_11use_defaultESE_EEEENSA_INSB_IiSD_SE_SE_EEEEZNS1_13binary_searchIS3_S5_NSA_INS8_10device_ptrItEEEESG_SI_NS1_16binary_search_opENS9_16wrapped_functionINS8_6system6detail7generic6detail18binary_search_lessEbEEEE10hipError_tPvRmT1_T2_T3_mmT4_T5_P12ihipStream_tbEUlRKtE_EESV_SZ_S10_mS11_S14_bEUlT_E_NS1_11comp_targetILNS1_3genE0ELNS1_11target_archE4294967295ELNS1_3gpuE0ELNS1_3repE0EEENS1_30default_config_static_selectorELNS0_4arch9wavefront6targetE0EEEvSY_.numbered_sgpr, 0
	.set _ZN7rocprim17ROCPRIM_400000_NS6detail17trampoline_kernelINS0_14default_configENS1_29binary_search_config_selectorItiEEZNS1_14transform_implILb0ES3_S5_N6thrust23THRUST_200600_302600_NS6detail15normal_iteratorINS8_7pointerItNS8_11hip_rocprim5par_tENS8_11use_defaultESE_EEEENSA_INSB_IiSD_SE_SE_EEEEZNS1_13binary_searchIS3_S5_NSA_INS8_10device_ptrItEEEESG_SI_NS1_16binary_search_opENS9_16wrapped_functionINS8_6system6detail7generic6detail18binary_search_lessEbEEEE10hipError_tPvRmT1_T2_T3_mmT4_T5_P12ihipStream_tbEUlRKtE_EESV_SZ_S10_mS11_S14_bEUlT_E_NS1_11comp_targetILNS1_3genE0ELNS1_11target_archE4294967295ELNS1_3gpuE0ELNS1_3repE0EEENS1_30default_config_static_selectorELNS0_4arch9wavefront6targetE0EEEvSY_.num_named_barrier, 0
	.set _ZN7rocprim17ROCPRIM_400000_NS6detail17trampoline_kernelINS0_14default_configENS1_29binary_search_config_selectorItiEEZNS1_14transform_implILb0ES3_S5_N6thrust23THRUST_200600_302600_NS6detail15normal_iteratorINS8_7pointerItNS8_11hip_rocprim5par_tENS8_11use_defaultESE_EEEENSA_INSB_IiSD_SE_SE_EEEEZNS1_13binary_searchIS3_S5_NSA_INS8_10device_ptrItEEEESG_SI_NS1_16binary_search_opENS9_16wrapped_functionINS8_6system6detail7generic6detail18binary_search_lessEbEEEE10hipError_tPvRmT1_T2_T3_mmT4_T5_P12ihipStream_tbEUlRKtE_EESV_SZ_S10_mS11_S14_bEUlT_E_NS1_11comp_targetILNS1_3genE0ELNS1_11target_archE4294967295ELNS1_3gpuE0ELNS1_3repE0EEENS1_30default_config_static_selectorELNS0_4arch9wavefront6targetE0EEEvSY_.private_seg_size, 0
	.set _ZN7rocprim17ROCPRIM_400000_NS6detail17trampoline_kernelINS0_14default_configENS1_29binary_search_config_selectorItiEEZNS1_14transform_implILb0ES3_S5_N6thrust23THRUST_200600_302600_NS6detail15normal_iteratorINS8_7pointerItNS8_11hip_rocprim5par_tENS8_11use_defaultESE_EEEENSA_INSB_IiSD_SE_SE_EEEEZNS1_13binary_searchIS3_S5_NSA_INS8_10device_ptrItEEEESG_SI_NS1_16binary_search_opENS9_16wrapped_functionINS8_6system6detail7generic6detail18binary_search_lessEbEEEE10hipError_tPvRmT1_T2_T3_mmT4_T5_P12ihipStream_tbEUlRKtE_EESV_SZ_S10_mS11_S14_bEUlT_E_NS1_11comp_targetILNS1_3genE0ELNS1_11target_archE4294967295ELNS1_3gpuE0ELNS1_3repE0EEENS1_30default_config_static_selectorELNS0_4arch9wavefront6targetE0EEEvSY_.uses_vcc, 0
	.set _ZN7rocprim17ROCPRIM_400000_NS6detail17trampoline_kernelINS0_14default_configENS1_29binary_search_config_selectorItiEEZNS1_14transform_implILb0ES3_S5_N6thrust23THRUST_200600_302600_NS6detail15normal_iteratorINS8_7pointerItNS8_11hip_rocprim5par_tENS8_11use_defaultESE_EEEENSA_INSB_IiSD_SE_SE_EEEEZNS1_13binary_searchIS3_S5_NSA_INS8_10device_ptrItEEEESG_SI_NS1_16binary_search_opENS9_16wrapped_functionINS8_6system6detail7generic6detail18binary_search_lessEbEEEE10hipError_tPvRmT1_T2_T3_mmT4_T5_P12ihipStream_tbEUlRKtE_EESV_SZ_S10_mS11_S14_bEUlT_E_NS1_11comp_targetILNS1_3genE0ELNS1_11target_archE4294967295ELNS1_3gpuE0ELNS1_3repE0EEENS1_30default_config_static_selectorELNS0_4arch9wavefront6targetE0EEEvSY_.uses_flat_scratch, 0
	.set _ZN7rocprim17ROCPRIM_400000_NS6detail17trampoline_kernelINS0_14default_configENS1_29binary_search_config_selectorItiEEZNS1_14transform_implILb0ES3_S5_N6thrust23THRUST_200600_302600_NS6detail15normal_iteratorINS8_7pointerItNS8_11hip_rocprim5par_tENS8_11use_defaultESE_EEEENSA_INSB_IiSD_SE_SE_EEEEZNS1_13binary_searchIS3_S5_NSA_INS8_10device_ptrItEEEESG_SI_NS1_16binary_search_opENS9_16wrapped_functionINS8_6system6detail7generic6detail18binary_search_lessEbEEEE10hipError_tPvRmT1_T2_T3_mmT4_T5_P12ihipStream_tbEUlRKtE_EESV_SZ_S10_mS11_S14_bEUlT_E_NS1_11comp_targetILNS1_3genE0ELNS1_11target_archE4294967295ELNS1_3gpuE0ELNS1_3repE0EEENS1_30default_config_static_selectorELNS0_4arch9wavefront6targetE0EEEvSY_.has_dyn_sized_stack, 0
	.set _ZN7rocprim17ROCPRIM_400000_NS6detail17trampoline_kernelINS0_14default_configENS1_29binary_search_config_selectorItiEEZNS1_14transform_implILb0ES3_S5_N6thrust23THRUST_200600_302600_NS6detail15normal_iteratorINS8_7pointerItNS8_11hip_rocprim5par_tENS8_11use_defaultESE_EEEENSA_INSB_IiSD_SE_SE_EEEEZNS1_13binary_searchIS3_S5_NSA_INS8_10device_ptrItEEEESG_SI_NS1_16binary_search_opENS9_16wrapped_functionINS8_6system6detail7generic6detail18binary_search_lessEbEEEE10hipError_tPvRmT1_T2_T3_mmT4_T5_P12ihipStream_tbEUlRKtE_EESV_SZ_S10_mS11_S14_bEUlT_E_NS1_11comp_targetILNS1_3genE0ELNS1_11target_archE4294967295ELNS1_3gpuE0ELNS1_3repE0EEENS1_30default_config_static_selectorELNS0_4arch9wavefront6targetE0EEEvSY_.has_recursion, 0
	.set _ZN7rocprim17ROCPRIM_400000_NS6detail17trampoline_kernelINS0_14default_configENS1_29binary_search_config_selectorItiEEZNS1_14transform_implILb0ES3_S5_N6thrust23THRUST_200600_302600_NS6detail15normal_iteratorINS8_7pointerItNS8_11hip_rocprim5par_tENS8_11use_defaultESE_EEEENSA_INSB_IiSD_SE_SE_EEEEZNS1_13binary_searchIS3_S5_NSA_INS8_10device_ptrItEEEESG_SI_NS1_16binary_search_opENS9_16wrapped_functionINS8_6system6detail7generic6detail18binary_search_lessEbEEEE10hipError_tPvRmT1_T2_T3_mmT4_T5_P12ihipStream_tbEUlRKtE_EESV_SZ_S10_mS11_S14_bEUlT_E_NS1_11comp_targetILNS1_3genE0ELNS1_11target_archE4294967295ELNS1_3gpuE0ELNS1_3repE0EEENS1_30default_config_static_selectorELNS0_4arch9wavefront6targetE0EEEvSY_.has_indirect_call, 0
	.section	.AMDGPU.csdata,"",@progbits
; Kernel info:
; codeLenInByte = 0
; TotalNumSgprs: 0
; NumVgprs: 0
; ScratchSize: 0
; MemoryBound: 0
; FloatMode: 240
; IeeeMode: 1
; LDSByteSize: 0 bytes/workgroup (compile time only)
; SGPRBlocks: 0
; VGPRBlocks: 0
; NumSGPRsForWavesPerEU: 1
; NumVGPRsForWavesPerEU: 1
; Occupancy: 16
; WaveLimiterHint : 0
; COMPUTE_PGM_RSRC2:SCRATCH_EN: 0
; COMPUTE_PGM_RSRC2:USER_SGPR: 6
; COMPUTE_PGM_RSRC2:TRAP_HANDLER: 0
; COMPUTE_PGM_RSRC2:TGID_X_EN: 1
; COMPUTE_PGM_RSRC2:TGID_Y_EN: 0
; COMPUTE_PGM_RSRC2:TGID_Z_EN: 0
; COMPUTE_PGM_RSRC2:TIDIG_COMP_CNT: 0
	.section	.text._ZN7rocprim17ROCPRIM_400000_NS6detail17trampoline_kernelINS0_14default_configENS1_29binary_search_config_selectorItiEEZNS1_14transform_implILb0ES3_S5_N6thrust23THRUST_200600_302600_NS6detail15normal_iteratorINS8_7pointerItNS8_11hip_rocprim5par_tENS8_11use_defaultESE_EEEENSA_INSB_IiSD_SE_SE_EEEEZNS1_13binary_searchIS3_S5_NSA_INS8_10device_ptrItEEEESG_SI_NS1_16binary_search_opENS9_16wrapped_functionINS8_6system6detail7generic6detail18binary_search_lessEbEEEE10hipError_tPvRmT1_T2_T3_mmT4_T5_P12ihipStream_tbEUlRKtE_EESV_SZ_S10_mS11_S14_bEUlT_E_NS1_11comp_targetILNS1_3genE5ELNS1_11target_archE942ELNS1_3gpuE9ELNS1_3repE0EEENS1_30default_config_static_selectorELNS0_4arch9wavefront6targetE0EEEvSY_,"axG",@progbits,_ZN7rocprim17ROCPRIM_400000_NS6detail17trampoline_kernelINS0_14default_configENS1_29binary_search_config_selectorItiEEZNS1_14transform_implILb0ES3_S5_N6thrust23THRUST_200600_302600_NS6detail15normal_iteratorINS8_7pointerItNS8_11hip_rocprim5par_tENS8_11use_defaultESE_EEEENSA_INSB_IiSD_SE_SE_EEEEZNS1_13binary_searchIS3_S5_NSA_INS8_10device_ptrItEEEESG_SI_NS1_16binary_search_opENS9_16wrapped_functionINS8_6system6detail7generic6detail18binary_search_lessEbEEEE10hipError_tPvRmT1_T2_T3_mmT4_T5_P12ihipStream_tbEUlRKtE_EESV_SZ_S10_mS11_S14_bEUlT_E_NS1_11comp_targetILNS1_3genE5ELNS1_11target_archE942ELNS1_3gpuE9ELNS1_3repE0EEENS1_30default_config_static_selectorELNS0_4arch9wavefront6targetE0EEEvSY_,comdat
	.protected	_ZN7rocprim17ROCPRIM_400000_NS6detail17trampoline_kernelINS0_14default_configENS1_29binary_search_config_selectorItiEEZNS1_14transform_implILb0ES3_S5_N6thrust23THRUST_200600_302600_NS6detail15normal_iteratorINS8_7pointerItNS8_11hip_rocprim5par_tENS8_11use_defaultESE_EEEENSA_INSB_IiSD_SE_SE_EEEEZNS1_13binary_searchIS3_S5_NSA_INS8_10device_ptrItEEEESG_SI_NS1_16binary_search_opENS9_16wrapped_functionINS8_6system6detail7generic6detail18binary_search_lessEbEEEE10hipError_tPvRmT1_T2_T3_mmT4_T5_P12ihipStream_tbEUlRKtE_EESV_SZ_S10_mS11_S14_bEUlT_E_NS1_11comp_targetILNS1_3genE5ELNS1_11target_archE942ELNS1_3gpuE9ELNS1_3repE0EEENS1_30default_config_static_selectorELNS0_4arch9wavefront6targetE0EEEvSY_ ; -- Begin function _ZN7rocprim17ROCPRIM_400000_NS6detail17trampoline_kernelINS0_14default_configENS1_29binary_search_config_selectorItiEEZNS1_14transform_implILb0ES3_S5_N6thrust23THRUST_200600_302600_NS6detail15normal_iteratorINS8_7pointerItNS8_11hip_rocprim5par_tENS8_11use_defaultESE_EEEENSA_INSB_IiSD_SE_SE_EEEEZNS1_13binary_searchIS3_S5_NSA_INS8_10device_ptrItEEEESG_SI_NS1_16binary_search_opENS9_16wrapped_functionINS8_6system6detail7generic6detail18binary_search_lessEbEEEE10hipError_tPvRmT1_T2_T3_mmT4_T5_P12ihipStream_tbEUlRKtE_EESV_SZ_S10_mS11_S14_bEUlT_E_NS1_11comp_targetILNS1_3genE5ELNS1_11target_archE942ELNS1_3gpuE9ELNS1_3repE0EEENS1_30default_config_static_selectorELNS0_4arch9wavefront6targetE0EEEvSY_
	.globl	_ZN7rocprim17ROCPRIM_400000_NS6detail17trampoline_kernelINS0_14default_configENS1_29binary_search_config_selectorItiEEZNS1_14transform_implILb0ES3_S5_N6thrust23THRUST_200600_302600_NS6detail15normal_iteratorINS8_7pointerItNS8_11hip_rocprim5par_tENS8_11use_defaultESE_EEEENSA_INSB_IiSD_SE_SE_EEEEZNS1_13binary_searchIS3_S5_NSA_INS8_10device_ptrItEEEESG_SI_NS1_16binary_search_opENS9_16wrapped_functionINS8_6system6detail7generic6detail18binary_search_lessEbEEEE10hipError_tPvRmT1_T2_T3_mmT4_T5_P12ihipStream_tbEUlRKtE_EESV_SZ_S10_mS11_S14_bEUlT_E_NS1_11comp_targetILNS1_3genE5ELNS1_11target_archE942ELNS1_3gpuE9ELNS1_3repE0EEENS1_30default_config_static_selectorELNS0_4arch9wavefront6targetE0EEEvSY_
	.p2align	8
	.type	_ZN7rocprim17ROCPRIM_400000_NS6detail17trampoline_kernelINS0_14default_configENS1_29binary_search_config_selectorItiEEZNS1_14transform_implILb0ES3_S5_N6thrust23THRUST_200600_302600_NS6detail15normal_iteratorINS8_7pointerItNS8_11hip_rocprim5par_tENS8_11use_defaultESE_EEEENSA_INSB_IiSD_SE_SE_EEEEZNS1_13binary_searchIS3_S5_NSA_INS8_10device_ptrItEEEESG_SI_NS1_16binary_search_opENS9_16wrapped_functionINS8_6system6detail7generic6detail18binary_search_lessEbEEEE10hipError_tPvRmT1_T2_T3_mmT4_T5_P12ihipStream_tbEUlRKtE_EESV_SZ_S10_mS11_S14_bEUlT_E_NS1_11comp_targetILNS1_3genE5ELNS1_11target_archE942ELNS1_3gpuE9ELNS1_3repE0EEENS1_30default_config_static_selectorELNS0_4arch9wavefront6targetE0EEEvSY_,@function
_ZN7rocprim17ROCPRIM_400000_NS6detail17trampoline_kernelINS0_14default_configENS1_29binary_search_config_selectorItiEEZNS1_14transform_implILb0ES3_S5_N6thrust23THRUST_200600_302600_NS6detail15normal_iteratorINS8_7pointerItNS8_11hip_rocprim5par_tENS8_11use_defaultESE_EEEENSA_INSB_IiSD_SE_SE_EEEEZNS1_13binary_searchIS3_S5_NSA_INS8_10device_ptrItEEEESG_SI_NS1_16binary_search_opENS9_16wrapped_functionINS8_6system6detail7generic6detail18binary_search_lessEbEEEE10hipError_tPvRmT1_T2_T3_mmT4_T5_P12ihipStream_tbEUlRKtE_EESV_SZ_S10_mS11_S14_bEUlT_E_NS1_11comp_targetILNS1_3genE5ELNS1_11target_archE942ELNS1_3gpuE9ELNS1_3repE0EEENS1_30default_config_static_selectorELNS0_4arch9wavefront6targetE0EEEvSY_: ; @_ZN7rocprim17ROCPRIM_400000_NS6detail17trampoline_kernelINS0_14default_configENS1_29binary_search_config_selectorItiEEZNS1_14transform_implILb0ES3_S5_N6thrust23THRUST_200600_302600_NS6detail15normal_iteratorINS8_7pointerItNS8_11hip_rocprim5par_tENS8_11use_defaultESE_EEEENSA_INSB_IiSD_SE_SE_EEEEZNS1_13binary_searchIS3_S5_NSA_INS8_10device_ptrItEEEESG_SI_NS1_16binary_search_opENS9_16wrapped_functionINS8_6system6detail7generic6detail18binary_search_lessEbEEEE10hipError_tPvRmT1_T2_T3_mmT4_T5_P12ihipStream_tbEUlRKtE_EESV_SZ_S10_mS11_S14_bEUlT_E_NS1_11comp_targetILNS1_3genE5ELNS1_11target_archE942ELNS1_3gpuE9ELNS1_3repE0EEENS1_30default_config_static_selectorELNS0_4arch9wavefront6targetE0EEEvSY_
; %bb.0:
	.section	.rodata,"a",@progbits
	.p2align	6, 0x0
	.amdhsa_kernel _ZN7rocprim17ROCPRIM_400000_NS6detail17trampoline_kernelINS0_14default_configENS1_29binary_search_config_selectorItiEEZNS1_14transform_implILb0ES3_S5_N6thrust23THRUST_200600_302600_NS6detail15normal_iteratorINS8_7pointerItNS8_11hip_rocprim5par_tENS8_11use_defaultESE_EEEENSA_INSB_IiSD_SE_SE_EEEEZNS1_13binary_searchIS3_S5_NSA_INS8_10device_ptrItEEEESG_SI_NS1_16binary_search_opENS9_16wrapped_functionINS8_6system6detail7generic6detail18binary_search_lessEbEEEE10hipError_tPvRmT1_T2_T3_mmT4_T5_P12ihipStream_tbEUlRKtE_EESV_SZ_S10_mS11_S14_bEUlT_E_NS1_11comp_targetILNS1_3genE5ELNS1_11target_archE942ELNS1_3gpuE9ELNS1_3repE0EEENS1_30default_config_static_selectorELNS0_4arch9wavefront6targetE0EEEvSY_
		.amdhsa_group_segment_fixed_size 0
		.amdhsa_private_segment_fixed_size 0
		.amdhsa_kernarg_size 56
		.amdhsa_user_sgpr_count 6
		.amdhsa_user_sgpr_private_segment_buffer 1
		.amdhsa_user_sgpr_dispatch_ptr 0
		.amdhsa_user_sgpr_queue_ptr 0
		.amdhsa_user_sgpr_kernarg_segment_ptr 1
		.amdhsa_user_sgpr_dispatch_id 0
		.amdhsa_user_sgpr_flat_scratch_init 0
		.amdhsa_user_sgpr_private_segment_size 0
		.amdhsa_wavefront_size32 1
		.amdhsa_uses_dynamic_stack 0
		.amdhsa_system_sgpr_private_segment_wavefront_offset 0
		.amdhsa_system_sgpr_workgroup_id_x 1
		.amdhsa_system_sgpr_workgroup_id_y 0
		.amdhsa_system_sgpr_workgroup_id_z 0
		.amdhsa_system_sgpr_workgroup_info 0
		.amdhsa_system_vgpr_workitem_id 0
		.amdhsa_next_free_vgpr 1
		.amdhsa_next_free_sgpr 1
		.amdhsa_reserve_vcc 0
		.amdhsa_reserve_flat_scratch 0
		.amdhsa_float_round_mode_32 0
		.amdhsa_float_round_mode_16_64 0
		.amdhsa_float_denorm_mode_32 3
		.amdhsa_float_denorm_mode_16_64 3
		.amdhsa_dx10_clamp 1
		.amdhsa_ieee_mode 1
		.amdhsa_fp16_overflow 0
		.amdhsa_workgroup_processor_mode 1
		.amdhsa_memory_ordered 1
		.amdhsa_forward_progress 1
		.amdhsa_shared_vgpr_count 0
		.amdhsa_exception_fp_ieee_invalid_op 0
		.amdhsa_exception_fp_denorm_src 0
		.amdhsa_exception_fp_ieee_div_zero 0
		.amdhsa_exception_fp_ieee_overflow 0
		.amdhsa_exception_fp_ieee_underflow 0
		.amdhsa_exception_fp_ieee_inexact 0
		.amdhsa_exception_int_div_zero 0
	.end_amdhsa_kernel
	.section	.text._ZN7rocprim17ROCPRIM_400000_NS6detail17trampoline_kernelINS0_14default_configENS1_29binary_search_config_selectorItiEEZNS1_14transform_implILb0ES3_S5_N6thrust23THRUST_200600_302600_NS6detail15normal_iteratorINS8_7pointerItNS8_11hip_rocprim5par_tENS8_11use_defaultESE_EEEENSA_INSB_IiSD_SE_SE_EEEEZNS1_13binary_searchIS3_S5_NSA_INS8_10device_ptrItEEEESG_SI_NS1_16binary_search_opENS9_16wrapped_functionINS8_6system6detail7generic6detail18binary_search_lessEbEEEE10hipError_tPvRmT1_T2_T3_mmT4_T5_P12ihipStream_tbEUlRKtE_EESV_SZ_S10_mS11_S14_bEUlT_E_NS1_11comp_targetILNS1_3genE5ELNS1_11target_archE942ELNS1_3gpuE9ELNS1_3repE0EEENS1_30default_config_static_selectorELNS0_4arch9wavefront6targetE0EEEvSY_,"axG",@progbits,_ZN7rocprim17ROCPRIM_400000_NS6detail17trampoline_kernelINS0_14default_configENS1_29binary_search_config_selectorItiEEZNS1_14transform_implILb0ES3_S5_N6thrust23THRUST_200600_302600_NS6detail15normal_iteratorINS8_7pointerItNS8_11hip_rocprim5par_tENS8_11use_defaultESE_EEEENSA_INSB_IiSD_SE_SE_EEEEZNS1_13binary_searchIS3_S5_NSA_INS8_10device_ptrItEEEESG_SI_NS1_16binary_search_opENS9_16wrapped_functionINS8_6system6detail7generic6detail18binary_search_lessEbEEEE10hipError_tPvRmT1_T2_T3_mmT4_T5_P12ihipStream_tbEUlRKtE_EESV_SZ_S10_mS11_S14_bEUlT_E_NS1_11comp_targetILNS1_3genE5ELNS1_11target_archE942ELNS1_3gpuE9ELNS1_3repE0EEENS1_30default_config_static_selectorELNS0_4arch9wavefront6targetE0EEEvSY_,comdat
.Lfunc_end681:
	.size	_ZN7rocprim17ROCPRIM_400000_NS6detail17trampoline_kernelINS0_14default_configENS1_29binary_search_config_selectorItiEEZNS1_14transform_implILb0ES3_S5_N6thrust23THRUST_200600_302600_NS6detail15normal_iteratorINS8_7pointerItNS8_11hip_rocprim5par_tENS8_11use_defaultESE_EEEENSA_INSB_IiSD_SE_SE_EEEEZNS1_13binary_searchIS3_S5_NSA_INS8_10device_ptrItEEEESG_SI_NS1_16binary_search_opENS9_16wrapped_functionINS8_6system6detail7generic6detail18binary_search_lessEbEEEE10hipError_tPvRmT1_T2_T3_mmT4_T5_P12ihipStream_tbEUlRKtE_EESV_SZ_S10_mS11_S14_bEUlT_E_NS1_11comp_targetILNS1_3genE5ELNS1_11target_archE942ELNS1_3gpuE9ELNS1_3repE0EEENS1_30default_config_static_selectorELNS0_4arch9wavefront6targetE0EEEvSY_, .Lfunc_end681-_ZN7rocprim17ROCPRIM_400000_NS6detail17trampoline_kernelINS0_14default_configENS1_29binary_search_config_selectorItiEEZNS1_14transform_implILb0ES3_S5_N6thrust23THRUST_200600_302600_NS6detail15normal_iteratorINS8_7pointerItNS8_11hip_rocprim5par_tENS8_11use_defaultESE_EEEENSA_INSB_IiSD_SE_SE_EEEEZNS1_13binary_searchIS3_S5_NSA_INS8_10device_ptrItEEEESG_SI_NS1_16binary_search_opENS9_16wrapped_functionINS8_6system6detail7generic6detail18binary_search_lessEbEEEE10hipError_tPvRmT1_T2_T3_mmT4_T5_P12ihipStream_tbEUlRKtE_EESV_SZ_S10_mS11_S14_bEUlT_E_NS1_11comp_targetILNS1_3genE5ELNS1_11target_archE942ELNS1_3gpuE9ELNS1_3repE0EEENS1_30default_config_static_selectorELNS0_4arch9wavefront6targetE0EEEvSY_
                                        ; -- End function
	.set _ZN7rocprim17ROCPRIM_400000_NS6detail17trampoline_kernelINS0_14default_configENS1_29binary_search_config_selectorItiEEZNS1_14transform_implILb0ES3_S5_N6thrust23THRUST_200600_302600_NS6detail15normal_iteratorINS8_7pointerItNS8_11hip_rocprim5par_tENS8_11use_defaultESE_EEEENSA_INSB_IiSD_SE_SE_EEEEZNS1_13binary_searchIS3_S5_NSA_INS8_10device_ptrItEEEESG_SI_NS1_16binary_search_opENS9_16wrapped_functionINS8_6system6detail7generic6detail18binary_search_lessEbEEEE10hipError_tPvRmT1_T2_T3_mmT4_T5_P12ihipStream_tbEUlRKtE_EESV_SZ_S10_mS11_S14_bEUlT_E_NS1_11comp_targetILNS1_3genE5ELNS1_11target_archE942ELNS1_3gpuE9ELNS1_3repE0EEENS1_30default_config_static_selectorELNS0_4arch9wavefront6targetE0EEEvSY_.num_vgpr, 0
	.set _ZN7rocprim17ROCPRIM_400000_NS6detail17trampoline_kernelINS0_14default_configENS1_29binary_search_config_selectorItiEEZNS1_14transform_implILb0ES3_S5_N6thrust23THRUST_200600_302600_NS6detail15normal_iteratorINS8_7pointerItNS8_11hip_rocprim5par_tENS8_11use_defaultESE_EEEENSA_INSB_IiSD_SE_SE_EEEEZNS1_13binary_searchIS3_S5_NSA_INS8_10device_ptrItEEEESG_SI_NS1_16binary_search_opENS9_16wrapped_functionINS8_6system6detail7generic6detail18binary_search_lessEbEEEE10hipError_tPvRmT1_T2_T3_mmT4_T5_P12ihipStream_tbEUlRKtE_EESV_SZ_S10_mS11_S14_bEUlT_E_NS1_11comp_targetILNS1_3genE5ELNS1_11target_archE942ELNS1_3gpuE9ELNS1_3repE0EEENS1_30default_config_static_selectorELNS0_4arch9wavefront6targetE0EEEvSY_.num_agpr, 0
	.set _ZN7rocprim17ROCPRIM_400000_NS6detail17trampoline_kernelINS0_14default_configENS1_29binary_search_config_selectorItiEEZNS1_14transform_implILb0ES3_S5_N6thrust23THRUST_200600_302600_NS6detail15normal_iteratorINS8_7pointerItNS8_11hip_rocprim5par_tENS8_11use_defaultESE_EEEENSA_INSB_IiSD_SE_SE_EEEEZNS1_13binary_searchIS3_S5_NSA_INS8_10device_ptrItEEEESG_SI_NS1_16binary_search_opENS9_16wrapped_functionINS8_6system6detail7generic6detail18binary_search_lessEbEEEE10hipError_tPvRmT1_T2_T3_mmT4_T5_P12ihipStream_tbEUlRKtE_EESV_SZ_S10_mS11_S14_bEUlT_E_NS1_11comp_targetILNS1_3genE5ELNS1_11target_archE942ELNS1_3gpuE9ELNS1_3repE0EEENS1_30default_config_static_selectorELNS0_4arch9wavefront6targetE0EEEvSY_.numbered_sgpr, 0
	.set _ZN7rocprim17ROCPRIM_400000_NS6detail17trampoline_kernelINS0_14default_configENS1_29binary_search_config_selectorItiEEZNS1_14transform_implILb0ES3_S5_N6thrust23THRUST_200600_302600_NS6detail15normal_iteratorINS8_7pointerItNS8_11hip_rocprim5par_tENS8_11use_defaultESE_EEEENSA_INSB_IiSD_SE_SE_EEEEZNS1_13binary_searchIS3_S5_NSA_INS8_10device_ptrItEEEESG_SI_NS1_16binary_search_opENS9_16wrapped_functionINS8_6system6detail7generic6detail18binary_search_lessEbEEEE10hipError_tPvRmT1_T2_T3_mmT4_T5_P12ihipStream_tbEUlRKtE_EESV_SZ_S10_mS11_S14_bEUlT_E_NS1_11comp_targetILNS1_3genE5ELNS1_11target_archE942ELNS1_3gpuE9ELNS1_3repE0EEENS1_30default_config_static_selectorELNS0_4arch9wavefront6targetE0EEEvSY_.num_named_barrier, 0
	.set _ZN7rocprim17ROCPRIM_400000_NS6detail17trampoline_kernelINS0_14default_configENS1_29binary_search_config_selectorItiEEZNS1_14transform_implILb0ES3_S5_N6thrust23THRUST_200600_302600_NS6detail15normal_iteratorINS8_7pointerItNS8_11hip_rocprim5par_tENS8_11use_defaultESE_EEEENSA_INSB_IiSD_SE_SE_EEEEZNS1_13binary_searchIS3_S5_NSA_INS8_10device_ptrItEEEESG_SI_NS1_16binary_search_opENS9_16wrapped_functionINS8_6system6detail7generic6detail18binary_search_lessEbEEEE10hipError_tPvRmT1_T2_T3_mmT4_T5_P12ihipStream_tbEUlRKtE_EESV_SZ_S10_mS11_S14_bEUlT_E_NS1_11comp_targetILNS1_3genE5ELNS1_11target_archE942ELNS1_3gpuE9ELNS1_3repE0EEENS1_30default_config_static_selectorELNS0_4arch9wavefront6targetE0EEEvSY_.private_seg_size, 0
	.set _ZN7rocprim17ROCPRIM_400000_NS6detail17trampoline_kernelINS0_14default_configENS1_29binary_search_config_selectorItiEEZNS1_14transform_implILb0ES3_S5_N6thrust23THRUST_200600_302600_NS6detail15normal_iteratorINS8_7pointerItNS8_11hip_rocprim5par_tENS8_11use_defaultESE_EEEENSA_INSB_IiSD_SE_SE_EEEEZNS1_13binary_searchIS3_S5_NSA_INS8_10device_ptrItEEEESG_SI_NS1_16binary_search_opENS9_16wrapped_functionINS8_6system6detail7generic6detail18binary_search_lessEbEEEE10hipError_tPvRmT1_T2_T3_mmT4_T5_P12ihipStream_tbEUlRKtE_EESV_SZ_S10_mS11_S14_bEUlT_E_NS1_11comp_targetILNS1_3genE5ELNS1_11target_archE942ELNS1_3gpuE9ELNS1_3repE0EEENS1_30default_config_static_selectorELNS0_4arch9wavefront6targetE0EEEvSY_.uses_vcc, 0
	.set _ZN7rocprim17ROCPRIM_400000_NS6detail17trampoline_kernelINS0_14default_configENS1_29binary_search_config_selectorItiEEZNS1_14transform_implILb0ES3_S5_N6thrust23THRUST_200600_302600_NS6detail15normal_iteratorINS8_7pointerItNS8_11hip_rocprim5par_tENS8_11use_defaultESE_EEEENSA_INSB_IiSD_SE_SE_EEEEZNS1_13binary_searchIS3_S5_NSA_INS8_10device_ptrItEEEESG_SI_NS1_16binary_search_opENS9_16wrapped_functionINS8_6system6detail7generic6detail18binary_search_lessEbEEEE10hipError_tPvRmT1_T2_T3_mmT4_T5_P12ihipStream_tbEUlRKtE_EESV_SZ_S10_mS11_S14_bEUlT_E_NS1_11comp_targetILNS1_3genE5ELNS1_11target_archE942ELNS1_3gpuE9ELNS1_3repE0EEENS1_30default_config_static_selectorELNS0_4arch9wavefront6targetE0EEEvSY_.uses_flat_scratch, 0
	.set _ZN7rocprim17ROCPRIM_400000_NS6detail17trampoline_kernelINS0_14default_configENS1_29binary_search_config_selectorItiEEZNS1_14transform_implILb0ES3_S5_N6thrust23THRUST_200600_302600_NS6detail15normal_iteratorINS8_7pointerItNS8_11hip_rocprim5par_tENS8_11use_defaultESE_EEEENSA_INSB_IiSD_SE_SE_EEEEZNS1_13binary_searchIS3_S5_NSA_INS8_10device_ptrItEEEESG_SI_NS1_16binary_search_opENS9_16wrapped_functionINS8_6system6detail7generic6detail18binary_search_lessEbEEEE10hipError_tPvRmT1_T2_T3_mmT4_T5_P12ihipStream_tbEUlRKtE_EESV_SZ_S10_mS11_S14_bEUlT_E_NS1_11comp_targetILNS1_3genE5ELNS1_11target_archE942ELNS1_3gpuE9ELNS1_3repE0EEENS1_30default_config_static_selectorELNS0_4arch9wavefront6targetE0EEEvSY_.has_dyn_sized_stack, 0
	.set _ZN7rocprim17ROCPRIM_400000_NS6detail17trampoline_kernelINS0_14default_configENS1_29binary_search_config_selectorItiEEZNS1_14transform_implILb0ES3_S5_N6thrust23THRUST_200600_302600_NS6detail15normal_iteratorINS8_7pointerItNS8_11hip_rocprim5par_tENS8_11use_defaultESE_EEEENSA_INSB_IiSD_SE_SE_EEEEZNS1_13binary_searchIS3_S5_NSA_INS8_10device_ptrItEEEESG_SI_NS1_16binary_search_opENS9_16wrapped_functionINS8_6system6detail7generic6detail18binary_search_lessEbEEEE10hipError_tPvRmT1_T2_T3_mmT4_T5_P12ihipStream_tbEUlRKtE_EESV_SZ_S10_mS11_S14_bEUlT_E_NS1_11comp_targetILNS1_3genE5ELNS1_11target_archE942ELNS1_3gpuE9ELNS1_3repE0EEENS1_30default_config_static_selectorELNS0_4arch9wavefront6targetE0EEEvSY_.has_recursion, 0
	.set _ZN7rocprim17ROCPRIM_400000_NS6detail17trampoline_kernelINS0_14default_configENS1_29binary_search_config_selectorItiEEZNS1_14transform_implILb0ES3_S5_N6thrust23THRUST_200600_302600_NS6detail15normal_iteratorINS8_7pointerItNS8_11hip_rocprim5par_tENS8_11use_defaultESE_EEEENSA_INSB_IiSD_SE_SE_EEEEZNS1_13binary_searchIS3_S5_NSA_INS8_10device_ptrItEEEESG_SI_NS1_16binary_search_opENS9_16wrapped_functionINS8_6system6detail7generic6detail18binary_search_lessEbEEEE10hipError_tPvRmT1_T2_T3_mmT4_T5_P12ihipStream_tbEUlRKtE_EESV_SZ_S10_mS11_S14_bEUlT_E_NS1_11comp_targetILNS1_3genE5ELNS1_11target_archE942ELNS1_3gpuE9ELNS1_3repE0EEENS1_30default_config_static_selectorELNS0_4arch9wavefront6targetE0EEEvSY_.has_indirect_call, 0
	.section	.AMDGPU.csdata,"",@progbits
; Kernel info:
; codeLenInByte = 0
; TotalNumSgprs: 0
; NumVgprs: 0
; ScratchSize: 0
; MemoryBound: 0
; FloatMode: 240
; IeeeMode: 1
; LDSByteSize: 0 bytes/workgroup (compile time only)
; SGPRBlocks: 0
; VGPRBlocks: 0
; NumSGPRsForWavesPerEU: 1
; NumVGPRsForWavesPerEU: 1
; Occupancy: 16
; WaveLimiterHint : 0
; COMPUTE_PGM_RSRC2:SCRATCH_EN: 0
; COMPUTE_PGM_RSRC2:USER_SGPR: 6
; COMPUTE_PGM_RSRC2:TRAP_HANDLER: 0
; COMPUTE_PGM_RSRC2:TGID_X_EN: 1
; COMPUTE_PGM_RSRC2:TGID_Y_EN: 0
; COMPUTE_PGM_RSRC2:TGID_Z_EN: 0
; COMPUTE_PGM_RSRC2:TIDIG_COMP_CNT: 0
	.section	.text._ZN7rocprim17ROCPRIM_400000_NS6detail17trampoline_kernelINS0_14default_configENS1_29binary_search_config_selectorItiEEZNS1_14transform_implILb0ES3_S5_N6thrust23THRUST_200600_302600_NS6detail15normal_iteratorINS8_7pointerItNS8_11hip_rocprim5par_tENS8_11use_defaultESE_EEEENSA_INSB_IiSD_SE_SE_EEEEZNS1_13binary_searchIS3_S5_NSA_INS8_10device_ptrItEEEESG_SI_NS1_16binary_search_opENS9_16wrapped_functionINS8_6system6detail7generic6detail18binary_search_lessEbEEEE10hipError_tPvRmT1_T2_T3_mmT4_T5_P12ihipStream_tbEUlRKtE_EESV_SZ_S10_mS11_S14_bEUlT_E_NS1_11comp_targetILNS1_3genE4ELNS1_11target_archE910ELNS1_3gpuE8ELNS1_3repE0EEENS1_30default_config_static_selectorELNS0_4arch9wavefront6targetE0EEEvSY_,"axG",@progbits,_ZN7rocprim17ROCPRIM_400000_NS6detail17trampoline_kernelINS0_14default_configENS1_29binary_search_config_selectorItiEEZNS1_14transform_implILb0ES3_S5_N6thrust23THRUST_200600_302600_NS6detail15normal_iteratorINS8_7pointerItNS8_11hip_rocprim5par_tENS8_11use_defaultESE_EEEENSA_INSB_IiSD_SE_SE_EEEEZNS1_13binary_searchIS3_S5_NSA_INS8_10device_ptrItEEEESG_SI_NS1_16binary_search_opENS9_16wrapped_functionINS8_6system6detail7generic6detail18binary_search_lessEbEEEE10hipError_tPvRmT1_T2_T3_mmT4_T5_P12ihipStream_tbEUlRKtE_EESV_SZ_S10_mS11_S14_bEUlT_E_NS1_11comp_targetILNS1_3genE4ELNS1_11target_archE910ELNS1_3gpuE8ELNS1_3repE0EEENS1_30default_config_static_selectorELNS0_4arch9wavefront6targetE0EEEvSY_,comdat
	.protected	_ZN7rocprim17ROCPRIM_400000_NS6detail17trampoline_kernelINS0_14default_configENS1_29binary_search_config_selectorItiEEZNS1_14transform_implILb0ES3_S5_N6thrust23THRUST_200600_302600_NS6detail15normal_iteratorINS8_7pointerItNS8_11hip_rocprim5par_tENS8_11use_defaultESE_EEEENSA_INSB_IiSD_SE_SE_EEEEZNS1_13binary_searchIS3_S5_NSA_INS8_10device_ptrItEEEESG_SI_NS1_16binary_search_opENS9_16wrapped_functionINS8_6system6detail7generic6detail18binary_search_lessEbEEEE10hipError_tPvRmT1_T2_T3_mmT4_T5_P12ihipStream_tbEUlRKtE_EESV_SZ_S10_mS11_S14_bEUlT_E_NS1_11comp_targetILNS1_3genE4ELNS1_11target_archE910ELNS1_3gpuE8ELNS1_3repE0EEENS1_30default_config_static_selectorELNS0_4arch9wavefront6targetE0EEEvSY_ ; -- Begin function _ZN7rocprim17ROCPRIM_400000_NS6detail17trampoline_kernelINS0_14default_configENS1_29binary_search_config_selectorItiEEZNS1_14transform_implILb0ES3_S5_N6thrust23THRUST_200600_302600_NS6detail15normal_iteratorINS8_7pointerItNS8_11hip_rocprim5par_tENS8_11use_defaultESE_EEEENSA_INSB_IiSD_SE_SE_EEEEZNS1_13binary_searchIS3_S5_NSA_INS8_10device_ptrItEEEESG_SI_NS1_16binary_search_opENS9_16wrapped_functionINS8_6system6detail7generic6detail18binary_search_lessEbEEEE10hipError_tPvRmT1_T2_T3_mmT4_T5_P12ihipStream_tbEUlRKtE_EESV_SZ_S10_mS11_S14_bEUlT_E_NS1_11comp_targetILNS1_3genE4ELNS1_11target_archE910ELNS1_3gpuE8ELNS1_3repE0EEENS1_30default_config_static_selectorELNS0_4arch9wavefront6targetE0EEEvSY_
	.globl	_ZN7rocprim17ROCPRIM_400000_NS6detail17trampoline_kernelINS0_14default_configENS1_29binary_search_config_selectorItiEEZNS1_14transform_implILb0ES3_S5_N6thrust23THRUST_200600_302600_NS6detail15normal_iteratorINS8_7pointerItNS8_11hip_rocprim5par_tENS8_11use_defaultESE_EEEENSA_INSB_IiSD_SE_SE_EEEEZNS1_13binary_searchIS3_S5_NSA_INS8_10device_ptrItEEEESG_SI_NS1_16binary_search_opENS9_16wrapped_functionINS8_6system6detail7generic6detail18binary_search_lessEbEEEE10hipError_tPvRmT1_T2_T3_mmT4_T5_P12ihipStream_tbEUlRKtE_EESV_SZ_S10_mS11_S14_bEUlT_E_NS1_11comp_targetILNS1_3genE4ELNS1_11target_archE910ELNS1_3gpuE8ELNS1_3repE0EEENS1_30default_config_static_selectorELNS0_4arch9wavefront6targetE0EEEvSY_
	.p2align	8
	.type	_ZN7rocprim17ROCPRIM_400000_NS6detail17trampoline_kernelINS0_14default_configENS1_29binary_search_config_selectorItiEEZNS1_14transform_implILb0ES3_S5_N6thrust23THRUST_200600_302600_NS6detail15normal_iteratorINS8_7pointerItNS8_11hip_rocprim5par_tENS8_11use_defaultESE_EEEENSA_INSB_IiSD_SE_SE_EEEEZNS1_13binary_searchIS3_S5_NSA_INS8_10device_ptrItEEEESG_SI_NS1_16binary_search_opENS9_16wrapped_functionINS8_6system6detail7generic6detail18binary_search_lessEbEEEE10hipError_tPvRmT1_T2_T3_mmT4_T5_P12ihipStream_tbEUlRKtE_EESV_SZ_S10_mS11_S14_bEUlT_E_NS1_11comp_targetILNS1_3genE4ELNS1_11target_archE910ELNS1_3gpuE8ELNS1_3repE0EEENS1_30default_config_static_selectorELNS0_4arch9wavefront6targetE0EEEvSY_,@function
_ZN7rocprim17ROCPRIM_400000_NS6detail17trampoline_kernelINS0_14default_configENS1_29binary_search_config_selectorItiEEZNS1_14transform_implILb0ES3_S5_N6thrust23THRUST_200600_302600_NS6detail15normal_iteratorINS8_7pointerItNS8_11hip_rocprim5par_tENS8_11use_defaultESE_EEEENSA_INSB_IiSD_SE_SE_EEEEZNS1_13binary_searchIS3_S5_NSA_INS8_10device_ptrItEEEESG_SI_NS1_16binary_search_opENS9_16wrapped_functionINS8_6system6detail7generic6detail18binary_search_lessEbEEEE10hipError_tPvRmT1_T2_T3_mmT4_T5_P12ihipStream_tbEUlRKtE_EESV_SZ_S10_mS11_S14_bEUlT_E_NS1_11comp_targetILNS1_3genE4ELNS1_11target_archE910ELNS1_3gpuE8ELNS1_3repE0EEENS1_30default_config_static_selectorELNS0_4arch9wavefront6targetE0EEEvSY_: ; @_ZN7rocprim17ROCPRIM_400000_NS6detail17trampoline_kernelINS0_14default_configENS1_29binary_search_config_selectorItiEEZNS1_14transform_implILb0ES3_S5_N6thrust23THRUST_200600_302600_NS6detail15normal_iteratorINS8_7pointerItNS8_11hip_rocprim5par_tENS8_11use_defaultESE_EEEENSA_INSB_IiSD_SE_SE_EEEEZNS1_13binary_searchIS3_S5_NSA_INS8_10device_ptrItEEEESG_SI_NS1_16binary_search_opENS9_16wrapped_functionINS8_6system6detail7generic6detail18binary_search_lessEbEEEE10hipError_tPvRmT1_T2_T3_mmT4_T5_P12ihipStream_tbEUlRKtE_EESV_SZ_S10_mS11_S14_bEUlT_E_NS1_11comp_targetILNS1_3genE4ELNS1_11target_archE910ELNS1_3gpuE8ELNS1_3repE0EEENS1_30default_config_static_selectorELNS0_4arch9wavefront6targetE0EEEvSY_
; %bb.0:
	.section	.rodata,"a",@progbits
	.p2align	6, 0x0
	.amdhsa_kernel _ZN7rocprim17ROCPRIM_400000_NS6detail17trampoline_kernelINS0_14default_configENS1_29binary_search_config_selectorItiEEZNS1_14transform_implILb0ES3_S5_N6thrust23THRUST_200600_302600_NS6detail15normal_iteratorINS8_7pointerItNS8_11hip_rocprim5par_tENS8_11use_defaultESE_EEEENSA_INSB_IiSD_SE_SE_EEEEZNS1_13binary_searchIS3_S5_NSA_INS8_10device_ptrItEEEESG_SI_NS1_16binary_search_opENS9_16wrapped_functionINS8_6system6detail7generic6detail18binary_search_lessEbEEEE10hipError_tPvRmT1_T2_T3_mmT4_T5_P12ihipStream_tbEUlRKtE_EESV_SZ_S10_mS11_S14_bEUlT_E_NS1_11comp_targetILNS1_3genE4ELNS1_11target_archE910ELNS1_3gpuE8ELNS1_3repE0EEENS1_30default_config_static_selectorELNS0_4arch9wavefront6targetE0EEEvSY_
		.amdhsa_group_segment_fixed_size 0
		.amdhsa_private_segment_fixed_size 0
		.amdhsa_kernarg_size 56
		.amdhsa_user_sgpr_count 6
		.amdhsa_user_sgpr_private_segment_buffer 1
		.amdhsa_user_sgpr_dispatch_ptr 0
		.amdhsa_user_sgpr_queue_ptr 0
		.amdhsa_user_sgpr_kernarg_segment_ptr 1
		.amdhsa_user_sgpr_dispatch_id 0
		.amdhsa_user_sgpr_flat_scratch_init 0
		.amdhsa_user_sgpr_private_segment_size 0
		.amdhsa_wavefront_size32 1
		.amdhsa_uses_dynamic_stack 0
		.amdhsa_system_sgpr_private_segment_wavefront_offset 0
		.amdhsa_system_sgpr_workgroup_id_x 1
		.amdhsa_system_sgpr_workgroup_id_y 0
		.amdhsa_system_sgpr_workgroup_id_z 0
		.amdhsa_system_sgpr_workgroup_info 0
		.amdhsa_system_vgpr_workitem_id 0
		.amdhsa_next_free_vgpr 1
		.amdhsa_next_free_sgpr 1
		.amdhsa_reserve_vcc 0
		.amdhsa_reserve_flat_scratch 0
		.amdhsa_float_round_mode_32 0
		.amdhsa_float_round_mode_16_64 0
		.amdhsa_float_denorm_mode_32 3
		.amdhsa_float_denorm_mode_16_64 3
		.amdhsa_dx10_clamp 1
		.amdhsa_ieee_mode 1
		.amdhsa_fp16_overflow 0
		.amdhsa_workgroup_processor_mode 1
		.amdhsa_memory_ordered 1
		.amdhsa_forward_progress 1
		.amdhsa_shared_vgpr_count 0
		.amdhsa_exception_fp_ieee_invalid_op 0
		.amdhsa_exception_fp_denorm_src 0
		.amdhsa_exception_fp_ieee_div_zero 0
		.amdhsa_exception_fp_ieee_overflow 0
		.amdhsa_exception_fp_ieee_underflow 0
		.amdhsa_exception_fp_ieee_inexact 0
		.amdhsa_exception_int_div_zero 0
	.end_amdhsa_kernel
	.section	.text._ZN7rocprim17ROCPRIM_400000_NS6detail17trampoline_kernelINS0_14default_configENS1_29binary_search_config_selectorItiEEZNS1_14transform_implILb0ES3_S5_N6thrust23THRUST_200600_302600_NS6detail15normal_iteratorINS8_7pointerItNS8_11hip_rocprim5par_tENS8_11use_defaultESE_EEEENSA_INSB_IiSD_SE_SE_EEEEZNS1_13binary_searchIS3_S5_NSA_INS8_10device_ptrItEEEESG_SI_NS1_16binary_search_opENS9_16wrapped_functionINS8_6system6detail7generic6detail18binary_search_lessEbEEEE10hipError_tPvRmT1_T2_T3_mmT4_T5_P12ihipStream_tbEUlRKtE_EESV_SZ_S10_mS11_S14_bEUlT_E_NS1_11comp_targetILNS1_3genE4ELNS1_11target_archE910ELNS1_3gpuE8ELNS1_3repE0EEENS1_30default_config_static_selectorELNS0_4arch9wavefront6targetE0EEEvSY_,"axG",@progbits,_ZN7rocprim17ROCPRIM_400000_NS6detail17trampoline_kernelINS0_14default_configENS1_29binary_search_config_selectorItiEEZNS1_14transform_implILb0ES3_S5_N6thrust23THRUST_200600_302600_NS6detail15normal_iteratorINS8_7pointerItNS8_11hip_rocprim5par_tENS8_11use_defaultESE_EEEENSA_INSB_IiSD_SE_SE_EEEEZNS1_13binary_searchIS3_S5_NSA_INS8_10device_ptrItEEEESG_SI_NS1_16binary_search_opENS9_16wrapped_functionINS8_6system6detail7generic6detail18binary_search_lessEbEEEE10hipError_tPvRmT1_T2_T3_mmT4_T5_P12ihipStream_tbEUlRKtE_EESV_SZ_S10_mS11_S14_bEUlT_E_NS1_11comp_targetILNS1_3genE4ELNS1_11target_archE910ELNS1_3gpuE8ELNS1_3repE0EEENS1_30default_config_static_selectorELNS0_4arch9wavefront6targetE0EEEvSY_,comdat
.Lfunc_end682:
	.size	_ZN7rocprim17ROCPRIM_400000_NS6detail17trampoline_kernelINS0_14default_configENS1_29binary_search_config_selectorItiEEZNS1_14transform_implILb0ES3_S5_N6thrust23THRUST_200600_302600_NS6detail15normal_iteratorINS8_7pointerItNS8_11hip_rocprim5par_tENS8_11use_defaultESE_EEEENSA_INSB_IiSD_SE_SE_EEEEZNS1_13binary_searchIS3_S5_NSA_INS8_10device_ptrItEEEESG_SI_NS1_16binary_search_opENS9_16wrapped_functionINS8_6system6detail7generic6detail18binary_search_lessEbEEEE10hipError_tPvRmT1_T2_T3_mmT4_T5_P12ihipStream_tbEUlRKtE_EESV_SZ_S10_mS11_S14_bEUlT_E_NS1_11comp_targetILNS1_3genE4ELNS1_11target_archE910ELNS1_3gpuE8ELNS1_3repE0EEENS1_30default_config_static_selectorELNS0_4arch9wavefront6targetE0EEEvSY_, .Lfunc_end682-_ZN7rocprim17ROCPRIM_400000_NS6detail17trampoline_kernelINS0_14default_configENS1_29binary_search_config_selectorItiEEZNS1_14transform_implILb0ES3_S5_N6thrust23THRUST_200600_302600_NS6detail15normal_iteratorINS8_7pointerItNS8_11hip_rocprim5par_tENS8_11use_defaultESE_EEEENSA_INSB_IiSD_SE_SE_EEEEZNS1_13binary_searchIS3_S5_NSA_INS8_10device_ptrItEEEESG_SI_NS1_16binary_search_opENS9_16wrapped_functionINS8_6system6detail7generic6detail18binary_search_lessEbEEEE10hipError_tPvRmT1_T2_T3_mmT4_T5_P12ihipStream_tbEUlRKtE_EESV_SZ_S10_mS11_S14_bEUlT_E_NS1_11comp_targetILNS1_3genE4ELNS1_11target_archE910ELNS1_3gpuE8ELNS1_3repE0EEENS1_30default_config_static_selectorELNS0_4arch9wavefront6targetE0EEEvSY_
                                        ; -- End function
	.set _ZN7rocprim17ROCPRIM_400000_NS6detail17trampoline_kernelINS0_14default_configENS1_29binary_search_config_selectorItiEEZNS1_14transform_implILb0ES3_S5_N6thrust23THRUST_200600_302600_NS6detail15normal_iteratorINS8_7pointerItNS8_11hip_rocprim5par_tENS8_11use_defaultESE_EEEENSA_INSB_IiSD_SE_SE_EEEEZNS1_13binary_searchIS3_S5_NSA_INS8_10device_ptrItEEEESG_SI_NS1_16binary_search_opENS9_16wrapped_functionINS8_6system6detail7generic6detail18binary_search_lessEbEEEE10hipError_tPvRmT1_T2_T3_mmT4_T5_P12ihipStream_tbEUlRKtE_EESV_SZ_S10_mS11_S14_bEUlT_E_NS1_11comp_targetILNS1_3genE4ELNS1_11target_archE910ELNS1_3gpuE8ELNS1_3repE0EEENS1_30default_config_static_selectorELNS0_4arch9wavefront6targetE0EEEvSY_.num_vgpr, 0
	.set _ZN7rocprim17ROCPRIM_400000_NS6detail17trampoline_kernelINS0_14default_configENS1_29binary_search_config_selectorItiEEZNS1_14transform_implILb0ES3_S5_N6thrust23THRUST_200600_302600_NS6detail15normal_iteratorINS8_7pointerItNS8_11hip_rocprim5par_tENS8_11use_defaultESE_EEEENSA_INSB_IiSD_SE_SE_EEEEZNS1_13binary_searchIS3_S5_NSA_INS8_10device_ptrItEEEESG_SI_NS1_16binary_search_opENS9_16wrapped_functionINS8_6system6detail7generic6detail18binary_search_lessEbEEEE10hipError_tPvRmT1_T2_T3_mmT4_T5_P12ihipStream_tbEUlRKtE_EESV_SZ_S10_mS11_S14_bEUlT_E_NS1_11comp_targetILNS1_3genE4ELNS1_11target_archE910ELNS1_3gpuE8ELNS1_3repE0EEENS1_30default_config_static_selectorELNS0_4arch9wavefront6targetE0EEEvSY_.num_agpr, 0
	.set _ZN7rocprim17ROCPRIM_400000_NS6detail17trampoline_kernelINS0_14default_configENS1_29binary_search_config_selectorItiEEZNS1_14transform_implILb0ES3_S5_N6thrust23THRUST_200600_302600_NS6detail15normal_iteratorINS8_7pointerItNS8_11hip_rocprim5par_tENS8_11use_defaultESE_EEEENSA_INSB_IiSD_SE_SE_EEEEZNS1_13binary_searchIS3_S5_NSA_INS8_10device_ptrItEEEESG_SI_NS1_16binary_search_opENS9_16wrapped_functionINS8_6system6detail7generic6detail18binary_search_lessEbEEEE10hipError_tPvRmT1_T2_T3_mmT4_T5_P12ihipStream_tbEUlRKtE_EESV_SZ_S10_mS11_S14_bEUlT_E_NS1_11comp_targetILNS1_3genE4ELNS1_11target_archE910ELNS1_3gpuE8ELNS1_3repE0EEENS1_30default_config_static_selectorELNS0_4arch9wavefront6targetE0EEEvSY_.numbered_sgpr, 0
	.set _ZN7rocprim17ROCPRIM_400000_NS6detail17trampoline_kernelINS0_14default_configENS1_29binary_search_config_selectorItiEEZNS1_14transform_implILb0ES3_S5_N6thrust23THRUST_200600_302600_NS6detail15normal_iteratorINS8_7pointerItNS8_11hip_rocprim5par_tENS8_11use_defaultESE_EEEENSA_INSB_IiSD_SE_SE_EEEEZNS1_13binary_searchIS3_S5_NSA_INS8_10device_ptrItEEEESG_SI_NS1_16binary_search_opENS9_16wrapped_functionINS8_6system6detail7generic6detail18binary_search_lessEbEEEE10hipError_tPvRmT1_T2_T3_mmT4_T5_P12ihipStream_tbEUlRKtE_EESV_SZ_S10_mS11_S14_bEUlT_E_NS1_11comp_targetILNS1_3genE4ELNS1_11target_archE910ELNS1_3gpuE8ELNS1_3repE0EEENS1_30default_config_static_selectorELNS0_4arch9wavefront6targetE0EEEvSY_.num_named_barrier, 0
	.set _ZN7rocprim17ROCPRIM_400000_NS6detail17trampoline_kernelINS0_14default_configENS1_29binary_search_config_selectorItiEEZNS1_14transform_implILb0ES3_S5_N6thrust23THRUST_200600_302600_NS6detail15normal_iteratorINS8_7pointerItNS8_11hip_rocprim5par_tENS8_11use_defaultESE_EEEENSA_INSB_IiSD_SE_SE_EEEEZNS1_13binary_searchIS3_S5_NSA_INS8_10device_ptrItEEEESG_SI_NS1_16binary_search_opENS9_16wrapped_functionINS8_6system6detail7generic6detail18binary_search_lessEbEEEE10hipError_tPvRmT1_T2_T3_mmT4_T5_P12ihipStream_tbEUlRKtE_EESV_SZ_S10_mS11_S14_bEUlT_E_NS1_11comp_targetILNS1_3genE4ELNS1_11target_archE910ELNS1_3gpuE8ELNS1_3repE0EEENS1_30default_config_static_selectorELNS0_4arch9wavefront6targetE0EEEvSY_.private_seg_size, 0
	.set _ZN7rocprim17ROCPRIM_400000_NS6detail17trampoline_kernelINS0_14default_configENS1_29binary_search_config_selectorItiEEZNS1_14transform_implILb0ES3_S5_N6thrust23THRUST_200600_302600_NS6detail15normal_iteratorINS8_7pointerItNS8_11hip_rocprim5par_tENS8_11use_defaultESE_EEEENSA_INSB_IiSD_SE_SE_EEEEZNS1_13binary_searchIS3_S5_NSA_INS8_10device_ptrItEEEESG_SI_NS1_16binary_search_opENS9_16wrapped_functionINS8_6system6detail7generic6detail18binary_search_lessEbEEEE10hipError_tPvRmT1_T2_T3_mmT4_T5_P12ihipStream_tbEUlRKtE_EESV_SZ_S10_mS11_S14_bEUlT_E_NS1_11comp_targetILNS1_3genE4ELNS1_11target_archE910ELNS1_3gpuE8ELNS1_3repE0EEENS1_30default_config_static_selectorELNS0_4arch9wavefront6targetE0EEEvSY_.uses_vcc, 0
	.set _ZN7rocprim17ROCPRIM_400000_NS6detail17trampoline_kernelINS0_14default_configENS1_29binary_search_config_selectorItiEEZNS1_14transform_implILb0ES3_S5_N6thrust23THRUST_200600_302600_NS6detail15normal_iteratorINS8_7pointerItNS8_11hip_rocprim5par_tENS8_11use_defaultESE_EEEENSA_INSB_IiSD_SE_SE_EEEEZNS1_13binary_searchIS3_S5_NSA_INS8_10device_ptrItEEEESG_SI_NS1_16binary_search_opENS9_16wrapped_functionINS8_6system6detail7generic6detail18binary_search_lessEbEEEE10hipError_tPvRmT1_T2_T3_mmT4_T5_P12ihipStream_tbEUlRKtE_EESV_SZ_S10_mS11_S14_bEUlT_E_NS1_11comp_targetILNS1_3genE4ELNS1_11target_archE910ELNS1_3gpuE8ELNS1_3repE0EEENS1_30default_config_static_selectorELNS0_4arch9wavefront6targetE0EEEvSY_.uses_flat_scratch, 0
	.set _ZN7rocprim17ROCPRIM_400000_NS6detail17trampoline_kernelINS0_14default_configENS1_29binary_search_config_selectorItiEEZNS1_14transform_implILb0ES3_S5_N6thrust23THRUST_200600_302600_NS6detail15normal_iteratorINS8_7pointerItNS8_11hip_rocprim5par_tENS8_11use_defaultESE_EEEENSA_INSB_IiSD_SE_SE_EEEEZNS1_13binary_searchIS3_S5_NSA_INS8_10device_ptrItEEEESG_SI_NS1_16binary_search_opENS9_16wrapped_functionINS8_6system6detail7generic6detail18binary_search_lessEbEEEE10hipError_tPvRmT1_T2_T3_mmT4_T5_P12ihipStream_tbEUlRKtE_EESV_SZ_S10_mS11_S14_bEUlT_E_NS1_11comp_targetILNS1_3genE4ELNS1_11target_archE910ELNS1_3gpuE8ELNS1_3repE0EEENS1_30default_config_static_selectorELNS0_4arch9wavefront6targetE0EEEvSY_.has_dyn_sized_stack, 0
	.set _ZN7rocprim17ROCPRIM_400000_NS6detail17trampoline_kernelINS0_14default_configENS1_29binary_search_config_selectorItiEEZNS1_14transform_implILb0ES3_S5_N6thrust23THRUST_200600_302600_NS6detail15normal_iteratorINS8_7pointerItNS8_11hip_rocprim5par_tENS8_11use_defaultESE_EEEENSA_INSB_IiSD_SE_SE_EEEEZNS1_13binary_searchIS3_S5_NSA_INS8_10device_ptrItEEEESG_SI_NS1_16binary_search_opENS9_16wrapped_functionINS8_6system6detail7generic6detail18binary_search_lessEbEEEE10hipError_tPvRmT1_T2_T3_mmT4_T5_P12ihipStream_tbEUlRKtE_EESV_SZ_S10_mS11_S14_bEUlT_E_NS1_11comp_targetILNS1_3genE4ELNS1_11target_archE910ELNS1_3gpuE8ELNS1_3repE0EEENS1_30default_config_static_selectorELNS0_4arch9wavefront6targetE0EEEvSY_.has_recursion, 0
	.set _ZN7rocprim17ROCPRIM_400000_NS6detail17trampoline_kernelINS0_14default_configENS1_29binary_search_config_selectorItiEEZNS1_14transform_implILb0ES3_S5_N6thrust23THRUST_200600_302600_NS6detail15normal_iteratorINS8_7pointerItNS8_11hip_rocprim5par_tENS8_11use_defaultESE_EEEENSA_INSB_IiSD_SE_SE_EEEEZNS1_13binary_searchIS3_S5_NSA_INS8_10device_ptrItEEEESG_SI_NS1_16binary_search_opENS9_16wrapped_functionINS8_6system6detail7generic6detail18binary_search_lessEbEEEE10hipError_tPvRmT1_T2_T3_mmT4_T5_P12ihipStream_tbEUlRKtE_EESV_SZ_S10_mS11_S14_bEUlT_E_NS1_11comp_targetILNS1_3genE4ELNS1_11target_archE910ELNS1_3gpuE8ELNS1_3repE0EEENS1_30default_config_static_selectorELNS0_4arch9wavefront6targetE0EEEvSY_.has_indirect_call, 0
	.section	.AMDGPU.csdata,"",@progbits
; Kernel info:
; codeLenInByte = 0
; TotalNumSgprs: 0
; NumVgprs: 0
; ScratchSize: 0
; MemoryBound: 0
; FloatMode: 240
; IeeeMode: 1
; LDSByteSize: 0 bytes/workgroup (compile time only)
; SGPRBlocks: 0
; VGPRBlocks: 0
; NumSGPRsForWavesPerEU: 1
; NumVGPRsForWavesPerEU: 1
; Occupancy: 16
; WaveLimiterHint : 0
; COMPUTE_PGM_RSRC2:SCRATCH_EN: 0
; COMPUTE_PGM_RSRC2:USER_SGPR: 6
; COMPUTE_PGM_RSRC2:TRAP_HANDLER: 0
; COMPUTE_PGM_RSRC2:TGID_X_EN: 1
; COMPUTE_PGM_RSRC2:TGID_Y_EN: 0
; COMPUTE_PGM_RSRC2:TGID_Z_EN: 0
; COMPUTE_PGM_RSRC2:TIDIG_COMP_CNT: 0
	.section	.text._ZN7rocprim17ROCPRIM_400000_NS6detail17trampoline_kernelINS0_14default_configENS1_29binary_search_config_selectorItiEEZNS1_14transform_implILb0ES3_S5_N6thrust23THRUST_200600_302600_NS6detail15normal_iteratorINS8_7pointerItNS8_11hip_rocprim5par_tENS8_11use_defaultESE_EEEENSA_INSB_IiSD_SE_SE_EEEEZNS1_13binary_searchIS3_S5_NSA_INS8_10device_ptrItEEEESG_SI_NS1_16binary_search_opENS9_16wrapped_functionINS8_6system6detail7generic6detail18binary_search_lessEbEEEE10hipError_tPvRmT1_T2_T3_mmT4_T5_P12ihipStream_tbEUlRKtE_EESV_SZ_S10_mS11_S14_bEUlT_E_NS1_11comp_targetILNS1_3genE3ELNS1_11target_archE908ELNS1_3gpuE7ELNS1_3repE0EEENS1_30default_config_static_selectorELNS0_4arch9wavefront6targetE0EEEvSY_,"axG",@progbits,_ZN7rocprim17ROCPRIM_400000_NS6detail17trampoline_kernelINS0_14default_configENS1_29binary_search_config_selectorItiEEZNS1_14transform_implILb0ES3_S5_N6thrust23THRUST_200600_302600_NS6detail15normal_iteratorINS8_7pointerItNS8_11hip_rocprim5par_tENS8_11use_defaultESE_EEEENSA_INSB_IiSD_SE_SE_EEEEZNS1_13binary_searchIS3_S5_NSA_INS8_10device_ptrItEEEESG_SI_NS1_16binary_search_opENS9_16wrapped_functionINS8_6system6detail7generic6detail18binary_search_lessEbEEEE10hipError_tPvRmT1_T2_T3_mmT4_T5_P12ihipStream_tbEUlRKtE_EESV_SZ_S10_mS11_S14_bEUlT_E_NS1_11comp_targetILNS1_3genE3ELNS1_11target_archE908ELNS1_3gpuE7ELNS1_3repE0EEENS1_30default_config_static_selectorELNS0_4arch9wavefront6targetE0EEEvSY_,comdat
	.protected	_ZN7rocprim17ROCPRIM_400000_NS6detail17trampoline_kernelINS0_14default_configENS1_29binary_search_config_selectorItiEEZNS1_14transform_implILb0ES3_S5_N6thrust23THRUST_200600_302600_NS6detail15normal_iteratorINS8_7pointerItNS8_11hip_rocprim5par_tENS8_11use_defaultESE_EEEENSA_INSB_IiSD_SE_SE_EEEEZNS1_13binary_searchIS3_S5_NSA_INS8_10device_ptrItEEEESG_SI_NS1_16binary_search_opENS9_16wrapped_functionINS8_6system6detail7generic6detail18binary_search_lessEbEEEE10hipError_tPvRmT1_T2_T3_mmT4_T5_P12ihipStream_tbEUlRKtE_EESV_SZ_S10_mS11_S14_bEUlT_E_NS1_11comp_targetILNS1_3genE3ELNS1_11target_archE908ELNS1_3gpuE7ELNS1_3repE0EEENS1_30default_config_static_selectorELNS0_4arch9wavefront6targetE0EEEvSY_ ; -- Begin function _ZN7rocprim17ROCPRIM_400000_NS6detail17trampoline_kernelINS0_14default_configENS1_29binary_search_config_selectorItiEEZNS1_14transform_implILb0ES3_S5_N6thrust23THRUST_200600_302600_NS6detail15normal_iteratorINS8_7pointerItNS8_11hip_rocprim5par_tENS8_11use_defaultESE_EEEENSA_INSB_IiSD_SE_SE_EEEEZNS1_13binary_searchIS3_S5_NSA_INS8_10device_ptrItEEEESG_SI_NS1_16binary_search_opENS9_16wrapped_functionINS8_6system6detail7generic6detail18binary_search_lessEbEEEE10hipError_tPvRmT1_T2_T3_mmT4_T5_P12ihipStream_tbEUlRKtE_EESV_SZ_S10_mS11_S14_bEUlT_E_NS1_11comp_targetILNS1_3genE3ELNS1_11target_archE908ELNS1_3gpuE7ELNS1_3repE0EEENS1_30default_config_static_selectorELNS0_4arch9wavefront6targetE0EEEvSY_
	.globl	_ZN7rocprim17ROCPRIM_400000_NS6detail17trampoline_kernelINS0_14default_configENS1_29binary_search_config_selectorItiEEZNS1_14transform_implILb0ES3_S5_N6thrust23THRUST_200600_302600_NS6detail15normal_iteratorINS8_7pointerItNS8_11hip_rocprim5par_tENS8_11use_defaultESE_EEEENSA_INSB_IiSD_SE_SE_EEEEZNS1_13binary_searchIS3_S5_NSA_INS8_10device_ptrItEEEESG_SI_NS1_16binary_search_opENS9_16wrapped_functionINS8_6system6detail7generic6detail18binary_search_lessEbEEEE10hipError_tPvRmT1_T2_T3_mmT4_T5_P12ihipStream_tbEUlRKtE_EESV_SZ_S10_mS11_S14_bEUlT_E_NS1_11comp_targetILNS1_3genE3ELNS1_11target_archE908ELNS1_3gpuE7ELNS1_3repE0EEENS1_30default_config_static_selectorELNS0_4arch9wavefront6targetE0EEEvSY_
	.p2align	8
	.type	_ZN7rocprim17ROCPRIM_400000_NS6detail17trampoline_kernelINS0_14default_configENS1_29binary_search_config_selectorItiEEZNS1_14transform_implILb0ES3_S5_N6thrust23THRUST_200600_302600_NS6detail15normal_iteratorINS8_7pointerItNS8_11hip_rocprim5par_tENS8_11use_defaultESE_EEEENSA_INSB_IiSD_SE_SE_EEEEZNS1_13binary_searchIS3_S5_NSA_INS8_10device_ptrItEEEESG_SI_NS1_16binary_search_opENS9_16wrapped_functionINS8_6system6detail7generic6detail18binary_search_lessEbEEEE10hipError_tPvRmT1_T2_T3_mmT4_T5_P12ihipStream_tbEUlRKtE_EESV_SZ_S10_mS11_S14_bEUlT_E_NS1_11comp_targetILNS1_3genE3ELNS1_11target_archE908ELNS1_3gpuE7ELNS1_3repE0EEENS1_30default_config_static_selectorELNS0_4arch9wavefront6targetE0EEEvSY_,@function
_ZN7rocprim17ROCPRIM_400000_NS6detail17trampoline_kernelINS0_14default_configENS1_29binary_search_config_selectorItiEEZNS1_14transform_implILb0ES3_S5_N6thrust23THRUST_200600_302600_NS6detail15normal_iteratorINS8_7pointerItNS8_11hip_rocprim5par_tENS8_11use_defaultESE_EEEENSA_INSB_IiSD_SE_SE_EEEEZNS1_13binary_searchIS3_S5_NSA_INS8_10device_ptrItEEEESG_SI_NS1_16binary_search_opENS9_16wrapped_functionINS8_6system6detail7generic6detail18binary_search_lessEbEEEE10hipError_tPvRmT1_T2_T3_mmT4_T5_P12ihipStream_tbEUlRKtE_EESV_SZ_S10_mS11_S14_bEUlT_E_NS1_11comp_targetILNS1_3genE3ELNS1_11target_archE908ELNS1_3gpuE7ELNS1_3repE0EEENS1_30default_config_static_selectorELNS0_4arch9wavefront6targetE0EEEvSY_: ; @_ZN7rocprim17ROCPRIM_400000_NS6detail17trampoline_kernelINS0_14default_configENS1_29binary_search_config_selectorItiEEZNS1_14transform_implILb0ES3_S5_N6thrust23THRUST_200600_302600_NS6detail15normal_iteratorINS8_7pointerItNS8_11hip_rocprim5par_tENS8_11use_defaultESE_EEEENSA_INSB_IiSD_SE_SE_EEEEZNS1_13binary_searchIS3_S5_NSA_INS8_10device_ptrItEEEESG_SI_NS1_16binary_search_opENS9_16wrapped_functionINS8_6system6detail7generic6detail18binary_search_lessEbEEEE10hipError_tPvRmT1_T2_T3_mmT4_T5_P12ihipStream_tbEUlRKtE_EESV_SZ_S10_mS11_S14_bEUlT_E_NS1_11comp_targetILNS1_3genE3ELNS1_11target_archE908ELNS1_3gpuE7ELNS1_3repE0EEENS1_30default_config_static_selectorELNS0_4arch9wavefront6targetE0EEEvSY_
; %bb.0:
	.section	.rodata,"a",@progbits
	.p2align	6, 0x0
	.amdhsa_kernel _ZN7rocprim17ROCPRIM_400000_NS6detail17trampoline_kernelINS0_14default_configENS1_29binary_search_config_selectorItiEEZNS1_14transform_implILb0ES3_S5_N6thrust23THRUST_200600_302600_NS6detail15normal_iteratorINS8_7pointerItNS8_11hip_rocprim5par_tENS8_11use_defaultESE_EEEENSA_INSB_IiSD_SE_SE_EEEEZNS1_13binary_searchIS3_S5_NSA_INS8_10device_ptrItEEEESG_SI_NS1_16binary_search_opENS9_16wrapped_functionINS8_6system6detail7generic6detail18binary_search_lessEbEEEE10hipError_tPvRmT1_T2_T3_mmT4_T5_P12ihipStream_tbEUlRKtE_EESV_SZ_S10_mS11_S14_bEUlT_E_NS1_11comp_targetILNS1_3genE3ELNS1_11target_archE908ELNS1_3gpuE7ELNS1_3repE0EEENS1_30default_config_static_selectorELNS0_4arch9wavefront6targetE0EEEvSY_
		.amdhsa_group_segment_fixed_size 0
		.amdhsa_private_segment_fixed_size 0
		.amdhsa_kernarg_size 56
		.amdhsa_user_sgpr_count 6
		.amdhsa_user_sgpr_private_segment_buffer 1
		.amdhsa_user_sgpr_dispatch_ptr 0
		.amdhsa_user_sgpr_queue_ptr 0
		.amdhsa_user_sgpr_kernarg_segment_ptr 1
		.amdhsa_user_sgpr_dispatch_id 0
		.amdhsa_user_sgpr_flat_scratch_init 0
		.amdhsa_user_sgpr_private_segment_size 0
		.amdhsa_wavefront_size32 1
		.amdhsa_uses_dynamic_stack 0
		.amdhsa_system_sgpr_private_segment_wavefront_offset 0
		.amdhsa_system_sgpr_workgroup_id_x 1
		.amdhsa_system_sgpr_workgroup_id_y 0
		.amdhsa_system_sgpr_workgroup_id_z 0
		.amdhsa_system_sgpr_workgroup_info 0
		.amdhsa_system_vgpr_workitem_id 0
		.amdhsa_next_free_vgpr 1
		.amdhsa_next_free_sgpr 1
		.amdhsa_reserve_vcc 0
		.amdhsa_reserve_flat_scratch 0
		.amdhsa_float_round_mode_32 0
		.amdhsa_float_round_mode_16_64 0
		.amdhsa_float_denorm_mode_32 3
		.amdhsa_float_denorm_mode_16_64 3
		.amdhsa_dx10_clamp 1
		.amdhsa_ieee_mode 1
		.amdhsa_fp16_overflow 0
		.amdhsa_workgroup_processor_mode 1
		.amdhsa_memory_ordered 1
		.amdhsa_forward_progress 1
		.amdhsa_shared_vgpr_count 0
		.amdhsa_exception_fp_ieee_invalid_op 0
		.amdhsa_exception_fp_denorm_src 0
		.amdhsa_exception_fp_ieee_div_zero 0
		.amdhsa_exception_fp_ieee_overflow 0
		.amdhsa_exception_fp_ieee_underflow 0
		.amdhsa_exception_fp_ieee_inexact 0
		.amdhsa_exception_int_div_zero 0
	.end_amdhsa_kernel
	.section	.text._ZN7rocprim17ROCPRIM_400000_NS6detail17trampoline_kernelINS0_14default_configENS1_29binary_search_config_selectorItiEEZNS1_14transform_implILb0ES3_S5_N6thrust23THRUST_200600_302600_NS6detail15normal_iteratorINS8_7pointerItNS8_11hip_rocprim5par_tENS8_11use_defaultESE_EEEENSA_INSB_IiSD_SE_SE_EEEEZNS1_13binary_searchIS3_S5_NSA_INS8_10device_ptrItEEEESG_SI_NS1_16binary_search_opENS9_16wrapped_functionINS8_6system6detail7generic6detail18binary_search_lessEbEEEE10hipError_tPvRmT1_T2_T3_mmT4_T5_P12ihipStream_tbEUlRKtE_EESV_SZ_S10_mS11_S14_bEUlT_E_NS1_11comp_targetILNS1_3genE3ELNS1_11target_archE908ELNS1_3gpuE7ELNS1_3repE0EEENS1_30default_config_static_selectorELNS0_4arch9wavefront6targetE0EEEvSY_,"axG",@progbits,_ZN7rocprim17ROCPRIM_400000_NS6detail17trampoline_kernelINS0_14default_configENS1_29binary_search_config_selectorItiEEZNS1_14transform_implILb0ES3_S5_N6thrust23THRUST_200600_302600_NS6detail15normal_iteratorINS8_7pointerItNS8_11hip_rocprim5par_tENS8_11use_defaultESE_EEEENSA_INSB_IiSD_SE_SE_EEEEZNS1_13binary_searchIS3_S5_NSA_INS8_10device_ptrItEEEESG_SI_NS1_16binary_search_opENS9_16wrapped_functionINS8_6system6detail7generic6detail18binary_search_lessEbEEEE10hipError_tPvRmT1_T2_T3_mmT4_T5_P12ihipStream_tbEUlRKtE_EESV_SZ_S10_mS11_S14_bEUlT_E_NS1_11comp_targetILNS1_3genE3ELNS1_11target_archE908ELNS1_3gpuE7ELNS1_3repE0EEENS1_30default_config_static_selectorELNS0_4arch9wavefront6targetE0EEEvSY_,comdat
.Lfunc_end683:
	.size	_ZN7rocprim17ROCPRIM_400000_NS6detail17trampoline_kernelINS0_14default_configENS1_29binary_search_config_selectorItiEEZNS1_14transform_implILb0ES3_S5_N6thrust23THRUST_200600_302600_NS6detail15normal_iteratorINS8_7pointerItNS8_11hip_rocprim5par_tENS8_11use_defaultESE_EEEENSA_INSB_IiSD_SE_SE_EEEEZNS1_13binary_searchIS3_S5_NSA_INS8_10device_ptrItEEEESG_SI_NS1_16binary_search_opENS9_16wrapped_functionINS8_6system6detail7generic6detail18binary_search_lessEbEEEE10hipError_tPvRmT1_T2_T3_mmT4_T5_P12ihipStream_tbEUlRKtE_EESV_SZ_S10_mS11_S14_bEUlT_E_NS1_11comp_targetILNS1_3genE3ELNS1_11target_archE908ELNS1_3gpuE7ELNS1_3repE0EEENS1_30default_config_static_selectorELNS0_4arch9wavefront6targetE0EEEvSY_, .Lfunc_end683-_ZN7rocprim17ROCPRIM_400000_NS6detail17trampoline_kernelINS0_14default_configENS1_29binary_search_config_selectorItiEEZNS1_14transform_implILb0ES3_S5_N6thrust23THRUST_200600_302600_NS6detail15normal_iteratorINS8_7pointerItNS8_11hip_rocprim5par_tENS8_11use_defaultESE_EEEENSA_INSB_IiSD_SE_SE_EEEEZNS1_13binary_searchIS3_S5_NSA_INS8_10device_ptrItEEEESG_SI_NS1_16binary_search_opENS9_16wrapped_functionINS8_6system6detail7generic6detail18binary_search_lessEbEEEE10hipError_tPvRmT1_T2_T3_mmT4_T5_P12ihipStream_tbEUlRKtE_EESV_SZ_S10_mS11_S14_bEUlT_E_NS1_11comp_targetILNS1_3genE3ELNS1_11target_archE908ELNS1_3gpuE7ELNS1_3repE0EEENS1_30default_config_static_selectorELNS0_4arch9wavefront6targetE0EEEvSY_
                                        ; -- End function
	.set _ZN7rocprim17ROCPRIM_400000_NS6detail17trampoline_kernelINS0_14default_configENS1_29binary_search_config_selectorItiEEZNS1_14transform_implILb0ES3_S5_N6thrust23THRUST_200600_302600_NS6detail15normal_iteratorINS8_7pointerItNS8_11hip_rocprim5par_tENS8_11use_defaultESE_EEEENSA_INSB_IiSD_SE_SE_EEEEZNS1_13binary_searchIS3_S5_NSA_INS8_10device_ptrItEEEESG_SI_NS1_16binary_search_opENS9_16wrapped_functionINS8_6system6detail7generic6detail18binary_search_lessEbEEEE10hipError_tPvRmT1_T2_T3_mmT4_T5_P12ihipStream_tbEUlRKtE_EESV_SZ_S10_mS11_S14_bEUlT_E_NS1_11comp_targetILNS1_3genE3ELNS1_11target_archE908ELNS1_3gpuE7ELNS1_3repE0EEENS1_30default_config_static_selectorELNS0_4arch9wavefront6targetE0EEEvSY_.num_vgpr, 0
	.set _ZN7rocprim17ROCPRIM_400000_NS6detail17trampoline_kernelINS0_14default_configENS1_29binary_search_config_selectorItiEEZNS1_14transform_implILb0ES3_S5_N6thrust23THRUST_200600_302600_NS6detail15normal_iteratorINS8_7pointerItNS8_11hip_rocprim5par_tENS8_11use_defaultESE_EEEENSA_INSB_IiSD_SE_SE_EEEEZNS1_13binary_searchIS3_S5_NSA_INS8_10device_ptrItEEEESG_SI_NS1_16binary_search_opENS9_16wrapped_functionINS8_6system6detail7generic6detail18binary_search_lessEbEEEE10hipError_tPvRmT1_T2_T3_mmT4_T5_P12ihipStream_tbEUlRKtE_EESV_SZ_S10_mS11_S14_bEUlT_E_NS1_11comp_targetILNS1_3genE3ELNS1_11target_archE908ELNS1_3gpuE7ELNS1_3repE0EEENS1_30default_config_static_selectorELNS0_4arch9wavefront6targetE0EEEvSY_.num_agpr, 0
	.set _ZN7rocprim17ROCPRIM_400000_NS6detail17trampoline_kernelINS0_14default_configENS1_29binary_search_config_selectorItiEEZNS1_14transform_implILb0ES3_S5_N6thrust23THRUST_200600_302600_NS6detail15normal_iteratorINS8_7pointerItNS8_11hip_rocprim5par_tENS8_11use_defaultESE_EEEENSA_INSB_IiSD_SE_SE_EEEEZNS1_13binary_searchIS3_S5_NSA_INS8_10device_ptrItEEEESG_SI_NS1_16binary_search_opENS9_16wrapped_functionINS8_6system6detail7generic6detail18binary_search_lessEbEEEE10hipError_tPvRmT1_T2_T3_mmT4_T5_P12ihipStream_tbEUlRKtE_EESV_SZ_S10_mS11_S14_bEUlT_E_NS1_11comp_targetILNS1_3genE3ELNS1_11target_archE908ELNS1_3gpuE7ELNS1_3repE0EEENS1_30default_config_static_selectorELNS0_4arch9wavefront6targetE0EEEvSY_.numbered_sgpr, 0
	.set _ZN7rocprim17ROCPRIM_400000_NS6detail17trampoline_kernelINS0_14default_configENS1_29binary_search_config_selectorItiEEZNS1_14transform_implILb0ES3_S5_N6thrust23THRUST_200600_302600_NS6detail15normal_iteratorINS8_7pointerItNS8_11hip_rocprim5par_tENS8_11use_defaultESE_EEEENSA_INSB_IiSD_SE_SE_EEEEZNS1_13binary_searchIS3_S5_NSA_INS8_10device_ptrItEEEESG_SI_NS1_16binary_search_opENS9_16wrapped_functionINS8_6system6detail7generic6detail18binary_search_lessEbEEEE10hipError_tPvRmT1_T2_T3_mmT4_T5_P12ihipStream_tbEUlRKtE_EESV_SZ_S10_mS11_S14_bEUlT_E_NS1_11comp_targetILNS1_3genE3ELNS1_11target_archE908ELNS1_3gpuE7ELNS1_3repE0EEENS1_30default_config_static_selectorELNS0_4arch9wavefront6targetE0EEEvSY_.num_named_barrier, 0
	.set _ZN7rocprim17ROCPRIM_400000_NS6detail17trampoline_kernelINS0_14default_configENS1_29binary_search_config_selectorItiEEZNS1_14transform_implILb0ES3_S5_N6thrust23THRUST_200600_302600_NS6detail15normal_iteratorINS8_7pointerItNS8_11hip_rocprim5par_tENS8_11use_defaultESE_EEEENSA_INSB_IiSD_SE_SE_EEEEZNS1_13binary_searchIS3_S5_NSA_INS8_10device_ptrItEEEESG_SI_NS1_16binary_search_opENS9_16wrapped_functionINS8_6system6detail7generic6detail18binary_search_lessEbEEEE10hipError_tPvRmT1_T2_T3_mmT4_T5_P12ihipStream_tbEUlRKtE_EESV_SZ_S10_mS11_S14_bEUlT_E_NS1_11comp_targetILNS1_3genE3ELNS1_11target_archE908ELNS1_3gpuE7ELNS1_3repE0EEENS1_30default_config_static_selectorELNS0_4arch9wavefront6targetE0EEEvSY_.private_seg_size, 0
	.set _ZN7rocprim17ROCPRIM_400000_NS6detail17trampoline_kernelINS0_14default_configENS1_29binary_search_config_selectorItiEEZNS1_14transform_implILb0ES3_S5_N6thrust23THRUST_200600_302600_NS6detail15normal_iteratorINS8_7pointerItNS8_11hip_rocprim5par_tENS8_11use_defaultESE_EEEENSA_INSB_IiSD_SE_SE_EEEEZNS1_13binary_searchIS3_S5_NSA_INS8_10device_ptrItEEEESG_SI_NS1_16binary_search_opENS9_16wrapped_functionINS8_6system6detail7generic6detail18binary_search_lessEbEEEE10hipError_tPvRmT1_T2_T3_mmT4_T5_P12ihipStream_tbEUlRKtE_EESV_SZ_S10_mS11_S14_bEUlT_E_NS1_11comp_targetILNS1_3genE3ELNS1_11target_archE908ELNS1_3gpuE7ELNS1_3repE0EEENS1_30default_config_static_selectorELNS0_4arch9wavefront6targetE0EEEvSY_.uses_vcc, 0
	.set _ZN7rocprim17ROCPRIM_400000_NS6detail17trampoline_kernelINS0_14default_configENS1_29binary_search_config_selectorItiEEZNS1_14transform_implILb0ES3_S5_N6thrust23THRUST_200600_302600_NS6detail15normal_iteratorINS8_7pointerItNS8_11hip_rocprim5par_tENS8_11use_defaultESE_EEEENSA_INSB_IiSD_SE_SE_EEEEZNS1_13binary_searchIS3_S5_NSA_INS8_10device_ptrItEEEESG_SI_NS1_16binary_search_opENS9_16wrapped_functionINS8_6system6detail7generic6detail18binary_search_lessEbEEEE10hipError_tPvRmT1_T2_T3_mmT4_T5_P12ihipStream_tbEUlRKtE_EESV_SZ_S10_mS11_S14_bEUlT_E_NS1_11comp_targetILNS1_3genE3ELNS1_11target_archE908ELNS1_3gpuE7ELNS1_3repE0EEENS1_30default_config_static_selectorELNS0_4arch9wavefront6targetE0EEEvSY_.uses_flat_scratch, 0
	.set _ZN7rocprim17ROCPRIM_400000_NS6detail17trampoline_kernelINS0_14default_configENS1_29binary_search_config_selectorItiEEZNS1_14transform_implILb0ES3_S5_N6thrust23THRUST_200600_302600_NS6detail15normal_iteratorINS8_7pointerItNS8_11hip_rocprim5par_tENS8_11use_defaultESE_EEEENSA_INSB_IiSD_SE_SE_EEEEZNS1_13binary_searchIS3_S5_NSA_INS8_10device_ptrItEEEESG_SI_NS1_16binary_search_opENS9_16wrapped_functionINS8_6system6detail7generic6detail18binary_search_lessEbEEEE10hipError_tPvRmT1_T2_T3_mmT4_T5_P12ihipStream_tbEUlRKtE_EESV_SZ_S10_mS11_S14_bEUlT_E_NS1_11comp_targetILNS1_3genE3ELNS1_11target_archE908ELNS1_3gpuE7ELNS1_3repE0EEENS1_30default_config_static_selectorELNS0_4arch9wavefront6targetE0EEEvSY_.has_dyn_sized_stack, 0
	.set _ZN7rocprim17ROCPRIM_400000_NS6detail17trampoline_kernelINS0_14default_configENS1_29binary_search_config_selectorItiEEZNS1_14transform_implILb0ES3_S5_N6thrust23THRUST_200600_302600_NS6detail15normal_iteratorINS8_7pointerItNS8_11hip_rocprim5par_tENS8_11use_defaultESE_EEEENSA_INSB_IiSD_SE_SE_EEEEZNS1_13binary_searchIS3_S5_NSA_INS8_10device_ptrItEEEESG_SI_NS1_16binary_search_opENS9_16wrapped_functionINS8_6system6detail7generic6detail18binary_search_lessEbEEEE10hipError_tPvRmT1_T2_T3_mmT4_T5_P12ihipStream_tbEUlRKtE_EESV_SZ_S10_mS11_S14_bEUlT_E_NS1_11comp_targetILNS1_3genE3ELNS1_11target_archE908ELNS1_3gpuE7ELNS1_3repE0EEENS1_30default_config_static_selectorELNS0_4arch9wavefront6targetE0EEEvSY_.has_recursion, 0
	.set _ZN7rocprim17ROCPRIM_400000_NS6detail17trampoline_kernelINS0_14default_configENS1_29binary_search_config_selectorItiEEZNS1_14transform_implILb0ES3_S5_N6thrust23THRUST_200600_302600_NS6detail15normal_iteratorINS8_7pointerItNS8_11hip_rocprim5par_tENS8_11use_defaultESE_EEEENSA_INSB_IiSD_SE_SE_EEEEZNS1_13binary_searchIS3_S5_NSA_INS8_10device_ptrItEEEESG_SI_NS1_16binary_search_opENS9_16wrapped_functionINS8_6system6detail7generic6detail18binary_search_lessEbEEEE10hipError_tPvRmT1_T2_T3_mmT4_T5_P12ihipStream_tbEUlRKtE_EESV_SZ_S10_mS11_S14_bEUlT_E_NS1_11comp_targetILNS1_3genE3ELNS1_11target_archE908ELNS1_3gpuE7ELNS1_3repE0EEENS1_30default_config_static_selectorELNS0_4arch9wavefront6targetE0EEEvSY_.has_indirect_call, 0
	.section	.AMDGPU.csdata,"",@progbits
; Kernel info:
; codeLenInByte = 0
; TotalNumSgprs: 0
; NumVgprs: 0
; ScratchSize: 0
; MemoryBound: 0
; FloatMode: 240
; IeeeMode: 1
; LDSByteSize: 0 bytes/workgroup (compile time only)
; SGPRBlocks: 0
; VGPRBlocks: 0
; NumSGPRsForWavesPerEU: 1
; NumVGPRsForWavesPerEU: 1
; Occupancy: 16
; WaveLimiterHint : 0
; COMPUTE_PGM_RSRC2:SCRATCH_EN: 0
; COMPUTE_PGM_RSRC2:USER_SGPR: 6
; COMPUTE_PGM_RSRC2:TRAP_HANDLER: 0
; COMPUTE_PGM_RSRC2:TGID_X_EN: 1
; COMPUTE_PGM_RSRC2:TGID_Y_EN: 0
; COMPUTE_PGM_RSRC2:TGID_Z_EN: 0
; COMPUTE_PGM_RSRC2:TIDIG_COMP_CNT: 0
	.section	.text._ZN7rocprim17ROCPRIM_400000_NS6detail17trampoline_kernelINS0_14default_configENS1_29binary_search_config_selectorItiEEZNS1_14transform_implILb0ES3_S5_N6thrust23THRUST_200600_302600_NS6detail15normal_iteratorINS8_7pointerItNS8_11hip_rocprim5par_tENS8_11use_defaultESE_EEEENSA_INSB_IiSD_SE_SE_EEEEZNS1_13binary_searchIS3_S5_NSA_INS8_10device_ptrItEEEESG_SI_NS1_16binary_search_opENS9_16wrapped_functionINS8_6system6detail7generic6detail18binary_search_lessEbEEEE10hipError_tPvRmT1_T2_T3_mmT4_T5_P12ihipStream_tbEUlRKtE_EESV_SZ_S10_mS11_S14_bEUlT_E_NS1_11comp_targetILNS1_3genE2ELNS1_11target_archE906ELNS1_3gpuE6ELNS1_3repE0EEENS1_30default_config_static_selectorELNS0_4arch9wavefront6targetE0EEEvSY_,"axG",@progbits,_ZN7rocprim17ROCPRIM_400000_NS6detail17trampoline_kernelINS0_14default_configENS1_29binary_search_config_selectorItiEEZNS1_14transform_implILb0ES3_S5_N6thrust23THRUST_200600_302600_NS6detail15normal_iteratorINS8_7pointerItNS8_11hip_rocprim5par_tENS8_11use_defaultESE_EEEENSA_INSB_IiSD_SE_SE_EEEEZNS1_13binary_searchIS3_S5_NSA_INS8_10device_ptrItEEEESG_SI_NS1_16binary_search_opENS9_16wrapped_functionINS8_6system6detail7generic6detail18binary_search_lessEbEEEE10hipError_tPvRmT1_T2_T3_mmT4_T5_P12ihipStream_tbEUlRKtE_EESV_SZ_S10_mS11_S14_bEUlT_E_NS1_11comp_targetILNS1_3genE2ELNS1_11target_archE906ELNS1_3gpuE6ELNS1_3repE0EEENS1_30default_config_static_selectorELNS0_4arch9wavefront6targetE0EEEvSY_,comdat
	.protected	_ZN7rocprim17ROCPRIM_400000_NS6detail17trampoline_kernelINS0_14default_configENS1_29binary_search_config_selectorItiEEZNS1_14transform_implILb0ES3_S5_N6thrust23THRUST_200600_302600_NS6detail15normal_iteratorINS8_7pointerItNS8_11hip_rocprim5par_tENS8_11use_defaultESE_EEEENSA_INSB_IiSD_SE_SE_EEEEZNS1_13binary_searchIS3_S5_NSA_INS8_10device_ptrItEEEESG_SI_NS1_16binary_search_opENS9_16wrapped_functionINS8_6system6detail7generic6detail18binary_search_lessEbEEEE10hipError_tPvRmT1_T2_T3_mmT4_T5_P12ihipStream_tbEUlRKtE_EESV_SZ_S10_mS11_S14_bEUlT_E_NS1_11comp_targetILNS1_3genE2ELNS1_11target_archE906ELNS1_3gpuE6ELNS1_3repE0EEENS1_30default_config_static_selectorELNS0_4arch9wavefront6targetE0EEEvSY_ ; -- Begin function _ZN7rocprim17ROCPRIM_400000_NS6detail17trampoline_kernelINS0_14default_configENS1_29binary_search_config_selectorItiEEZNS1_14transform_implILb0ES3_S5_N6thrust23THRUST_200600_302600_NS6detail15normal_iteratorINS8_7pointerItNS8_11hip_rocprim5par_tENS8_11use_defaultESE_EEEENSA_INSB_IiSD_SE_SE_EEEEZNS1_13binary_searchIS3_S5_NSA_INS8_10device_ptrItEEEESG_SI_NS1_16binary_search_opENS9_16wrapped_functionINS8_6system6detail7generic6detail18binary_search_lessEbEEEE10hipError_tPvRmT1_T2_T3_mmT4_T5_P12ihipStream_tbEUlRKtE_EESV_SZ_S10_mS11_S14_bEUlT_E_NS1_11comp_targetILNS1_3genE2ELNS1_11target_archE906ELNS1_3gpuE6ELNS1_3repE0EEENS1_30default_config_static_selectorELNS0_4arch9wavefront6targetE0EEEvSY_
	.globl	_ZN7rocprim17ROCPRIM_400000_NS6detail17trampoline_kernelINS0_14default_configENS1_29binary_search_config_selectorItiEEZNS1_14transform_implILb0ES3_S5_N6thrust23THRUST_200600_302600_NS6detail15normal_iteratorINS8_7pointerItNS8_11hip_rocprim5par_tENS8_11use_defaultESE_EEEENSA_INSB_IiSD_SE_SE_EEEEZNS1_13binary_searchIS3_S5_NSA_INS8_10device_ptrItEEEESG_SI_NS1_16binary_search_opENS9_16wrapped_functionINS8_6system6detail7generic6detail18binary_search_lessEbEEEE10hipError_tPvRmT1_T2_T3_mmT4_T5_P12ihipStream_tbEUlRKtE_EESV_SZ_S10_mS11_S14_bEUlT_E_NS1_11comp_targetILNS1_3genE2ELNS1_11target_archE906ELNS1_3gpuE6ELNS1_3repE0EEENS1_30default_config_static_selectorELNS0_4arch9wavefront6targetE0EEEvSY_
	.p2align	8
	.type	_ZN7rocprim17ROCPRIM_400000_NS6detail17trampoline_kernelINS0_14default_configENS1_29binary_search_config_selectorItiEEZNS1_14transform_implILb0ES3_S5_N6thrust23THRUST_200600_302600_NS6detail15normal_iteratorINS8_7pointerItNS8_11hip_rocprim5par_tENS8_11use_defaultESE_EEEENSA_INSB_IiSD_SE_SE_EEEEZNS1_13binary_searchIS3_S5_NSA_INS8_10device_ptrItEEEESG_SI_NS1_16binary_search_opENS9_16wrapped_functionINS8_6system6detail7generic6detail18binary_search_lessEbEEEE10hipError_tPvRmT1_T2_T3_mmT4_T5_P12ihipStream_tbEUlRKtE_EESV_SZ_S10_mS11_S14_bEUlT_E_NS1_11comp_targetILNS1_3genE2ELNS1_11target_archE906ELNS1_3gpuE6ELNS1_3repE0EEENS1_30default_config_static_selectorELNS0_4arch9wavefront6targetE0EEEvSY_,@function
_ZN7rocprim17ROCPRIM_400000_NS6detail17trampoline_kernelINS0_14default_configENS1_29binary_search_config_selectorItiEEZNS1_14transform_implILb0ES3_S5_N6thrust23THRUST_200600_302600_NS6detail15normal_iteratorINS8_7pointerItNS8_11hip_rocprim5par_tENS8_11use_defaultESE_EEEENSA_INSB_IiSD_SE_SE_EEEEZNS1_13binary_searchIS3_S5_NSA_INS8_10device_ptrItEEEESG_SI_NS1_16binary_search_opENS9_16wrapped_functionINS8_6system6detail7generic6detail18binary_search_lessEbEEEE10hipError_tPvRmT1_T2_T3_mmT4_T5_P12ihipStream_tbEUlRKtE_EESV_SZ_S10_mS11_S14_bEUlT_E_NS1_11comp_targetILNS1_3genE2ELNS1_11target_archE906ELNS1_3gpuE6ELNS1_3repE0EEENS1_30default_config_static_selectorELNS0_4arch9wavefront6targetE0EEEvSY_: ; @_ZN7rocprim17ROCPRIM_400000_NS6detail17trampoline_kernelINS0_14default_configENS1_29binary_search_config_selectorItiEEZNS1_14transform_implILb0ES3_S5_N6thrust23THRUST_200600_302600_NS6detail15normal_iteratorINS8_7pointerItNS8_11hip_rocprim5par_tENS8_11use_defaultESE_EEEENSA_INSB_IiSD_SE_SE_EEEEZNS1_13binary_searchIS3_S5_NSA_INS8_10device_ptrItEEEESG_SI_NS1_16binary_search_opENS9_16wrapped_functionINS8_6system6detail7generic6detail18binary_search_lessEbEEEE10hipError_tPvRmT1_T2_T3_mmT4_T5_P12ihipStream_tbEUlRKtE_EESV_SZ_S10_mS11_S14_bEUlT_E_NS1_11comp_targetILNS1_3genE2ELNS1_11target_archE906ELNS1_3gpuE6ELNS1_3repE0EEENS1_30default_config_static_selectorELNS0_4arch9wavefront6targetE0EEEvSY_
; %bb.0:
	.section	.rodata,"a",@progbits
	.p2align	6, 0x0
	.amdhsa_kernel _ZN7rocprim17ROCPRIM_400000_NS6detail17trampoline_kernelINS0_14default_configENS1_29binary_search_config_selectorItiEEZNS1_14transform_implILb0ES3_S5_N6thrust23THRUST_200600_302600_NS6detail15normal_iteratorINS8_7pointerItNS8_11hip_rocprim5par_tENS8_11use_defaultESE_EEEENSA_INSB_IiSD_SE_SE_EEEEZNS1_13binary_searchIS3_S5_NSA_INS8_10device_ptrItEEEESG_SI_NS1_16binary_search_opENS9_16wrapped_functionINS8_6system6detail7generic6detail18binary_search_lessEbEEEE10hipError_tPvRmT1_T2_T3_mmT4_T5_P12ihipStream_tbEUlRKtE_EESV_SZ_S10_mS11_S14_bEUlT_E_NS1_11comp_targetILNS1_3genE2ELNS1_11target_archE906ELNS1_3gpuE6ELNS1_3repE0EEENS1_30default_config_static_selectorELNS0_4arch9wavefront6targetE0EEEvSY_
		.amdhsa_group_segment_fixed_size 0
		.amdhsa_private_segment_fixed_size 0
		.amdhsa_kernarg_size 56
		.amdhsa_user_sgpr_count 6
		.amdhsa_user_sgpr_private_segment_buffer 1
		.amdhsa_user_sgpr_dispatch_ptr 0
		.amdhsa_user_sgpr_queue_ptr 0
		.amdhsa_user_sgpr_kernarg_segment_ptr 1
		.amdhsa_user_sgpr_dispatch_id 0
		.amdhsa_user_sgpr_flat_scratch_init 0
		.amdhsa_user_sgpr_private_segment_size 0
		.amdhsa_wavefront_size32 1
		.amdhsa_uses_dynamic_stack 0
		.amdhsa_system_sgpr_private_segment_wavefront_offset 0
		.amdhsa_system_sgpr_workgroup_id_x 1
		.amdhsa_system_sgpr_workgroup_id_y 0
		.amdhsa_system_sgpr_workgroup_id_z 0
		.amdhsa_system_sgpr_workgroup_info 0
		.amdhsa_system_vgpr_workitem_id 0
		.amdhsa_next_free_vgpr 1
		.amdhsa_next_free_sgpr 1
		.amdhsa_reserve_vcc 0
		.amdhsa_reserve_flat_scratch 0
		.amdhsa_float_round_mode_32 0
		.amdhsa_float_round_mode_16_64 0
		.amdhsa_float_denorm_mode_32 3
		.amdhsa_float_denorm_mode_16_64 3
		.amdhsa_dx10_clamp 1
		.amdhsa_ieee_mode 1
		.amdhsa_fp16_overflow 0
		.amdhsa_workgroup_processor_mode 1
		.amdhsa_memory_ordered 1
		.amdhsa_forward_progress 1
		.amdhsa_shared_vgpr_count 0
		.amdhsa_exception_fp_ieee_invalid_op 0
		.amdhsa_exception_fp_denorm_src 0
		.amdhsa_exception_fp_ieee_div_zero 0
		.amdhsa_exception_fp_ieee_overflow 0
		.amdhsa_exception_fp_ieee_underflow 0
		.amdhsa_exception_fp_ieee_inexact 0
		.amdhsa_exception_int_div_zero 0
	.end_amdhsa_kernel
	.section	.text._ZN7rocprim17ROCPRIM_400000_NS6detail17trampoline_kernelINS0_14default_configENS1_29binary_search_config_selectorItiEEZNS1_14transform_implILb0ES3_S5_N6thrust23THRUST_200600_302600_NS6detail15normal_iteratorINS8_7pointerItNS8_11hip_rocprim5par_tENS8_11use_defaultESE_EEEENSA_INSB_IiSD_SE_SE_EEEEZNS1_13binary_searchIS3_S5_NSA_INS8_10device_ptrItEEEESG_SI_NS1_16binary_search_opENS9_16wrapped_functionINS8_6system6detail7generic6detail18binary_search_lessEbEEEE10hipError_tPvRmT1_T2_T3_mmT4_T5_P12ihipStream_tbEUlRKtE_EESV_SZ_S10_mS11_S14_bEUlT_E_NS1_11comp_targetILNS1_3genE2ELNS1_11target_archE906ELNS1_3gpuE6ELNS1_3repE0EEENS1_30default_config_static_selectorELNS0_4arch9wavefront6targetE0EEEvSY_,"axG",@progbits,_ZN7rocprim17ROCPRIM_400000_NS6detail17trampoline_kernelINS0_14default_configENS1_29binary_search_config_selectorItiEEZNS1_14transform_implILb0ES3_S5_N6thrust23THRUST_200600_302600_NS6detail15normal_iteratorINS8_7pointerItNS8_11hip_rocprim5par_tENS8_11use_defaultESE_EEEENSA_INSB_IiSD_SE_SE_EEEEZNS1_13binary_searchIS3_S5_NSA_INS8_10device_ptrItEEEESG_SI_NS1_16binary_search_opENS9_16wrapped_functionINS8_6system6detail7generic6detail18binary_search_lessEbEEEE10hipError_tPvRmT1_T2_T3_mmT4_T5_P12ihipStream_tbEUlRKtE_EESV_SZ_S10_mS11_S14_bEUlT_E_NS1_11comp_targetILNS1_3genE2ELNS1_11target_archE906ELNS1_3gpuE6ELNS1_3repE0EEENS1_30default_config_static_selectorELNS0_4arch9wavefront6targetE0EEEvSY_,comdat
.Lfunc_end684:
	.size	_ZN7rocprim17ROCPRIM_400000_NS6detail17trampoline_kernelINS0_14default_configENS1_29binary_search_config_selectorItiEEZNS1_14transform_implILb0ES3_S5_N6thrust23THRUST_200600_302600_NS6detail15normal_iteratorINS8_7pointerItNS8_11hip_rocprim5par_tENS8_11use_defaultESE_EEEENSA_INSB_IiSD_SE_SE_EEEEZNS1_13binary_searchIS3_S5_NSA_INS8_10device_ptrItEEEESG_SI_NS1_16binary_search_opENS9_16wrapped_functionINS8_6system6detail7generic6detail18binary_search_lessEbEEEE10hipError_tPvRmT1_T2_T3_mmT4_T5_P12ihipStream_tbEUlRKtE_EESV_SZ_S10_mS11_S14_bEUlT_E_NS1_11comp_targetILNS1_3genE2ELNS1_11target_archE906ELNS1_3gpuE6ELNS1_3repE0EEENS1_30default_config_static_selectorELNS0_4arch9wavefront6targetE0EEEvSY_, .Lfunc_end684-_ZN7rocprim17ROCPRIM_400000_NS6detail17trampoline_kernelINS0_14default_configENS1_29binary_search_config_selectorItiEEZNS1_14transform_implILb0ES3_S5_N6thrust23THRUST_200600_302600_NS6detail15normal_iteratorINS8_7pointerItNS8_11hip_rocprim5par_tENS8_11use_defaultESE_EEEENSA_INSB_IiSD_SE_SE_EEEEZNS1_13binary_searchIS3_S5_NSA_INS8_10device_ptrItEEEESG_SI_NS1_16binary_search_opENS9_16wrapped_functionINS8_6system6detail7generic6detail18binary_search_lessEbEEEE10hipError_tPvRmT1_T2_T3_mmT4_T5_P12ihipStream_tbEUlRKtE_EESV_SZ_S10_mS11_S14_bEUlT_E_NS1_11comp_targetILNS1_3genE2ELNS1_11target_archE906ELNS1_3gpuE6ELNS1_3repE0EEENS1_30default_config_static_selectorELNS0_4arch9wavefront6targetE0EEEvSY_
                                        ; -- End function
	.set _ZN7rocprim17ROCPRIM_400000_NS6detail17trampoline_kernelINS0_14default_configENS1_29binary_search_config_selectorItiEEZNS1_14transform_implILb0ES3_S5_N6thrust23THRUST_200600_302600_NS6detail15normal_iteratorINS8_7pointerItNS8_11hip_rocprim5par_tENS8_11use_defaultESE_EEEENSA_INSB_IiSD_SE_SE_EEEEZNS1_13binary_searchIS3_S5_NSA_INS8_10device_ptrItEEEESG_SI_NS1_16binary_search_opENS9_16wrapped_functionINS8_6system6detail7generic6detail18binary_search_lessEbEEEE10hipError_tPvRmT1_T2_T3_mmT4_T5_P12ihipStream_tbEUlRKtE_EESV_SZ_S10_mS11_S14_bEUlT_E_NS1_11comp_targetILNS1_3genE2ELNS1_11target_archE906ELNS1_3gpuE6ELNS1_3repE0EEENS1_30default_config_static_selectorELNS0_4arch9wavefront6targetE0EEEvSY_.num_vgpr, 0
	.set _ZN7rocprim17ROCPRIM_400000_NS6detail17trampoline_kernelINS0_14default_configENS1_29binary_search_config_selectorItiEEZNS1_14transform_implILb0ES3_S5_N6thrust23THRUST_200600_302600_NS6detail15normal_iteratorINS8_7pointerItNS8_11hip_rocprim5par_tENS8_11use_defaultESE_EEEENSA_INSB_IiSD_SE_SE_EEEEZNS1_13binary_searchIS3_S5_NSA_INS8_10device_ptrItEEEESG_SI_NS1_16binary_search_opENS9_16wrapped_functionINS8_6system6detail7generic6detail18binary_search_lessEbEEEE10hipError_tPvRmT1_T2_T3_mmT4_T5_P12ihipStream_tbEUlRKtE_EESV_SZ_S10_mS11_S14_bEUlT_E_NS1_11comp_targetILNS1_3genE2ELNS1_11target_archE906ELNS1_3gpuE6ELNS1_3repE0EEENS1_30default_config_static_selectorELNS0_4arch9wavefront6targetE0EEEvSY_.num_agpr, 0
	.set _ZN7rocprim17ROCPRIM_400000_NS6detail17trampoline_kernelINS0_14default_configENS1_29binary_search_config_selectorItiEEZNS1_14transform_implILb0ES3_S5_N6thrust23THRUST_200600_302600_NS6detail15normal_iteratorINS8_7pointerItNS8_11hip_rocprim5par_tENS8_11use_defaultESE_EEEENSA_INSB_IiSD_SE_SE_EEEEZNS1_13binary_searchIS3_S5_NSA_INS8_10device_ptrItEEEESG_SI_NS1_16binary_search_opENS9_16wrapped_functionINS8_6system6detail7generic6detail18binary_search_lessEbEEEE10hipError_tPvRmT1_T2_T3_mmT4_T5_P12ihipStream_tbEUlRKtE_EESV_SZ_S10_mS11_S14_bEUlT_E_NS1_11comp_targetILNS1_3genE2ELNS1_11target_archE906ELNS1_3gpuE6ELNS1_3repE0EEENS1_30default_config_static_selectorELNS0_4arch9wavefront6targetE0EEEvSY_.numbered_sgpr, 0
	.set _ZN7rocprim17ROCPRIM_400000_NS6detail17trampoline_kernelINS0_14default_configENS1_29binary_search_config_selectorItiEEZNS1_14transform_implILb0ES3_S5_N6thrust23THRUST_200600_302600_NS6detail15normal_iteratorINS8_7pointerItNS8_11hip_rocprim5par_tENS8_11use_defaultESE_EEEENSA_INSB_IiSD_SE_SE_EEEEZNS1_13binary_searchIS3_S5_NSA_INS8_10device_ptrItEEEESG_SI_NS1_16binary_search_opENS9_16wrapped_functionINS8_6system6detail7generic6detail18binary_search_lessEbEEEE10hipError_tPvRmT1_T2_T3_mmT4_T5_P12ihipStream_tbEUlRKtE_EESV_SZ_S10_mS11_S14_bEUlT_E_NS1_11comp_targetILNS1_3genE2ELNS1_11target_archE906ELNS1_3gpuE6ELNS1_3repE0EEENS1_30default_config_static_selectorELNS0_4arch9wavefront6targetE0EEEvSY_.num_named_barrier, 0
	.set _ZN7rocprim17ROCPRIM_400000_NS6detail17trampoline_kernelINS0_14default_configENS1_29binary_search_config_selectorItiEEZNS1_14transform_implILb0ES3_S5_N6thrust23THRUST_200600_302600_NS6detail15normal_iteratorINS8_7pointerItNS8_11hip_rocprim5par_tENS8_11use_defaultESE_EEEENSA_INSB_IiSD_SE_SE_EEEEZNS1_13binary_searchIS3_S5_NSA_INS8_10device_ptrItEEEESG_SI_NS1_16binary_search_opENS9_16wrapped_functionINS8_6system6detail7generic6detail18binary_search_lessEbEEEE10hipError_tPvRmT1_T2_T3_mmT4_T5_P12ihipStream_tbEUlRKtE_EESV_SZ_S10_mS11_S14_bEUlT_E_NS1_11comp_targetILNS1_3genE2ELNS1_11target_archE906ELNS1_3gpuE6ELNS1_3repE0EEENS1_30default_config_static_selectorELNS0_4arch9wavefront6targetE0EEEvSY_.private_seg_size, 0
	.set _ZN7rocprim17ROCPRIM_400000_NS6detail17trampoline_kernelINS0_14default_configENS1_29binary_search_config_selectorItiEEZNS1_14transform_implILb0ES3_S5_N6thrust23THRUST_200600_302600_NS6detail15normal_iteratorINS8_7pointerItNS8_11hip_rocprim5par_tENS8_11use_defaultESE_EEEENSA_INSB_IiSD_SE_SE_EEEEZNS1_13binary_searchIS3_S5_NSA_INS8_10device_ptrItEEEESG_SI_NS1_16binary_search_opENS9_16wrapped_functionINS8_6system6detail7generic6detail18binary_search_lessEbEEEE10hipError_tPvRmT1_T2_T3_mmT4_T5_P12ihipStream_tbEUlRKtE_EESV_SZ_S10_mS11_S14_bEUlT_E_NS1_11comp_targetILNS1_3genE2ELNS1_11target_archE906ELNS1_3gpuE6ELNS1_3repE0EEENS1_30default_config_static_selectorELNS0_4arch9wavefront6targetE0EEEvSY_.uses_vcc, 0
	.set _ZN7rocprim17ROCPRIM_400000_NS6detail17trampoline_kernelINS0_14default_configENS1_29binary_search_config_selectorItiEEZNS1_14transform_implILb0ES3_S5_N6thrust23THRUST_200600_302600_NS6detail15normal_iteratorINS8_7pointerItNS8_11hip_rocprim5par_tENS8_11use_defaultESE_EEEENSA_INSB_IiSD_SE_SE_EEEEZNS1_13binary_searchIS3_S5_NSA_INS8_10device_ptrItEEEESG_SI_NS1_16binary_search_opENS9_16wrapped_functionINS8_6system6detail7generic6detail18binary_search_lessEbEEEE10hipError_tPvRmT1_T2_T3_mmT4_T5_P12ihipStream_tbEUlRKtE_EESV_SZ_S10_mS11_S14_bEUlT_E_NS1_11comp_targetILNS1_3genE2ELNS1_11target_archE906ELNS1_3gpuE6ELNS1_3repE0EEENS1_30default_config_static_selectorELNS0_4arch9wavefront6targetE0EEEvSY_.uses_flat_scratch, 0
	.set _ZN7rocprim17ROCPRIM_400000_NS6detail17trampoline_kernelINS0_14default_configENS1_29binary_search_config_selectorItiEEZNS1_14transform_implILb0ES3_S5_N6thrust23THRUST_200600_302600_NS6detail15normal_iteratorINS8_7pointerItNS8_11hip_rocprim5par_tENS8_11use_defaultESE_EEEENSA_INSB_IiSD_SE_SE_EEEEZNS1_13binary_searchIS3_S5_NSA_INS8_10device_ptrItEEEESG_SI_NS1_16binary_search_opENS9_16wrapped_functionINS8_6system6detail7generic6detail18binary_search_lessEbEEEE10hipError_tPvRmT1_T2_T3_mmT4_T5_P12ihipStream_tbEUlRKtE_EESV_SZ_S10_mS11_S14_bEUlT_E_NS1_11comp_targetILNS1_3genE2ELNS1_11target_archE906ELNS1_3gpuE6ELNS1_3repE0EEENS1_30default_config_static_selectorELNS0_4arch9wavefront6targetE0EEEvSY_.has_dyn_sized_stack, 0
	.set _ZN7rocprim17ROCPRIM_400000_NS6detail17trampoline_kernelINS0_14default_configENS1_29binary_search_config_selectorItiEEZNS1_14transform_implILb0ES3_S5_N6thrust23THRUST_200600_302600_NS6detail15normal_iteratorINS8_7pointerItNS8_11hip_rocprim5par_tENS8_11use_defaultESE_EEEENSA_INSB_IiSD_SE_SE_EEEEZNS1_13binary_searchIS3_S5_NSA_INS8_10device_ptrItEEEESG_SI_NS1_16binary_search_opENS9_16wrapped_functionINS8_6system6detail7generic6detail18binary_search_lessEbEEEE10hipError_tPvRmT1_T2_T3_mmT4_T5_P12ihipStream_tbEUlRKtE_EESV_SZ_S10_mS11_S14_bEUlT_E_NS1_11comp_targetILNS1_3genE2ELNS1_11target_archE906ELNS1_3gpuE6ELNS1_3repE0EEENS1_30default_config_static_selectorELNS0_4arch9wavefront6targetE0EEEvSY_.has_recursion, 0
	.set _ZN7rocprim17ROCPRIM_400000_NS6detail17trampoline_kernelINS0_14default_configENS1_29binary_search_config_selectorItiEEZNS1_14transform_implILb0ES3_S5_N6thrust23THRUST_200600_302600_NS6detail15normal_iteratorINS8_7pointerItNS8_11hip_rocprim5par_tENS8_11use_defaultESE_EEEENSA_INSB_IiSD_SE_SE_EEEEZNS1_13binary_searchIS3_S5_NSA_INS8_10device_ptrItEEEESG_SI_NS1_16binary_search_opENS9_16wrapped_functionINS8_6system6detail7generic6detail18binary_search_lessEbEEEE10hipError_tPvRmT1_T2_T3_mmT4_T5_P12ihipStream_tbEUlRKtE_EESV_SZ_S10_mS11_S14_bEUlT_E_NS1_11comp_targetILNS1_3genE2ELNS1_11target_archE906ELNS1_3gpuE6ELNS1_3repE0EEENS1_30default_config_static_selectorELNS0_4arch9wavefront6targetE0EEEvSY_.has_indirect_call, 0
	.section	.AMDGPU.csdata,"",@progbits
; Kernel info:
; codeLenInByte = 0
; TotalNumSgprs: 0
; NumVgprs: 0
; ScratchSize: 0
; MemoryBound: 0
; FloatMode: 240
; IeeeMode: 1
; LDSByteSize: 0 bytes/workgroup (compile time only)
; SGPRBlocks: 0
; VGPRBlocks: 0
; NumSGPRsForWavesPerEU: 1
; NumVGPRsForWavesPerEU: 1
; Occupancy: 16
; WaveLimiterHint : 0
; COMPUTE_PGM_RSRC2:SCRATCH_EN: 0
; COMPUTE_PGM_RSRC2:USER_SGPR: 6
; COMPUTE_PGM_RSRC2:TRAP_HANDLER: 0
; COMPUTE_PGM_RSRC2:TGID_X_EN: 1
; COMPUTE_PGM_RSRC2:TGID_Y_EN: 0
; COMPUTE_PGM_RSRC2:TGID_Z_EN: 0
; COMPUTE_PGM_RSRC2:TIDIG_COMP_CNT: 0
	.section	.text._ZN7rocprim17ROCPRIM_400000_NS6detail17trampoline_kernelINS0_14default_configENS1_29binary_search_config_selectorItiEEZNS1_14transform_implILb0ES3_S5_N6thrust23THRUST_200600_302600_NS6detail15normal_iteratorINS8_7pointerItNS8_11hip_rocprim5par_tENS8_11use_defaultESE_EEEENSA_INSB_IiSD_SE_SE_EEEEZNS1_13binary_searchIS3_S5_NSA_INS8_10device_ptrItEEEESG_SI_NS1_16binary_search_opENS9_16wrapped_functionINS8_6system6detail7generic6detail18binary_search_lessEbEEEE10hipError_tPvRmT1_T2_T3_mmT4_T5_P12ihipStream_tbEUlRKtE_EESV_SZ_S10_mS11_S14_bEUlT_E_NS1_11comp_targetILNS1_3genE10ELNS1_11target_archE1201ELNS1_3gpuE5ELNS1_3repE0EEENS1_30default_config_static_selectorELNS0_4arch9wavefront6targetE0EEEvSY_,"axG",@progbits,_ZN7rocprim17ROCPRIM_400000_NS6detail17trampoline_kernelINS0_14default_configENS1_29binary_search_config_selectorItiEEZNS1_14transform_implILb0ES3_S5_N6thrust23THRUST_200600_302600_NS6detail15normal_iteratorINS8_7pointerItNS8_11hip_rocprim5par_tENS8_11use_defaultESE_EEEENSA_INSB_IiSD_SE_SE_EEEEZNS1_13binary_searchIS3_S5_NSA_INS8_10device_ptrItEEEESG_SI_NS1_16binary_search_opENS9_16wrapped_functionINS8_6system6detail7generic6detail18binary_search_lessEbEEEE10hipError_tPvRmT1_T2_T3_mmT4_T5_P12ihipStream_tbEUlRKtE_EESV_SZ_S10_mS11_S14_bEUlT_E_NS1_11comp_targetILNS1_3genE10ELNS1_11target_archE1201ELNS1_3gpuE5ELNS1_3repE0EEENS1_30default_config_static_selectorELNS0_4arch9wavefront6targetE0EEEvSY_,comdat
	.protected	_ZN7rocprim17ROCPRIM_400000_NS6detail17trampoline_kernelINS0_14default_configENS1_29binary_search_config_selectorItiEEZNS1_14transform_implILb0ES3_S5_N6thrust23THRUST_200600_302600_NS6detail15normal_iteratorINS8_7pointerItNS8_11hip_rocprim5par_tENS8_11use_defaultESE_EEEENSA_INSB_IiSD_SE_SE_EEEEZNS1_13binary_searchIS3_S5_NSA_INS8_10device_ptrItEEEESG_SI_NS1_16binary_search_opENS9_16wrapped_functionINS8_6system6detail7generic6detail18binary_search_lessEbEEEE10hipError_tPvRmT1_T2_T3_mmT4_T5_P12ihipStream_tbEUlRKtE_EESV_SZ_S10_mS11_S14_bEUlT_E_NS1_11comp_targetILNS1_3genE10ELNS1_11target_archE1201ELNS1_3gpuE5ELNS1_3repE0EEENS1_30default_config_static_selectorELNS0_4arch9wavefront6targetE0EEEvSY_ ; -- Begin function _ZN7rocprim17ROCPRIM_400000_NS6detail17trampoline_kernelINS0_14default_configENS1_29binary_search_config_selectorItiEEZNS1_14transform_implILb0ES3_S5_N6thrust23THRUST_200600_302600_NS6detail15normal_iteratorINS8_7pointerItNS8_11hip_rocprim5par_tENS8_11use_defaultESE_EEEENSA_INSB_IiSD_SE_SE_EEEEZNS1_13binary_searchIS3_S5_NSA_INS8_10device_ptrItEEEESG_SI_NS1_16binary_search_opENS9_16wrapped_functionINS8_6system6detail7generic6detail18binary_search_lessEbEEEE10hipError_tPvRmT1_T2_T3_mmT4_T5_P12ihipStream_tbEUlRKtE_EESV_SZ_S10_mS11_S14_bEUlT_E_NS1_11comp_targetILNS1_3genE10ELNS1_11target_archE1201ELNS1_3gpuE5ELNS1_3repE0EEENS1_30default_config_static_selectorELNS0_4arch9wavefront6targetE0EEEvSY_
	.globl	_ZN7rocprim17ROCPRIM_400000_NS6detail17trampoline_kernelINS0_14default_configENS1_29binary_search_config_selectorItiEEZNS1_14transform_implILb0ES3_S5_N6thrust23THRUST_200600_302600_NS6detail15normal_iteratorINS8_7pointerItNS8_11hip_rocprim5par_tENS8_11use_defaultESE_EEEENSA_INSB_IiSD_SE_SE_EEEEZNS1_13binary_searchIS3_S5_NSA_INS8_10device_ptrItEEEESG_SI_NS1_16binary_search_opENS9_16wrapped_functionINS8_6system6detail7generic6detail18binary_search_lessEbEEEE10hipError_tPvRmT1_T2_T3_mmT4_T5_P12ihipStream_tbEUlRKtE_EESV_SZ_S10_mS11_S14_bEUlT_E_NS1_11comp_targetILNS1_3genE10ELNS1_11target_archE1201ELNS1_3gpuE5ELNS1_3repE0EEENS1_30default_config_static_selectorELNS0_4arch9wavefront6targetE0EEEvSY_
	.p2align	8
	.type	_ZN7rocprim17ROCPRIM_400000_NS6detail17trampoline_kernelINS0_14default_configENS1_29binary_search_config_selectorItiEEZNS1_14transform_implILb0ES3_S5_N6thrust23THRUST_200600_302600_NS6detail15normal_iteratorINS8_7pointerItNS8_11hip_rocprim5par_tENS8_11use_defaultESE_EEEENSA_INSB_IiSD_SE_SE_EEEEZNS1_13binary_searchIS3_S5_NSA_INS8_10device_ptrItEEEESG_SI_NS1_16binary_search_opENS9_16wrapped_functionINS8_6system6detail7generic6detail18binary_search_lessEbEEEE10hipError_tPvRmT1_T2_T3_mmT4_T5_P12ihipStream_tbEUlRKtE_EESV_SZ_S10_mS11_S14_bEUlT_E_NS1_11comp_targetILNS1_3genE10ELNS1_11target_archE1201ELNS1_3gpuE5ELNS1_3repE0EEENS1_30default_config_static_selectorELNS0_4arch9wavefront6targetE0EEEvSY_,@function
_ZN7rocprim17ROCPRIM_400000_NS6detail17trampoline_kernelINS0_14default_configENS1_29binary_search_config_selectorItiEEZNS1_14transform_implILb0ES3_S5_N6thrust23THRUST_200600_302600_NS6detail15normal_iteratorINS8_7pointerItNS8_11hip_rocprim5par_tENS8_11use_defaultESE_EEEENSA_INSB_IiSD_SE_SE_EEEEZNS1_13binary_searchIS3_S5_NSA_INS8_10device_ptrItEEEESG_SI_NS1_16binary_search_opENS9_16wrapped_functionINS8_6system6detail7generic6detail18binary_search_lessEbEEEE10hipError_tPvRmT1_T2_T3_mmT4_T5_P12ihipStream_tbEUlRKtE_EESV_SZ_S10_mS11_S14_bEUlT_E_NS1_11comp_targetILNS1_3genE10ELNS1_11target_archE1201ELNS1_3gpuE5ELNS1_3repE0EEENS1_30default_config_static_selectorELNS0_4arch9wavefront6targetE0EEEvSY_: ; @_ZN7rocprim17ROCPRIM_400000_NS6detail17trampoline_kernelINS0_14default_configENS1_29binary_search_config_selectorItiEEZNS1_14transform_implILb0ES3_S5_N6thrust23THRUST_200600_302600_NS6detail15normal_iteratorINS8_7pointerItNS8_11hip_rocprim5par_tENS8_11use_defaultESE_EEEENSA_INSB_IiSD_SE_SE_EEEEZNS1_13binary_searchIS3_S5_NSA_INS8_10device_ptrItEEEESG_SI_NS1_16binary_search_opENS9_16wrapped_functionINS8_6system6detail7generic6detail18binary_search_lessEbEEEE10hipError_tPvRmT1_T2_T3_mmT4_T5_P12ihipStream_tbEUlRKtE_EESV_SZ_S10_mS11_S14_bEUlT_E_NS1_11comp_targetILNS1_3genE10ELNS1_11target_archE1201ELNS1_3gpuE5ELNS1_3repE0EEENS1_30default_config_static_selectorELNS0_4arch9wavefront6targetE0EEEvSY_
; %bb.0:
	.section	.rodata,"a",@progbits
	.p2align	6, 0x0
	.amdhsa_kernel _ZN7rocprim17ROCPRIM_400000_NS6detail17trampoline_kernelINS0_14default_configENS1_29binary_search_config_selectorItiEEZNS1_14transform_implILb0ES3_S5_N6thrust23THRUST_200600_302600_NS6detail15normal_iteratorINS8_7pointerItNS8_11hip_rocprim5par_tENS8_11use_defaultESE_EEEENSA_INSB_IiSD_SE_SE_EEEEZNS1_13binary_searchIS3_S5_NSA_INS8_10device_ptrItEEEESG_SI_NS1_16binary_search_opENS9_16wrapped_functionINS8_6system6detail7generic6detail18binary_search_lessEbEEEE10hipError_tPvRmT1_T2_T3_mmT4_T5_P12ihipStream_tbEUlRKtE_EESV_SZ_S10_mS11_S14_bEUlT_E_NS1_11comp_targetILNS1_3genE10ELNS1_11target_archE1201ELNS1_3gpuE5ELNS1_3repE0EEENS1_30default_config_static_selectorELNS0_4arch9wavefront6targetE0EEEvSY_
		.amdhsa_group_segment_fixed_size 0
		.amdhsa_private_segment_fixed_size 0
		.amdhsa_kernarg_size 56
		.amdhsa_user_sgpr_count 6
		.amdhsa_user_sgpr_private_segment_buffer 1
		.amdhsa_user_sgpr_dispatch_ptr 0
		.amdhsa_user_sgpr_queue_ptr 0
		.amdhsa_user_sgpr_kernarg_segment_ptr 1
		.amdhsa_user_sgpr_dispatch_id 0
		.amdhsa_user_sgpr_flat_scratch_init 0
		.amdhsa_user_sgpr_private_segment_size 0
		.amdhsa_wavefront_size32 1
		.amdhsa_uses_dynamic_stack 0
		.amdhsa_system_sgpr_private_segment_wavefront_offset 0
		.amdhsa_system_sgpr_workgroup_id_x 1
		.amdhsa_system_sgpr_workgroup_id_y 0
		.amdhsa_system_sgpr_workgroup_id_z 0
		.amdhsa_system_sgpr_workgroup_info 0
		.amdhsa_system_vgpr_workitem_id 0
		.amdhsa_next_free_vgpr 1
		.amdhsa_next_free_sgpr 1
		.amdhsa_reserve_vcc 0
		.amdhsa_reserve_flat_scratch 0
		.amdhsa_float_round_mode_32 0
		.amdhsa_float_round_mode_16_64 0
		.amdhsa_float_denorm_mode_32 3
		.amdhsa_float_denorm_mode_16_64 3
		.amdhsa_dx10_clamp 1
		.amdhsa_ieee_mode 1
		.amdhsa_fp16_overflow 0
		.amdhsa_workgroup_processor_mode 1
		.amdhsa_memory_ordered 1
		.amdhsa_forward_progress 1
		.amdhsa_shared_vgpr_count 0
		.amdhsa_exception_fp_ieee_invalid_op 0
		.amdhsa_exception_fp_denorm_src 0
		.amdhsa_exception_fp_ieee_div_zero 0
		.amdhsa_exception_fp_ieee_overflow 0
		.amdhsa_exception_fp_ieee_underflow 0
		.amdhsa_exception_fp_ieee_inexact 0
		.amdhsa_exception_int_div_zero 0
	.end_amdhsa_kernel
	.section	.text._ZN7rocprim17ROCPRIM_400000_NS6detail17trampoline_kernelINS0_14default_configENS1_29binary_search_config_selectorItiEEZNS1_14transform_implILb0ES3_S5_N6thrust23THRUST_200600_302600_NS6detail15normal_iteratorINS8_7pointerItNS8_11hip_rocprim5par_tENS8_11use_defaultESE_EEEENSA_INSB_IiSD_SE_SE_EEEEZNS1_13binary_searchIS3_S5_NSA_INS8_10device_ptrItEEEESG_SI_NS1_16binary_search_opENS9_16wrapped_functionINS8_6system6detail7generic6detail18binary_search_lessEbEEEE10hipError_tPvRmT1_T2_T3_mmT4_T5_P12ihipStream_tbEUlRKtE_EESV_SZ_S10_mS11_S14_bEUlT_E_NS1_11comp_targetILNS1_3genE10ELNS1_11target_archE1201ELNS1_3gpuE5ELNS1_3repE0EEENS1_30default_config_static_selectorELNS0_4arch9wavefront6targetE0EEEvSY_,"axG",@progbits,_ZN7rocprim17ROCPRIM_400000_NS6detail17trampoline_kernelINS0_14default_configENS1_29binary_search_config_selectorItiEEZNS1_14transform_implILb0ES3_S5_N6thrust23THRUST_200600_302600_NS6detail15normal_iteratorINS8_7pointerItNS8_11hip_rocprim5par_tENS8_11use_defaultESE_EEEENSA_INSB_IiSD_SE_SE_EEEEZNS1_13binary_searchIS3_S5_NSA_INS8_10device_ptrItEEEESG_SI_NS1_16binary_search_opENS9_16wrapped_functionINS8_6system6detail7generic6detail18binary_search_lessEbEEEE10hipError_tPvRmT1_T2_T3_mmT4_T5_P12ihipStream_tbEUlRKtE_EESV_SZ_S10_mS11_S14_bEUlT_E_NS1_11comp_targetILNS1_3genE10ELNS1_11target_archE1201ELNS1_3gpuE5ELNS1_3repE0EEENS1_30default_config_static_selectorELNS0_4arch9wavefront6targetE0EEEvSY_,comdat
.Lfunc_end685:
	.size	_ZN7rocprim17ROCPRIM_400000_NS6detail17trampoline_kernelINS0_14default_configENS1_29binary_search_config_selectorItiEEZNS1_14transform_implILb0ES3_S5_N6thrust23THRUST_200600_302600_NS6detail15normal_iteratorINS8_7pointerItNS8_11hip_rocprim5par_tENS8_11use_defaultESE_EEEENSA_INSB_IiSD_SE_SE_EEEEZNS1_13binary_searchIS3_S5_NSA_INS8_10device_ptrItEEEESG_SI_NS1_16binary_search_opENS9_16wrapped_functionINS8_6system6detail7generic6detail18binary_search_lessEbEEEE10hipError_tPvRmT1_T2_T3_mmT4_T5_P12ihipStream_tbEUlRKtE_EESV_SZ_S10_mS11_S14_bEUlT_E_NS1_11comp_targetILNS1_3genE10ELNS1_11target_archE1201ELNS1_3gpuE5ELNS1_3repE0EEENS1_30default_config_static_selectorELNS0_4arch9wavefront6targetE0EEEvSY_, .Lfunc_end685-_ZN7rocprim17ROCPRIM_400000_NS6detail17trampoline_kernelINS0_14default_configENS1_29binary_search_config_selectorItiEEZNS1_14transform_implILb0ES3_S5_N6thrust23THRUST_200600_302600_NS6detail15normal_iteratorINS8_7pointerItNS8_11hip_rocprim5par_tENS8_11use_defaultESE_EEEENSA_INSB_IiSD_SE_SE_EEEEZNS1_13binary_searchIS3_S5_NSA_INS8_10device_ptrItEEEESG_SI_NS1_16binary_search_opENS9_16wrapped_functionINS8_6system6detail7generic6detail18binary_search_lessEbEEEE10hipError_tPvRmT1_T2_T3_mmT4_T5_P12ihipStream_tbEUlRKtE_EESV_SZ_S10_mS11_S14_bEUlT_E_NS1_11comp_targetILNS1_3genE10ELNS1_11target_archE1201ELNS1_3gpuE5ELNS1_3repE0EEENS1_30default_config_static_selectorELNS0_4arch9wavefront6targetE0EEEvSY_
                                        ; -- End function
	.set _ZN7rocprim17ROCPRIM_400000_NS6detail17trampoline_kernelINS0_14default_configENS1_29binary_search_config_selectorItiEEZNS1_14transform_implILb0ES3_S5_N6thrust23THRUST_200600_302600_NS6detail15normal_iteratorINS8_7pointerItNS8_11hip_rocprim5par_tENS8_11use_defaultESE_EEEENSA_INSB_IiSD_SE_SE_EEEEZNS1_13binary_searchIS3_S5_NSA_INS8_10device_ptrItEEEESG_SI_NS1_16binary_search_opENS9_16wrapped_functionINS8_6system6detail7generic6detail18binary_search_lessEbEEEE10hipError_tPvRmT1_T2_T3_mmT4_T5_P12ihipStream_tbEUlRKtE_EESV_SZ_S10_mS11_S14_bEUlT_E_NS1_11comp_targetILNS1_3genE10ELNS1_11target_archE1201ELNS1_3gpuE5ELNS1_3repE0EEENS1_30default_config_static_selectorELNS0_4arch9wavefront6targetE0EEEvSY_.num_vgpr, 0
	.set _ZN7rocprim17ROCPRIM_400000_NS6detail17trampoline_kernelINS0_14default_configENS1_29binary_search_config_selectorItiEEZNS1_14transform_implILb0ES3_S5_N6thrust23THRUST_200600_302600_NS6detail15normal_iteratorINS8_7pointerItNS8_11hip_rocprim5par_tENS8_11use_defaultESE_EEEENSA_INSB_IiSD_SE_SE_EEEEZNS1_13binary_searchIS3_S5_NSA_INS8_10device_ptrItEEEESG_SI_NS1_16binary_search_opENS9_16wrapped_functionINS8_6system6detail7generic6detail18binary_search_lessEbEEEE10hipError_tPvRmT1_T2_T3_mmT4_T5_P12ihipStream_tbEUlRKtE_EESV_SZ_S10_mS11_S14_bEUlT_E_NS1_11comp_targetILNS1_3genE10ELNS1_11target_archE1201ELNS1_3gpuE5ELNS1_3repE0EEENS1_30default_config_static_selectorELNS0_4arch9wavefront6targetE0EEEvSY_.num_agpr, 0
	.set _ZN7rocprim17ROCPRIM_400000_NS6detail17trampoline_kernelINS0_14default_configENS1_29binary_search_config_selectorItiEEZNS1_14transform_implILb0ES3_S5_N6thrust23THRUST_200600_302600_NS6detail15normal_iteratorINS8_7pointerItNS8_11hip_rocprim5par_tENS8_11use_defaultESE_EEEENSA_INSB_IiSD_SE_SE_EEEEZNS1_13binary_searchIS3_S5_NSA_INS8_10device_ptrItEEEESG_SI_NS1_16binary_search_opENS9_16wrapped_functionINS8_6system6detail7generic6detail18binary_search_lessEbEEEE10hipError_tPvRmT1_T2_T3_mmT4_T5_P12ihipStream_tbEUlRKtE_EESV_SZ_S10_mS11_S14_bEUlT_E_NS1_11comp_targetILNS1_3genE10ELNS1_11target_archE1201ELNS1_3gpuE5ELNS1_3repE0EEENS1_30default_config_static_selectorELNS0_4arch9wavefront6targetE0EEEvSY_.numbered_sgpr, 0
	.set _ZN7rocprim17ROCPRIM_400000_NS6detail17trampoline_kernelINS0_14default_configENS1_29binary_search_config_selectorItiEEZNS1_14transform_implILb0ES3_S5_N6thrust23THRUST_200600_302600_NS6detail15normal_iteratorINS8_7pointerItNS8_11hip_rocprim5par_tENS8_11use_defaultESE_EEEENSA_INSB_IiSD_SE_SE_EEEEZNS1_13binary_searchIS3_S5_NSA_INS8_10device_ptrItEEEESG_SI_NS1_16binary_search_opENS9_16wrapped_functionINS8_6system6detail7generic6detail18binary_search_lessEbEEEE10hipError_tPvRmT1_T2_T3_mmT4_T5_P12ihipStream_tbEUlRKtE_EESV_SZ_S10_mS11_S14_bEUlT_E_NS1_11comp_targetILNS1_3genE10ELNS1_11target_archE1201ELNS1_3gpuE5ELNS1_3repE0EEENS1_30default_config_static_selectorELNS0_4arch9wavefront6targetE0EEEvSY_.num_named_barrier, 0
	.set _ZN7rocprim17ROCPRIM_400000_NS6detail17trampoline_kernelINS0_14default_configENS1_29binary_search_config_selectorItiEEZNS1_14transform_implILb0ES3_S5_N6thrust23THRUST_200600_302600_NS6detail15normal_iteratorINS8_7pointerItNS8_11hip_rocprim5par_tENS8_11use_defaultESE_EEEENSA_INSB_IiSD_SE_SE_EEEEZNS1_13binary_searchIS3_S5_NSA_INS8_10device_ptrItEEEESG_SI_NS1_16binary_search_opENS9_16wrapped_functionINS8_6system6detail7generic6detail18binary_search_lessEbEEEE10hipError_tPvRmT1_T2_T3_mmT4_T5_P12ihipStream_tbEUlRKtE_EESV_SZ_S10_mS11_S14_bEUlT_E_NS1_11comp_targetILNS1_3genE10ELNS1_11target_archE1201ELNS1_3gpuE5ELNS1_3repE0EEENS1_30default_config_static_selectorELNS0_4arch9wavefront6targetE0EEEvSY_.private_seg_size, 0
	.set _ZN7rocprim17ROCPRIM_400000_NS6detail17trampoline_kernelINS0_14default_configENS1_29binary_search_config_selectorItiEEZNS1_14transform_implILb0ES3_S5_N6thrust23THRUST_200600_302600_NS6detail15normal_iteratorINS8_7pointerItNS8_11hip_rocprim5par_tENS8_11use_defaultESE_EEEENSA_INSB_IiSD_SE_SE_EEEEZNS1_13binary_searchIS3_S5_NSA_INS8_10device_ptrItEEEESG_SI_NS1_16binary_search_opENS9_16wrapped_functionINS8_6system6detail7generic6detail18binary_search_lessEbEEEE10hipError_tPvRmT1_T2_T3_mmT4_T5_P12ihipStream_tbEUlRKtE_EESV_SZ_S10_mS11_S14_bEUlT_E_NS1_11comp_targetILNS1_3genE10ELNS1_11target_archE1201ELNS1_3gpuE5ELNS1_3repE0EEENS1_30default_config_static_selectorELNS0_4arch9wavefront6targetE0EEEvSY_.uses_vcc, 0
	.set _ZN7rocprim17ROCPRIM_400000_NS6detail17trampoline_kernelINS0_14default_configENS1_29binary_search_config_selectorItiEEZNS1_14transform_implILb0ES3_S5_N6thrust23THRUST_200600_302600_NS6detail15normal_iteratorINS8_7pointerItNS8_11hip_rocprim5par_tENS8_11use_defaultESE_EEEENSA_INSB_IiSD_SE_SE_EEEEZNS1_13binary_searchIS3_S5_NSA_INS8_10device_ptrItEEEESG_SI_NS1_16binary_search_opENS9_16wrapped_functionINS8_6system6detail7generic6detail18binary_search_lessEbEEEE10hipError_tPvRmT1_T2_T3_mmT4_T5_P12ihipStream_tbEUlRKtE_EESV_SZ_S10_mS11_S14_bEUlT_E_NS1_11comp_targetILNS1_3genE10ELNS1_11target_archE1201ELNS1_3gpuE5ELNS1_3repE0EEENS1_30default_config_static_selectorELNS0_4arch9wavefront6targetE0EEEvSY_.uses_flat_scratch, 0
	.set _ZN7rocprim17ROCPRIM_400000_NS6detail17trampoline_kernelINS0_14default_configENS1_29binary_search_config_selectorItiEEZNS1_14transform_implILb0ES3_S5_N6thrust23THRUST_200600_302600_NS6detail15normal_iteratorINS8_7pointerItNS8_11hip_rocprim5par_tENS8_11use_defaultESE_EEEENSA_INSB_IiSD_SE_SE_EEEEZNS1_13binary_searchIS3_S5_NSA_INS8_10device_ptrItEEEESG_SI_NS1_16binary_search_opENS9_16wrapped_functionINS8_6system6detail7generic6detail18binary_search_lessEbEEEE10hipError_tPvRmT1_T2_T3_mmT4_T5_P12ihipStream_tbEUlRKtE_EESV_SZ_S10_mS11_S14_bEUlT_E_NS1_11comp_targetILNS1_3genE10ELNS1_11target_archE1201ELNS1_3gpuE5ELNS1_3repE0EEENS1_30default_config_static_selectorELNS0_4arch9wavefront6targetE0EEEvSY_.has_dyn_sized_stack, 0
	.set _ZN7rocprim17ROCPRIM_400000_NS6detail17trampoline_kernelINS0_14default_configENS1_29binary_search_config_selectorItiEEZNS1_14transform_implILb0ES3_S5_N6thrust23THRUST_200600_302600_NS6detail15normal_iteratorINS8_7pointerItNS8_11hip_rocprim5par_tENS8_11use_defaultESE_EEEENSA_INSB_IiSD_SE_SE_EEEEZNS1_13binary_searchIS3_S5_NSA_INS8_10device_ptrItEEEESG_SI_NS1_16binary_search_opENS9_16wrapped_functionINS8_6system6detail7generic6detail18binary_search_lessEbEEEE10hipError_tPvRmT1_T2_T3_mmT4_T5_P12ihipStream_tbEUlRKtE_EESV_SZ_S10_mS11_S14_bEUlT_E_NS1_11comp_targetILNS1_3genE10ELNS1_11target_archE1201ELNS1_3gpuE5ELNS1_3repE0EEENS1_30default_config_static_selectorELNS0_4arch9wavefront6targetE0EEEvSY_.has_recursion, 0
	.set _ZN7rocprim17ROCPRIM_400000_NS6detail17trampoline_kernelINS0_14default_configENS1_29binary_search_config_selectorItiEEZNS1_14transform_implILb0ES3_S5_N6thrust23THRUST_200600_302600_NS6detail15normal_iteratorINS8_7pointerItNS8_11hip_rocprim5par_tENS8_11use_defaultESE_EEEENSA_INSB_IiSD_SE_SE_EEEEZNS1_13binary_searchIS3_S5_NSA_INS8_10device_ptrItEEEESG_SI_NS1_16binary_search_opENS9_16wrapped_functionINS8_6system6detail7generic6detail18binary_search_lessEbEEEE10hipError_tPvRmT1_T2_T3_mmT4_T5_P12ihipStream_tbEUlRKtE_EESV_SZ_S10_mS11_S14_bEUlT_E_NS1_11comp_targetILNS1_3genE10ELNS1_11target_archE1201ELNS1_3gpuE5ELNS1_3repE0EEENS1_30default_config_static_selectorELNS0_4arch9wavefront6targetE0EEEvSY_.has_indirect_call, 0
	.section	.AMDGPU.csdata,"",@progbits
; Kernel info:
; codeLenInByte = 0
; TotalNumSgprs: 0
; NumVgprs: 0
; ScratchSize: 0
; MemoryBound: 0
; FloatMode: 240
; IeeeMode: 1
; LDSByteSize: 0 bytes/workgroup (compile time only)
; SGPRBlocks: 0
; VGPRBlocks: 0
; NumSGPRsForWavesPerEU: 1
; NumVGPRsForWavesPerEU: 1
; Occupancy: 16
; WaveLimiterHint : 0
; COMPUTE_PGM_RSRC2:SCRATCH_EN: 0
; COMPUTE_PGM_RSRC2:USER_SGPR: 6
; COMPUTE_PGM_RSRC2:TRAP_HANDLER: 0
; COMPUTE_PGM_RSRC2:TGID_X_EN: 1
; COMPUTE_PGM_RSRC2:TGID_Y_EN: 0
; COMPUTE_PGM_RSRC2:TGID_Z_EN: 0
; COMPUTE_PGM_RSRC2:TIDIG_COMP_CNT: 0
	.section	.text._ZN7rocprim17ROCPRIM_400000_NS6detail17trampoline_kernelINS0_14default_configENS1_29binary_search_config_selectorItiEEZNS1_14transform_implILb0ES3_S5_N6thrust23THRUST_200600_302600_NS6detail15normal_iteratorINS8_7pointerItNS8_11hip_rocprim5par_tENS8_11use_defaultESE_EEEENSA_INSB_IiSD_SE_SE_EEEEZNS1_13binary_searchIS3_S5_NSA_INS8_10device_ptrItEEEESG_SI_NS1_16binary_search_opENS9_16wrapped_functionINS8_6system6detail7generic6detail18binary_search_lessEbEEEE10hipError_tPvRmT1_T2_T3_mmT4_T5_P12ihipStream_tbEUlRKtE_EESV_SZ_S10_mS11_S14_bEUlT_E_NS1_11comp_targetILNS1_3genE10ELNS1_11target_archE1200ELNS1_3gpuE4ELNS1_3repE0EEENS1_30default_config_static_selectorELNS0_4arch9wavefront6targetE0EEEvSY_,"axG",@progbits,_ZN7rocprim17ROCPRIM_400000_NS6detail17trampoline_kernelINS0_14default_configENS1_29binary_search_config_selectorItiEEZNS1_14transform_implILb0ES3_S5_N6thrust23THRUST_200600_302600_NS6detail15normal_iteratorINS8_7pointerItNS8_11hip_rocprim5par_tENS8_11use_defaultESE_EEEENSA_INSB_IiSD_SE_SE_EEEEZNS1_13binary_searchIS3_S5_NSA_INS8_10device_ptrItEEEESG_SI_NS1_16binary_search_opENS9_16wrapped_functionINS8_6system6detail7generic6detail18binary_search_lessEbEEEE10hipError_tPvRmT1_T2_T3_mmT4_T5_P12ihipStream_tbEUlRKtE_EESV_SZ_S10_mS11_S14_bEUlT_E_NS1_11comp_targetILNS1_3genE10ELNS1_11target_archE1200ELNS1_3gpuE4ELNS1_3repE0EEENS1_30default_config_static_selectorELNS0_4arch9wavefront6targetE0EEEvSY_,comdat
	.protected	_ZN7rocprim17ROCPRIM_400000_NS6detail17trampoline_kernelINS0_14default_configENS1_29binary_search_config_selectorItiEEZNS1_14transform_implILb0ES3_S5_N6thrust23THRUST_200600_302600_NS6detail15normal_iteratorINS8_7pointerItNS8_11hip_rocprim5par_tENS8_11use_defaultESE_EEEENSA_INSB_IiSD_SE_SE_EEEEZNS1_13binary_searchIS3_S5_NSA_INS8_10device_ptrItEEEESG_SI_NS1_16binary_search_opENS9_16wrapped_functionINS8_6system6detail7generic6detail18binary_search_lessEbEEEE10hipError_tPvRmT1_T2_T3_mmT4_T5_P12ihipStream_tbEUlRKtE_EESV_SZ_S10_mS11_S14_bEUlT_E_NS1_11comp_targetILNS1_3genE10ELNS1_11target_archE1200ELNS1_3gpuE4ELNS1_3repE0EEENS1_30default_config_static_selectorELNS0_4arch9wavefront6targetE0EEEvSY_ ; -- Begin function _ZN7rocprim17ROCPRIM_400000_NS6detail17trampoline_kernelINS0_14default_configENS1_29binary_search_config_selectorItiEEZNS1_14transform_implILb0ES3_S5_N6thrust23THRUST_200600_302600_NS6detail15normal_iteratorINS8_7pointerItNS8_11hip_rocprim5par_tENS8_11use_defaultESE_EEEENSA_INSB_IiSD_SE_SE_EEEEZNS1_13binary_searchIS3_S5_NSA_INS8_10device_ptrItEEEESG_SI_NS1_16binary_search_opENS9_16wrapped_functionINS8_6system6detail7generic6detail18binary_search_lessEbEEEE10hipError_tPvRmT1_T2_T3_mmT4_T5_P12ihipStream_tbEUlRKtE_EESV_SZ_S10_mS11_S14_bEUlT_E_NS1_11comp_targetILNS1_3genE10ELNS1_11target_archE1200ELNS1_3gpuE4ELNS1_3repE0EEENS1_30default_config_static_selectorELNS0_4arch9wavefront6targetE0EEEvSY_
	.globl	_ZN7rocprim17ROCPRIM_400000_NS6detail17trampoline_kernelINS0_14default_configENS1_29binary_search_config_selectorItiEEZNS1_14transform_implILb0ES3_S5_N6thrust23THRUST_200600_302600_NS6detail15normal_iteratorINS8_7pointerItNS8_11hip_rocprim5par_tENS8_11use_defaultESE_EEEENSA_INSB_IiSD_SE_SE_EEEEZNS1_13binary_searchIS3_S5_NSA_INS8_10device_ptrItEEEESG_SI_NS1_16binary_search_opENS9_16wrapped_functionINS8_6system6detail7generic6detail18binary_search_lessEbEEEE10hipError_tPvRmT1_T2_T3_mmT4_T5_P12ihipStream_tbEUlRKtE_EESV_SZ_S10_mS11_S14_bEUlT_E_NS1_11comp_targetILNS1_3genE10ELNS1_11target_archE1200ELNS1_3gpuE4ELNS1_3repE0EEENS1_30default_config_static_selectorELNS0_4arch9wavefront6targetE0EEEvSY_
	.p2align	8
	.type	_ZN7rocprim17ROCPRIM_400000_NS6detail17trampoline_kernelINS0_14default_configENS1_29binary_search_config_selectorItiEEZNS1_14transform_implILb0ES3_S5_N6thrust23THRUST_200600_302600_NS6detail15normal_iteratorINS8_7pointerItNS8_11hip_rocprim5par_tENS8_11use_defaultESE_EEEENSA_INSB_IiSD_SE_SE_EEEEZNS1_13binary_searchIS3_S5_NSA_INS8_10device_ptrItEEEESG_SI_NS1_16binary_search_opENS9_16wrapped_functionINS8_6system6detail7generic6detail18binary_search_lessEbEEEE10hipError_tPvRmT1_T2_T3_mmT4_T5_P12ihipStream_tbEUlRKtE_EESV_SZ_S10_mS11_S14_bEUlT_E_NS1_11comp_targetILNS1_3genE10ELNS1_11target_archE1200ELNS1_3gpuE4ELNS1_3repE0EEENS1_30default_config_static_selectorELNS0_4arch9wavefront6targetE0EEEvSY_,@function
_ZN7rocprim17ROCPRIM_400000_NS6detail17trampoline_kernelINS0_14default_configENS1_29binary_search_config_selectorItiEEZNS1_14transform_implILb0ES3_S5_N6thrust23THRUST_200600_302600_NS6detail15normal_iteratorINS8_7pointerItNS8_11hip_rocprim5par_tENS8_11use_defaultESE_EEEENSA_INSB_IiSD_SE_SE_EEEEZNS1_13binary_searchIS3_S5_NSA_INS8_10device_ptrItEEEESG_SI_NS1_16binary_search_opENS9_16wrapped_functionINS8_6system6detail7generic6detail18binary_search_lessEbEEEE10hipError_tPvRmT1_T2_T3_mmT4_T5_P12ihipStream_tbEUlRKtE_EESV_SZ_S10_mS11_S14_bEUlT_E_NS1_11comp_targetILNS1_3genE10ELNS1_11target_archE1200ELNS1_3gpuE4ELNS1_3repE0EEENS1_30default_config_static_selectorELNS0_4arch9wavefront6targetE0EEEvSY_: ; @_ZN7rocprim17ROCPRIM_400000_NS6detail17trampoline_kernelINS0_14default_configENS1_29binary_search_config_selectorItiEEZNS1_14transform_implILb0ES3_S5_N6thrust23THRUST_200600_302600_NS6detail15normal_iteratorINS8_7pointerItNS8_11hip_rocprim5par_tENS8_11use_defaultESE_EEEENSA_INSB_IiSD_SE_SE_EEEEZNS1_13binary_searchIS3_S5_NSA_INS8_10device_ptrItEEEESG_SI_NS1_16binary_search_opENS9_16wrapped_functionINS8_6system6detail7generic6detail18binary_search_lessEbEEEE10hipError_tPvRmT1_T2_T3_mmT4_T5_P12ihipStream_tbEUlRKtE_EESV_SZ_S10_mS11_S14_bEUlT_E_NS1_11comp_targetILNS1_3genE10ELNS1_11target_archE1200ELNS1_3gpuE4ELNS1_3repE0EEENS1_30default_config_static_selectorELNS0_4arch9wavefront6targetE0EEEvSY_
; %bb.0:
	.section	.rodata,"a",@progbits
	.p2align	6, 0x0
	.amdhsa_kernel _ZN7rocprim17ROCPRIM_400000_NS6detail17trampoline_kernelINS0_14default_configENS1_29binary_search_config_selectorItiEEZNS1_14transform_implILb0ES3_S5_N6thrust23THRUST_200600_302600_NS6detail15normal_iteratorINS8_7pointerItNS8_11hip_rocprim5par_tENS8_11use_defaultESE_EEEENSA_INSB_IiSD_SE_SE_EEEEZNS1_13binary_searchIS3_S5_NSA_INS8_10device_ptrItEEEESG_SI_NS1_16binary_search_opENS9_16wrapped_functionINS8_6system6detail7generic6detail18binary_search_lessEbEEEE10hipError_tPvRmT1_T2_T3_mmT4_T5_P12ihipStream_tbEUlRKtE_EESV_SZ_S10_mS11_S14_bEUlT_E_NS1_11comp_targetILNS1_3genE10ELNS1_11target_archE1200ELNS1_3gpuE4ELNS1_3repE0EEENS1_30default_config_static_selectorELNS0_4arch9wavefront6targetE0EEEvSY_
		.amdhsa_group_segment_fixed_size 0
		.amdhsa_private_segment_fixed_size 0
		.amdhsa_kernarg_size 56
		.amdhsa_user_sgpr_count 6
		.amdhsa_user_sgpr_private_segment_buffer 1
		.amdhsa_user_sgpr_dispatch_ptr 0
		.amdhsa_user_sgpr_queue_ptr 0
		.amdhsa_user_sgpr_kernarg_segment_ptr 1
		.amdhsa_user_sgpr_dispatch_id 0
		.amdhsa_user_sgpr_flat_scratch_init 0
		.amdhsa_user_sgpr_private_segment_size 0
		.amdhsa_wavefront_size32 1
		.amdhsa_uses_dynamic_stack 0
		.amdhsa_system_sgpr_private_segment_wavefront_offset 0
		.amdhsa_system_sgpr_workgroup_id_x 1
		.amdhsa_system_sgpr_workgroup_id_y 0
		.amdhsa_system_sgpr_workgroup_id_z 0
		.amdhsa_system_sgpr_workgroup_info 0
		.amdhsa_system_vgpr_workitem_id 0
		.amdhsa_next_free_vgpr 1
		.amdhsa_next_free_sgpr 1
		.amdhsa_reserve_vcc 0
		.amdhsa_reserve_flat_scratch 0
		.amdhsa_float_round_mode_32 0
		.amdhsa_float_round_mode_16_64 0
		.amdhsa_float_denorm_mode_32 3
		.amdhsa_float_denorm_mode_16_64 3
		.amdhsa_dx10_clamp 1
		.amdhsa_ieee_mode 1
		.amdhsa_fp16_overflow 0
		.amdhsa_workgroup_processor_mode 1
		.amdhsa_memory_ordered 1
		.amdhsa_forward_progress 1
		.amdhsa_shared_vgpr_count 0
		.amdhsa_exception_fp_ieee_invalid_op 0
		.amdhsa_exception_fp_denorm_src 0
		.amdhsa_exception_fp_ieee_div_zero 0
		.amdhsa_exception_fp_ieee_overflow 0
		.amdhsa_exception_fp_ieee_underflow 0
		.amdhsa_exception_fp_ieee_inexact 0
		.amdhsa_exception_int_div_zero 0
	.end_amdhsa_kernel
	.section	.text._ZN7rocprim17ROCPRIM_400000_NS6detail17trampoline_kernelINS0_14default_configENS1_29binary_search_config_selectorItiEEZNS1_14transform_implILb0ES3_S5_N6thrust23THRUST_200600_302600_NS6detail15normal_iteratorINS8_7pointerItNS8_11hip_rocprim5par_tENS8_11use_defaultESE_EEEENSA_INSB_IiSD_SE_SE_EEEEZNS1_13binary_searchIS3_S5_NSA_INS8_10device_ptrItEEEESG_SI_NS1_16binary_search_opENS9_16wrapped_functionINS8_6system6detail7generic6detail18binary_search_lessEbEEEE10hipError_tPvRmT1_T2_T3_mmT4_T5_P12ihipStream_tbEUlRKtE_EESV_SZ_S10_mS11_S14_bEUlT_E_NS1_11comp_targetILNS1_3genE10ELNS1_11target_archE1200ELNS1_3gpuE4ELNS1_3repE0EEENS1_30default_config_static_selectorELNS0_4arch9wavefront6targetE0EEEvSY_,"axG",@progbits,_ZN7rocprim17ROCPRIM_400000_NS6detail17trampoline_kernelINS0_14default_configENS1_29binary_search_config_selectorItiEEZNS1_14transform_implILb0ES3_S5_N6thrust23THRUST_200600_302600_NS6detail15normal_iteratorINS8_7pointerItNS8_11hip_rocprim5par_tENS8_11use_defaultESE_EEEENSA_INSB_IiSD_SE_SE_EEEEZNS1_13binary_searchIS3_S5_NSA_INS8_10device_ptrItEEEESG_SI_NS1_16binary_search_opENS9_16wrapped_functionINS8_6system6detail7generic6detail18binary_search_lessEbEEEE10hipError_tPvRmT1_T2_T3_mmT4_T5_P12ihipStream_tbEUlRKtE_EESV_SZ_S10_mS11_S14_bEUlT_E_NS1_11comp_targetILNS1_3genE10ELNS1_11target_archE1200ELNS1_3gpuE4ELNS1_3repE0EEENS1_30default_config_static_selectorELNS0_4arch9wavefront6targetE0EEEvSY_,comdat
.Lfunc_end686:
	.size	_ZN7rocprim17ROCPRIM_400000_NS6detail17trampoline_kernelINS0_14default_configENS1_29binary_search_config_selectorItiEEZNS1_14transform_implILb0ES3_S5_N6thrust23THRUST_200600_302600_NS6detail15normal_iteratorINS8_7pointerItNS8_11hip_rocprim5par_tENS8_11use_defaultESE_EEEENSA_INSB_IiSD_SE_SE_EEEEZNS1_13binary_searchIS3_S5_NSA_INS8_10device_ptrItEEEESG_SI_NS1_16binary_search_opENS9_16wrapped_functionINS8_6system6detail7generic6detail18binary_search_lessEbEEEE10hipError_tPvRmT1_T2_T3_mmT4_T5_P12ihipStream_tbEUlRKtE_EESV_SZ_S10_mS11_S14_bEUlT_E_NS1_11comp_targetILNS1_3genE10ELNS1_11target_archE1200ELNS1_3gpuE4ELNS1_3repE0EEENS1_30default_config_static_selectorELNS0_4arch9wavefront6targetE0EEEvSY_, .Lfunc_end686-_ZN7rocprim17ROCPRIM_400000_NS6detail17trampoline_kernelINS0_14default_configENS1_29binary_search_config_selectorItiEEZNS1_14transform_implILb0ES3_S5_N6thrust23THRUST_200600_302600_NS6detail15normal_iteratorINS8_7pointerItNS8_11hip_rocprim5par_tENS8_11use_defaultESE_EEEENSA_INSB_IiSD_SE_SE_EEEEZNS1_13binary_searchIS3_S5_NSA_INS8_10device_ptrItEEEESG_SI_NS1_16binary_search_opENS9_16wrapped_functionINS8_6system6detail7generic6detail18binary_search_lessEbEEEE10hipError_tPvRmT1_T2_T3_mmT4_T5_P12ihipStream_tbEUlRKtE_EESV_SZ_S10_mS11_S14_bEUlT_E_NS1_11comp_targetILNS1_3genE10ELNS1_11target_archE1200ELNS1_3gpuE4ELNS1_3repE0EEENS1_30default_config_static_selectorELNS0_4arch9wavefront6targetE0EEEvSY_
                                        ; -- End function
	.set _ZN7rocprim17ROCPRIM_400000_NS6detail17trampoline_kernelINS0_14default_configENS1_29binary_search_config_selectorItiEEZNS1_14transform_implILb0ES3_S5_N6thrust23THRUST_200600_302600_NS6detail15normal_iteratorINS8_7pointerItNS8_11hip_rocprim5par_tENS8_11use_defaultESE_EEEENSA_INSB_IiSD_SE_SE_EEEEZNS1_13binary_searchIS3_S5_NSA_INS8_10device_ptrItEEEESG_SI_NS1_16binary_search_opENS9_16wrapped_functionINS8_6system6detail7generic6detail18binary_search_lessEbEEEE10hipError_tPvRmT1_T2_T3_mmT4_T5_P12ihipStream_tbEUlRKtE_EESV_SZ_S10_mS11_S14_bEUlT_E_NS1_11comp_targetILNS1_3genE10ELNS1_11target_archE1200ELNS1_3gpuE4ELNS1_3repE0EEENS1_30default_config_static_selectorELNS0_4arch9wavefront6targetE0EEEvSY_.num_vgpr, 0
	.set _ZN7rocprim17ROCPRIM_400000_NS6detail17trampoline_kernelINS0_14default_configENS1_29binary_search_config_selectorItiEEZNS1_14transform_implILb0ES3_S5_N6thrust23THRUST_200600_302600_NS6detail15normal_iteratorINS8_7pointerItNS8_11hip_rocprim5par_tENS8_11use_defaultESE_EEEENSA_INSB_IiSD_SE_SE_EEEEZNS1_13binary_searchIS3_S5_NSA_INS8_10device_ptrItEEEESG_SI_NS1_16binary_search_opENS9_16wrapped_functionINS8_6system6detail7generic6detail18binary_search_lessEbEEEE10hipError_tPvRmT1_T2_T3_mmT4_T5_P12ihipStream_tbEUlRKtE_EESV_SZ_S10_mS11_S14_bEUlT_E_NS1_11comp_targetILNS1_3genE10ELNS1_11target_archE1200ELNS1_3gpuE4ELNS1_3repE0EEENS1_30default_config_static_selectorELNS0_4arch9wavefront6targetE0EEEvSY_.num_agpr, 0
	.set _ZN7rocprim17ROCPRIM_400000_NS6detail17trampoline_kernelINS0_14default_configENS1_29binary_search_config_selectorItiEEZNS1_14transform_implILb0ES3_S5_N6thrust23THRUST_200600_302600_NS6detail15normal_iteratorINS8_7pointerItNS8_11hip_rocprim5par_tENS8_11use_defaultESE_EEEENSA_INSB_IiSD_SE_SE_EEEEZNS1_13binary_searchIS3_S5_NSA_INS8_10device_ptrItEEEESG_SI_NS1_16binary_search_opENS9_16wrapped_functionINS8_6system6detail7generic6detail18binary_search_lessEbEEEE10hipError_tPvRmT1_T2_T3_mmT4_T5_P12ihipStream_tbEUlRKtE_EESV_SZ_S10_mS11_S14_bEUlT_E_NS1_11comp_targetILNS1_3genE10ELNS1_11target_archE1200ELNS1_3gpuE4ELNS1_3repE0EEENS1_30default_config_static_selectorELNS0_4arch9wavefront6targetE0EEEvSY_.numbered_sgpr, 0
	.set _ZN7rocprim17ROCPRIM_400000_NS6detail17trampoline_kernelINS0_14default_configENS1_29binary_search_config_selectorItiEEZNS1_14transform_implILb0ES3_S5_N6thrust23THRUST_200600_302600_NS6detail15normal_iteratorINS8_7pointerItNS8_11hip_rocprim5par_tENS8_11use_defaultESE_EEEENSA_INSB_IiSD_SE_SE_EEEEZNS1_13binary_searchIS3_S5_NSA_INS8_10device_ptrItEEEESG_SI_NS1_16binary_search_opENS9_16wrapped_functionINS8_6system6detail7generic6detail18binary_search_lessEbEEEE10hipError_tPvRmT1_T2_T3_mmT4_T5_P12ihipStream_tbEUlRKtE_EESV_SZ_S10_mS11_S14_bEUlT_E_NS1_11comp_targetILNS1_3genE10ELNS1_11target_archE1200ELNS1_3gpuE4ELNS1_3repE0EEENS1_30default_config_static_selectorELNS0_4arch9wavefront6targetE0EEEvSY_.num_named_barrier, 0
	.set _ZN7rocprim17ROCPRIM_400000_NS6detail17trampoline_kernelINS0_14default_configENS1_29binary_search_config_selectorItiEEZNS1_14transform_implILb0ES3_S5_N6thrust23THRUST_200600_302600_NS6detail15normal_iteratorINS8_7pointerItNS8_11hip_rocprim5par_tENS8_11use_defaultESE_EEEENSA_INSB_IiSD_SE_SE_EEEEZNS1_13binary_searchIS3_S5_NSA_INS8_10device_ptrItEEEESG_SI_NS1_16binary_search_opENS9_16wrapped_functionINS8_6system6detail7generic6detail18binary_search_lessEbEEEE10hipError_tPvRmT1_T2_T3_mmT4_T5_P12ihipStream_tbEUlRKtE_EESV_SZ_S10_mS11_S14_bEUlT_E_NS1_11comp_targetILNS1_3genE10ELNS1_11target_archE1200ELNS1_3gpuE4ELNS1_3repE0EEENS1_30default_config_static_selectorELNS0_4arch9wavefront6targetE0EEEvSY_.private_seg_size, 0
	.set _ZN7rocprim17ROCPRIM_400000_NS6detail17trampoline_kernelINS0_14default_configENS1_29binary_search_config_selectorItiEEZNS1_14transform_implILb0ES3_S5_N6thrust23THRUST_200600_302600_NS6detail15normal_iteratorINS8_7pointerItNS8_11hip_rocprim5par_tENS8_11use_defaultESE_EEEENSA_INSB_IiSD_SE_SE_EEEEZNS1_13binary_searchIS3_S5_NSA_INS8_10device_ptrItEEEESG_SI_NS1_16binary_search_opENS9_16wrapped_functionINS8_6system6detail7generic6detail18binary_search_lessEbEEEE10hipError_tPvRmT1_T2_T3_mmT4_T5_P12ihipStream_tbEUlRKtE_EESV_SZ_S10_mS11_S14_bEUlT_E_NS1_11comp_targetILNS1_3genE10ELNS1_11target_archE1200ELNS1_3gpuE4ELNS1_3repE0EEENS1_30default_config_static_selectorELNS0_4arch9wavefront6targetE0EEEvSY_.uses_vcc, 0
	.set _ZN7rocprim17ROCPRIM_400000_NS6detail17trampoline_kernelINS0_14default_configENS1_29binary_search_config_selectorItiEEZNS1_14transform_implILb0ES3_S5_N6thrust23THRUST_200600_302600_NS6detail15normal_iteratorINS8_7pointerItNS8_11hip_rocprim5par_tENS8_11use_defaultESE_EEEENSA_INSB_IiSD_SE_SE_EEEEZNS1_13binary_searchIS3_S5_NSA_INS8_10device_ptrItEEEESG_SI_NS1_16binary_search_opENS9_16wrapped_functionINS8_6system6detail7generic6detail18binary_search_lessEbEEEE10hipError_tPvRmT1_T2_T3_mmT4_T5_P12ihipStream_tbEUlRKtE_EESV_SZ_S10_mS11_S14_bEUlT_E_NS1_11comp_targetILNS1_3genE10ELNS1_11target_archE1200ELNS1_3gpuE4ELNS1_3repE0EEENS1_30default_config_static_selectorELNS0_4arch9wavefront6targetE0EEEvSY_.uses_flat_scratch, 0
	.set _ZN7rocprim17ROCPRIM_400000_NS6detail17trampoline_kernelINS0_14default_configENS1_29binary_search_config_selectorItiEEZNS1_14transform_implILb0ES3_S5_N6thrust23THRUST_200600_302600_NS6detail15normal_iteratorINS8_7pointerItNS8_11hip_rocprim5par_tENS8_11use_defaultESE_EEEENSA_INSB_IiSD_SE_SE_EEEEZNS1_13binary_searchIS3_S5_NSA_INS8_10device_ptrItEEEESG_SI_NS1_16binary_search_opENS9_16wrapped_functionINS8_6system6detail7generic6detail18binary_search_lessEbEEEE10hipError_tPvRmT1_T2_T3_mmT4_T5_P12ihipStream_tbEUlRKtE_EESV_SZ_S10_mS11_S14_bEUlT_E_NS1_11comp_targetILNS1_3genE10ELNS1_11target_archE1200ELNS1_3gpuE4ELNS1_3repE0EEENS1_30default_config_static_selectorELNS0_4arch9wavefront6targetE0EEEvSY_.has_dyn_sized_stack, 0
	.set _ZN7rocprim17ROCPRIM_400000_NS6detail17trampoline_kernelINS0_14default_configENS1_29binary_search_config_selectorItiEEZNS1_14transform_implILb0ES3_S5_N6thrust23THRUST_200600_302600_NS6detail15normal_iteratorINS8_7pointerItNS8_11hip_rocprim5par_tENS8_11use_defaultESE_EEEENSA_INSB_IiSD_SE_SE_EEEEZNS1_13binary_searchIS3_S5_NSA_INS8_10device_ptrItEEEESG_SI_NS1_16binary_search_opENS9_16wrapped_functionINS8_6system6detail7generic6detail18binary_search_lessEbEEEE10hipError_tPvRmT1_T2_T3_mmT4_T5_P12ihipStream_tbEUlRKtE_EESV_SZ_S10_mS11_S14_bEUlT_E_NS1_11comp_targetILNS1_3genE10ELNS1_11target_archE1200ELNS1_3gpuE4ELNS1_3repE0EEENS1_30default_config_static_selectorELNS0_4arch9wavefront6targetE0EEEvSY_.has_recursion, 0
	.set _ZN7rocprim17ROCPRIM_400000_NS6detail17trampoline_kernelINS0_14default_configENS1_29binary_search_config_selectorItiEEZNS1_14transform_implILb0ES3_S5_N6thrust23THRUST_200600_302600_NS6detail15normal_iteratorINS8_7pointerItNS8_11hip_rocprim5par_tENS8_11use_defaultESE_EEEENSA_INSB_IiSD_SE_SE_EEEEZNS1_13binary_searchIS3_S5_NSA_INS8_10device_ptrItEEEESG_SI_NS1_16binary_search_opENS9_16wrapped_functionINS8_6system6detail7generic6detail18binary_search_lessEbEEEE10hipError_tPvRmT1_T2_T3_mmT4_T5_P12ihipStream_tbEUlRKtE_EESV_SZ_S10_mS11_S14_bEUlT_E_NS1_11comp_targetILNS1_3genE10ELNS1_11target_archE1200ELNS1_3gpuE4ELNS1_3repE0EEENS1_30default_config_static_selectorELNS0_4arch9wavefront6targetE0EEEvSY_.has_indirect_call, 0
	.section	.AMDGPU.csdata,"",@progbits
; Kernel info:
; codeLenInByte = 0
; TotalNumSgprs: 0
; NumVgprs: 0
; ScratchSize: 0
; MemoryBound: 0
; FloatMode: 240
; IeeeMode: 1
; LDSByteSize: 0 bytes/workgroup (compile time only)
; SGPRBlocks: 0
; VGPRBlocks: 0
; NumSGPRsForWavesPerEU: 1
; NumVGPRsForWavesPerEU: 1
; Occupancy: 16
; WaveLimiterHint : 0
; COMPUTE_PGM_RSRC2:SCRATCH_EN: 0
; COMPUTE_PGM_RSRC2:USER_SGPR: 6
; COMPUTE_PGM_RSRC2:TRAP_HANDLER: 0
; COMPUTE_PGM_RSRC2:TGID_X_EN: 1
; COMPUTE_PGM_RSRC2:TGID_Y_EN: 0
; COMPUTE_PGM_RSRC2:TGID_Z_EN: 0
; COMPUTE_PGM_RSRC2:TIDIG_COMP_CNT: 0
	.section	.text._ZN7rocprim17ROCPRIM_400000_NS6detail17trampoline_kernelINS0_14default_configENS1_29binary_search_config_selectorItiEEZNS1_14transform_implILb0ES3_S5_N6thrust23THRUST_200600_302600_NS6detail15normal_iteratorINS8_7pointerItNS8_11hip_rocprim5par_tENS8_11use_defaultESE_EEEENSA_INSB_IiSD_SE_SE_EEEEZNS1_13binary_searchIS3_S5_NSA_INS8_10device_ptrItEEEESG_SI_NS1_16binary_search_opENS9_16wrapped_functionINS8_6system6detail7generic6detail18binary_search_lessEbEEEE10hipError_tPvRmT1_T2_T3_mmT4_T5_P12ihipStream_tbEUlRKtE_EESV_SZ_S10_mS11_S14_bEUlT_E_NS1_11comp_targetILNS1_3genE9ELNS1_11target_archE1100ELNS1_3gpuE3ELNS1_3repE0EEENS1_30default_config_static_selectorELNS0_4arch9wavefront6targetE0EEEvSY_,"axG",@progbits,_ZN7rocprim17ROCPRIM_400000_NS6detail17trampoline_kernelINS0_14default_configENS1_29binary_search_config_selectorItiEEZNS1_14transform_implILb0ES3_S5_N6thrust23THRUST_200600_302600_NS6detail15normal_iteratorINS8_7pointerItNS8_11hip_rocprim5par_tENS8_11use_defaultESE_EEEENSA_INSB_IiSD_SE_SE_EEEEZNS1_13binary_searchIS3_S5_NSA_INS8_10device_ptrItEEEESG_SI_NS1_16binary_search_opENS9_16wrapped_functionINS8_6system6detail7generic6detail18binary_search_lessEbEEEE10hipError_tPvRmT1_T2_T3_mmT4_T5_P12ihipStream_tbEUlRKtE_EESV_SZ_S10_mS11_S14_bEUlT_E_NS1_11comp_targetILNS1_3genE9ELNS1_11target_archE1100ELNS1_3gpuE3ELNS1_3repE0EEENS1_30default_config_static_selectorELNS0_4arch9wavefront6targetE0EEEvSY_,comdat
	.protected	_ZN7rocprim17ROCPRIM_400000_NS6detail17trampoline_kernelINS0_14default_configENS1_29binary_search_config_selectorItiEEZNS1_14transform_implILb0ES3_S5_N6thrust23THRUST_200600_302600_NS6detail15normal_iteratorINS8_7pointerItNS8_11hip_rocprim5par_tENS8_11use_defaultESE_EEEENSA_INSB_IiSD_SE_SE_EEEEZNS1_13binary_searchIS3_S5_NSA_INS8_10device_ptrItEEEESG_SI_NS1_16binary_search_opENS9_16wrapped_functionINS8_6system6detail7generic6detail18binary_search_lessEbEEEE10hipError_tPvRmT1_T2_T3_mmT4_T5_P12ihipStream_tbEUlRKtE_EESV_SZ_S10_mS11_S14_bEUlT_E_NS1_11comp_targetILNS1_3genE9ELNS1_11target_archE1100ELNS1_3gpuE3ELNS1_3repE0EEENS1_30default_config_static_selectorELNS0_4arch9wavefront6targetE0EEEvSY_ ; -- Begin function _ZN7rocprim17ROCPRIM_400000_NS6detail17trampoline_kernelINS0_14default_configENS1_29binary_search_config_selectorItiEEZNS1_14transform_implILb0ES3_S5_N6thrust23THRUST_200600_302600_NS6detail15normal_iteratorINS8_7pointerItNS8_11hip_rocprim5par_tENS8_11use_defaultESE_EEEENSA_INSB_IiSD_SE_SE_EEEEZNS1_13binary_searchIS3_S5_NSA_INS8_10device_ptrItEEEESG_SI_NS1_16binary_search_opENS9_16wrapped_functionINS8_6system6detail7generic6detail18binary_search_lessEbEEEE10hipError_tPvRmT1_T2_T3_mmT4_T5_P12ihipStream_tbEUlRKtE_EESV_SZ_S10_mS11_S14_bEUlT_E_NS1_11comp_targetILNS1_3genE9ELNS1_11target_archE1100ELNS1_3gpuE3ELNS1_3repE0EEENS1_30default_config_static_selectorELNS0_4arch9wavefront6targetE0EEEvSY_
	.globl	_ZN7rocprim17ROCPRIM_400000_NS6detail17trampoline_kernelINS0_14default_configENS1_29binary_search_config_selectorItiEEZNS1_14transform_implILb0ES3_S5_N6thrust23THRUST_200600_302600_NS6detail15normal_iteratorINS8_7pointerItNS8_11hip_rocprim5par_tENS8_11use_defaultESE_EEEENSA_INSB_IiSD_SE_SE_EEEEZNS1_13binary_searchIS3_S5_NSA_INS8_10device_ptrItEEEESG_SI_NS1_16binary_search_opENS9_16wrapped_functionINS8_6system6detail7generic6detail18binary_search_lessEbEEEE10hipError_tPvRmT1_T2_T3_mmT4_T5_P12ihipStream_tbEUlRKtE_EESV_SZ_S10_mS11_S14_bEUlT_E_NS1_11comp_targetILNS1_3genE9ELNS1_11target_archE1100ELNS1_3gpuE3ELNS1_3repE0EEENS1_30default_config_static_selectorELNS0_4arch9wavefront6targetE0EEEvSY_
	.p2align	8
	.type	_ZN7rocprim17ROCPRIM_400000_NS6detail17trampoline_kernelINS0_14default_configENS1_29binary_search_config_selectorItiEEZNS1_14transform_implILb0ES3_S5_N6thrust23THRUST_200600_302600_NS6detail15normal_iteratorINS8_7pointerItNS8_11hip_rocprim5par_tENS8_11use_defaultESE_EEEENSA_INSB_IiSD_SE_SE_EEEEZNS1_13binary_searchIS3_S5_NSA_INS8_10device_ptrItEEEESG_SI_NS1_16binary_search_opENS9_16wrapped_functionINS8_6system6detail7generic6detail18binary_search_lessEbEEEE10hipError_tPvRmT1_T2_T3_mmT4_T5_P12ihipStream_tbEUlRKtE_EESV_SZ_S10_mS11_S14_bEUlT_E_NS1_11comp_targetILNS1_3genE9ELNS1_11target_archE1100ELNS1_3gpuE3ELNS1_3repE0EEENS1_30default_config_static_selectorELNS0_4arch9wavefront6targetE0EEEvSY_,@function
_ZN7rocprim17ROCPRIM_400000_NS6detail17trampoline_kernelINS0_14default_configENS1_29binary_search_config_selectorItiEEZNS1_14transform_implILb0ES3_S5_N6thrust23THRUST_200600_302600_NS6detail15normal_iteratorINS8_7pointerItNS8_11hip_rocprim5par_tENS8_11use_defaultESE_EEEENSA_INSB_IiSD_SE_SE_EEEEZNS1_13binary_searchIS3_S5_NSA_INS8_10device_ptrItEEEESG_SI_NS1_16binary_search_opENS9_16wrapped_functionINS8_6system6detail7generic6detail18binary_search_lessEbEEEE10hipError_tPvRmT1_T2_T3_mmT4_T5_P12ihipStream_tbEUlRKtE_EESV_SZ_S10_mS11_S14_bEUlT_E_NS1_11comp_targetILNS1_3genE9ELNS1_11target_archE1100ELNS1_3gpuE3ELNS1_3repE0EEENS1_30default_config_static_selectorELNS0_4arch9wavefront6targetE0EEEvSY_: ; @_ZN7rocprim17ROCPRIM_400000_NS6detail17trampoline_kernelINS0_14default_configENS1_29binary_search_config_selectorItiEEZNS1_14transform_implILb0ES3_S5_N6thrust23THRUST_200600_302600_NS6detail15normal_iteratorINS8_7pointerItNS8_11hip_rocprim5par_tENS8_11use_defaultESE_EEEENSA_INSB_IiSD_SE_SE_EEEEZNS1_13binary_searchIS3_S5_NSA_INS8_10device_ptrItEEEESG_SI_NS1_16binary_search_opENS9_16wrapped_functionINS8_6system6detail7generic6detail18binary_search_lessEbEEEE10hipError_tPvRmT1_T2_T3_mmT4_T5_P12ihipStream_tbEUlRKtE_EESV_SZ_S10_mS11_S14_bEUlT_E_NS1_11comp_targetILNS1_3genE9ELNS1_11target_archE1100ELNS1_3gpuE3ELNS1_3repE0EEENS1_30default_config_static_selectorELNS0_4arch9wavefront6targetE0EEEvSY_
; %bb.0:
	.section	.rodata,"a",@progbits
	.p2align	6, 0x0
	.amdhsa_kernel _ZN7rocprim17ROCPRIM_400000_NS6detail17trampoline_kernelINS0_14default_configENS1_29binary_search_config_selectorItiEEZNS1_14transform_implILb0ES3_S5_N6thrust23THRUST_200600_302600_NS6detail15normal_iteratorINS8_7pointerItNS8_11hip_rocprim5par_tENS8_11use_defaultESE_EEEENSA_INSB_IiSD_SE_SE_EEEEZNS1_13binary_searchIS3_S5_NSA_INS8_10device_ptrItEEEESG_SI_NS1_16binary_search_opENS9_16wrapped_functionINS8_6system6detail7generic6detail18binary_search_lessEbEEEE10hipError_tPvRmT1_T2_T3_mmT4_T5_P12ihipStream_tbEUlRKtE_EESV_SZ_S10_mS11_S14_bEUlT_E_NS1_11comp_targetILNS1_3genE9ELNS1_11target_archE1100ELNS1_3gpuE3ELNS1_3repE0EEENS1_30default_config_static_selectorELNS0_4arch9wavefront6targetE0EEEvSY_
		.amdhsa_group_segment_fixed_size 0
		.amdhsa_private_segment_fixed_size 0
		.amdhsa_kernarg_size 56
		.amdhsa_user_sgpr_count 6
		.amdhsa_user_sgpr_private_segment_buffer 1
		.amdhsa_user_sgpr_dispatch_ptr 0
		.amdhsa_user_sgpr_queue_ptr 0
		.amdhsa_user_sgpr_kernarg_segment_ptr 1
		.amdhsa_user_sgpr_dispatch_id 0
		.amdhsa_user_sgpr_flat_scratch_init 0
		.amdhsa_user_sgpr_private_segment_size 0
		.amdhsa_wavefront_size32 1
		.amdhsa_uses_dynamic_stack 0
		.amdhsa_system_sgpr_private_segment_wavefront_offset 0
		.amdhsa_system_sgpr_workgroup_id_x 1
		.amdhsa_system_sgpr_workgroup_id_y 0
		.amdhsa_system_sgpr_workgroup_id_z 0
		.amdhsa_system_sgpr_workgroup_info 0
		.amdhsa_system_vgpr_workitem_id 0
		.amdhsa_next_free_vgpr 1
		.amdhsa_next_free_sgpr 1
		.amdhsa_reserve_vcc 0
		.amdhsa_reserve_flat_scratch 0
		.amdhsa_float_round_mode_32 0
		.amdhsa_float_round_mode_16_64 0
		.amdhsa_float_denorm_mode_32 3
		.amdhsa_float_denorm_mode_16_64 3
		.amdhsa_dx10_clamp 1
		.amdhsa_ieee_mode 1
		.amdhsa_fp16_overflow 0
		.amdhsa_workgroup_processor_mode 1
		.amdhsa_memory_ordered 1
		.amdhsa_forward_progress 1
		.amdhsa_shared_vgpr_count 0
		.amdhsa_exception_fp_ieee_invalid_op 0
		.amdhsa_exception_fp_denorm_src 0
		.amdhsa_exception_fp_ieee_div_zero 0
		.amdhsa_exception_fp_ieee_overflow 0
		.amdhsa_exception_fp_ieee_underflow 0
		.amdhsa_exception_fp_ieee_inexact 0
		.amdhsa_exception_int_div_zero 0
	.end_amdhsa_kernel
	.section	.text._ZN7rocprim17ROCPRIM_400000_NS6detail17trampoline_kernelINS0_14default_configENS1_29binary_search_config_selectorItiEEZNS1_14transform_implILb0ES3_S5_N6thrust23THRUST_200600_302600_NS6detail15normal_iteratorINS8_7pointerItNS8_11hip_rocprim5par_tENS8_11use_defaultESE_EEEENSA_INSB_IiSD_SE_SE_EEEEZNS1_13binary_searchIS3_S5_NSA_INS8_10device_ptrItEEEESG_SI_NS1_16binary_search_opENS9_16wrapped_functionINS8_6system6detail7generic6detail18binary_search_lessEbEEEE10hipError_tPvRmT1_T2_T3_mmT4_T5_P12ihipStream_tbEUlRKtE_EESV_SZ_S10_mS11_S14_bEUlT_E_NS1_11comp_targetILNS1_3genE9ELNS1_11target_archE1100ELNS1_3gpuE3ELNS1_3repE0EEENS1_30default_config_static_selectorELNS0_4arch9wavefront6targetE0EEEvSY_,"axG",@progbits,_ZN7rocprim17ROCPRIM_400000_NS6detail17trampoline_kernelINS0_14default_configENS1_29binary_search_config_selectorItiEEZNS1_14transform_implILb0ES3_S5_N6thrust23THRUST_200600_302600_NS6detail15normal_iteratorINS8_7pointerItNS8_11hip_rocprim5par_tENS8_11use_defaultESE_EEEENSA_INSB_IiSD_SE_SE_EEEEZNS1_13binary_searchIS3_S5_NSA_INS8_10device_ptrItEEEESG_SI_NS1_16binary_search_opENS9_16wrapped_functionINS8_6system6detail7generic6detail18binary_search_lessEbEEEE10hipError_tPvRmT1_T2_T3_mmT4_T5_P12ihipStream_tbEUlRKtE_EESV_SZ_S10_mS11_S14_bEUlT_E_NS1_11comp_targetILNS1_3genE9ELNS1_11target_archE1100ELNS1_3gpuE3ELNS1_3repE0EEENS1_30default_config_static_selectorELNS0_4arch9wavefront6targetE0EEEvSY_,comdat
.Lfunc_end687:
	.size	_ZN7rocprim17ROCPRIM_400000_NS6detail17trampoline_kernelINS0_14default_configENS1_29binary_search_config_selectorItiEEZNS1_14transform_implILb0ES3_S5_N6thrust23THRUST_200600_302600_NS6detail15normal_iteratorINS8_7pointerItNS8_11hip_rocprim5par_tENS8_11use_defaultESE_EEEENSA_INSB_IiSD_SE_SE_EEEEZNS1_13binary_searchIS3_S5_NSA_INS8_10device_ptrItEEEESG_SI_NS1_16binary_search_opENS9_16wrapped_functionINS8_6system6detail7generic6detail18binary_search_lessEbEEEE10hipError_tPvRmT1_T2_T3_mmT4_T5_P12ihipStream_tbEUlRKtE_EESV_SZ_S10_mS11_S14_bEUlT_E_NS1_11comp_targetILNS1_3genE9ELNS1_11target_archE1100ELNS1_3gpuE3ELNS1_3repE0EEENS1_30default_config_static_selectorELNS0_4arch9wavefront6targetE0EEEvSY_, .Lfunc_end687-_ZN7rocprim17ROCPRIM_400000_NS6detail17trampoline_kernelINS0_14default_configENS1_29binary_search_config_selectorItiEEZNS1_14transform_implILb0ES3_S5_N6thrust23THRUST_200600_302600_NS6detail15normal_iteratorINS8_7pointerItNS8_11hip_rocprim5par_tENS8_11use_defaultESE_EEEENSA_INSB_IiSD_SE_SE_EEEEZNS1_13binary_searchIS3_S5_NSA_INS8_10device_ptrItEEEESG_SI_NS1_16binary_search_opENS9_16wrapped_functionINS8_6system6detail7generic6detail18binary_search_lessEbEEEE10hipError_tPvRmT1_T2_T3_mmT4_T5_P12ihipStream_tbEUlRKtE_EESV_SZ_S10_mS11_S14_bEUlT_E_NS1_11comp_targetILNS1_3genE9ELNS1_11target_archE1100ELNS1_3gpuE3ELNS1_3repE0EEENS1_30default_config_static_selectorELNS0_4arch9wavefront6targetE0EEEvSY_
                                        ; -- End function
	.set _ZN7rocprim17ROCPRIM_400000_NS6detail17trampoline_kernelINS0_14default_configENS1_29binary_search_config_selectorItiEEZNS1_14transform_implILb0ES3_S5_N6thrust23THRUST_200600_302600_NS6detail15normal_iteratorINS8_7pointerItNS8_11hip_rocprim5par_tENS8_11use_defaultESE_EEEENSA_INSB_IiSD_SE_SE_EEEEZNS1_13binary_searchIS3_S5_NSA_INS8_10device_ptrItEEEESG_SI_NS1_16binary_search_opENS9_16wrapped_functionINS8_6system6detail7generic6detail18binary_search_lessEbEEEE10hipError_tPvRmT1_T2_T3_mmT4_T5_P12ihipStream_tbEUlRKtE_EESV_SZ_S10_mS11_S14_bEUlT_E_NS1_11comp_targetILNS1_3genE9ELNS1_11target_archE1100ELNS1_3gpuE3ELNS1_3repE0EEENS1_30default_config_static_selectorELNS0_4arch9wavefront6targetE0EEEvSY_.num_vgpr, 0
	.set _ZN7rocprim17ROCPRIM_400000_NS6detail17trampoline_kernelINS0_14default_configENS1_29binary_search_config_selectorItiEEZNS1_14transform_implILb0ES3_S5_N6thrust23THRUST_200600_302600_NS6detail15normal_iteratorINS8_7pointerItNS8_11hip_rocprim5par_tENS8_11use_defaultESE_EEEENSA_INSB_IiSD_SE_SE_EEEEZNS1_13binary_searchIS3_S5_NSA_INS8_10device_ptrItEEEESG_SI_NS1_16binary_search_opENS9_16wrapped_functionINS8_6system6detail7generic6detail18binary_search_lessEbEEEE10hipError_tPvRmT1_T2_T3_mmT4_T5_P12ihipStream_tbEUlRKtE_EESV_SZ_S10_mS11_S14_bEUlT_E_NS1_11comp_targetILNS1_3genE9ELNS1_11target_archE1100ELNS1_3gpuE3ELNS1_3repE0EEENS1_30default_config_static_selectorELNS0_4arch9wavefront6targetE0EEEvSY_.num_agpr, 0
	.set _ZN7rocprim17ROCPRIM_400000_NS6detail17trampoline_kernelINS0_14default_configENS1_29binary_search_config_selectorItiEEZNS1_14transform_implILb0ES3_S5_N6thrust23THRUST_200600_302600_NS6detail15normal_iteratorINS8_7pointerItNS8_11hip_rocprim5par_tENS8_11use_defaultESE_EEEENSA_INSB_IiSD_SE_SE_EEEEZNS1_13binary_searchIS3_S5_NSA_INS8_10device_ptrItEEEESG_SI_NS1_16binary_search_opENS9_16wrapped_functionINS8_6system6detail7generic6detail18binary_search_lessEbEEEE10hipError_tPvRmT1_T2_T3_mmT4_T5_P12ihipStream_tbEUlRKtE_EESV_SZ_S10_mS11_S14_bEUlT_E_NS1_11comp_targetILNS1_3genE9ELNS1_11target_archE1100ELNS1_3gpuE3ELNS1_3repE0EEENS1_30default_config_static_selectorELNS0_4arch9wavefront6targetE0EEEvSY_.numbered_sgpr, 0
	.set _ZN7rocprim17ROCPRIM_400000_NS6detail17trampoline_kernelINS0_14default_configENS1_29binary_search_config_selectorItiEEZNS1_14transform_implILb0ES3_S5_N6thrust23THRUST_200600_302600_NS6detail15normal_iteratorINS8_7pointerItNS8_11hip_rocprim5par_tENS8_11use_defaultESE_EEEENSA_INSB_IiSD_SE_SE_EEEEZNS1_13binary_searchIS3_S5_NSA_INS8_10device_ptrItEEEESG_SI_NS1_16binary_search_opENS9_16wrapped_functionINS8_6system6detail7generic6detail18binary_search_lessEbEEEE10hipError_tPvRmT1_T2_T3_mmT4_T5_P12ihipStream_tbEUlRKtE_EESV_SZ_S10_mS11_S14_bEUlT_E_NS1_11comp_targetILNS1_3genE9ELNS1_11target_archE1100ELNS1_3gpuE3ELNS1_3repE0EEENS1_30default_config_static_selectorELNS0_4arch9wavefront6targetE0EEEvSY_.num_named_barrier, 0
	.set _ZN7rocprim17ROCPRIM_400000_NS6detail17trampoline_kernelINS0_14default_configENS1_29binary_search_config_selectorItiEEZNS1_14transform_implILb0ES3_S5_N6thrust23THRUST_200600_302600_NS6detail15normal_iteratorINS8_7pointerItNS8_11hip_rocprim5par_tENS8_11use_defaultESE_EEEENSA_INSB_IiSD_SE_SE_EEEEZNS1_13binary_searchIS3_S5_NSA_INS8_10device_ptrItEEEESG_SI_NS1_16binary_search_opENS9_16wrapped_functionINS8_6system6detail7generic6detail18binary_search_lessEbEEEE10hipError_tPvRmT1_T2_T3_mmT4_T5_P12ihipStream_tbEUlRKtE_EESV_SZ_S10_mS11_S14_bEUlT_E_NS1_11comp_targetILNS1_3genE9ELNS1_11target_archE1100ELNS1_3gpuE3ELNS1_3repE0EEENS1_30default_config_static_selectorELNS0_4arch9wavefront6targetE0EEEvSY_.private_seg_size, 0
	.set _ZN7rocprim17ROCPRIM_400000_NS6detail17trampoline_kernelINS0_14default_configENS1_29binary_search_config_selectorItiEEZNS1_14transform_implILb0ES3_S5_N6thrust23THRUST_200600_302600_NS6detail15normal_iteratorINS8_7pointerItNS8_11hip_rocprim5par_tENS8_11use_defaultESE_EEEENSA_INSB_IiSD_SE_SE_EEEEZNS1_13binary_searchIS3_S5_NSA_INS8_10device_ptrItEEEESG_SI_NS1_16binary_search_opENS9_16wrapped_functionINS8_6system6detail7generic6detail18binary_search_lessEbEEEE10hipError_tPvRmT1_T2_T3_mmT4_T5_P12ihipStream_tbEUlRKtE_EESV_SZ_S10_mS11_S14_bEUlT_E_NS1_11comp_targetILNS1_3genE9ELNS1_11target_archE1100ELNS1_3gpuE3ELNS1_3repE0EEENS1_30default_config_static_selectorELNS0_4arch9wavefront6targetE0EEEvSY_.uses_vcc, 0
	.set _ZN7rocprim17ROCPRIM_400000_NS6detail17trampoline_kernelINS0_14default_configENS1_29binary_search_config_selectorItiEEZNS1_14transform_implILb0ES3_S5_N6thrust23THRUST_200600_302600_NS6detail15normal_iteratorINS8_7pointerItNS8_11hip_rocprim5par_tENS8_11use_defaultESE_EEEENSA_INSB_IiSD_SE_SE_EEEEZNS1_13binary_searchIS3_S5_NSA_INS8_10device_ptrItEEEESG_SI_NS1_16binary_search_opENS9_16wrapped_functionINS8_6system6detail7generic6detail18binary_search_lessEbEEEE10hipError_tPvRmT1_T2_T3_mmT4_T5_P12ihipStream_tbEUlRKtE_EESV_SZ_S10_mS11_S14_bEUlT_E_NS1_11comp_targetILNS1_3genE9ELNS1_11target_archE1100ELNS1_3gpuE3ELNS1_3repE0EEENS1_30default_config_static_selectorELNS0_4arch9wavefront6targetE0EEEvSY_.uses_flat_scratch, 0
	.set _ZN7rocprim17ROCPRIM_400000_NS6detail17trampoline_kernelINS0_14default_configENS1_29binary_search_config_selectorItiEEZNS1_14transform_implILb0ES3_S5_N6thrust23THRUST_200600_302600_NS6detail15normal_iteratorINS8_7pointerItNS8_11hip_rocprim5par_tENS8_11use_defaultESE_EEEENSA_INSB_IiSD_SE_SE_EEEEZNS1_13binary_searchIS3_S5_NSA_INS8_10device_ptrItEEEESG_SI_NS1_16binary_search_opENS9_16wrapped_functionINS8_6system6detail7generic6detail18binary_search_lessEbEEEE10hipError_tPvRmT1_T2_T3_mmT4_T5_P12ihipStream_tbEUlRKtE_EESV_SZ_S10_mS11_S14_bEUlT_E_NS1_11comp_targetILNS1_3genE9ELNS1_11target_archE1100ELNS1_3gpuE3ELNS1_3repE0EEENS1_30default_config_static_selectorELNS0_4arch9wavefront6targetE0EEEvSY_.has_dyn_sized_stack, 0
	.set _ZN7rocprim17ROCPRIM_400000_NS6detail17trampoline_kernelINS0_14default_configENS1_29binary_search_config_selectorItiEEZNS1_14transform_implILb0ES3_S5_N6thrust23THRUST_200600_302600_NS6detail15normal_iteratorINS8_7pointerItNS8_11hip_rocprim5par_tENS8_11use_defaultESE_EEEENSA_INSB_IiSD_SE_SE_EEEEZNS1_13binary_searchIS3_S5_NSA_INS8_10device_ptrItEEEESG_SI_NS1_16binary_search_opENS9_16wrapped_functionINS8_6system6detail7generic6detail18binary_search_lessEbEEEE10hipError_tPvRmT1_T2_T3_mmT4_T5_P12ihipStream_tbEUlRKtE_EESV_SZ_S10_mS11_S14_bEUlT_E_NS1_11comp_targetILNS1_3genE9ELNS1_11target_archE1100ELNS1_3gpuE3ELNS1_3repE0EEENS1_30default_config_static_selectorELNS0_4arch9wavefront6targetE0EEEvSY_.has_recursion, 0
	.set _ZN7rocprim17ROCPRIM_400000_NS6detail17trampoline_kernelINS0_14default_configENS1_29binary_search_config_selectorItiEEZNS1_14transform_implILb0ES3_S5_N6thrust23THRUST_200600_302600_NS6detail15normal_iteratorINS8_7pointerItNS8_11hip_rocprim5par_tENS8_11use_defaultESE_EEEENSA_INSB_IiSD_SE_SE_EEEEZNS1_13binary_searchIS3_S5_NSA_INS8_10device_ptrItEEEESG_SI_NS1_16binary_search_opENS9_16wrapped_functionINS8_6system6detail7generic6detail18binary_search_lessEbEEEE10hipError_tPvRmT1_T2_T3_mmT4_T5_P12ihipStream_tbEUlRKtE_EESV_SZ_S10_mS11_S14_bEUlT_E_NS1_11comp_targetILNS1_3genE9ELNS1_11target_archE1100ELNS1_3gpuE3ELNS1_3repE0EEENS1_30default_config_static_selectorELNS0_4arch9wavefront6targetE0EEEvSY_.has_indirect_call, 0
	.section	.AMDGPU.csdata,"",@progbits
; Kernel info:
; codeLenInByte = 0
; TotalNumSgprs: 0
; NumVgprs: 0
; ScratchSize: 0
; MemoryBound: 0
; FloatMode: 240
; IeeeMode: 1
; LDSByteSize: 0 bytes/workgroup (compile time only)
; SGPRBlocks: 0
; VGPRBlocks: 0
; NumSGPRsForWavesPerEU: 1
; NumVGPRsForWavesPerEU: 1
; Occupancy: 16
; WaveLimiterHint : 0
; COMPUTE_PGM_RSRC2:SCRATCH_EN: 0
; COMPUTE_PGM_RSRC2:USER_SGPR: 6
; COMPUTE_PGM_RSRC2:TRAP_HANDLER: 0
; COMPUTE_PGM_RSRC2:TGID_X_EN: 1
; COMPUTE_PGM_RSRC2:TGID_Y_EN: 0
; COMPUTE_PGM_RSRC2:TGID_Z_EN: 0
; COMPUTE_PGM_RSRC2:TIDIG_COMP_CNT: 0
	.section	.text._ZN7rocprim17ROCPRIM_400000_NS6detail17trampoline_kernelINS0_14default_configENS1_29binary_search_config_selectorItiEEZNS1_14transform_implILb0ES3_S5_N6thrust23THRUST_200600_302600_NS6detail15normal_iteratorINS8_7pointerItNS8_11hip_rocprim5par_tENS8_11use_defaultESE_EEEENSA_INSB_IiSD_SE_SE_EEEEZNS1_13binary_searchIS3_S5_NSA_INS8_10device_ptrItEEEESG_SI_NS1_16binary_search_opENS9_16wrapped_functionINS8_6system6detail7generic6detail18binary_search_lessEbEEEE10hipError_tPvRmT1_T2_T3_mmT4_T5_P12ihipStream_tbEUlRKtE_EESV_SZ_S10_mS11_S14_bEUlT_E_NS1_11comp_targetILNS1_3genE8ELNS1_11target_archE1030ELNS1_3gpuE2ELNS1_3repE0EEENS1_30default_config_static_selectorELNS0_4arch9wavefront6targetE0EEEvSY_,"axG",@progbits,_ZN7rocprim17ROCPRIM_400000_NS6detail17trampoline_kernelINS0_14default_configENS1_29binary_search_config_selectorItiEEZNS1_14transform_implILb0ES3_S5_N6thrust23THRUST_200600_302600_NS6detail15normal_iteratorINS8_7pointerItNS8_11hip_rocprim5par_tENS8_11use_defaultESE_EEEENSA_INSB_IiSD_SE_SE_EEEEZNS1_13binary_searchIS3_S5_NSA_INS8_10device_ptrItEEEESG_SI_NS1_16binary_search_opENS9_16wrapped_functionINS8_6system6detail7generic6detail18binary_search_lessEbEEEE10hipError_tPvRmT1_T2_T3_mmT4_T5_P12ihipStream_tbEUlRKtE_EESV_SZ_S10_mS11_S14_bEUlT_E_NS1_11comp_targetILNS1_3genE8ELNS1_11target_archE1030ELNS1_3gpuE2ELNS1_3repE0EEENS1_30default_config_static_selectorELNS0_4arch9wavefront6targetE0EEEvSY_,comdat
	.protected	_ZN7rocprim17ROCPRIM_400000_NS6detail17trampoline_kernelINS0_14default_configENS1_29binary_search_config_selectorItiEEZNS1_14transform_implILb0ES3_S5_N6thrust23THRUST_200600_302600_NS6detail15normal_iteratorINS8_7pointerItNS8_11hip_rocprim5par_tENS8_11use_defaultESE_EEEENSA_INSB_IiSD_SE_SE_EEEEZNS1_13binary_searchIS3_S5_NSA_INS8_10device_ptrItEEEESG_SI_NS1_16binary_search_opENS9_16wrapped_functionINS8_6system6detail7generic6detail18binary_search_lessEbEEEE10hipError_tPvRmT1_T2_T3_mmT4_T5_P12ihipStream_tbEUlRKtE_EESV_SZ_S10_mS11_S14_bEUlT_E_NS1_11comp_targetILNS1_3genE8ELNS1_11target_archE1030ELNS1_3gpuE2ELNS1_3repE0EEENS1_30default_config_static_selectorELNS0_4arch9wavefront6targetE0EEEvSY_ ; -- Begin function _ZN7rocprim17ROCPRIM_400000_NS6detail17trampoline_kernelINS0_14default_configENS1_29binary_search_config_selectorItiEEZNS1_14transform_implILb0ES3_S5_N6thrust23THRUST_200600_302600_NS6detail15normal_iteratorINS8_7pointerItNS8_11hip_rocprim5par_tENS8_11use_defaultESE_EEEENSA_INSB_IiSD_SE_SE_EEEEZNS1_13binary_searchIS3_S5_NSA_INS8_10device_ptrItEEEESG_SI_NS1_16binary_search_opENS9_16wrapped_functionINS8_6system6detail7generic6detail18binary_search_lessEbEEEE10hipError_tPvRmT1_T2_T3_mmT4_T5_P12ihipStream_tbEUlRKtE_EESV_SZ_S10_mS11_S14_bEUlT_E_NS1_11comp_targetILNS1_3genE8ELNS1_11target_archE1030ELNS1_3gpuE2ELNS1_3repE0EEENS1_30default_config_static_selectorELNS0_4arch9wavefront6targetE0EEEvSY_
	.globl	_ZN7rocprim17ROCPRIM_400000_NS6detail17trampoline_kernelINS0_14default_configENS1_29binary_search_config_selectorItiEEZNS1_14transform_implILb0ES3_S5_N6thrust23THRUST_200600_302600_NS6detail15normal_iteratorINS8_7pointerItNS8_11hip_rocprim5par_tENS8_11use_defaultESE_EEEENSA_INSB_IiSD_SE_SE_EEEEZNS1_13binary_searchIS3_S5_NSA_INS8_10device_ptrItEEEESG_SI_NS1_16binary_search_opENS9_16wrapped_functionINS8_6system6detail7generic6detail18binary_search_lessEbEEEE10hipError_tPvRmT1_T2_T3_mmT4_T5_P12ihipStream_tbEUlRKtE_EESV_SZ_S10_mS11_S14_bEUlT_E_NS1_11comp_targetILNS1_3genE8ELNS1_11target_archE1030ELNS1_3gpuE2ELNS1_3repE0EEENS1_30default_config_static_selectorELNS0_4arch9wavefront6targetE0EEEvSY_
	.p2align	8
	.type	_ZN7rocprim17ROCPRIM_400000_NS6detail17trampoline_kernelINS0_14default_configENS1_29binary_search_config_selectorItiEEZNS1_14transform_implILb0ES3_S5_N6thrust23THRUST_200600_302600_NS6detail15normal_iteratorINS8_7pointerItNS8_11hip_rocprim5par_tENS8_11use_defaultESE_EEEENSA_INSB_IiSD_SE_SE_EEEEZNS1_13binary_searchIS3_S5_NSA_INS8_10device_ptrItEEEESG_SI_NS1_16binary_search_opENS9_16wrapped_functionINS8_6system6detail7generic6detail18binary_search_lessEbEEEE10hipError_tPvRmT1_T2_T3_mmT4_T5_P12ihipStream_tbEUlRKtE_EESV_SZ_S10_mS11_S14_bEUlT_E_NS1_11comp_targetILNS1_3genE8ELNS1_11target_archE1030ELNS1_3gpuE2ELNS1_3repE0EEENS1_30default_config_static_selectorELNS0_4arch9wavefront6targetE0EEEvSY_,@function
_ZN7rocprim17ROCPRIM_400000_NS6detail17trampoline_kernelINS0_14default_configENS1_29binary_search_config_selectorItiEEZNS1_14transform_implILb0ES3_S5_N6thrust23THRUST_200600_302600_NS6detail15normal_iteratorINS8_7pointerItNS8_11hip_rocprim5par_tENS8_11use_defaultESE_EEEENSA_INSB_IiSD_SE_SE_EEEEZNS1_13binary_searchIS3_S5_NSA_INS8_10device_ptrItEEEESG_SI_NS1_16binary_search_opENS9_16wrapped_functionINS8_6system6detail7generic6detail18binary_search_lessEbEEEE10hipError_tPvRmT1_T2_T3_mmT4_T5_P12ihipStream_tbEUlRKtE_EESV_SZ_S10_mS11_S14_bEUlT_E_NS1_11comp_targetILNS1_3genE8ELNS1_11target_archE1030ELNS1_3gpuE2ELNS1_3repE0EEENS1_30default_config_static_selectorELNS0_4arch9wavefront6targetE0EEEvSY_: ; @_ZN7rocprim17ROCPRIM_400000_NS6detail17trampoline_kernelINS0_14default_configENS1_29binary_search_config_selectorItiEEZNS1_14transform_implILb0ES3_S5_N6thrust23THRUST_200600_302600_NS6detail15normal_iteratorINS8_7pointerItNS8_11hip_rocprim5par_tENS8_11use_defaultESE_EEEENSA_INSB_IiSD_SE_SE_EEEEZNS1_13binary_searchIS3_S5_NSA_INS8_10device_ptrItEEEESG_SI_NS1_16binary_search_opENS9_16wrapped_functionINS8_6system6detail7generic6detail18binary_search_lessEbEEEE10hipError_tPvRmT1_T2_T3_mmT4_T5_P12ihipStream_tbEUlRKtE_EESV_SZ_S10_mS11_S14_bEUlT_E_NS1_11comp_targetILNS1_3genE8ELNS1_11target_archE1030ELNS1_3gpuE2ELNS1_3repE0EEENS1_30default_config_static_selectorELNS0_4arch9wavefront6targetE0EEEvSY_
; %bb.0:
	s_clause 0x2
	s_load_dwordx8 s[8:15], s[4:5], 0x0
	s_load_dword s2, s[4:5], 0x38
	s_load_dwordx4 s[16:19], s[4:5], 0x20
	s_mov_b32 s5, 0
	s_waitcnt lgkmcnt(0)
	s_lshl_b64 s[0:1], s[10:11], 1
	s_add_u32 s3, s8, s0
	s_addc_u32 s13, s9, s1
	s_lshl_b64 s[0:1], s[10:11], 2
	s_add_u32 s7, s14, s0
	s_addc_u32 s8, s15, s1
	s_lshl_b32 s4, s6, 9
	s_add_i32 s2, s2, -1
	s_lshl_b64 s[0:1], s[4:5], 1
	s_add_u32 s9, s3, s0
	s_addc_u32 s10, s13, s1
	s_cmp_lg_u32 s6, s2
	s_mov_b32 s0, -1
	s_cbranch_scc0 .LBB688_26
; %bb.1:
	v_lshlrev_b32_e32 v1, 1, v0
	s_cmp_lg_u64 s[18:19], 0
	v_add_co_u32 v1, s0, s9, v1
	v_add_co_ci_u32_e64 v2, null, s10, 0, s0
	s_cselect_b32 s0, -1, 0
	s_cmp_eq_u64 s[18:19], 0
	s_clause 0x3
	flat_load_ushort v8, v[1:2]
	flat_load_ushort v10, v[1:2] offset:256
	flat_load_ushort v7, v[1:2] offset:512
	;; [unrolled: 1-line block ×3, first 2 shown]
	v_mov_b32_e32 v1, 0
	v_mov_b32_e32 v2, 0
	s_cbranch_scc1 .LBB688_5
; %bb.2:
	v_mov_b32_e32 v3, s18
	v_mov_b32_e32 v4, s19
	s_mov_b32 s1, 0
	s_inst_prefetch 0x1
	.p2align	6
.LBB688_3:                              ; =>This Inner Loop Header: Depth=1
	v_sub_co_u32 v11, vcc_lo, v3, v1
	v_sub_co_ci_u32_e64 v12, null, v4, v2, vcc_lo
	v_lshrrev_b64 v[13:14], 1, v[11:12]
	v_lshrrev_b64 v[11:12], 6, v[11:12]
	v_add_co_u32 v6, vcc_lo, v13, v1
	v_add_co_ci_u32_e64 v9, null, v14, v2, vcc_lo
	v_add_co_u32 v11, vcc_lo, v6, v11
	v_add_co_ci_u32_e64 v12, null, v9, v12, vcc_lo
	v_lshlrev_b64 v[13:14], 1, v[11:12]
	v_add_co_u32 v13, vcc_lo, s16, v13
	v_add_co_ci_u32_e64 v14, null, s17, v14, vcc_lo
	v_add_co_u32 v9, vcc_lo, v11, 1
	global_load_ushort v6, v[13:14], off
	v_add_co_ci_u32_e64 v13, null, 0, v12, vcc_lo
	s_waitcnt vmcnt(0) lgkmcnt(3)
	v_cmp_lt_u16_e32 vcc_lo, v6, v8
	v_cndmask_b32_e32 v4, v12, v4, vcc_lo
	v_cndmask_b32_e32 v3, v11, v3, vcc_lo
	;; [unrolled: 1-line block ×4, first 2 shown]
	v_cmp_ge_u64_e32 vcc_lo, v[1:2], v[3:4]
	s_or_b32 s1, vcc_lo, s1
	s_andn2_b32 exec_lo, exec_lo, s1
	s_cbranch_execnz .LBB688_3
; %bb.4:
	s_inst_prefetch 0x2
	s_or_b32 exec_lo, exec_lo, s1
.LBB688_5:
	v_mov_b32_e32 v6, 0
	s_mov_b32 s1, exec_lo
	v_cmpx_ne_u64_e64 s[18:19], v[1:2]
	s_cbranch_execz .LBB688_7
; %bb.6:
	v_lshlrev_b64 v[1:2], 1, v[1:2]
	v_add_co_u32 v1, vcc_lo, s16, v1
	v_add_co_ci_u32_e64 v2, null, s17, v2, vcc_lo
	global_load_ushort v1, v[1:2], off
	s_waitcnt vmcnt(0) lgkmcnt(3)
	v_cmp_ge_u16_e32 vcc_lo, v8, v1
	v_cndmask_b32_e64 v6, 0, 1, vcc_lo
.LBB688_7:
	s_or_b32 exec_lo, exec_lo, s1
	v_mov_b32_e32 v1, 0
	v_cndmask_b32_e64 v9, 0, 1, s0
	v_mov_b32_e32 v2, 0
	s_andn2_b32 vcc_lo, exec_lo, s0
	s_cbranch_vccnz .LBB688_11
; %bb.8:
	v_mov_b32_e32 v3, s18
	v_mov_b32_e32 v4, s19
	s_mov_b32 s0, 0
	s_inst_prefetch 0x1
	.p2align	6
.LBB688_9:                              ; =>This Inner Loop Header: Depth=1
	v_sub_co_u32 v11, vcc_lo, v3, v1
	v_sub_co_ci_u32_e64 v12, null, v4, v2, vcc_lo
	v_lshrrev_b64 v[13:14], 1, v[11:12]
	v_lshrrev_b64 v[11:12], 6, v[11:12]
	s_waitcnt vmcnt(3) lgkmcnt(3)
	v_add_co_u32 v8, vcc_lo, v13, v1
	v_add_co_ci_u32_e64 v13, null, v14, v2, vcc_lo
	v_add_co_u32 v11, vcc_lo, v8, v11
	v_add_co_ci_u32_e64 v12, null, v13, v12, vcc_lo
	v_lshlrev_b64 v[13:14], 1, v[11:12]
	v_add_co_u32 v13, vcc_lo, s16, v13
	v_add_co_ci_u32_e64 v14, null, s17, v14, vcc_lo
	global_load_ushort v8, v[13:14], off
	v_add_co_u32 v13, vcc_lo, v11, 1
	v_add_co_ci_u32_e64 v14, null, 0, v12, vcc_lo
	s_waitcnt vmcnt(0) lgkmcnt(2)
	v_cmp_lt_u16_e32 vcc_lo, v8, v10
	v_cndmask_b32_e32 v4, v12, v4, vcc_lo
	v_cndmask_b32_e32 v3, v11, v3, vcc_lo
	;; [unrolled: 1-line block ×4, first 2 shown]
	v_cmp_ge_u64_e32 vcc_lo, v[1:2], v[3:4]
	s_or_b32 s0, vcc_lo, s0
	s_andn2_b32 exec_lo, exec_lo, s0
	s_cbranch_execnz .LBB688_9
; %bb.10:
	s_inst_prefetch 0x2
	s_or_b32 exec_lo, exec_lo, s0
.LBB688_11:
	s_waitcnt vmcnt(3) lgkmcnt(3)
	v_mov_b32_e32 v8, 0
	s_mov_b32 s0, exec_lo
	v_cmpx_ne_u64_e64 s[18:19], v[1:2]
	s_cbranch_execz .LBB688_13
; %bb.12:
	v_lshlrev_b64 v[1:2], 1, v[1:2]
	v_add_co_u32 v1, vcc_lo, s16, v1
	v_add_co_ci_u32_e64 v2, null, s17, v2, vcc_lo
	global_load_ushort v1, v[1:2], off
	s_waitcnt vmcnt(0) lgkmcnt(2)
	v_cmp_ge_u16_e32 vcc_lo, v10, v1
	v_cndmask_b32_e64 v8, 0, 1, vcc_lo
.LBB688_13:
	s_or_b32 exec_lo, exec_lo, s0
	v_cmp_ne_u32_e32 vcc_lo, 1, v9
	v_mov_b32_e32 v1, 0
	v_mov_b32_e32 v2, 0
	s_cbranch_vccnz .LBB688_17
; %bb.14:
	v_mov_b32_e32 v3, s18
	v_mov_b32_e32 v4, s19
	s_mov_b32 s0, 0
	s_inst_prefetch 0x1
	.p2align	6
.LBB688_15:                             ; =>This Inner Loop Header: Depth=1
	s_waitcnt vmcnt(2) lgkmcnt(2)
	v_sub_co_u32 v10, vcc_lo, v3, v1
	v_sub_co_ci_u32_e64 v11, null, v4, v2, vcc_lo
	v_lshrrev_b64 v[12:13], 1, v[10:11]
	v_lshrrev_b64 v[10:11], 6, v[10:11]
	v_add_co_u32 v12, vcc_lo, v12, v1
	v_add_co_ci_u32_e64 v13, null, v13, v2, vcc_lo
	v_add_co_u32 v10, vcc_lo, v12, v10
	v_add_co_ci_u32_e64 v11, null, v13, v11, vcc_lo
	v_lshlrev_b64 v[12:13], 1, v[10:11]
	v_add_co_u32 v12, vcc_lo, s16, v12
	v_add_co_ci_u32_e64 v13, null, s17, v13, vcc_lo
	global_load_ushort v12, v[12:13], off
	v_add_co_u32 v13, vcc_lo, v10, 1
	v_add_co_ci_u32_e64 v14, null, 0, v11, vcc_lo
	s_waitcnt vmcnt(0) lgkmcnt(1)
	v_cmp_lt_u16_e32 vcc_lo, v12, v7
	v_cndmask_b32_e32 v4, v11, v4, vcc_lo
	v_cndmask_b32_e32 v3, v10, v3, vcc_lo
	;; [unrolled: 1-line block ×4, first 2 shown]
	v_cmp_ge_u64_e32 vcc_lo, v[1:2], v[3:4]
	s_or_b32 s0, vcc_lo, s0
	s_andn2_b32 exec_lo, exec_lo, s0
	s_cbranch_execnz .LBB688_15
; %bb.16:
	s_inst_prefetch 0x2
	s_or_b32 exec_lo, exec_lo, s0
.LBB688_17:
	s_waitcnt vmcnt(2) lgkmcnt(2)
	v_mov_b32_e32 v10, 0
	s_mov_b32 s0, exec_lo
	v_cmpx_ne_u64_e64 s[18:19], v[1:2]
	s_cbranch_execz .LBB688_19
; %bb.18:
	v_lshlrev_b64 v[1:2], 1, v[1:2]
	v_add_co_u32 v1, vcc_lo, s16, v1
	v_add_co_ci_u32_e64 v2, null, s17, v2, vcc_lo
	global_load_ushort v1, v[1:2], off
	s_waitcnt vmcnt(0) lgkmcnt(1)
	v_cmp_ge_u16_e32 vcc_lo, v7, v1
	v_cndmask_b32_e64 v10, 0, 1, vcc_lo
.LBB688_19:
	s_or_b32 exec_lo, exec_lo, s0
	v_cmp_ne_u32_e32 vcc_lo, 1, v9
	v_mov_b32_e32 v1, 0
	v_mov_b32_e32 v2, 0
	s_cbranch_vccnz .LBB688_23
; %bb.20:
	v_mov_b32_e32 v3, s18
	v_mov_b32_e32 v4, s19
	s_mov_b32 s0, 0
	s_inst_prefetch 0x1
	.p2align	6
.LBB688_21:                             ; =>This Inner Loop Header: Depth=1
	v_sub_co_u32 v11, vcc_lo, v3, v1
	v_sub_co_ci_u32_e64 v12, null, v4, v2, vcc_lo
	v_lshrrev_b64 v[13:14], 1, v[11:12]
	v_lshrrev_b64 v[11:12], 6, v[11:12]
	s_waitcnt vmcnt(1) lgkmcnt(1)
	v_add_co_u32 v7, vcc_lo, v13, v1
	v_add_co_ci_u32_e64 v9, null, v14, v2, vcc_lo
	v_add_co_u32 v11, vcc_lo, v7, v11
	v_add_co_ci_u32_e64 v12, null, v9, v12, vcc_lo
	v_lshlrev_b64 v[13:14], 1, v[11:12]
	v_add_co_u32 v13, vcc_lo, s16, v13
	v_add_co_ci_u32_e64 v14, null, s17, v14, vcc_lo
	v_add_co_u32 v9, vcc_lo, v11, 1
	global_load_ushort v7, v[13:14], off
	v_add_co_ci_u32_e64 v13, null, 0, v12, vcc_lo
	s_waitcnt vmcnt(0) lgkmcnt(0)
	v_cmp_lt_u16_e32 vcc_lo, v7, v5
	v_cndmask_b32_e32 v4, v12, v4, vcc_lo
	v_cndmask_b32_e32 v3, v11, v3, vcc_lo
	;; [unrolled: 1-line block ×4, first 2 shown]
	v_cmp_ge_u64_e32 vcc_lo, v[1:2], v[3:4]
	s_or_b32 s0, vcc_lo, s0
	s_andn2_b32 exec_lo, exec_lo, s0
	s_cbranch_execnz .LBB688_21
; %bb.22:
	s_inst_prefetch 0x2
	s_or_b32 exec_lo, exec_lo, s0
.LBB688_23:
	s_waitcnt vmcnt(1) lgkmcnt(1)
	v_mov_b32_e32 v7, 0
	s_mov_b32 s0, exec_lo
	v_cmpx_ne_u64_e64 s[18:19], v[1:2]
	s_cbranch_execz .LBB688_25
; %bb.24:
	v_lshlrev_b64 v[1:2], 1, v[1:2]
	v_add_co_u32 v1, vcc_lo, s16, v1
	v_add_co_ci_u32_e64 v2, null, s17, v2, vcc_lo
	global_load_ushort v1, v[1:2], off
	s_waitcnt vmcnt(0) lgkmcnt(0)
	v_cmp_ge_u16_e32 vcc_lo, v5, v1
	v_cndmask_b32_e64 v7, 0, 1, vcc_lo
.LBB688_25:
	s_or_b32 exec_lo, exec_lo, s0
	v_lshlrev_b32_e32 v1, 2, v0
	s_lshl_b64 s[0:1], s[4:5], 2
	s_mov_b32 s6, -1
	s_add_u32 s0, s7, s0
	s_addc_u32 s1, s8, s1
	v_add_co_u32 v1, s0, s0, v1
	v_add_co_ci_u32_e64 v2, null, s1, 0, s0
	flat_store_dword v[1:2], v6
	flat_store_dword v[1:2], v8 offset:512
	flat_store_dword v[1:2], v10 offset:1024
	s_branch .LBB688_73
.LBB688_26:
	s_mov_b32 s6, s5
                                        ; implicit-def: $vgpr7
                                        ; implicit-def: $vgpr1_vgpr2
	s_and_b32 vcc_lo, exec_lo, s0
	s_cbranch_vccz .LBB688_73
; %bb.27:
	v_mov_b32_e32 v1, 0
	s_sub_i32 s3, s12, s4
	v_cmp_gt_u32_e64 s0, s3, v0
	v_mov_b32_e32 v2, v1
	s_and_saveexec_b32 s1, s0
	s_cbranch_execz .LBB688_29
; %bb.28:
	v_lshlrev_b32_e32 v2, 1, v0
	v_mov_b32_e32 v4, v1
	s_waitcnt vmcnt(0) lgkmcnt(3)
	v_mov_b32_e32 v5, v1
	v_add_co_u32 v2, s2, s9, v2
	v_add_co_ci_u32_e64 v3, null, s10, 0, s2
	flat_load_short_d16 v4, v[2:3]
	s_waitcnt vmcnt(0) lgkmcnt(0)
	v_mov_b32_e32 v1, v4
	v_mov_b32_e32 v2, v5
.LBB688_29:
	s_or_b32 exec_lo, exec_lo, s1
	v_or_b32_e32 v3, 0x80, v0
	v_cmp_gt_u32_e64 s1, s3, v3
	s_and_saveexec_b32 s2, s1
	s_cbranch_execz .LBB688_31
; %bb.30:
	v_lshlrev_b32_e32 v3, 1, v0
	v_add_co_u32 v3, s11, s9, v3
	v_add_co_ci_u32_e64 v4, null, s10, 0, s11
	flat_load_short_d16_hi v1, v[3:4] offset:256
.LBB688_31:
	s_or_b32 exec_lo, exec_lo, s2
	v_or_b32_e32 v3, 0x100, v0
	v_cmp_gt_u32_e64 s2, s3, v3
	s_and_saveexec_b32 s11, s2
	s_cbranch_execz .LBB688_33
; %bb.32:
	v_lshlrev_b32_e32 v3, 1, v0
	v_add_co_u32 v3, s12, s9, v3
	v_add_co_ci_u32_e64 v4, null, s10, 0, s12
	flat_load_short_d16 v2, v[3:4] offset:512
.LBB688_33:
	s_or_b32 exec_lo, exec_lo, s11
	v_or_b32_e32 v3, 0x180, v0
	v_cmp_gt_u32_e64 s3, s3, v3
	s_and_saveexec_b32 s11, s3
	s_cbranch_execz .LBB688_35
; %bb.34:
	v_lshlrev_b32_e32 v3, 1, v0
	v_add_co_u32 v3, s9, s9, v3
	v_add_co_ci_u32_e64 v4, null, s10, 0, s9
	s_waitcnt vmcnt(0) lgkmcnt(0)
	flat_load_short_d16_hi v2, v[3:4] offset:768
.LBB688_35:
	s_or_b32 exec_lo, exec_lo, s11
	v_mov_b32_e32 v8, 0
	s_cmp_lg_u64 s[18:19], 0
	s_cselect_b32 s9, -1, 0
	v_mov_b32_e32 v9, v8
	v_mov_b32_e32 v10, v8
	;; [unrolled: 1-line block ×3, first 2 shown]
	s_and_saveexec_b32 s10, s0
	s_cbranch_execnz .LBB688_39
; %bb.36:
	s_or_b32 exec_lo, exec_lo, s10
	s_and_saveexec_b32 s10, s1
	s_cbranch_execnz .LBB688_46
.LBB688_37:
	s_or_b32 exec_lo, exec_lo, s10
	s_and_saveexec_b32 s10, s2
	s_cbranch_execnz .LBB688_53
.LBB688_38:
	s_or_b32 exec_lo, exec_lo, s10
	s_and_saveexec_b32 s10, s3
	s_cbranch_execnz .LBB688_60
	s_branch .LBB688_67
.LBB688_39:
	v_mov_b32_e32 v3, 0
	v_mov_b32_e32 v4, 0
	s_andn2_b32 vcc_lo, exec_lo, s9
	s_cbranch_vccnz .LBB688_43
; %bb.40:
	s_waitcnt vmcnt(0) lgkmcnt(3)
	v_mov_b32_e32 v5, s18
	v_mov_b32_e32 v6, s19
	s_mov_b32 s11, 0
	s_inst_prefetch 0x1
	.p2align	6
.LBB688_41:                             ; =>This Inner Loop Header: Depth=1
	v_sub_co_u32 v7, vcc_lo, v5, v3
	v_sub_co_ci_u32_e64 v8, null, v6, v4, vcc_lo
	v_lshrrev_b64 v[9:10], 1, v[7:8]
	v_lshrrev_b64 v[7:8], 6, v[7:8]
	v_add_co_u32 v9, vcc_lo, v9, v3
	v_add_co_ci_u32_e64 v10, null, v10, v4, vcc_lo
	v_add_co_u32 v7, vcc_lo, v9, v7
	v_add_co_ci_u32_e64 v8, null, v10, v8, vcc_lo
	v_lshlrev_b64 v[9:10], 1, v[7:8]
	v_add_co_u32 v9, vcc_lo, s16, v9
	v_add_co_ci_u32_e64 v10, null, s17, v10, vcc_lo
	global_load_ushort v9, v[9:10], off
	v_add_co_u32 v10, vcc_lo, v7, 1
	v_add_co_ci_u32_e64 v11, null, 0, v8, vcc_lo
	s_waitcnt vmcnt(0) lgkmcnt(0)
	v_cmp_lt_u16_e32 vcc_lo, v9, v1
	v_cndmask_b32_e32 v6, v8, v6, vcc_lo
	v_cndmask_b32_e32 v5, v7, v5, vcc_lo
	;; [unrolled: 1-line block ×4, first 2 shown]
	v_cmp_ge_u64_e32 vcc_lo, v[3:4], v[5:6]
	s_or_b32 s11, vcc_lo, s11
	s_andn2_b32 exec_lo, exec_lo, s11
	s_cbranch_execnz .LBB688_41
; %bb.42:
	s_inst_prefetch 0x2
	s_or_b32 exec_lo, exec_lo, s11
.LBB688_43:
	v_mov_b32_e32 v9, 0
	v_mov_b32_e32 v8, 0
	s_mov_b32 s11, exec_lo
	v_cmpx_ne_u64_e64 s[18:19], v[3:4]
	s_cbranch_execz .LBB688_45
; %bb.44:
	v_lshlrev_b64 v[3:4], 1, v[3:4]
	v_add_co_u32 v3, vcc_lo, s16, v3
	v_add_co_ci_u32_e64 v4, null, s17, v4, vcc_lo
	global_load_ushort v3, v[3:4], off
	s_waitcnt vmcnt(0) lgkmcnt(0)
	v_cmp_ge_u16_e32 vcc_lo, v1, v3
	v_cndmask_b32_e64 v8, 0, 1, vcc_lo
.LBB688_45:
	s_or_b32 exec_lo, exec_lo, s11
	v_mov_b32_e32 v10, v9
	v_mov_b32_e32 v7, v9
	s_or_b32 exec_lo, exec_lo, s10
	s_and_saveexec_b32 s10, s1
	s_cbranch_execz .LBB688_37
.LBB688_46:
	v_mov_b32_e32 v3, 0
	v_mov_b32_e32 v4, 0
	s_andn2_b32 vcc_lo, exec_lo, s9
	s_cbranch_vccnz .LBB688_50
; %bb.47:
	s_waitcnt vmcnt(0) lgkmcnt(3)
	v_mov_b32_e32 v5, s18
	v_mov_b32_e32 v6, s19
	s_mov_b32 s11, 0
	s_inst_prefetch 0x1
	.p2align	6
.LBB688_48:                             ; =>This Inner Loop Header: Depth=1
	v_sub_co_u32 v11, vcc_lo, v5, v3
	v_sub_co_ci_u32_e64 v12, null, v6, v4, vcc_lo
	v_lshrrev_b64 v[13:14], 1, v[11:12]
	v_lshrrev_b64 v[11:12], 6, v[11:12]
	v_add_co_u32 v9, vcc_lo, v13, v3
	v_add_co_ci_u32_e64 v13, null, v14, v4, vcc_lo
	v_add_co_u32 v11, vcc_lo, v9, v11
	v_add_co_ci_u32_e64 v12, null, v13, v12, vcc_lo
	v_lshlrev_b64 v[13:14], 1, v[11:12]
	v_add_co_u32 v13, vcc_lo, s16, v13
	v_add_co_ci_u32_e64 v14, null, s17, v14, vcc_lo
	global_load_ushort v9, v[13:14], off
	v_add_co_u32 v13, vcc_lo, v11, 1
	v_add_co_ci_u32_e64 v14, null, 0, v12, vcc_lo
	s_waitcnt vmcnt(0) lgkmcnt(0)
	v_cmp_lt_u16_sdwa vcc_lo, v9, v1 src0_sel:DWORD src1_sel:WORD_1
	v_cndmask_b32_e32 v6, v12, v6, vcc_lo
	v_cndmask_b32_e32 v5, v11, v5, vcc_lo
	;; [unrolled: 1-line block ×4, first 2 shown]
	v_cmp_ge_u64_e32 vcc_lo, v[3:4], v[5:6]
	s_or_b32 s11, vcc_lo, s11
	s_andn2_b32 exec_lo, exec_lo, s11
	s_cbranch_execnz .LBB688_48
; %bb.49:
	s_inst_prefetch 0x2
	s_or_b32 exec_lo, exec_lo, s11
.LBB688_50:
	v_mov_b32_e32 v9, 0
	s_mov_b32 s11, exec_lo
	v_cmpx_ne_u64_e64 s[18:19], v[3:4]
	s_cbranch_execz .LBB688_52
; %bb.51:
	v_lshlrev_b64 v[3:4], 1, v[3:4]
	v_add_co_u32 v3, vcc_lo, s16, v3
	v_add_co_ci_u32_e64 v4, null, s17, v4, vcc_lo
	global_load_ushort v3, v[3:4], off
	s_waitcnt vmcnt(0) lgkmcnt(0)
	v_cmp_ge_u16_sdwa s12, v1, v3 src0_sel:WORD_1 src1_sel:DWORD
	v_cndmask_b32_e64 v9, 0, 1, s12
.LBB688_52:
	s_or_b32 exec_lo, exec_lo, s11
	s_or_b32 exec_lo, exec_lo, s10
	s_and_saveexec_b32 s10, s2
	s_cbranch_execz .LBB688_38
.LBB688_53:
	v_mov_b32_e32 v3, 0
	v_mov_b32_e32 v4, 0
	s_andn2_b32 vcc_lo, exec_lo, s9
	s_cbranch_vccnz .LBB688_57
; %bb.54:
	s_waitcnt vmcnt(0) lgkmcnt(3)
	v_mov_b32_e32 v5, s18
	v_mov_b32_e32 v6, s19
	s_mov_b32 s11, 0
	s_inst_prefetch 0x1
	.p2align	6
.LBB688_55:                             ; =>This Inner Loop Header: Depth=1
	v_sub_co_u32 v10, vcc_lo, v5, v3
	v_sub_co_ci_u32_e64 v11, null, v6, v4, vcc_lo
	v_lshrrev_b64 v[12:13], 1, v[10:11]
	v_lshrrev_b64 v[10:11], 6, v[10:11]
	s_waitcnt lgkmcnt(0)
	v_add_co_u32 v1, vcc_lo, v12, v3
	v_add_co_ci_u32_e64 v12, null, v13, v4, vcc_lo
	v_add_co_u32 v10, vcc_lo, v1, v10
	v_add_co_ci_u32_e64 v11, null, v12, v11, vcc_lo
	v_lshlrev_b64 v[12:13], 1, v[10:11]
	v_add_co_u32 v12, vcc_lo, s16, v12
	v_add_co_ci_u32_e64 v13, null, s17, v13, vcc_lo
	global_load_ushort v1, v[12:13], off
	v_add_co_u32 v12, vcc_lo, v10, 1
	v_add_co_ci_u32_e64 v13, null, 0, v11, vcc_lo
	s_waitcnt vmcnt(0)
	v_cmp_lt_u16_e32 vcc_lo, v1, v2
	v_cndmask_b32_e32 v6, v11, v6, vcc_lo
	v_cndmask_b32_e32 v5, v10, v5, vcc_lo
	;; [unrolled: 1-line block ×4, first 2 shown]
	v_cmp_ge_u64_e32 vcc_lo, v[3:4], v[5:6]
	s_or_b32 s11, vcc_lo, s11
	s_andn2_b32 exec_lo, exec_lo, s11
	s_cbranch_execnz .LBB688_55
; %bb.56:
	s_inst_prefetch 0x2
	s_or_b32 exec_lo, exec_lo, s11
.LBB688_57:
	v_mov_b32_e32 v10, 0
	s_mov_b32 s11, exec_lo
	v_cmpx_ne_u64_e64 s[18:19], v[3:4]
	s_cbranch_execz .LBB688_59
; %bb.58:
	v_lshlrev_b64 v[3:4], 1, v[3:4]
	v_add_co_u32 v3, vcc_lo, s16, v3
	v_add_co_ci_u32_e64 v4, null, s17, v4, vcc_lo
	s_waitcnt lgkmcnt(0)
	global_load_ushort v1, v[3:4], off
	s_waitcnt vmcnt(0)
	v_cmp_ge_u16_e32 vcc_lo, v2, v1
	v_cndmask_b32_e64 v10, 0, 1, vcc_lo
.LBB688_59:
	s_or_b32 exec_lo, exec_lo, s11
	s_or_b32 exec_lo, exec_lo, s10
	s_and_saveexec_b32 s10, s3
	s_cbranch_execz .LBB688_67
.LBB688_60:
	v_mov_b32_e32 v3, 0
	v_mov_b32_e32 v4, 0
	s_andn2_b32 vcc_lo, exec_lo, s9
	s_cbranch_vccnz .LBB688_64
; %bb.61:
	s_waitcnt vmcnt(0) lgkmcnt(3)
	v_mov_b32_e32 v5, s18
	v_mov_b32_e32 v6, s19
	s_mov_b32 s9, 0
	s_inst_prefetch 0x1
	.p2align	6
.LBB688_62:                             ; =>This Inner Loop Header: Depth=1
	v_sub_co_u32 v11, vcc_lo, v5, v3
	v_sub_co_ci_u32_e64 v12, null, v6, v4, vcc_lo
	v_lshrrev_b64 v[13:14], 1, v[11:12]
	v_lshrrev_b64 v[11:12], 6, v[11:12]
	s_waitcnt lgkmcnt(0)
	v_add_co_u32 v1, vcc_lo, v13, v3
	v_add_co_ci_u32_e64 v7, null, v14, v4, vcc_lo
	v_add_co_u32 v11, vcc_lo, v1, v11
	v_add_co_ci_u32_e64 v12, null, v7, v12, vcc_lo
	v_lshlrev_b64 v[13:14], 1, v[11:12]
	v_add_co_u32 v13, vcc_lo, s16, v13
	v_add_co_ci_u32_e64 v14, null, s17, v14, vcc_lo
	v_add_co_u32 v7, vcc_lo, v11, 1
	global_load_ushort v1, v[13:14], off
	v_add_co_ci_u32_e64 v13, null, 0, v12, vcc_lo
	s_waitcnt vmcnt(0)
	v_cmp_lt_u16_sdwa vcc_lo, v1, v2 src0_sel:DWORD src1_sel:WORD_1
	v_cndmask_b32_e32 v6, v12, v6, vcc_lo
	v_cndmask_b32_e32 v5, v11, v5, vcc_lo
	;; [unrolled: 1-line block ×4, first 2 shown]
	v_cmp_ge_u64_e32 vcc_lo, v[3:4], v[5:6]
	s_or_b32 s9, vcc_lo, s9
	s_andn2_b32 exec_lo, exec_lo, s9
	s_cbranch_execnz .LBB688_62
; %bb.63:
	s_inst_prefetch 0x2
	s_or_b32 exec_lo, exec_lo, s9
.LBB688_64:
	v_mov_b32_e32 v7, 0
	s_mov_b32 s9, exec_lo
	v_cmpx_ne_u64_e64 s[18:19], v[3:4]
	s_cbranch_execz .LBB688_66
; %bb.65:
	v_lshlrev_b64 v[3:4], 1, v[3:4]
	v_add_co_u32 v3, vcc_lo, s16, v3
	v_add_co_ci_u32_e64 v4, null, s17, v4, vcc_lo
	s_waitcnt lgkmcnt(0)
	global_load_ushort v1, v[3:4], off
	s_waitcnt vmcnt(0)
	v_cmp_ge_u16_sdwa s11, v2, v1 src0_sel:WORD_1 src1_sel:DWORD
	v_cndmask_b32_e64 v7, 0, 1, s11
.LBB688_66:
	s_or_b32 exec_lo, exec_lo, s9
.LBB688_67:
	s_or_b32 exec_lo, exec_lo, s10
	v_lshlrev_b32_e32 v0, 2, v0
	s_lshl_b64 s[4:5], s[4:5], 2
	s_add_u32 s4, s7, s4
	s_addc_u32 s5, s8, s5
	s_waitcnt vmcnt(0) lgkmcnt(0)
	v_add_co_u32 v1, s4, s4, v0
	v_add_co_ci_u32_e64 v2, null, s5, 0, s4
	s_and_saveexec_b32 s4, s0
	s_xor_b32 s0, exec_lo, s4
	s_cbranch_execnz .LBB688_76
; %bb.68:
	s_or_b32 exec_lo, exec_lo, s0
	s_and_saveexec_b32 s0, s1
	s_cbranch_execnz .LBB688_77
.LBB688_69:
	s_or_b32 exec_lo, exec_lo, s0
	s_and_saveexec_b32 s0, s2
	s_cbranch_execnz .LBB688_78
.LBB688_70:
	s_or_b32 exec_lo, exec_lo, s0
	s_and_saveexec_b32 s0, s3
.LBB688_71:
	s_or_b32 s6, s6, exec_lo
.LBB688_72:
	s_or_b32 exec_lo, exec_lo, s0
.LBB688_73:
	s_and_saveexec_b32 s0, s6
	s_cbranch_execnz .LBB688_75
; %bb.74:
	s_endpgm
.LBB688_75:
	flat_store_dword v[1:2], v7 offset:1536
	s_endpgm
.LBB688_76:
	flat_store_dword v[1:2], v8
	s_or_b32 exec_lo, exec_lo, s0
	s_and_saveexec_b32 s0, s1
	s_cbranch_execz .LBB688_69
.LBB688_77:
	flat_store_dword v[1:2], v9 offset:512
	s_or_b32 exec_lo, exec_lo, s0
	s_and_saveexec_b32 s0, s2
	s_cbranch_execz .LBB688_70
.LBB688_78:
	flat_store_dword v[1:2], v10 offset:1024
	s_or_b32 exec_lo, exec_lo, s0
	s_and_saveexec_b32 s0, s3
	s_cbranch_execnz .LBB688_71
	s_branch .LBB688_72
	.section	.rodata,"a",@progbits
	.p2align	6, 0x0
	.amdhsa_kernel _ZN7rocprim17ROCPRIM_400000_NS6detail17trampoline_kernelINS0_14default_configENS1_29binary_search_config_selectorItiEEZNS1_14transform_implILb0ES3_S5_N6thrust23THRUST_200600_302600_NS6detail15normal_iteratorINS8_7pointerItNS8_11hip_rocprim5par_tENS8_11use_defaultESE_EEEENSA_INSB_IiSD_SE_SE_EEEEZNS1_13binary_searchIS3_S5_NSA_INS8_10device_ptrItEEEESG_SI_NS1_16binary_search_opENS9_16wrapped_functionINS8_6system6detail7generic6detail18binary_search_lessEbEEEE10hipError_tPvRmT1_T2_T3_mmT4_T5_P12ihipStream_tbEUlRKtE_EESV_SZ_S10_mS11_S14_bEUlT_E_NS1_11comp_targetILNS1_3genE8ELNS1_11target_archE1030ELNS1_3gpuE2ELNS1_3repE0EEENS1_30default_config_static_selectorELNS0_4arch9wavefront6targetE0EEEvSY_
		.amdhsa_group_segment_fixed_size 0
		.amdhsa_private_segment_fixed_size 0
		.amdhsa_kernarg_size 312
		.amdhsa_user_sgpr_count 6
		.amdhsa_user_sgpr_private_segment_buffer 1
		.amdhsa_user_sgpr_dispatch_ptr 0
		.amdhsa_user_sgpr_queue_ptr 0
		.amdhsa_user_sgpr_kernarg_segment_ptr 1
		.amdhsa_user_sgpr_dispatch_id 0
		.amdhsa_user_sgpr_flat_scratch_init 0
		.amdhsa_user_sgpr_private_segment_size 0
		.amdhsa_wavefront_size32 1
		.amdhsa_uses_dynamic_stack 0
		.amdhsa_system_sgpr_private_segment_wavefront_offset 0
		.amdhsa_system_sgpr_workgroup_id_x 1
		.amdhsa_system_sgpr_workgroup_id_y 0
		.amdhsa_system_sgpr_workgroup_id_z 0
		.amdhsa_system_sgpr_workgroup_info 0
		.amdhsa_system_vgpr_workitem_id 0
		.amdhsa_next_free_vgpr 15
		.amdhsa_next_free_sgpr 20
		.amdhsa_reserve_vcc 1
		.amdhsa_reserve_flat_scratch 1
		.amdhsa_float_round_mode_32 0
		.amdhsa_float_round_mode_16_64 0
		.amdhsa_float_denorm_mode_32 3
		.amdhsa_float_denorm_mode_16_64 3
		.amdhsa_dx10_clamp 1
		.amdhsa_ieee_mode 1
		.amdhsa_fp16_overflow 0
		.amdhsa_workgroup_processor_mode 1
		.amdhsa_memory_ordered 1
		.amdhsa_forward_progress 1
		.amdhsa_shared_vgpr_count 0
		.amdhsa_exception_fp_ieee_invalid_op 0
		.amdhsa_exception_fp_denorm_src 0
		.amdhsa_exception_fp_ieee_div_zero 0
		.amdhsa_exception_fp_ieee_overflow 0
		.amdhsa_exception_fp_ieee_underflow 0
		.amdhsa_exception_fp_ieee_inexact 0
		.amdhsa_exception_int_div_zero 0
	.end_amdhsa_kernel
	.section	.text._ZN7rocprim17ROCPRIM_400000_NS6detail17trampoline_kernelINS0_14default_configENS1_29binary_search_config_selectorItiEEZNS1_14transform_implILb0ES3_S5_N6thrust23THRUST_200600_302600_NS6detail15normal_iteratorINS8_7pointerItNS8_11hip_rocprim5par_tENS8_11use_defaultESE_EEEENSA_INSB_IiSD_SE_SE_EEEEZNS1_13binary_searchIS3_S5_NSA_INS8_10device_ptrItEEEESG_SI_NS1_16binary_search_opENS9_16wrapped_functionINS8_6system6detail7generic6detail18binary_search_lessEbEEEE10hipError_tPvRmT1_T2_T3_mmT4_T5_P12ihipStream_tbEUlRKtE_EESV_SZ_S10_mS11_S14_bEUlT_E_NS1_11comp_targetILNS1_3genE8ELNS1_11target_archE1030ELNS1_3gpuE2ELNS1_3repE0EEENS1_30default_config_static_selectorELNS0_4arch9wavefront6targetE0EEEvSY_,"axG",@progbits,_ZN7rocprim17ROCPRIM_400000_NS6detail17trampoline_kernelINS0_14default_configENS1_29binary_search_config_selectorItiEEZNS1_14transform_implILb0ES3_S5_N6thrust23THRUST_200600_302600_NS6detail15normal_iteratorINS8_7pointerItNS8_11hip_rocprim5par_tENS8_11use_defaultESE_EEEENSA_INSB_IiSD_SE_SE_EEEEZNS1_13binary_searchIS3_S5_NSA_INS8_10device_ptrItEEEESG_SI_NS1_16binary_search_opENS9_16wrapped_functionINS8_6system6detail7generic6detail18binary_search_lessEbEEEE10hipError_tPvRmT1_T2_T3_mmT4_T5_P12ihipStream_tbEUlRKtE_EESV_SZ_S10_mS11_S14_bEUlT_E_NS1_11comp_targetILNS1_3genE8ELNS1_11target_archE1030ELNS1_3gpuE2ELNS1_3repE0EEENS1_30default_config_static_selectorELNS0_4arch9wavefront6targetE0EEEvSY_,comdat
.Lfunc_end688:
	.size	_ZN7rocprim17ROCPRIM_400000_NS6detail17trampoline_kernelINS0_14default_configENS1_29binary_search_config_selectorItiEEZNS1_14transform_implILb0ES3_S5_N6thrust23THRUST_200600_302600_NS6detail15normal_iteratorINS8_7pointerItNS8_11hip_rocprim5par_tENS8_11use_defaultESE_EEEENSA_INSB_IiSD_SE_SE_EEEEZNS1_13binary_searchIS3_S5_NSA_INS8_10device_ptrItEEEESG_SI_NS1_16binary_search_opENS9_16wrapped_functionINS8_6system6detail7generic6detail18binary_search_lessEbEEEE10hipError_tPvRmT1_T2_T3_mmT4_T5_P12ihipStream_tbEUlRKtE_EESV_SZ_S10_mS11_S14_bEUlT_E_NS1_11comp_targetILNS1_3genE8ELNS1_11target_archE1030ELNS1_3gpuE2ELNS1_3repE0EEENS1_30default_config_static_selectorELNS0_4arch9wavefront6targetE0EEEvSY_, .Lfunc_end688-_ZN7rocprim17ROCPRIM_400000_NS6detail17trampoline_kernelINS0_14default_configENS1_29binary_search_config_selectorItiEEZNS1_14transform_implILb0ES3_S5_N6thrust23THRUST_200600_302600_NS6detail15normal_iteratorINS8_7pointerItNS8_11hip_rocprim5par_tENS8_11use_defaultESE_EEEENSA_INSB_IiSD_SE_SE_EEEEZNS1_13binary_searchIS3_S5_NSA_INS8_10device_ptrItEEEESG_SI_NS1_16binary_search_opENS9_16wrapped_functionINS8_6system6detail7generic6detail18binary_search_lessEbEEEE10hipError_tPvRmT1_T2_T3_mmT4_T5_P12ihipStream_tbEUlRKtE_EESV_SZ_S10_mS11_S14_bEUlT_E_NS1_11comp_targetILNS1_3genE8ELNS1_11target_archE1030ELNS1_3gpuE2ELNS1_3repE0EEENS1_30default_config_static_selectorELNS0_4arch9wavefront6targetE0EEEvSY_
                                        ; -- End function
	.set _ZN7rocprim17ROCPRIM_400000_NS6detail17trampoline_kernelINS0_14default_configENS1_29binary_search_config_selectorItiEEZNS1_14transform_implILb0ES3_S5_N6thrust23THRUST_200600_302600_NS6detail15normal_iteratorINS8_7pointerItNS8_11hip_rocprim5par_tENS8_11use_defaultESE_EEEENSA_INSB_IiSD_SE_SE_EEEEZNS1_13binary_searchIS3_S5_NSA_INS8_10device_ptrItEEEESG_SI_NS1_16binary_search_opENS9_16wrapped_functionINS8_6system6detail7generic6detail18binary_search_lessEbEEEE10hipError_tPvRmT1_T2_T3_mmT4_T5_P12ihipStream_tbEUlRKtE_EESV_SZ_S10_mS11_S14_bEUlT_E_NS1_11comp_targetILNS1_3genE8ELNS1_11target_archE1030ELNS1_3gpuE2ELNS1_3repE0EEENS1_30default_config_static_selectorELNS0_4arch9wavefront6targetE0EEEvSY_.num_vgpr, 15
	.set _ZN7rocprim17ROCPRIM_400000_NS6detail17trampoline_kernelINS0_14default_configENS1_29binary_search_config_selectorItiEEZNS1_14transform_implILb0ES3_S5_N6thrust23THRUST_200600_302600_NS6detail15normal_iteratorINS8_7pointerItNS8_11hip_rocprim5par_tENS8_11use_defaultESE_EEEENSA_INSB_IiSD_SE_SE_EEEEZNS1_13binary_searchIS3_S5_NSA_INS8_10device_ptrItEEEESG_SI_NS1_16binary_search_opENS9_16wrapped_functionINS8_6system6detail7generic6detail18binary_search_lessEbEEEE10hipError_tPvRmT1_T2_T3_mmT4_T5_P12ihipStream_tbEUlRKtE_EESV_SZ_S10_mS11_S14_bEUlT_E_NS1_11comp_targetILNS1_3genE8ELNS1_11target_archE1030ELNS1_3gpuE2ELNS1_3repE0EEENS1_30default_config_static_selectorELNS0_4arch9wavefront6targetE0EEEvSY_.num_agpr, 0
	.set _ZN7rocprim17ROCPRIM_400000_NS6detail17trampoline_kernelINS0_14default_configENS1_29binary_search_config_selectorItiEEZNS1_14transform_implILb0ES3_S5_N6thrust23THRUST_200600_302600_NS6detail15normal_iteratorINS8_7pointerItNS8_11hip_rocprim5par_tENS8_11use_defaultESE_EEEENSA_INSB_IiSD_SE_SE_EEEEZNS1_13binary_searchIS3_S5_NSA_INS8_10device_ptrItEEEESG_SI_NS1_16binary_search_opENS9_16wrapped_functionINS8_6system6detail7generic6detail18binary_search_lessEbEEEE10hipError_tPvRmT1_T2_T3_mmT4_T5_P12ihipStream_tbEUlRKtE_EESV_SZ_S10_mS11_S14_bEUlT_E_NS1_11comp_targetILNS1_3genE8ELNS1_11target_archE1030ELNS1_3gpuE2ELNS1_3repE0EEENS1_30default_config_static_selectorELNS0_4arch9wavefront6targetE0EEEvSY_.numbered_sgpr, 20
	.set _ZN7rocprim17ROCPRIM_400000_NS6detail17trampoline_kernelINS0_14default_configENS1_29binary_search_config_selectorItiEEZNS1_14transform_implILb0ES3_S5_N6thrust23THRUST_200600_302600_NS6detail15normal_iteratorINS8_7pointerItNS8_11hip_rocprim5par_tENS8_11use_defaultESE_EEEENSA_INSB_IiSD_SE_SE_EEEEZNS1_13binary_searchIS3_S5_NSA_INS8_10device_ptrItEEEESG_SI_NS1_16binary_search_opENS9_16wrapped_functionINS8_6system6detail7generic6detail18binary_search_lessEbEEEE10hipError_tPvRmT1_T2_T3_mmT4_T5_P12ihipStream_tbEUlRKtE_EESV_SZ_S10_mS11_S14_bEUlT_E_NS1_11comp_targetILNS1_3genE8ELNS1_11target_archE1030ELNS1_3gpuE2ELNS1_3repE0EEENS1_30default_config_static_selectorELNS0_4arch9wavefront6targetE0EEEvSY_.num_named_barrier, 0
	.set _ZN7rocprim17ROCPRIM_400000_NS6detail17trampoline_kernelINS0_14default_configENS1_29binary_search_config_selectorItiEEZNS1_14transform_implILb0ES3_S5_N6thrust23THRUST_200600_302600_NS6detail15normal_iteratorINS8_7pointerItNS8_11hip_rocprim5par_tENS8_11use_defaultESE_EEEENSA_INSB_IiSD_SE_SE_EEEEZNS1_13binary_searchIS3_S5_NSA_INS8_10device_ptrItEEEESG_SI_NS1_16binary_search_opENS9_16wrapped_functionINS8_6system6detail7generic6detail18binary_search_lessEbEEEE10hipError_tPvRmT1_T2_T3_mmT4_T5_P12ihipStream_tbEUlRKtE_EESV_SZ_S10_mS11_S14_bEUlT_E_NS1_11comp_targetILNS1_3genE8ELNS1_11target_archE1030ELNS1_3gpuE2ELNS1_3repE0EEENS1_30default_config_static_selectorELNS0_4arch9wavefront6targetE0EEEvSY_.private_seg_size, 0
	.set _ZN7rocprim17ROCPRIM_400000_NS6detail17trampoline_kernelINS0_14default_configENS1_29binary_search_config_selectorItiEEZNS1_14transform_implILb0ES3_S5_N6thrust23THRUST_200600_302600_NS6detail15normal_iteratorINS8_7pointerItNS8_11hip_rocprim5par_tENS8_11use_defaultESE_EEEENSA_INSB_IiSD_SE_SE_EEEEZNS1_13binary_searchIS3_S5_NSA_INS8_10device_ptrItEEEESG_SI_NS1_16binary_search_opENS9_16wrapped_functionINS8_6system6detail7generic6detail18binary_search_lessEbEEEE10hipError_tPvRmT1_T2_T3_mmT4_T5_P12ihipStream_tbEUlRKtE_EESV_SZ_S10_mS11_S14_bEUlT_E_NS1_11comp_targetILNS1_3genE8ELNS1_11target_archE1030ELNS1_3gpuE2ELNS1_3repE0EEENS1_30default_config_static_selectorELNS0_4arch9wavefront6targetE0EEEvSY_.uses_vcc, 1
	.set _ZN7rocprim17ROCPRIM_400000_NS6detail17trampoline_kernelINS0_14default_configENS1_29binary_search_config_selectorItiEEZNS1_14transform_implILb0ES3_S5_N6thrust23THRUST_200600_302600_NS6detail15normal_iteratorINS8_7pointerItNS8_11hip_rocprim5par_tENS8_11use_defaultESE_EEEENSA_INSB_IiSD_SE_SE_EEEEZNS1_13binary_searchIS3_S5_NSA_INS8_10device_ptrItEEEESG_SI_NS1_16binary_search_opENS9_16wrapped_functionINS8_6system6detail7generic6detail18binary_search_lessEbEEEE10hipError_tPvRmT1_T2_T3_mmT4_T5_P12ihipStream_tbEUlRKtE_EESV_SZ_S10_mS11_S14_bEUlT_E_NS1_11comp_targetILNS1_3genE8ELNS1_11target_archE1030ELNS1_3gpuE2ELNS1_3repE0EEENS1_30default_config_static_selectorELNS0_4arch9wavefront6targetE0EEEvSY_.uses_flat_scratch, 1
	.set _ZN7rocprim17ROCPRIM_400000_NS6detail17trampoline_kernelINS0_14default_configENS1_29binary_search_config_selectorItiEEZNS1_14transform_implILb0ES3_S5_N6thrust23THRUST_200600_302600_NS6detail15normal_iteratorINS8_7pointerItNS8_11hip_rocprim5par_tENS8_11use_defaultESE_EEEENSA_INSB_IiSD_SE_SE_EEEEZNS1_13binary_searchIS3_S5_NSA_INS8_10device_ptrItEEEESG_SI_NS1_16binary_search_opENS9_16wrapped_functionINS8_6system6detail7generic6detail18binary_search_lessEbEEEE10hipError_tPvRmT1_T2_T3_mmT4_T5_P12ihipStream_tbEUlRKtE_EESV_SZ_S10_mS11_S14_bEUlT_E_NS1_11comp_targetILNS1_3genE8ELNS1_11target_archE1030ELNS1_3gpuE2ELNS1_3repE0EEENS1_30default_config_static_selectorELNS0_4arch9wavefront6targetE0EEEvSY_.has_dyn_sized_stack, 0
	.set _ZN7rocprim17ROCPRIM_400000_NS6detail17trampoline_kernelINS0_14default_configENS1_29binary_search_config_selectorItiEEZNS1_14transform_implILb0ES3_S5_N6thrust23THRUST_200600_302600_NS6detail15normal_iteratorINS8_7pointerItNS8_11hip_rocprim5par_tENS8_11use_defaultESE_EEEENSA_INSB_IiSD_SE_SE_EEEEZNS1_13binary_searchIS3_S5_NSA_INS8_10device_ptrItEEEESG_SI_NS1_16binary_search_opENS9_16wrapped_functionINS8_6system6detail7generic6detail18binary_search_lessEbEEEE10hipError_tPvRmT1_T2_T3_mmT4_T5_P12ihipStream_tbEUlRKtE_EESV_SZ_S10_mS11_S14_bEUlT_E_NS1_11comp_targetILNS1_3genE8ELNS1_11target_archE1030ELNS1_3gpuE2ELNS1_3repE0EEENS1_30default_config_static_selectorELNS0_4arch9wavefront6targetE0EEEvSY_.has_recursion, 0
	.set _ZN7rocprim17ROCPRIM_400000_NS6detail17trampoline_kernelINS0_14default_configENS1_29binary_search_config_selectorItiEEZNS1_14transform_implILb0ES3_S5_N6thrust23THRUST_200600_302600_NS6detail15normal_iteratorINS8_7pointerItNS8_11hip_rocprim5par_tENS8_11use_defaultESE_EEEENSA_INSB_IiSD_SE_SE_EEEEZNS1_13binary_searchIS3_S5_NSA_INS8_10device_ptrItEEEESG_SI_NS1_16binary_search_opENS9_16wrapped_functionINS8_6system6detail7generic6detail18binary_search_lessEbEEEE10hipError_tPvRmT1_T2_T3_mmT4_T5_P12ihipStream_tbEUlRKtE_EESV_SZ_S10_mS11_S14_bEUlT_E_NS1_11comp_targetILNS1_3genE8ELNS1_11target_archE1030ELNS1_3gpuE2ELNS1_3repE0EEENS1_30default_config_static_selectorELNS0_4arch9wavefront6targetE0EEEvSY_.has_indirect_call, 0
	.section	.AMDGPU.csdata,"",@progbits
; Kernel info:
; codeLenInByte = 3244
; TotalNumSgprs: 22
; NumVgprs: 15
; ScratchSize: 0
; MemoryBound: 0
; FloatMode: 240
; IeeeMode: 1
; LDSByteSize: 0 bytes/workgroup (compile time only)
; SGPRBlocks: 0
; VGPRBlocks: 1
; NumSGPRsForWavesPerEU: 22
; NumVGPRsForWavesPerEU: 15
; Occupancy: 16
; WaveLimiterHint : 1
; COMPUTE_PGM_RSRC2:SCRATCH_EN: 0
; COMPUTE_PGM_RSRC2:USER_SGPR: 6
; COMPUTE_PGM_RSRC2:TRAP_HANDLER: 0
; COMPUTE_PGM_RSRC2:TGID_X_EN: 1
; COMPUTE_PGM_RSRC2:TGID_Y_EN: 0
; COMPUTE_PGM_RSRC2:TGID_Z_EN: 0
; COMPUTE_PGM_RSRC2:TIDIG_COMP_CNT: 0
	.section	.text._ZN7rocprim17ROCPRIM_400000_NS6detail17trampoline_kernelINS0_14default_configENS1_29binary_search_config_selectorIxiEEZNS1_14transform_implILb0ES3_S5_N6thrust23THRUST_200600_302600_NS6detail15normal_iteratorINS8_7pointerIxNS8_11hip_rocprim5par_tENS8_11use_defaultESE_EEEENSA_INSB_IiSD_SE_SE_EEEEZNS1_13binary_searchIS3_S5_NSA_INS8_10device_ptrIxEEEESG_SI_NS1_16binary_search_opENS9_16wrapped_functionINS8_6system6detail7generic6detail18binary_search_lessEbEEEE10hipError_tPvRmT1_T2_T3_mmT4_T5_P12ihipStream_tbEUlRKxE_EESV_SZ_S10_mS11_S14_bEUlT_E_NS1_11comp_targetILNS1_3genE0ELNS1_11target_archE4294967295ELNS1_3gpuE0ELNS1_3repE0EEENS1_30default_config_static_selectorELNS0_4arch9wavefront6targetE0EEEvSY_,"axG",@progbits,_ZN7rocprim17ROCPRIM_400000_NS6detail17trampoline_kernelINS0_14default_configENS1_29binary_search_config_selectorIxiEEZNS1_14transform_implILb0ES3_S5_N6thrust23THRUST_200600_302600_NS6detail15normal_iteratorINS8_7pointerIxNS8_11hip_rocprim5par_tENS8_11use_defaultESE_EEEENSA_INSB_IiSD_SE_SE_EEEEZNS1_13binary_searchIS3_S5_NSA_INS8_10device_ptrIxEEEESG_SI_NS1_16binary_search_opENS9_16wrapped_functionINS8_6system6detail7generic6detail18binary_search_lessEbEEEE10hipError_tPvRmT1_T2_T3_mmT4_T5_P12ihipStream_tbEUlRKxE_EESV_SZ_S10_mS11_S14_bEUlT_E_NS1_11comp_targetILNS1_3genE0ELNS1_11target_archE4294967295ELNS1_3gpuE0ELNS1_3repE0EEENS1_30default_config_static_selectorELNS0_4arch9wavefront6targetE0EEEvSY_,comdat
	.protected	_ZN7rocprim17ROCPRIM_400000_NS6detail17trampoline_kernelINS0_14default_configENS1_29binary_search_config_selectorIxiEEZNS1_14transform_implILb0ES3_S5_N6thrust23THRUST_200600_302600_NS6detail15normal_iteratorINS8_7pointerIxNS8_11hip_rocprim5par_tENS8_11use_defaultESE_EEEENSA_INSB_IiSD_SE_SE_EEEEZNS1_13binary_searchIS3_S5_NSA_INS8_10device_ptrIxEEEESG_SI_NS1_16binary_search_opENS9_16wrapped_functionINS8_6system6detail7generic6detail18binary_search_lessEbEEEE10hipError_tPvRmT1_T2_T3_mmT4_T5_P12ihipStream_tbEUlRKxE_EESV_SZ_S10_mS11_S14_bEUlT_E_NS1_11comp_targetILNS1_3genE0ELNS1_11target_archE4294967295ELNS1_3gpuE0ELNS1_3repE0EEENS1_30default_config_static_selectorELNS0_4arch9wavefront6targetE0EEEvSY_ ; -- Begin function _ZN7rocprim17ROCPRIM_400000_NS6detail17trampoline_kernelINS0_14default_configENS1_29binary_search_config_selectorIxiEEZNS1_14transform_implILb0ES3_S5_N6thrust23THRUST_200600_302600_NS6detail15normal_iteratorINS8_7pointerIxNS8_11hip_rocprim5par_tENS8_11use_defaultESE_EEEENSA_INSB_IiSD_SE_SE_EEEEZNS1_13binary_searchIS3_S5_NSA_INS8_10device_ptrIxEEEESG_SI_NS1_16binary_search_opENS9_16wrapped_functionINS8_6system6detail7generic6detail18binary_search_lessEbEEEE10hipError_tPvRmT1_T2_T3_mmT4_T5_P12ihipStream_tbEUlRKxE_EESV_SZ_S10_mS11_S14_bEUlT_E_NS1_11comp_targetILNS1_3genE0ELNS1_11target_archE4294967295ELNS1_3gpuE0ELNS1_3repE0EEENS1_30default_config_static_selectorELNS0_4arch9wavefront6targetE0EEEvSY_
	.globl	_ZN7rocprim17ROCPRIM_400000_NS6detail17trampoline_kernelINS0_14default_configENS1_29binary_search_config_selectorIxiEEZNS1_14transform_implILb0ES3_S5_N6thrust23THRUST_200600_302600_NS6detail15normal_iteratorINS8_7pointerIxNS8_11hip_rocprim5par_tENS8_11use_defaultESE_EEEENSA_INSB_IiSD_SE_SE_EEEEZNS1_13binary_searchIS3_S5_NSA_INS8_10device_ptrIxEEEESG_SI_NS1_16binary_search_opENS9_16wrapped_functionINS8_6system6detail7generic6detail18binary_search_lessEbEEEE10hipError_tPvRmT1_T2_T3_mmT4_T5_P12ihipStream_tbEUlRKxE_EESV_SZ_S10_mS11_S14_bEUlT_E_NS1_11comp_targetILNS1_3genE0ELNS1_11target_archE4294967295ELNS1_3gpuE0ELNS1_3repE0EEENS1_30default_config_static_selectorELNS0_4arch9wavefront6targetE0EEEvSY_
	.p2align	8
	.type	_ZN7rocprim17ROCPRIM_400000_NS6detail17trampoline_kernelINS0_14default_configENS1_29binary_search_config_selectorIxiEEZNS1_14transform_implILb0ES3_S5_N6thrust23THRUST_200600_302600_NS6detail15normal_iteratorINS8_7pointerIxNS8_11hip_rocprim5par_tENS8_11use_defaultESE_EEEENSA_INSB_IiSD_SE_SE_EEEEZNS1_13binary_searchIS3_S5_NSA_INS8_10device_ptrIxEEEESG_SI_NS1_16binary_search_opENS9_16wrapped_functionINS8_6system6detail7generic6detail18binary_search_lessEbEEEE10hipError_tPvRmT1_T2_T3_mmT4_T5_P12ihipStream_tbEUlRKxE_EESV_SZ_S10_mS11_S14_bEUlT_E_NS1_11comp_targetILNS1_3genE0ELNS1_11target_archE4294967295ELNS1_3gpuE0ELNS1_3repE0EEENS1_30default_config_static_selectorELNS0_4arch9wavefront6targetE0EEEvSY_,@function
_ZN7rocprim17ROCPRIM_400000_NS6detail17trampoline_kernelINS0_14default_configENS1_29binary_search_config_selectorIxiEEZNS1_14transform_implILb0ES3_S5_N6thrust23THRUST_200600_302600_NS6detail15normal_iteratorINS8_7pointerIxNS8_11hip_rocprim5par_tENS8_11use_defaultESE_EEEENSA_INSB_IiSD_SE_SE_EEEEZNS1_13binary_searchIS3_S5_NSA_INS8_10device_ptrIxEEEESG_SI_NS1_16binary_search_opENS9_16wrapped_functionINS8_6system6detail7generic6detail18binary_search_lessEbEEEE10hipError_tPvRmT1_T2_T3_mmT4_T5_P12ihipStream_tbEUlRKxE_EESV_SZ_S10_mS11_S14_bEUlT_E_NS1_11comp_targetILNS1_3genE0ELNS1_11target_archE4294967295ELNS1_3gpuE0ELNS1_3repE0EEENS1_30default_config_static_selectorELNS0_4arch9wavefront6targetE0EEEvSY_: ; @_ZN7rocprim17ROCPRIM_400000_NS6detail17trampoline_kernelINS0_14default_configENS1_29binary_search_config_selectorIxiEEZNS1_14transform_implILb0ES3_S5_N6thrust23THRUST_200600_302600_NS6detail15normal_iteratorINS8_7pointerIxNS8_11hip_rocprim5par_tENS8_11use_defaultESE_EEEENSA_INSB_IiSD_SE_SE_EEEEZNS1_13binary_searchIS3_S5_NSA_INS8_10device_ptrIxEEEESG_SI_NS1_16binary_search_opENS9_16wrapped_functionINS8_6system6detail7generic6detail18binary_search_lessEbEEEE10hipError_tPvRmT1_T2_T3_mmT4_T5_P12ihipStream_tbEUlRKxE_EESV_SZ_S10_mS11_S14_bEUlT_E_NS1_11comp_targetILNS1_3genE0ELNS1_11target_archE4294967295ELNS1_3gpuE0ELNS1_3repE0EEENS1_30default_config_static_selectorELNS0_4arch9wavefront6targetE0EEEvSY_
; %bb.0:
	.section	.rodata,"a",@progbits
	.p2align	6, 0x0
	.amdhsa_kernel _ZN7rocprim17ROCPRIM_400000_NS6detail17trampoline_kernelINS0_14default_configENS1_29binary_search_config_selectorIxiEEZNS1_14transform_implILb0ES3_S5_N6thrust23THRUST_200600_302600_NS6detail15normal_iteratorINS8_7pointerIxNS8_11hip_rocprim5par_tENS8_11use_defaultESE_EEEENSA_INSB_IiSD_SE_SE_EEEEZNS1_13binary_searchIS3_S5_NSA_INS8_10device_ptrIxEEEESG_SI_NS1_16binary_search_opENS9_16wrapped_functionINS8_6system6detail7generic6detail18binary_search_lessEbEEEE10hipError_tPvRmT1_T2_T3_mmT4_T5_P12ihipStream_tbEUlRKxE_EESV_SZ_S10_mS11_S14_bEUlT_E_NS1_11comp_targetILNS1_3genE0ELNS1_11target_archE4294967295ELNS1_3gpuE0ELNS1_3repE0EEENS1_30default_config_static_selectorELNS0_4arch9wavefront6targetE0EEEvSY_
		.amdhsa_group_segment_fixed_size 0
		.amdhsa_private_segment_fixed_size 0
		.amdhsa_kernarg_size 56
		.amdhsa_user_sgpr_count 6
		.amdhsa_user_sgpr_private_segment_buffer 1
		.amdhsa_user_sgpr_dispatch_ptr 0
		.amdhsa_user_sgpr_queue_ptr 0
		.amdhsa_user_sgpr_kernarg_segment_ptr 1
		.amdhsa_user_sgpr_dispatch_id 0
		.amdhsa_user_sgpr_flat_scratch_init 0
		.amdhsa_user_sgpr_private_segment_size 0
		.amdhsa_wavefront_size32 1
		.amdhsa_uses_dynamic_stack 0
		.amdhsa_system_sgpr_private_segment_wavefront_offset 0
		.amdhsa_system_sgpr_workgroup_id_x 1
		.amdhsa_system_sgpr_workgroup_id_y 0
		.amdhsa_system_sgpr_workgroup_id_z 0
		.amdhsa_system_sgpr_workgroup_info 0
		.amdhsa_system_vgpr_workitem_id 0
		.amdhsa_next_free_vgpr 1
		.amdhsa_next_free_sgpr 1
		.amdhsa_reserve_vcc 0
		.amdhsa_reserve_flat_scratch 0
		.amdhsa_float_round_mode_32 0
		.amdhsa_float_round_mode_16_64 0
		.amdhsa_float_denorm_mode_32 3
		.amdhsa_float_denorm_mode_16_64 3
		.amdhsa_dx10_clamp 1
		.amdhsa_ieee_mode 1
		.amdhsa_fp16_overflow 0
		.amdhsa_workgroup_processor_mode 1
		.amdhsa_memory_ordered 1
		.amdhsa_forward_progress 1
		.amdhsa_shared_vgpr_count 0
		.amdhsa_exception_fp_ieee_invalid_op 0
		.amdhsa_exception_fp_denorm_src 0
		.amdhsa_exception_fp_ieee_div_zero 0
		.amdhsa_exception_fp_ieee_overflow 0
		.amdhsa_exception_fp_ieee_underflow 0
		.amdhsa_exception_fp_ieee_inexact 0
		.amdhsa_exception_int_div_zero 0
	.end_amdhsa_kernel
	.section	.text._ZN7rocprim17ROCPRIM_400000_NS6detail17trampoline_kernelINS0_14default_configENS1_29binary_search_config_selectorIxiEEZNS1_14transform_implILb0ES3_S5_N6thrust23THRUST_200600_302600_NS6detail15normal_iteratorINS8_7pointerIxNS8_11hip_rocprim5par_tENS8_11use_defaultESE_EEEENSA_INSB_IiSD_SE_SE_EEEEZNS1_13binary_searchIS3_S5_NSA_INS8_10device_ptrIxEEEESG_SI_NS1_16binary_search_opENS9_16wrapped_functionINS8_6system6detail7generic6detail18binary_search_lessEbEEEE10hipError_tPvRmT1_T2_T3_mmT4_T5_P12ihipStream_tbEUlRKxE_EESV_SZ_S10_mS11_S14_bEUlT_E_NS1_11comp_targetILNS1_3genE0ELNS1_11target_archE4294967295ELNS1_3gpuE0ELNS1_3repE0EEENS1_30default_config_static_selectorELNS0_4arch9wavefront6targetE0EEEvSY_,"axG",@progbits,_ZN7rocprim17ROCPRIM_400000_NS6detail17trampoline_kernelINS0_14default_configENS1_29binary_search_config_selectorIxiEEZNS1_14transform_implILb0ES3_S5_N6thrust23THRUST_200600_302600_NS6detail15normal_iteratorINS8_7pointerIxNS8_11hip_rocprim5par_tENS8_11use_defaultESE_EEEENSA_INSB_IiSD_SE_SE_EEEEZNS1_13binary_searchIS3_S5_NSA_INS8_10device_ptrIxEEEESG_SI_NS1_16binary_search_opENS9_16wrapped_functionINS8_6system6detail7generic6detail18binary_search_lessEbEEEE10hipError_tPvRmT1_T2_T3_mmT4_T5_P12ihipStream_tbEUlRKxE_EESV_SZ_S10_mS11_S14_bEUlT_E_NS1_11comp_targetILNS1_3genE0ELNS1_11target_archE4294967295ELNS1_3gpuE0ELNS1_3repE0EEENS1_30default_config_static_selectorELNS0_4arch9wavefront6targetE0EEEvSY_,comdat
.Lfunc_end689:
	.size	_ZN7rocprim17ROCPRIM_400000_NS6detail17trampoline_kernelINS0_14default_configENS1_29binary_search_config_selectorIxiEEZNS1_14transform_implILb0ES3_S5_N6thrust23THRUST_200600_302600_NS6detail15normal_iteratorINS8_7pointerIxNS8_11hip_rocprim5par_tENS8_11use_defaultESE_EEEENSA_INSB_IiSD_SE_SE_EEEEZNS1_13binary_searchIS3_S5_NSA_INS8_10device_ptrIxEEEESG_SI_NS1_16binary_search_opENS9_16wrapped_functionINS8_6system6detail7generic6detail18binary_search_lessEbEEEE10hipError_tPvRmT1_T2_T3_mmT4_T5_P12ihipStream_tbEUlRKxE_EESV_SZ_S10_mS11_S14_bEUlT_E_NS1_11comp_targetILNS1_3genE0ELNS1_11target_archE4294967295ELNS1_3gpuE0ELNS1_3repE0EEENS1_30default_config_static_selectorELNS0_4arch9wavefront6targetE0EEEvSY_, .Lfunc_end689-_ZN7rocprim17ROCPRIM_400000_NS6detail17trampoline_kernelINS0_14default_configENS1_29binary_search_config_selectorIxiEEZNS1_14transform_implILb0ES3_S5_N6thrust23THRUST_200600_302600_NS6detail15normal_iteratorINS8_7pointerIxNS8_11hip_rocprim5par_tENS8_11use_defaultESE_EEEENSA_INSB_IiSD_SE_SE_EEEEZNS1_13binary_searchIS3_S5_NSA_INS8_10device_ptrIxEEEESG_SI_NS1_16binary_search_opENS9_16wrapped_functionINS8_6system6detail7generic6detail18binary_search_lessEbEEEE10hipError_tPvRmT1_T2_T3_mmT4_T5_P12ihipStream_tbEUlRKxE_EESV_SZ_S10_mS11_S14_bEUlT_E_NS1_11comp_targetILNS1_3genE0ELNS1_11target_archE4294967295ELNS1_3gpuE0ELNS1_3repE0EEENS1_30default_config_static_selectorELNS0_4arch9wavefront6targetE0EEEvSY_
                                        ; -- End function
	.set _ZN7rocprim17ROCPRIM_400000_NS6detail17trampoline_kernelINS0_14default_configENS1_29binary_search_config_selectorIxiEEZNS1_14transform_implILb0ES3_S5_N6thrust23THRUST_200600_302600_NS6detail15normal_iteratorINS8_7pointerIxNS8_11hip_rocprim5par_tENS8_11use_defaultESE_EEEENSA_INSB_IiSD_SE_SE_EEEEZNS1_13binary_searchIS3_S5_NSA_INS8_10device_ptrIxEEEESG_SI_NS1_16binary_search_opENS9_16wrapped_functionINS8_6system6detail7generic6detail18binary_search_lessEbEEEE10hipError_tPvRmT1_T2_T3_mmT4_T5_P12ihipStream_tbEUlRKxE_EESV_SZ_S10_mS11_S14_bEUlT_E_NS1_11comp_targetILNS1_3genE0ELNS1_11target_archE4294967295ELNS1_3gpuE0ELNS1_3repE0EEENS1_30default_config_static_selectorELNS0_4arch9wavefront6targetE0EEEvSY_.num_vgpr, 0
	.set _ZN7rocprim17ROCPRIM_400000_NS6detail17trampoline_kernelINS0_14default_configENS1_29binary_search_config_selectorIxiEEZNS1_14transform_implILb0ES3_S5_N6thrust23THRUST_200600_302600_NS6detail15normal_iteratorINS8_7pointerIxNS8_11hip_rocprim5par_tENS8_11use_defaultESE_EEEENSA_INSB_IiSD_SE_SE_EEEEZNS1_13binary_searchIS3_S5_NSA_INS8_10device_ptrIxEEEESG_SI_NS1_16binary_search_opENS9_16wrapped_functionINS8_6system6detail7generic6detail18binary_search_lessEbEEEE10hipError_tPvRmT1_T2_T3_mmT4_T5_P12ihipStream_tbEUlRKxE_EESV_SZ_S10_mS11_S14_bEUlT_E_NS1_11comp_targetILNS1_3genE0ELNS1_11target_archE4294967295ELNS1_3gpuE0ELNS1_3repE0EEENS1_30default_config_static_selectorELNS0_4arch9wavefront6targetE0EEEvSY_.num_agpr, 0
	.set _ZN7rocprim17ROCPRIM_400000_NS6detail17trampoline_kernelINS0_14default_configENS1_29binary_search_config_selectorIxiEEZNS1_14transform_implILb0ES3_S5_N6thrust23THRUST_200600_302600_NS6detail15normal_iteratorINS8_7pointerIxNS8_11hip_rocprim5par_tENS8_11use_defaultESE_EEEENSA_INSB_IiSD_SE_SE_EEEEZNS1_13binary_searchIS3_S5_NSA_INS8_10device_ptrIxEEEESG_SI_NS1_16binary_search_opENS9_16wrapped_functionINS8_6system6detail7generic6detail18binary_search_lessEbEEEE10hipError_tPvRmT1_T2_T3_mmT4_T5_P12ihipStream_tbEUlRKxE_EESV_SZ_S10_mS11_S14_bEUlT_E_NS1_11comp_targetILNS1_3genE0ELNS1_11target_archE4294967295ELNS1_3gpuE0ELNS1_3repE0EEENS1_30default_config_static_selectorELNS0_4arch9wavefront6targetE0EEEvSY_.numbered_sgpr, 0
	.set _ZN7rocprim17ROCPRIM_400000_NS6detail17trampoline_kernelINS0_14default_configENS1_29binary_search_config_selectorIxiEEZNS1_14transform_implILb0ES3_S5_N6thrust23THRUST_200600_302600_NS6detail15normal_iteratorINS8_7pointerIxNS8_11hip_rocprim5par_tENS8_11use_defaultESE_EEEENSA_INSB_IiSD_SE_SE_EEEEZNS1_13binary_searchIS3_S5_NSA_INS8_10device_ptrIxEEEESG_SI_NS1_16binary_search_opENS9_16wrapped_functionINS8_6system6detail7generic6detail18binary_search_lessEbEEEE10hipError_tPvRmT1_T2_T3_mmT4_T5_P12ihipStream_tbEUlRKxE_EESV_SZ_S10_mS11_S14_bEUlT_E_NS1_11comp_targetILNS1_3genE0ELNS1_11target_archE4294967295ELNS1_3gpuE0ELNS1_3repE0EEENS1_30default_config_static_selectorELNS0_4arch9wavefront6targetE0EEEvSY_.num_named_barrier, 0
	.set _ZN7rocprim17ROCPRIM_400000_NS6detail17trampoline_kernelINS0_14default_configENS1_29binary_search_config_selectorIxiEEZNS1_14transform_implILb0ES3_S5_N6thrust23THRUST_200600_302600_NS6detail15normal_iteratorINS8_7pointerIxNS8_11hip_rocprim5par_tENS8_11use_defaultESE_EEEENSA_INSB_IiSD_SE_SE_EEEEZNS1_13binary_searchIS3_S5_NSA_INS8_10device_ptrIxEEEESG_SI_NS1_16binary_search_opENS9_16wrapped_functionINS8_6system6detail7generic6detail18binary_search_lessEbEEEE10hipError_tPvRmT1_T2_T3_mmT4_T5_P12ihipStream_tbEUlRKxE_EESV_SZ_S10_mS11_S14_bEUlT_E_NS1_11comp_targetILNS1_3genE0ELNS1_11target_archE4294967295ELNS1_3gpuE0ELNS1_3repE0EEENS1_30default_config_static_selectorELNS0_4arch9wavefront6targetE0EEEvSY_.private_seg_size, 0
	.set _ZN7rocprim17ROCPRIM_400000_NS6detail17trampoline_kernelINS0_14default_configENS1_29binary_search_config_selectorIxiEEZNS1_14transform_implILb0ES3_S5_N6thrust23THRUST_200600_302600_NS6detail15normal_iteratorINS8_7pointerIxNS8_11hip_rocprim5par_tENS8_11use_defaultESE_EEEENSA_INSB_IiSD_SE_SE_EEEEZNS1_13binary_searchIS3_S5_NSA_INS8_10device_ptrIxEEEESG_SI_NS1_16binary_search_opENS9_16wrapped_functionINS8_6system6detail7generic6detail18binary_search_lessEbEEEE10hipError_tPvRmT1_T2_T3_mmT4_T5_P12ihipStream_tbEUlRKxE_EESV_SZ_S10_mS11_S14_bEUlT_E_NS1_11comp_targetILNS1_3genE0ELNS1_11target_archE4294967295ELNS1_3gpuE0ELNS1_3repE0EEENS1_30default_config_static_selectorELNS0_4arch9wavefront6targetE0EEEvSY_.uses_vcc, 0
	.set _ZN7rocprim17ROCPRIM_400000_NS6detail17trampoline_kernelINS0_14default_configENS1_29binary_search_config_selectorIxiEEZNS1_14transform_implILb0ES3_S5_N6thrust23THRUST_200600_302600_NS6detail15normal_iteratorINS8_7pointerIxNS8_11hip_rocprim5par_tENS8_11use_defaultESE_EEEENSA_INSB_IiSD_SE_SE_EEEEZNS1_13binary_searchIS3_S5_NSA_INS8_10device_ptrIxEEEESG_SI_NS1_16binary_search_opENS9_16wrapped_functionINS8_6system6detail7generic6detail18binary_search_lessEbEEEE10hipError_tPvRmT1_T2_T3_mmT4_T5_P12ihipStream_tbEUlRKxE_EESV_SZ_S10_mS11_S14_bEUlT_E_NS1_11comp_targetILNS1_3genE0ELNS1_11target_archE4294967295ELNS1_3gpuE0ELNS1_3repE0EEENS1_30default_config_static_selectorELNS0_4arch9wavefront6targetE0EEEvSY_.uses_flat_scratch, 0
	.set _ZN7rocprim17ROCPRIM_400000_NS6detail17trampoline_kernelINS0_14default_configENS1_29binary_search_config_selectorIxiEEZNS1_14transform_implILb0ES3_S5_N6thrust23THRUST_200600_302600_NS6detail15normal_iteratorINS8_7pointerIxNS8_11hip_rocprim5par_tENS8_11use_defaultESE_EEEENSA_INSB_IiSD_SE_SE_EEEEZNS1_13binary_searchIS3_S5_NSA_INS8_10device_ptrIxEEEESG_SI_NS1_16binary_search_opENS9_16wrapped_functionINS8_6system6detail7generic6detail18binary_search_lessEbEEEE10hipError_tPvRmT1_T2_T3_mmT4_T5_P12ihipStream_tbEUlRKxE_EESV_SZ_S10_mS11_S14_bEUlT_E_NS1_11comp_targetILNS1_3genE0ELNS1_11target_archE4294967295ELNS1_3gpuE0ELNS1_3repE0EEENS1_30default_config_static_selectorELNS0_4arch9wavefront6targetE0EEEvSY_.has_dyn_sized_stack, 0
	.set _ZN7rocprim17ROCPRIM_400000_NS6detail17trampoline_kernelINS0_14default_configENS1_29binary_search_config_selectorIxiEEZNS1_14transform_implILb0ES3_S5_N6thrust23THRUST_200600_302600_NS6detail15normal_iteratorINS8_7pointerIxNS8_11hip_rocprim5par_tENS8_11use_defaultESE_EEEENSA_INSB_IiSD_SE_SE_EEEEZNS1_13binary_searchIS3_S5_NSA_INS8_10device_ptrIxEEEESG_SI_NS1_16binary_search_opENS9_16wrapped_functionINS8_6system6detail7generic6detail18binary_search_lessEbEEEE10hipError_tPvRmT1_T2_T3_mmT4_T5_P12ihipStream_tbEUlRKxE_EESV_SZ_S10_mS11_S14_bEUlT_E_NS1_11comp_targetILNS1_3genE0ELNS1_11target_archE4294967295ELNS1_3gpuE0ELNS1_3repE0EEENS1_30default_config_static_selectorELNS0_4arch9wavefront6targetE0EEEvSY_.has_recursion, 0
	.set _ZN7rocprim17ROCPRIM_400000_NS6detail17trampoline_kernelINS0_14default_configENS1_29binary_search_config_selectorIxiEEZNS1_14transform_implILb0ES3_S5_N6thrust23THRUST_200600_302600_NS6detail15normal_iteratorINS8_7pointerIxNS8_11hip_rocprim5par_tENS8_11use_defaultESE_EEEENSA_INSB_IiSD_SE_SE_EEEEZNS1_13binary_searchIS3_S5_NSA_INS8_10device_ptrIxEEEESG_SI_NS1_16binary_search_opENS9_16wrapped_functionINS8_6system6detail7generic6detail18binary_search_lessEbEEEE10hipError_tPvRmT1_T2_T3_mmT4_T5_P12ihipStream_tbEUlRKxE_EESV_SZ_S10_mS11_S14_bEUlT_E_NS1_11comp_targetILNS1_3genE0ELNS1_11target_archE4294967295ELNS1_3gpuE0ELNS1_3repE0EEENS1_30default_config_static_selectorELNS0_4arch9wavefront6targetE0EEEvSY_.has_indirect_call, 0
	.section	.AMDGPU.csdata,"",@progbits
; Kernel info:
; codeLenInByte = 0
; TotalNumSgprs: 0
; NumVgprs: 0
; ScratchSize: 0
; MemoryBound: 0
; FloatMode: 240
; IeeeMode: 1
; LDSByteSize: 0 bytes/workgroup (compile time only)
; SGPRBlocks: 0
; VGPRBlocks: 0
; NumSGPRsForWavesPerEU: 1
; NumVGPRsForWavesPerEU: 1
; Occupancy: 16
; WaveLimiterHint : 0
; COMPUTE_PGM_RSRC2:SCRATCH_EN: 0
; COMPUTE_PGM_RSRC2:USER_SGPR: 6
; COMPUTE_PGM_RSRC2:TRAP_HANDLER: 0
; COMPUTE_PGM_RSRC2:TGID_X_EN: 1
; COMPUTE_PGM_RSRC2:TGID_Y_EN: 0
; COMPUTE_PGM_RSRC2:TGID_Z_EN: 0
; COMPUTE_PGM_RSRC2:TIDIG_COMP_CNT: 0
	.section	.text._ZN7rocprim17ROCPRIM_400000_NS6detail17trampoline_kernelINS0_14default_configENS1_29binary_search_config_selectorIxiEEZNS1_14transform_implILb0ES3_S5_N6thrust23THRUST_200600_302600_NS6detail15normal_iteratorINS8_7pointerIxNS8_11hip_rocprim5par_tENS8_11use_defaultESE_EEEENSA_INSB_IiSD_SE_SE_EEEEZNS1_13binary_searchIS3_S5_NSA_INS8_10device_ptrIxEEEESG_SI_NS1_16binary_search_opENS9_16wrapped_functionINS8_6system6detail7generic6detail18binary_search_lessEbEEEE10hipError_tPvRmT1_T2_T3_mmT4_T5_P12ihipStream_tbEUlRKxE_EESV_SZ_S10_mS11_S14_bEUlT_E_NS1_11comp_targetILNS1_3genE5ELNS1_11target_archE942ELNS1_3gpuE9ELNS1_3repE0EEENS1_30default_config_static_selectorELNS0_4arch9wavefront6targetE0EEEvSY_,"axG",@progbits,_ZN7rocprim17ROCPRIM_400000_NS6detail17trampoline_kernelINS0_14default_configENS1_29binary_search_config_selectorIxiEEZNS1_14transform_implILb0ES3_S5_N6thrust23THRUST_200600_302600_NS6detail15normal_iteratorINS8_7pointerIxNS8_11hip_rocprim5par_tENS8_11use_defaultESE_EEEENSA_INSB_IiSD_SE_SE_EEEEZNS1_13binary_searchIS3_S5_NSA_INS8_10device_ptrIxEEEESG_SI_NS1_16binary_search_opENS9_16wrapped_functionINS8_6system6detail7generic6detail18binary_search_lessEbEEEE10hipError_tPvRmT1_T2_T3_mmT4_T5_P12ihipStream_tbEUlRKxE_EESV_SZ_S10_mS11_S14_bEUlT_E_NS1_11comp_targetILNS1_3genE5ELNS1_11target_archE942ELNS1_3gpuE9ELNS1_3repE0EEENS1_30default_config_static_selectorELNS0_4arch9wavefront6targetE0EEEvSY_,comdat
	.protected	_ZN7rocprim17ROCPRIM_400000_NS6detail17trampoline_kernelINS0_14default_configENS1_29binary_search_config_selectorIxiEEZNS1_14transform_implILb0ES3_S5_N6thrust23THRUST_200600_302600_NS6detail15normal_iteratorINS8_7pointerIxNS8_11hip_rocprim5par_tENS8_11use_defaultESE_EEEENSA_INSB_IiSD_SE_SE_EEEEZNS1_13binary_searchIS3_S5_NSA_INS8_10device_ptrIxEEEESG_SI_NS1_16binary_search_opENS9_16wrapped_functionINS8_6system6detail7generic6detail18binary_search_lessEbEEEE10hipError_tPvRmT1_T2_T3_mmT4_T5_P12ihipStream_tbEUlRKxE_EESV_SZ_S10_mS11_S14_bEUlT_E_NS1_11comp_targetILNS1_3genE5ELNS1_11target_archE942ELNS1_3gpuE9ELNS1_3repE0EEENS1_30default_config_static_selectorELNS0_4arch9wavefront6targetE0EEEvSY_ ; -- Begin function _ZN7rocprim17ROCPRIM_400000_NS6detail17trampoline_kernelINS0_14default_configENS1_29binary_search_config_selectorIxiEEZNS1_14transform_implILb0ES3_S5_N6thrust23THRUST_200600_302600_NS6detail15normal_iteratorINS8_7pointerIxNS8_11hip_rocprim5par_tENS8_11use_defaultESE_EEEENSA_INSB_IiSD_SE_SE_EEEEZNS1_13binary_searchIS3_S5_NSA_INS8_10device_ptrIxEEEESG_SI_NS1_16binary_search_opENS9_16wrapped_functionINS8_6system6detail7generic6detail18binary_search_lessEbEEEE10hipError_tPvRmT1_T2_T3_mmT4_T5_P12ihipStream_tbEUlRKxE_EESV_SZ_S10_mS11_S14_bEUlT_E_NS1_11comp_targetILNS1_3genE5ELNS1_11target_archE942ELNS1_3gpuE9ELNS1_3repE0EEENS1_30default_config_static_selectorELNS0_4arch9wavefront6targetE0EEEvSY_
	.globl	_ZN7rocprim17ROCPRIM_400000_NS6detail17trampoline_kernelINS0_14default_configENS1_29binary_search_config_selectorIxiEEZNS1_14transform_implILb0ES3_S5_N6thrust23THRUST_200600_302600_NS6detail15normal_iteratorINS8_7pointerIxNS8_11hip_rocprim5par_tENS8_11use_defaultESE_EEEENSA_INSB_IiSD_SE_SE_EEEEZNS1_13binary_searchIS3_S5_NSA_INS8_10device_ptrIxEEEESG_SI_NS1_16binary_search_opENS9_16wrapped_functionINS8_6system6detail7generic6detail18binary_search_lessEbEEEE10hipError_tPvRmT1_T2_T3_mmT4_T5_P12ihipStream_tbEUlRKxE_EESV_SZ_S10_mS11_S14_bEUlT_E_NS1_11comp_targetILNS1_3genE5ELNS1_11target_archE942ELNS1_3gpuE9ELNS1_3repE0EEENS1_30default_config_static_selectorELNS0_4arch9wavefront6targetE0EEEvSY_
	.p2align	8
	.type	_ZN7rocprim17ROCPRIM_400000_NS6detail17trampoline_kernelINS0_14default_configENS1_29binary_search_config_selectorIxiEEZNS1_14transform_implILb0ES3_S5_N6thrust23THRUST_200600_302600_NS6detail15normal_iteratorINS8_7pointerIxNS8_11hip_rocprim5par_tENS8_11use_defaultESE_EEEENSA_INSB_IiSD_SE_SE_EEEEZNS1_13binary_searchIS3_S5_NSA_INS8_10device_ptrIxEEEESG_SI_NS1_16binary_search_opENS9_16wrapped_functionINS8_6system6detail7generic6detail18binary_search_lessEbEEEE10hipError_tPvRmT1_T2_T3_mmT4_T5_P12ihipStream_tbEUlRKxE_EESV_SZ_S10_mS11_S14_bEUlT_E_NS1_11comp_targetILNS1_3genE5ELNS1_11target_archE942ELNS1_3gpuE9ELNS1_3repE0EEENS1_30default_config_static_selectorELNS0_4arch9wavefront6targetE0EEEvSY_,@function
_ZN7rocprim17ROCPRIM_400000_NS6detail17trampoline_kernelINS0_14default_configENS1_29binary_search_config_selectorIxiEEZNS1_14transform_implILb0ES3_S5_N6thrust23THRUST_200600_302600_NS6detail15normal_iteratorINS8_7pointerIxNS8_11hip_rocprim5par_tENS8_11use_defaultESE_EEEENSA_INSB_IiSD_SE_SE_EEEEZNS1_13binary_searchIS3_S5_NSA_INS8_10device_ptrIxEEEESG_SI_NS1_16binary_search_opENS9_16wrapped_functionINS8_6system6detail7generic6detail18binary_search_lessEbEEEE10hipError_tPvRmT1_T2_T3_mmT4_T5_P12ihipStream_tbEUlRKxE_EESV_SZ_S10_mS11_S14_bEUlT_E_NS1_11comp_targetILNS1_3genE5ELNS1_11target_archE942ELNS1_3gpuE9ELNS1_3repE0EEENS1_30default_config_static_selectorELNS0_4arch9wavefront6targetE0EEEvSY_: ; @_ZN7rocprim17ROCPRIM_400000_NS6detail17trampoline_kernelINS0_14default_configENS1_29binary_search_config_selectorIxiEEZNS1_14transform_implILb0ES3_S5_N6thrust23THRUST_200600_302600_NS6detail15normal_iteratorINS8_7pointerIxNS8_11hip_rocprim5par_tENS8_11use_defaultESE_EEEENSA_INSB_IiSD_SE_SE_EEEEZNS1_13binary_searchIS3_S5_NSA_INS8_10device_ptrIxEEEESG_SI_NS1_16binary_search_opENS9_16wrapped_functionINS8_6system6detail7generic6detail18binary_search_lessEbEEEE10hipError_tPvRmT1_T2_T3_mmT4_T5_P12ihipStream_tbEUlRKxE_EESV_SZ_S10_mS11_S14_bEUlT_E_NS1_11comp_targetILNS1_3genE5ELNS1_11target_archE942ELNS1_3gpuE9ELNS1_3repE0EEENS1_30default_config_static_selectorELNS0_4arch9wavefront6targetE0EEEvSY_
; %bb.0:
	.section	.rodata,"a",@progbits
	.p2align	6, 0x0
	.amdhsa_kernel _ZN7rocprim17ROCPRIM_400000_NS6detail17trampoline_kernelINS0_14default_configENS1_29binary_search_config_selectorIxiEEZNS1_14transform_implILb0ES3_S5_N6thrust23THRUST_200600_302600_NS6detail15normal_iteratorINS8_7pointerIxNS8_11hip_rocprim5par_tENS8_11use_defaultESE_EEEENSA_INSB_IiSD_SE_SE_EEEEZNS1_13binary_searchIS3_S5_NSA_INS8_10device_ptrIxEEEESG_SI_NS1_16binary_search_opENS9_16wrapped_functionINS8_6system6detail7generic6detail18binary_search_lessEbEEEE10hipError_tPvRmT1_T2_T3_mmT4_T5_P12ihipStream_tbEUlRKxE_EESV_SZ_S10_mS11_S14_bEUlT_E_NS1_11comp_targetILNS1_3genE5ELNS1_11target_archE942ELNS1_3gpuE9ELNS1_3repE0EEENS1_30default_config_static_selectorELNS0_4arch9wavefront6targetE0EEEvSY_
		.amdhsa_group_segment_fixed_size 0
		.amdhsa_private_segment_fixed_size 0
		.amdhsa_kernarg_size 56
		.amdhsa_user_sgpr_count 6
		.amdhsa_user_sgpr_private_segment_buffer 1
		.amdhsa_user_sgpr_dispatch_ptr 0
		.amdhsa_user_sgpr_queue_ptr 0
		.amdhsa_user_sgpr_kernarg_segment_ptr 1
		.amdhsa_user_sgpr_dispatch_id 0
		.amdhsa_user_sgpr_flat_scratch_init 0
		.amdhsa_user_sgpr_private_segment_size 0
		.amdhsa_wavefront_size32 1
		.amdhsa_uses_dynamic_stack 0
		.amdhsa_system_sgpr_private_segment_wavefront_offset 0
		.amdhsa_system_sgpr_workgroup_id_x 1
		.amdhsa_system_sgpr_workgroup_id_y 0
		.amdhsa_system_sgpr_workgroup_id_z 0
		.amdhsa_system_sgpr_workgroup_info 0
		.amdhsa_system_vgpr_workitem_id 0
		.amdhsa_next_free_vgpr 1
		.amdhsa_next_free_sgpr 1
		.amdhsa_reserve_vcc 0
		.amdhsa_reserve_flat_scratch 0
		.amdhsa_float_round_mode_32 0
		.amdhsa_float_round_mode_16_64 0
		.amdhsa_float_denorm_mode_32 3
		.amdhsa_float_denorm_mode_16_64 3
		.amdhsa_dx10_clamp 1
		.amdhsa_ieee_mode 1
		.amdhsa_fp16_overflow 0
		.amdhsa_workgroup_processor_mode 1
		.amdhsa_memory_ordered 1
		.amdhsa_forward_progress 1
		.amdhsa_shared_vgpr_count 0
		.amdhsa_exception_fp_ieee_invalid_op 0
		.amdhsa_exception_fp_denorm_src 0
		.amdhsa_exception_fp_ieee_div_zero 0
		.amdhsa_exception_fp_ieee_overflow 0
		.amdhsa_exception_fp_ieee_underflow 0
		.amdhsa_exception_fp_ieee_inexact 0
		.amdhsa_exception_int_div_zero 0
	.end_amdhsa_kernel
	.section	.text._ZN7rocprim17ROCPRIM_400000_NS6detail17trampoline_kernelINS0_14default_configENS1_29binary_search_config_selectorIxiEEZNS1_14transform_implILb0ES3_S5_N6thrust23THRUST_200600_302600_NS6detail15normal_iteratorINS8_7pointerIxNS8_11hip_rocprim5par_tENS8_11use_defaultESE_EEEENSA_INSB_IiSD_SE_SE_EEEEZNS1_13binary_searchIS3_S5_NSA_INS8_10device_ptrIxEEEESG_SI_NS1_16binary_search_opENS9_16wrapped_functionINS8_6system6detail7generic6detail18binary_search_lessEbEEEE10hipError_tPvRmT1_T2_T3_mmT4_T5_P12ihipStream_tbEUlRKxE_EESV_SZ_S10_mS11_S14_bEUlT_E_NS1_11comp_targetILNS1_3genE5ELNS1_11target_archE942ELNS1_3gpuE9ELNS1_3repE0EEENS1_30default_config_static_selectorELNS0_4arch9wavefront6targetE0EEEvSY_,"axG",@progbits,_ZN7rocprim17ROCPRIM_400000_NS6detail17trampoline_kernelINS0_14default_configENS1_29binary_search_config_selectorIxiEEZNS1_14transform_implILb0ES3_S5_N6thrust23THRUST_200600_302600_NS6detail15normal_iteratorINS8_7pointerIxNS8_11hip_rocprim5par_tENS8_11use_defaultESE_EEEENSA_INSB_IiSD_SE_SE_EEEEZNS1_13binary_searchIS3_S5_NSA_INS8_10device_ptrIxEEEESG_SI_NS1_16binary_search_opENS9_16wrapped_functionINS8_6system6detail7generic6detail18binary_search_lessEbEEEE10hipError_tPvRmT1_T2_T3_mmT4_T5_P12ihipStream_tbEUlRKxE_EESV_SZ_S10_mS11_S14_bEUlT_E_NS1_11comp_targetILNS1_3genE5ELNS1_11target_archE942ELNS1_3gpuE9ELNS1_3repE0EEENS1_30default_config_static_selectorELNS0_4arch9wavefront6targetE0EEEvSY_,comdat
.Lfunc_end690:
	.size	_ZN7rocprim17ROCPRIM_400000_NS6detail17trampoline_kernelINS0_14default_configENS1_29binary_search_config_selectorIxiEEZNS1_14transform_implILb0ES3_S5_N6thrust23THRUST_200600_302600_NS6detail15normal_iteratorINS8_7pointerIxNS8_11hip_rocprim5par_tENS8_11use_defaultESE_EEEENSA_INSB_IiSD_SE_SE_EEEEZNS1_13binary_searchIS3_S5_NSA_INS8_10device_ptrIxEEEESG_SI_NS1_16binary_search_opENS9_16wrapped_functionINS8_6system6detail7generic6detail18binary_search_lessEbEEEE10hipError_tPvRmT1_T2_T3_mmT4_T5_P12ihipStream_tbEUlRKxE_EESV_SZ_S10_mS11_S14_bEUlT_E_NS1_11comp_targetILNS1_3genE5ELNS1_11target_archE942ELNS1_3gpuE9ELNS1_3repE0EEENS1_30default_config_static_selectorELNS0_4arch9wavefront6targetE0EEEvSY_, .Lfunc_end690-_ZN7rocprim17ROCPRIM_400000_NS6detail17trampoline_kernelINS0_14default_configENS1_29binary_search_config_selectorIxiEEZNS1_14transform_implILb0ES3_S5_N6thrust23THRUST_200600_302600_NS6detail15normal_iteratorINS8_7pointerIxNS8_11hip_rocprim5par_tENS8_11use_defaultESE_EEEENSA_INSB_IiSD_SE_SE_EEEEZNS1_13binary_searchIS3_S5_NSA_INS8_10device_ptrIxEEEESG_SI_NS1_16binary_search_opENS9_16wrapped_functionINS8_6system6detail7generic6detail18binary_search_lessEbEEEE10hipError_tPvRmT1_T2_T3_mmT4_T5_P12ihipStream_tbEUlRKxE_EESV_SZ_S10_mS11_S14_bEUlT_E_NS1_11comp_targetILNS1_3genE5ELNS1_11target_archE942ELNS1_3gpuE9ELNS1_3repE0EEENS1_30default_config_static_selectorELNS0_4arch9wavefront6targetE0EEEvSY_
                                        ; -- End function
	.set _ZN7rocprim17ROCPRIM_400000_NS6detail17trampoline_kernelINS0_14default_configENS1_29binary_search_config_selectorIxiEEZNS1_14transform_implILb0ES3_S5_N6thrust23THRUST_200600_302600_NS6detail15normal_iteratorINS8_7pointerIxNS8_11hip_rocprim5par_tENS8_11use_defaultESE_EEEENSA_INSB_IiSD_SE_SE_EEEEZNS1_13binary_searchIS3_S5_NSA_INS8_10device_ptrIxEEEESG_SI_NS1_16binary_search_opENS9_16wrapped_functionINS8_6system6detail7generic6detail18binary_search_lessEbEEEE10hipError_tPvRmT1_T2_T3_mmT4_T5_P12ihipStream_tbEUlRKxE_EESV_SZ_S10_mS11_S14_bEUlT_E_NS1_11comp_targetILNS1_3genE5ELNS1_11target_archE942ELNS1_3gpuE9ELNS1_3repE0EEENS1_30default_config_static_selectorELNS0_4arch9wavefront6targetE0EEEvSY_.num_vgpr, 0
	.set _ZN7rocprim17ROCPRIM_400000_NS6detail17trampoline_kernelINS0_14default_configENS1_29binary_search_config_selectorIxiEEZNS1_14transform_implILb0ES3_S5_N6thrust23THRUST_200600_302600_NS6detail15normal_iteratorINS8_7pointerIxNS8_11hip_rocprim5par_tENS8_11use_defaultESE_EEEENSA_INSB_IiSD_SE_SE_EEEEZNS1_13binary_searchIS3_S5_NSA_INS8_10device_ptrIxEEEESG_SI_NS1_16binary_search_opENS9_16wrapped_functionINS8_6system6detail7generic6detail18binary_search_lessEbEEEE10hipError_tPvRmT1_T2_T3_mmT4_T5_P12ihipStream_tbEUlRKxE_EESV_SZ_S10_mS11_S14_bEUlT_E_NS1_11comp_targetILNS1_3genE5ELNS1_11target_archE942ELNS1_3gpuE9ELNS1_3repE0EEENS1_30default_config_static_selectorELNS0_4arch9wavefront6targetE0EEEvSY_.num_agpr, 0
	.set _ZN7rocprim17ROCPRIM_400000_NS6detail17trampoline_kernelINS0_14default_configENS1_29binary_search_config_selectorIxiEEZNS1_14transform_implILb0ES3_S5_N6thrust23THRUST_200600_302600_NS6detail15normal_iteratorINS8_7pointerIxNS8_11hip_rocprim5par_tENS8_11use_defaultESE_EEEENSA_INSB_IiSD_SE_SE_EEEEZNS1_13binary_searchIS3_S5_NSA_INS8_10device_ptrIxEEEESG_SI_NS1_16binary_search_opENS9_16wrapped_functionINS8_6system6detail7generic6detail18binary_search_lessEbEEEE10hipError_tPvRmT1_T2_T3_mmT4_T5_P12ihipStream_tbEUlRKxE_EESV_SZ_S10_mS11_S14_bEUlT_E_NS1_11comp_targetILNS1_3genE5ELNS1_11target_archE942ELNS1_3gpuE9ELNS1_3repE0EEENS1_30default_config_static_selectorELNS0_4arch9wavefront6targetE0EEEvSY_.numbered_sgpr, 0
	.set _ZN7rocprim17ROCPRIM_400000_NS6detail17trampoline_kernelINS0_14default_configENS1_29binary_search_config_selectorIxiEEZNS1_14transform_implILb0ES3_S5_N6thrust23THRUST_200600_302600_NS6detail15normal_iteratorINS8_7pointerIxNS8_11hip_rocprim5par_tENS8_11use_defaultESE_EEEENSA_INSB_IiSD_SE_SE_EEEEZNS1_13binary_searchIS3_S5_NSA_INS8_10device_ptrIxEEEESG_SI_NS1_16binary_search_opENS9_16wrapped_functionINS8_6system6detail7generic6detail18binary_search_lessEbEEEE10hipError_tPvRmT1_T2_T3_mmT4_T5_P12ihipStream_tbEUlRKxE_EESV_SZ_S10_mS11_S14_bEUlT_E_NS1_11comp_targetILNS1_3genE5ELNS1_11target_archE942ELNS1_3gpuE9ELNS1_3repE0EEENS1_30default_config_static_selectorELNS0_4arch9wavefront6targetE0EEEvSY_.num_named_barrier, 0
	.set _ZN7rocprim17ROCPRIM_400000_NS6detail17trampoline_kernelINS0_14default_configENS1_29binary_search_config_selectorIxiEEZNS1_14transform_implILb0ES3_S5_N6thrust23THRUST_200600_302600_NS6detail15normal_iteratorINS8_7pointerIxNS8_11hip_rocprim5par_tENS8_11use_defaultESE_EEEENSA_INSB_IiSD_SE_SE_EEEEZNS1_13binary_searchIS3_S5_NSA_INS8_10device_ptrIxEEEESG_SI_NS1_16binary_search_opENS9_16wrapped_functionINS8_6system6detail7generic6detail18binary_search_lessEbEEEE10hipError_tPvRmT1_T2_T3_mmT4_T5_P12ihipStream_tbEUlRKxE_EESV_SZ_S10_mS11_S14_bEUlT_E_NS1_11comp_targetILNS1_3genE5ELNS1_11target_archE942ELNS1_3gpuE9ELNS1_3repE0EEENS1_30default_config_static_selectorELNS0_4arch9wavefront6targetE0EEEvSY_.private_seg_size, 0
	.set _ZN7rocprim17ROCPRIM_400000_NS6detail17trampoline_kernelINS0_14default_configENS1_29binary_search_config_selectorIxiEEZNS1_14transform_implILb0ES3_S5_N6thrust23THRUST_200600_302600_NS6detail15normal_iteratorINS8_7pointerIxNS8_11hip_rocprim5par_tENS8_11use_defaultESE_EEEENSA_INSB_IiSD_SE_SE_EEEEZNS1_13binary_searchIS3_S5_NSA_INS8_10device_ptrIxEEEESG_SI_NS1_16binary_search_opENS9_16wrapped_functionINS8_6system6detail7generic6detail18binary_search_lessEbEEEE10hipError_tPvRmT1_T2_T3_mmT4_T5_P12ihipStream_tbEUlRKxE_EESV_SZ_S10_mS11_S14_bEUlT_E_NS1_11comp_targetILNS1_3genE5ELNS1_11target_archE942ELNS1_3gpuE9ELNS1_3repE0EEENS1_30default_config_static_selectorELNS0_4arch9wavefront6targetE0EEEvSY_.uses_vcc, 0
	.set _ZN7rocprim17ROCPRIM_400000_NS6detail17trampoline_kernelINS0_14default_configENS1_29binary_search_config_selectorIxiEEZNS1_14transform_implILb0ES3_S5_N6thrust23THRUST_200600_302600_NS6detail15normal_iteratorINS8_7pointerIxNS8_11hip_rocprim5par_tENS8_11use_defaultESE_EEEENSA_INSB_IiSD_SE_SE_EEEEZNS1_13binary_searchIS3_S5_NSA_INS8_10device_ptrIxEEEESG_SI_NS1_16binary_search_opENS9_16wrapped_functionINS8_6system6detail7generic6detail18binary_search_lessEbEEEE10hipError_tPvRmT1_T2_T3_mmT4_T5_P12ihipStream_tbEUlRKxE_EESV_SZ_S10_mS11_S14_bEUlT_E_NS1_11comp_targetILNS1_3genE5ELNS1_11target_archE942ELNS1_3gpuE9ELNS1_3repE0EEENS1_30default_config_static_selectorELNS0_4arch9wavefront6targetE0EEEvSY_.uses_flat_scratch, 0
	.set _ZN7rocprim17ROCPRIM_400000_NS6detail17trampoline_kernelINS0_14default_configENS1_29binary_search_config_selectorIxiEEZNS1_14transform_implILb0ES3_S5_N6thrust23THRUST_200600_302600_NS6detail15normal_iteratorINS8_7pointerIxNS8_11hip_rocprim5par_tENS8_11use_defaultESE_EEEENSA_INSB_IiSD_SE_SE_EEEEZNS1_13binary_searchIS3_S5_NSA_INS8_10device_ptrIxEEEESG_SI_NS1_16binary_search_opENS9_16wrapped_functionINS8_6system6detail7generic6detail18binary_search_lessEbEEEE10hipError_tPvRmT1_T2_T3_mmT4_T5_P12ihipStream_tbEUlRKxE_EESV_SZ_S10_mS11_S14_bEUlT_E_NS1_11comp_targetILNS1_3genE5ELNS1_11target_archE942ELNS1_3gpuE9ELNS1_3repE0EEENS1_30default_config_static_selectorELNS0_4arch9wavefront6targetE0EEEvSY_.has_dyn_sized_stack, 0
	.set _ZN7rocprim17ROCPRIM_400000_NS6detail17trampoline_kernelINS0_14default_configENS1_29binary_search_config_selectorIxiEEZNS1_14transform_implILb0ES3_S5_N6thrust23THRUST_200600_302600_NS6detail15normal_iteratorINS8_7pointerIxNS8_11hip_rocprim5par_tENS8_11use_defaultESE_EEEENSA_INSB_IiSD_SE_SE_EEEEZNS1_13binary_searchIS3_S5_NSA_INS8_10device_ptrIxEEEESG_SI_NS1_16binary_search_opENS9_16wrapped_functionINS8_6system6detail7generic6detail18binary_search_lessEbEEEE10hipError_tPvRmT1_T2_T3_mmT4_T5_P12ihipStream_tbEUlRKxE_EESV_SZ_S10_mS11_S14_bEUlT_E_NS1_11comp_targetILNS1_3genE5ELNS1_11target_archE942ELNS1_3gpuE9ELNS1_3repE0EEENS1_30default_config_static_selectorELNS0_4arch9wavefront6targetE0EEEvSY_.has_recursion, 0
	.set _ZN7rocprim17ROCPRIM_400000_NS6detail17trampoline_kernelINS0_14default_configENS1_29binary_search_config_selectorIxiEEZNS1_14transform_implILb0ES3_S5_N6thrust23THRUST_200600_302600_NS6detail15normal_iteratorINS8_7pointerIxNS8_11hip_rocprim5par_tENS8_11use_defaultESE_EEEENSA_INSB_IiSD_SE_SE_EEEEZNS1_13binary_searchIS3_S5_NSA_INS8_10device_ptrIxEEEESG_SI_NS1_16binary_search_opENS9_16wrapped_functionINS8_6system6detail7generic6detail18binary_search_lessEbEEEE10hipError_tPvRmT1_T2_T3_mmT4_T5_P12ihipStream_tbEUlRKxE_EESV_SZ_S10_mS11_S14_bEUlT_E_NS1_11comp_targetILNS1_3genE5ELNS1_11target_archE942ELNS1_3gpuE9ELNS1_3repE0EEENS1_30default_config_static_selectorELNS0_4arch9wavefront6targetE0EEEvSY_.has_indirect_call, 0
	.section	.AMDGPU.csdata,"",@progbits
; Kernel info:
; codeLenInByte = 0
; TotalNumSgprs: 0
; NumVgprs: 0
; ScratchSize: 0
; MemoryBound: 0
; FloatMode: 240
; IeeeMode: 1
; LDSByteSize: 0 bytes/workgroup (compile time only)
; SGPRBlocks: 0
; VGPRBlocks: 0
; NumSGPRsForWavesPerEU: 1
; NumVGPRsForWavesPerEU: 1
; Occupancy: 16
; WaveLimiterHint : 0
; COMPUTE_PGM_RSRC2:SCRATCH_EN: 0
; COMPUTE_PGM_RSRC2:USER_SGPR: 6
; COMPUTE_PGM_RSRC2:TRAP_HANDLER: 0
; COMPUTE_PGM_RSRC2:TGID_X_EN: 1
; COMPUTE_PGM_RSRC2:TGID_Y_EN: 0
; COMPUTE_PGM_RSRC2:TGID_Z_EN: 0
; COMPUTE_PGM_RSRC2:TIDIG_COMP_CNT: 0
	.section	.text._ZN7rocprim17ROCPRIM_400000_NS6detail17trampoline_kernelINS0_14default_configENS1_29binary_search_config_selectorIxiEEZNS1_14transform_implILb0ES3_S5_N6thrust23THRUST_200600_302600_NS6detail15normal_iteratorINS8_7pointerIxNS8_11hip_rocprim5par_tENS8_11use_defaultESE_EEEENSA_INSB_IiSD_SE_SE_EEEEZNS1_13binary_searchIS3_S5_NSA_INS8_10device_ptrIxEEEESG_SI_NS1_16binary_search_opENS9_16wrapped_functionINS8_6system6detail7generic6detail18binary_search_lessEbEEEE10hipError_tPvRmT1_T2_T3_mmT4_T5_P12ihipStream_tbEUlRKxE_EESV_SZ_S10_mS11_S14_bEUlT_E_NS1_11comp_targetILNS1_3genE4ELNS1_11target_archE910ELNS1_3gpuE8ELNS1_3repE0EEENS1_30default_config_static_selectorELNS0_4arch9wavefront6targetE0EEEvSY_,"axG",@progbits,_ZN7rocprim17ROCPRIM_400000_NS6detail17trampoline_kernelINS0_14default_configENS1_29binary_search_config_selectorIxiEEZNS1_14transform_implILb0ES3_S5_N6thrust23THRUST_200600_302600_NS6detail15normal_iteratorINS8_7pointerIxNS8_11hip_rocprim5par_tENS8_11use_defaultESE_EEEENSA_INSB_IiSD_SE_SE_EEEEZNS1_13binary_searchIS3_S5_NSA_INS8_10device_ptrIxEEEESG_SI_NS1_16binary_search_opENS9_16wrapped_functionINS8_6system6detail7generic6detail18binary_search_lessEbEEEE10hipError_tPvRmT1_T2_T3_mmT4_T5_P12ihipStream_tbEUlRKxE_EESV_SZ_S10_mS11_S14_bEUlT_E_NS1_11comp_targetILNS1_3genE4ELNS1_11target_archE910ELNS1_3gpuE8ELNS1_3repE0EEENS1_30default_config_static_selectorELNS0_4arch9wavefront6targetE0EEEvSY_,comdat
	.protected	_ZN7rocprim17ROCPRIM_400000_NS6detail17trampoline_kernelINS0_14default_configENS1_29binary_search_config_selectorIxiEEZNS1_14transform_implILb0ES3_S5_N6thrust23THRUST_200600_302600_NS6detail15normal_iteratorINS8_7pointerIxNS8_11hip_rocprim5par_tENS8_11use_defaultESE_EEEENSA_INSB_IiSD_SE_SE_EEEEZNS1_13binary_searchIS3_S5_NSA_INS8_10device_ptrIxEEEESG_SI_NS1_16binary_search_opENS9_16wrapped_functionINS8_6system6detail7generic6detail18binary_search_lessEbEEEE10hipError_tPvRmT1_T2_T3_mmT4_T5_P12ihipStream_tbEUlRKxE_EESV_SZ_S10_mS11_S14_bEUlT_E_NS1_11comp_targetILNS1_3genE4ELNS1_11target_archE910ELNS1_3gpuE8ELNS1_3repE0EEENS1_30default_config_static_selectorELNS0_4arch9wavefront6targetE0EEEvSY_ ; -- Begin function _ZN7rocprim17ROCPRIM_400000_NS6detail17trampoline_kernelINS0_14default_configENS1_29binary_search_config_selectorIxiEEZNS1_14transform_implILb0ES3_S5_N6thrust23THRUST_200600_302600_NS6detail15normal_iteratorINS8_7pointerIxNS8_11hip_rocprim5par_tENS8_11use_defaultESE_EEEENSA_INSB_IiSD_SE_SE_EEEEZNS1_13binary_searchIS3_S5_NSA_INS8_10device_ptrIxEEEESG_SI_NS1_16binary_search_opENS9_16wrapped_functionINS8_6system6detail7generic6detail18binary_search_lessEbEEEE10hipError_tPvRmT1_T2_T3_mmT4_T5_P12ihipStream_tbEUlRKxE_EESV_SZ_S10_mS11_S14_bEUlT_E_NS1_11comp_targetILNS1_3genE4ELNS1_11target_archE910ELNS1_3gpuE8ELNS1_3repE0EEENS1_30default_config_static_selectorELNS0_4arch9wavefront6targetE0EEEvSY_
	.globl	_ZN7rocprim17ROCPRIM_400000_NS6detail17trampoline_kernelINS0_14default_configENS1_29binary_search_config_selectorIxiEEZNS1_14transform_implILb0ES3_S5_N6thrust23THRUST_200600_302600_NS6detail15normal_iteratorINS8_7pointerIxNS8_11hip_rocprim5par_tENS8_11use_defaultESE_EEEENSA_INSB_IiSD_SE_SE_EEEEZNS1_13binary_searchIS3_S5_NSA_INS8_10device_ptrIxEEEESG_SI_NS1_16binary_search_opENS9_16wrapped_functionINS8_6system6detail7generic6detail18binary_search_lessEbEEEE10hipError_tPvRmT1_T2_T3_mmT4_T5_P12ihipStream_tbEUlRKxE_EESV_SZ_S10_mS11_S14_bEUlT_E_NS1_11comp_targetILNS1_3genE4ELNS1_11target_archE910ELNS1_3gpuE8ELNS1_3repE0EEENS1_30default_config_static_selectorELNS0_4arch9wavefront6targetE0EEEvSY_
	.p2align	8
	.type	_ZN7rocprim17ROCPRIM_400000_NS6detail17trampoline_kernelINS0_14default_configENS1_29binary_search_config_selectorIxiEEZNS1_14transform_implILb0ES3_S5_N6thrust23THRUST_200600_302600_NS6detail15normal_iteratorINS8_7pointerIxNS8_11hip_rocprim5par_tENS8_11use_defaultESE_EEEENSA_INSB_IiSD_SE_SE_EEEEZNS1_13binary_searchIS3_S5_NSA_INS8_10device_ptrIxEEEESG_SI_NS1_16binary_search_opENS9_16wrapped_functionINS8_6system6detail7generic6detail18binary_search_lessEbEEEE10hipError_tPvRmT1_T2_T3_mmT4_T5_P12ihipStream_tbEUlRKxE_EESV_SZ_S10_mS11_S14_bEUlT_E_NS1_11comp_targetILNS1_3genE4ELNS1_11target_archE910ELNS1_3gpuE8ELNS1_3repE0EEENS1_30default_config_static_selectorELNS0_4arch9wavefront6targetE0EEEvSY_,@function
_ZN7rocprim17ROCPRIM_400000_NS6detail17trampoline_kernelINS0_14default_configENS1_29binary_search_config_selectorIxiEEZNS1_14transform_implILb0ES3_S5_N6thrust23THRUST_200600_302600_NS6detail15normal_iteratorINS8_7pointerIxNS8_11hip_rocprim5par_tENS8_11use_defaultESE_EEEENSA_INSB_IiSD_SE_SE_EEEEZNS1_13binary_searchIS3_S5_NSA_INS8_10device_ptrIxEEEESG_SI_NS1_16binary_search_opENS9_16wrapped_functionINS8_6system6detail7generic6detail18binary_search_lessEbEEEE10hipError_tPvRmT1_T2_T3_mmT4_T5_P12ihipStream_tbEUlRKxE_EESV_SZ_S10_mS11_S14_bEUlT_E_NS1_11comp_targetILNS1_3genE4ELNS1_11target_archE910ELNS1_3gpuE8ELNS1_3repE0EEENS1_30default_config_static_selectorELNS0_4arch9wavefront6targetE0EEEvSY_: ; @_ZN7rocprim17ROCPRIM_400000_NS6detail17trampoline_kernelINS0_14default_configENS1_29binary_search_config_selectorIxiEEZNS1_14transform_implILb0ES3_S5_N6thrust23THRUST_200600_302600_NS6detail15normal_iteratorINS8_7pointerIxNS8_11hip_rocprim5par_tENS8_11use_defaultESE_EEEENSA_INSB_IiSD_SE_SE_EEEEZNS1_13binary_searchIS3_S5_NSA_INS8_10device_ptrIxEEEESG_SI_NS1_16binary_search_opENS9_16wrapped_functionINS8_6system6detail7generic6detail18binary_search_lessEbEEEE10hipError_tPvRmT1_T2_T3_mmT4_T5_P12ihipStream_tbEUlRKxE_EESV_SZ_S10_mS11_S14_bEUlT_E_NS1_11comp_targetILNS1_3genE4ELNS1_11target_archE910ELNS1_3gpuE8ELNS1_3repE0EEENS1_30default_config_static_selectorELNS0_4arch9wavefront6targetE0EEEvSY_
; %bb.0:
	.section	.rodata,"a",@progbits
	.p2align	6, 0x0
	.amdhsa_kernel _ZN7rocprim17ROCPRIM_400000_NS6detail17trampoline_kernelINS0_14default_configENS1_29binary_search_config_selectorIxiEEZNS1_14transform_implILb0ES3_S5_N6thrust23THRUST_200600_302600_NS6detail15normal_iteratorINS8_7pointerIxNS8_11hip_rocprim5par_tENS8_11use_defaultESE_EEEENSA_INSB_IiSD_SE_SE_EEEEZNS1_13binary_searchIS3_S5_NSA_INS8_10device_ptrIxEEEESG_SI_NS1_16binary_search_opENS9_16wrapped_functionINS8_6system6detail7generic6detail18binary_search_lessEbEEEE10hipError_tPvRmT1_T2_T3_mmT4_T5_P12ihipStream_tbEUlRKxE_EESV_SZ_S10_mS11_S14_bEUlT_E_NS1_11comp_targetILNS1_3genE4ELNS1_11target_archE910ELNS1_3gpuE8ELNS1_3repE0EEENS1_30default_config_static_selectorELNS0_4arch9wavefront6targetE0EEEvSY_
		.amdhsa_group_segment_fixed_size 0
		.amdhsa_private_segment_fixed_size 0
		.amdhsa_kernarg_size 56
		.amdhsa_user_sgpr_count 6
		.amdhsa_user_sgpr_private_segment_buffer 1
		.amdhsa_user_sgpr_dispatch_ptr 0
		.amdhsa_user_sgpr_queue_ptr 0
		.amdhsa_user_sgpr_kernarg_segment_ptr 1
		.amdhsa_user_sgpr_dispatch_id 0
		.amdhsa_user_sgpr_flat_scratch_init 0
		.amdhsa_user_sgpr_private_segment_size 0
		.amdhsa_wavefront_size32 1
		.amdhsa_uses_dynamic_stack 0
		.amdhsa_system_sgpr_private_segment_wavefront_offset 0
		.amdhsa_system_sgpr_workgroup_id_x 1
		.amdhsa_system_sgpr_workgroup_id_y 0
		.amdhsa_system_sgpr_workgroup_id_z 0
		.amdhsa_system_sgpr_workgroup_info 0
		.amdhsa_system_vgpr_workitem_id 0
		.amdhsa_next_free_vgpr 1
		.amdhsa_next_free_sgpr 1
		.amdhsa_reserve_vcc 0
		.amdhsa_reserve_flat_scratch 0
		.amdhsa_float_round_mode_32 0
		.amdhsa_float_round_mode_16_64 0
		.amdhsa_float_denorm_mode_32 3
		.amdhsa_float_denorm_mode_16_64 3
		.amdhsa_dx10_clamp 1
		.amdhsa_ieee_mode 1
		.amdhsa_fp16_overflow 0
		.amdhsa_workgroup_processor_mode 1
		.amdhsa_memory_ordered 1
		.amdhsa_forward_progress 1
		.amdhsa_shared_vgpr_count 0
		.amdhsa_exception_fp_ieee_invalid_op 0
		.amdhsa_exception_fp_denorm_src 0
		.amdhsa_exception_fp_ieee_div_zero 0
		.amdhsa_exception_fp_ieee_overflow 0
		.amdhsa_exception_fp_ieee_underflow 0
		.amdhsa_exception_fp_ieee_inexact 0
		.amdhsa_exception_int_div_zero 0
	.end_amdhsa_kernel
	.section	.text._ZN7rocprim17ROCPRIM_400000_NS6detail17trampoline_kernelINS0_14default_configENS1_29binary_search_config_selectorIxiEEZNS1_14transform_implILb0ES3_S5_N6thrust23THRUST_200600_302600_NS6detail15normal_iteratorINS8_7pointerIxNS8_11hip_rocprim5par_tENS8_11use_defaultESE_EEEENSA_INSB_IiSD_SE_SE_EEEEZNS1_13binary_searchIS3_S5_NSA_INS8_10device_ptrIxEEEESG_SI_NS1_16binary_search_opENS9_16wrapped_functionINS8_6system6detail7generic6detail18binary_search_lessEbEEEE10hipError_tPvRmT1_T2_T3_mmT4_T5_P12ihipStream_tbEUlRKxE_EESV_SZ_S10_mS11_S14_bEUlT_E_NS1_11comp_targetILNS1_3genE4ELNS1_11target_archE910ELNS1_3gpuE8ELNS1_3repE0EEENS1_30default_config_static_selectorELNS0_4arch9wavefront6targetE0EEEvSY_,"axG",@progbits,_ZN7rocprim17ROCPRIM_400000_NS6detail17trampoline_kernelINS0_14default_configENS1_29binary_search_config_selectorIxiEEZNS1_14transform_implILb0ES3_S5_N6thrust23THRUST_200600_302600_NS6detail15normal_iteratorINS8_7pointerIxNS8_11hip_rocprim5par_tENS8_11use_defaultESE_EEEENSA_INSB_IiSD_SE_SE_EEEEZNS1_13binary_searchIS3_S5_NSA_INS8_10device_ptrIxEEEESG_SI_NS1_16binary_search_opENS9_16wrapped_functionINS8_6system6detail7generic6detail18binary_search_lessEbEEEE10hipError_tPvRmT1_T2_T3_mmT4_T5_P12ihipStream_tbEUlRKxE_EESV_SZ_S10_mS11_S14_bEUlT_E_NS1_11comp_targetILNS1_3genE4ELNS1_11target_archE910ELNS1_3gpuE8ELNS1_3repE0EEENS1_30default_config_static_selectorELNS0_4arch9wavefront6targetE0EEEvSY_,comdat
.Lfunc_end691:
	.size	_ZN7rocprim17ROCPRIM_400000_NS6detail17trampoline_kernelINS0_14default_configENS1_29binary_search_config_selectorIxiEEZNS1_14transform_implILb0ES3_S5_N6thrust23THRUST_200600_302600_NS6detail15normal_iteratorINS8_7pointerIxNS8_11hip_rocprim5par_tENS8_11use_defaultESE_EEEENSA_INSB_IiSD_SE_SE_EEEEZNS1_13binary_searchIS3_S5_NSA_INS8_10device_ptrIxEEEESG_SI_NS1_16binary_search_opENS9_16wrapped_functionINS8_6system6detail7generic6detail18binary_search_lessEbEEEE10hipError_tPvRmT1_T2_T3_mmT4_T5_P12ihipStream_tbEUlRKxE_EESV_SZ_S10_mS11_S14_bEUlT_E_NS1_11comp_targetILNS1_3genE4ELNS1_11target_archE910ELNS1_3gpuE8ELNS1_3repE0EEENS1_30default_config_static_selectorELNS0_4arch9wavefront6targetE0EEEvSY_, .Lfunc_end691-_ZN7rocprim17ROCPRIM_400000_NS6detail17trampoline_kernelINS0_14default_configENS1_29binary_search_config_selectorIxiEEZNS1_14transform_implILb0ES3_S5_N6thrust23THRUST_200600_302600_NS6detail15normal_iteratorINS8_7pointerIxNS8_11hip_rocprim5par_tENS8_11use_defaultESE_EEEENSA_INSB_IiSD_SE_SE_EEEEZNS1_13binary_searchIS3_S5_NSA_INS8_10device_ptrIxEEEESG_SI_NS1_16binary_search_opENS9_16wrapped_functionINS8_6system6detail7generic6detail18binary_search_lessEbEEEE10hipError_tPvRmT1_T2_T3_mmT4_T5_P12ihipStream_tbEUlRKxE_EESV_SZ_S10_mS11_S14_bEUlT_E_NS1_11comp_targetILNS1_3genE4ELNS1_11target_archE910ELNS1_3gpuE8ELNS1_3repE0EEENS1_30default_config_static_selectorELNS0_4arch9wavefront6targetE0EEEvSY_
                                        ; -- End function
	.set _ZN7rocprim17ROCPRIM_400000_NS6detail17trampoline_kernelINS0_14default_configENS1_29binary_search_config_selectorIxiEEZNS1_14transform_implILb0ES3_S5_N6thrust23THRUST_200600_302600_NS6detail15normal_iteratorINS8_7pointerIxNS8_11hip_rocprim5par_tENS8_11use_defaultESE_EEEENSA_INSB_IiSD_SE_SE_EEEEZNS1_13binary_searchIS3_S5_NSA_INS8_10device_ptrIxEEEESG_SI_NS1_16binary_search_opENS9_16wrapped_functionINS8_6system6detail7generic6detail18binary_search_lessEbEEEE10hipError_tPvRmT1_T2_T3_mmT4_T5_P12ihipStream_tbEUlRKxE_EESV_SZ_S10_mS11_S14_bEUlT_E_NS1_11comp_targetILNS1_3genE4ELNS1_11target_archE910ELNS1_3gpuE8ELNS1_3repE0EEENS1_30default_config_static_selectorELNS0_4arch9wavefront6targetE0EEEvSY_.num_vgpr, 0
	.set _ZN7rocprim17ROCPRIM_400000_NS6detail17trampoline_kernelINS0_14default_configENS1_29binary_search_config_selectorIxiEEZNS1_14transform_implILb0ES3_S5_N6thrust23THRUST_200600_302600_NS6detail15normal_iteratorINS8_7pointerIxNS8_11hip_rocprim5par_tENS8_11use_defaultESE_EEEENSA_INSB_IiSD_SE_SE_EEEEZNS1_13binary_searchIS3_S5_NSA_INS8_10device_ptrIxEEEESG_SI_NS1_16binary_search_opENS9_16wrapped_functionINS8_6system6detail7generic6detail18binary_search_lessEbEEEE10hipError_tPvRmT1_T2_T3_mmT4_T5_P12ihipStream_tbEUlRKxE_EESV_SZ_S10_mS11_S14_bEUlT_E_NS1_11comp_targetILNS1_3genE4ELNS1_11target_archE910ELNS1_3gpuE8ELNS1_3repE0EEENS1_30default_config_static_selectorELNS0_4arch9wavefront6targetE0EEEvSY_.num_agpr, 0
	.set _ZN7rocprim17ROCPRIM_400000_NS6detail17trampoline_kernelINS0_14default_configENS1_29binary_search_config_selectorIxiEEZNS1_14transform_implILb0ES3_S5_N6thrust23THRUST_200600_302600_NS6detail15normal_iteratorINS8_7pointerIxNS8_11hip_rocprim5par_tENS8_11use_defaultESE_EEEENSA_INSB_IiSD_SE_SE_EEEEZNS1_13binary_searchIS3_S5_NSA_INS8_10device_ptrIxEEEESG_SI_NS1_16binary_search_opENS9_16wrapped_functionINS8_6system6detail7generic6detail18binary_search_lessEbEEEE10hipError_tPvRmT1_T2_T3_mmT4_T5_P12ihipStream_tbEUlRKxE_EESV_SZ_S10_mS11_S14_bEUlT_E_NS1_11comp_targetILNS1_3genE4ELNS1_11target_archE910ELNS1_3gpuE8ELNS1_3repE0EEENS1_30default_config_static_selectorELNS0_4arch9wavefront6targetE0EEEvSY_.numbered_sgpr, 0
	.set _ZN7rocprim17ROCPRIM_400000_NS6detail17trampoline_kernelINS0_14default_configENS1_29binary_search_config_selectorIxiEEZNS1_14transform_implILb0ES3_S5_N6thrust23THRUST_200600_302600_NS6detail15normal_iteratorINS8_7pointerIxNS8_11hip_rocprim5par_tENS8_11use_defaultESE_EEEENSA_INSB_IiSD_SE_SE_EEEEZNS1_13binary_searchIS3_S5_NSA_INS8_10device_ptrIxEEEESG_SI_NS1_16binary_search_opENS9_16wrapped_functionINS8_6system6detail7generic6detail18binary_search_lessEbEEEE10hipError_tPvRmT1_T2_T3_mmT4_T5_P12ihipStream_tbEUlRKxE_EESV_SZ_S10_mS11_S14_bEUlT_E_NS1_11comp_targetILNS1_3genE4ELNS1_11target_archE910ELNS1_3gpuE8ELNS1_3repE0EEENS1_30default_config_static_selectorELNS0_4arch9wavefront6targetE0EEEvSY_.num_named_barrier, 0
	.set _ZN7rocprim17ROCPRIM_400000_NS6detail17trampoline_kernelINS0_14default_configENS1_29binary_search_config_selectorIxiEEZNS1_14transform_implILb0ES3_S5_N6thrust23THRUST_200600_302600_NS6detail15normal_iteratorINS8_7pointerIxNS8_11hip_rocprim5par_tENS8_11use_defaultESE_EEEENSA_INSB_IiSD_SE_SE_EEEEZNS1_13binary_searchIS3_S5_NSA_INS8_10device_ptrIxEEEESG_SI_NS1_16binary_search_opENS9_16wrapped_functionINS8_6system6detail7generic6detail18binary_search_lessEbEEEE10hipError_tPvRmT1_T2_T3_mmT4_T5_P12ihipStream_tbEUlRKxE_EESV_SZ_S10_mS11_S14_bEUlT_E_NS1_11comp_targetILNS1_3genE4ELNS1_11target_archE910ELNS1_3gpuE8ELNS1_3repE0EEENS1_30default_config_static_selectorELNS0_4arch9wavefront6targetE0EEEvSY_.private_seg_size, 0
	.set _ZN7rocprim17ROCPRIM_400000_NS6detail17trampoline_kernelINS0_14default_configENS1_29binary_search_config_selectorIxiEEZNS1_14transform_implILb0ES3_S5_N6thrust23THRUST_200600_302600_NS6detail15normal_iteratorINS8_7pointerIxNS8_11hip_rocprim5par_tENS8_11use_defaultESE_EEEENSA_INSB_IiSD_SE_SE_EEEEZNS1_13binary_searchIS3_S5_NSA_INS8_10device_ptrIxEEEESG_SI_NS1_16binary_search_opENS9_16wrapped_functionINS8_6system6detail7generic6detail18binary_search_lessEbEEEE10hipError_tPvRmT1_T2_T3_mmT4_T5_P12ihipStream_tbEUlRKxE_EESV_SZ_S10_mS11_S14_bEUlT_E_NS1_11comp_targetILNS1_3genE4ELNS1_11target_archE910ELNS1_3gpuE8ELNS1_3repE0EEENS1_30default_config_static_selectorELNS0_4arch9wavefront6targetE0EEEvSY_.uses_vcc, 0
	.set _ZN7rocprim17ROCPRIM_400000_NS6detail17trampoline_kernelINS0_14default_configENS1_29binary_search_config_selectorIxiEEZNS1_14transform_implILb0ES3_S5_N6thrust23THRUST_200600_302600_NS6detail15normal_iteratorINS8_7pointerIxNS8_11hip_rocprim5par_tENS8_11use_defaultESE_EEEENSA_INSB_IiSD_SE_SE_EEEEZNS1_13binary_searchIS3_S5_NSA_INS8_10device_ptrIxEEEESG_SI_NS1_16binary_search_opENS9_16wrapped_functionINS8_6system6detail7generic6detail18binary_search_lessEbEEEE10hipError_tPvRmT1_T2_T3_mmT4_T5_P12ihipStream_tbEUlRKxE_EESV_SZ_S10_mS11_S14_bEUlT_E_NS1_11comp_targetILNS1_3genE4ELNS1_11target_archE910ELNS1_3gpuE8ELNS1_3repE0EEENS1_30default_config_static_selectorELNS0_4arch9wavefront6targetE0EEEvSY_.uses_flat_scratch, 0
	.set _ZN7rocprim17ROCPRIM_400000_NS6detail17trampoline_kernelINS0_14default_configENS1_29binary_search_config_selectorIxiEEZNS1_14transform_implILb0ES3_S5_N6thrust23THRUST_200600_302600_NS6detail15normal_iteratorINS8_7pointerIxNS8_11hip_rocprim5par_tENS8_11use_defaultESE_EEEENSA_INSB_IiSD_SE_SE_EEEEZNS1_13binary_searchIS3_S5_NSA_INS8_10device_ptrIxEEEESG_SI_NS1_16binary_search_opENS9_16wrapped_functionINS8_6system6detail7generic6detail18binary_search_lessEbEEEE10hipError_tPvRmT1_T2_T3_mmT4_T5_P12ihipStream_tbEUlRKxE_EESV_SZ_S10_mS11_S14_bEUlT_E_NS1_11comp_targetILNS1_3genE4ELNS1_11target_archE910ELNS1_3gpuE8ELNS1_3repE0EEENS1_30default_config_static_selectorELNS0_4arch9wavefront6targetE0EEEvSY_.has_dyn_sized_stack, 0
	.set _ZN7rocprim17ROCPRIM_400000_NS6detail17trampoline_kernelINS0_14default_configENS1_29binary_search_config_selectorIxiEEZNS1_14transform_implILb0ES3_S5_N6thrust23THRUST_200600_302600_NS6detail15normal_iteratorINS8_7pointerIxNS8_11hip_rocprim5par_tENS8_11use_defaultESE_EEEENSA_INSB_IiSD_SE_SE_EEEEZNS1_13binary_searchIS3_S5_NSA_INS8_10device_ptrIxEEEESG_SI_NS1_16binary_search_opENS9_16wrapped_functionINS8_6system6detail7generic6detail18binary_search_lessEbEEEE10hipError_tPvRmT1_T2_T3_mmT4_T5_P12ihipStream_tbEUlRKxE_EESV_SZ_S10_mS11_S14_bEUlT_E_NS1_11comp_targetILNS1_3genE4ELNS1_11target_archE910ELNS1_3gpuE8ELNS1_3repE0EEENS1_30default_config_static_selectorELNS0_4arch9wavefront6targetE0EEEvSY_.has_recursion, 0
	.set _ZN7rocprim17ROCPRIM_400000_NS6detail17trampoline_kernelINS0_14default_configENS1_29binary_search_config_selectorIxiEEZNS1_14transform_implILb0ES3_S5_N6thrust23THRUST_200600_302600_NS6detail15normal_iteratorINS8_7pointerIxNS8_11hip_rocprim5par_tENS8_11use_defaultESE_EEEENSA_INSB_IiSD_SE_SE_EEEEZNS1_13binary_searchIS3_S5_NSA_INS8_10device_ptrIxEEEESG_SI_NS1_16binary_search_opENS9_16wrapped_functionINS8_6system6detail7generic6detail18binary_search_lessEbEEEE10hipError_tPvRmT1_T2_T3_mmT4_T5_P12ihipStream_tbEUlRKxE_EESV_SZ_S10_mS11_S14_bEUlT_E_NS1_11comp_targetILNS1_3genE4ELNS1_11target_archE910ELNS1_3gpuE8ELNS1_3repE0EEENS1_30default_config_static_selectorELNS0_4arch9wavefront6targetE0EEEvSY_.has_indirect_call, 0
	.section	.AMDGPU.csdata,"",@progbits
; Kernel info:
; codeLenInByte = 0
; TotalNumSgprs: 0
; NumVgprs: 0
; ScratchSize: 0
; MemoryBound: 0
; FloatMode: 240
; IeeeMode: 1
; LDSByteSize: 0 bytes/workgroup (compile time only)
; SGPRBlocks: 0
; VGPRBlocks: 0
; NumSGPRsForWavesPerEU: 1
; NumVGPRsForWavesPerEU: 1
; Occupancy: 16
; WaveLimiterHint : 0
; COMPUTE_PGM_RSRC2:SCRATCH_EN: 0
; COMPUTE_PGM_RSRC2:USER_SGPR: 6
; COMPUTE_PGM_RSRC2:TRAP_HANDLER: 0
; COMPUTE_PGM_RSRC2:TGID_X_EN: 1
; COMPUTE_PGM_RSRC2:TGID_Y_EN: 0
; COMPUTE_PGM_RSRC2:TGID_Z_EN: 0
; COMPUTE_PGM_RSRC2:TIDIG_COMP_CNT: 0
	.section	.text._ZN7rocprim17ROCPRIM_400000_NS6detail17trampoline_kernelINS0_14default_configENS1_29binary_search_config_selectorIxiEEZNS1_14transform_implILb0ES3_S5_N6thrust23THRUST_200600_302600_NS6detail15normal_iteratorINS8_7pointerIxNS8_11hip_rocprim5par_tENS8_11use_defaultESE_EEEENSA_INSB_IiSD_SE_SE_EEEEZNS1_13binary_searchIS3_S5_NSA_INS8_10device_ptrIxEEEESG_SI_NS1_16binary_search_opENS9_16wrapped_functionINS8_6system6detail7generic6detail18binary_search_lessEbEEEE10hipError_tPvRmT1_T2_T3_mmT4_T5_P12ihipStream_tbEUlRKxE_EESV_SZ_S10_mS11_S14_bEUlT_E_NS1_11comp_targetILNS1_3genE3ELNS1_11target_archE908ELNS1_3gpuE7ELNS1_3repE0EEENS1_30default_config_static_selectorELNS0_4arch9wavefront6targetE0EEEvSY_,"axG",@progbits,_ZN7rocprim17ROCPRIM_400000_NS6detail17trampoline_kernelINS0_14default_configENS1_29binary_search_config_selectorIxiEEZNS1_14transform_implILb0ES3_S5_N6thrust23THRUST_200600_302600_NS6detail15normal_iteratorINS8_7pointerIxNS8_11hip_rocprim5par_tENS8_11use_defaultESE_EEEENSA_INSB_IiSD_SE_SE_EEEEZNS1_13binary_searchIS3_S5_NSA_INS8_10device_ptrIxEEEESG_SI_NS1_16binary_search_opENS9_16wrapped_functionINS8_6system6detail7generic6detail18binary_search_lessEbEEEE10hipError_tPvRmT1_T2_T3_mmT4_T5_P12ihipStream_tbEUlRKxE_EESV_SZ_S10_mS11_S14_bEUlT_E_NS1_11comp_targetILNS1_3genE3ELNS1_11target_archE908ELNS1_3gpuE7ELNS1_3repE0EEENS1_30default_config_static_selectorELNS0_4arch9wavefront6targetE0EEEvSY_,comdat
	.protected	_ZN7rocprim17ROCPRIM_400000_NS6detail17trampoline_kernelINS0_14default_configENS1_29binary_search_config_selectorIxiEEZNS1_14transform_implILb0ES3_S5_N6thrust23THRUST_200600_302600_NS6detail15normal_iteratorINS8_7pointerIxNS8_11hip_rocprim5par_tENS8_11use_defaultESE_EEEENSA_INSB_IiSD_SE_SE_EEEEZNS1_13binary_searchIS3_S5_NSA_INS8_10device_ptrIxEEEESG_SI_NS1_16binary_search_opENS9_16wrapped_functionINS8_6system6detail7generic6detail18binary_search_lessEbEEEE10hipError_tPvRmT1_T2_T3_mmT4_T5_P12ihipStream_tbEUlRKxE_EESV_SZ_S10_mS11_S14_bEUlT_E_NS1_11comp_targetILNS1_3genE3ELNS1_11target_archE908ELNS1_3gpuE7ELNS1_3repE0EEENS1_30default_config_static_selectorELNS0_4arch9wavefront6targetE0EEEvSY_ ; -- Begin function _ZN7rocprim17ROCPRIM_400000_NS6detail17trampoline_kernelINS0_14default_configENS1_29binary_search_config_selectorIxiEEZNS1_14transform_implILb0ES3_S5_N6thrust23THRUST_200600_302600_NS6detail15normal_iteratorINS8_7pointerIxNS8_11hip_rocprim5par_tENS8_11use_defaultESE_EEEENSA_INSB_IiSD_SE_SE_EEEEZNS1_13binary_searchIS3_S5_NSA_INS8_10device_ptrIxEEEESG_SI_NS1_16binary_search_opENS9_16wrapped_functionINS8_6system6detail7generic6detail18binary_search_lessEbEEEE10hipError_tPvRmT1_T2_T3_mmT4_T5_P12ihipStream_tbEUlRKxE_EESV_SZ_S10_mS11_S14_bEUlT_E_NS1_11comp_targetILNS1_3genE3ELNS1_11target_archE908ELNS1_3gpuE7ELNS1_3repE0EEENS1_30default_config_static_selectorELNS0_4arch9wavefront6targetE0EEEvSY_
	.globl	_ZN7rocprim17ROCPRIM_400000_NS6detail17trampoline_kernelINS0_14default_configENS1_29binary_search_config_selectorIxiEEZNS1_14transform_implILb0ES3_S5_N6thrust23THRUST_200600_302600_NS6detail15normal_iteratorINS8_7pointerIxNS8_11hip_rocprim5par_tENS8_11use_defaultESE_EEEENSA_INSB_IiSD_SE_SE_EEEEZNS1_13binary_searchIS3_S5_NSA_INS8_10device_ptrIxEEEESG_SI_NS1_16binary_search_opENS9_16wrapped_functionINS8_6system6detail7generic6detail18binary_search_lessEbEEEE10hipError_tPvRmT1_T2_T3_mmT4_T5_P12ihipStream_tbEUlRKxE_EESV_SZ_S10_mS11_S14_bEUlT_E_NS1_11comp_targetILNS1_3genE3ELNS1_11target_archE908ELNS1_3gpuE7ELNS1_3repE0EEENS1_30default_config_static_selectorELNS0_4arch9wavefront6targetE0EEEvSY_
	.p2align	8
	.type	_ZN7rocprim17ROCPRIM_400000_NS6detail17trampoline_kernelINS0_14default_configENS1_29binary_search_config_selectorIxiEEZNS1_14transform_implILb0ES3_S5_N6thrust23THRUST_200600_302600_NS6detail15normal_iteratorINS8_7pointerIxNS8_11hip_rocprim5par_tENS8_11use_defaultESE_EEEENSA_INSB_IiSD_SE_SE_EEEEZNS1_13binary_searchIS3_S5_NSA_INS8_10device_ptrIxEEEESG_SI_NS1_16binary_search_opENS9_16wrapped_functionINS8_6system6detail7generic6detail18binary_search_lessEbEEEE10hipError_tPvRmT1_T2_T3_mmT4_T5_P12ihipStream_tbEUlRKxE_EESV_SZ_S10_mS11_S14_bEUlT_E_NS1_11comp_targetILNS1_3genE3ELNS1_11target_archE908ELNS1_3gpuE7ELNS1_3repE0EEENS1_30default_config_static_selectorELNS0_4arch9wavefront6targetE0EEEvSY_,@function
_ZN7rocprim17ROCPRIM_400000_NS6detail17trampoline_kernelINS0_14default_configENS1_29binary_search_config_selectorIxiEEZNS1_14transform_implILb0ES3_S5_N6thrust23THRUST_200600_302600_NS6detail15normal_iteratorINS8_7pointerIxNS8_11hip_rocprim5par_tENS8_11use_defaultESE_EEEENSA_INSB_IiSD_SE_SE_EEEEZNS1_13binary_searchIS3_S5_NSA_INS8_10device_ptrIxEEEESG_SI_NS1_16binary_search_opENS9_16wrapped_functionINS8_6system6detail7generic6detail18binary_search_lessEbEEEE10hipError_tPvRmT1_T2_T3_mmT4_T5_P12ihipStream_tbEUlRKxE_EESV_SZ_S10_mS11_S14_bEUlT_E_NS1_11comp_targetILNS1_3genE3ELNS1_11target_archE908ELNS1_3gpuE7ELNS1_3repE0EEENS1_30default_config_static_selectorELNS0_4arch9wavefront6targetE0EEEvSY_: ; @_ZN7rocprim17ROCPRIM_400000_NS6detail17trampoline_kernelINS0_14default_configENS1_29binary_search_config_selectorIxiEEZNS1_14transform_implILb0ES3_S5_N6thrust23THRUST_200600_302600_NS6detail15normal_iteratorINS8_7pointerIxNS8_11hip_rocprim5par_tENS8_11use_defaultESE_EEEENSA_INSB_IiSD_SE_SE_EEEEZNS1_13binary_searchIS3_S5_NSA_INS8_10device_ptrIxEEEESG_SI_NS1_16binary_search_opENS9_16wrapped_functionINS8_6system6detail7generic6detail18binary_search_lessEbEEEE10hipError_tPvRmT1_T2_T3_mmT4_T5_P12ihipStream_tbEUlRKxE_EESV_SZ_S10_mS11_S14_bEUlT_E_NS1_11comp_targetILNS1_3genE3ELNS1_11target_archE908ELNS1_3gpuE7ELNS1_3repE0EEENS1_30default_config_static_selectorELNS0_4arch9wavefront6targetE0EEEvSY_
; %bb.0:
	.section	.rodata,"a",@progbits
	.p2align	6, 0x0
	.amdhsa_kernel _ZN7rocprim17ROCPRIM_400000_NS6detail17trampoline_kernelINS0_14default_configENS1_29binary_search_config_selectorIxiEEZNS1_14transform_implILb0ES3_S5_N6thrust23THRUST_200600_302600_NS6detail15normal_iteratorINS8_7pointerIxNS8_11hip_rocprim5par_tENS8_11use_defaultESE_EEEENSA_INSB_IiSD_SE_SE_EEEEZNS1_13binary_searchIS3_S5_NSA_INS8_10device_ptrIxEEEESG_SI_NS1_16binary_search_opENS9_16wrapped_functionINS8_6system6detail7generic6detail18binary_search_lessEbEEEE10hipError_tPvRmT1_T2_T3_mmT4_T5_P12ihipStream_tbEUlRKxE_EESV_SZ_S10_mS11_S14_bEUlT_E_NS1_11comp_targetILNS1_3genE3ELNS1_11target_archE908ELNS1_3gpuE7ELNS1_3repE0EEENS1_30default_config_static_selectorELNS0_4arch9wavefront6targetE0EEEvSY_
		.amdhsa_group_segment_fixed_size 0
		.amdhsa_private_segment_fixed_size 0
		.amdhsa_kernarg_size 56
		.amdhsa_user_sgpr_count 6
		.amdhsa_user_sgpr_private_segment_buffer 1
		.amdhsa_user_sgpr_dispatch_ptr 0
		.amdhsa_user_sgpr_queue_ptr 0
		.amdhsa_user_sgpr_kernarg_segment_ptr 1
		.amdhsa_user_sgpr_dispatch_id 0
		.amdhsa_user_sgpr_flat_scratch_init 0
		.amdhsa_user_sgpr_private_segment_size 0
		.amdhsa_wavefront_size32 1
		.amdhsa_uses_dynamic_stack 0
		.amdhsa_system_sgpr_private_segment_wavefront_offset 0
		.amdhsa_system_sgpr_workgroup_id_x 1
		.amdhsa_system_sgpr_workgroup_id_y 0
		.amdhsa_system_sgpr_workgroup_id_z 0
		.amdhsa_system_sgpr_workgroup_info 0
		.amdhsa_system_vgpr_workitem_id 0
		.amdhsa_next_free_vgpr 1
		.amdhsa_next_free_sgpr 1
		.amdhsa_reserve_vcc 0
		.amdhsa_reserve_flat_scratch 0
		.amdhsa_float_round_mode_32 0
		.amdhsa_float_round_mode_16_64 0
		.amdhsa_float_denorm_mode_32 3
		.amdhsa_float_denorm_mode_16_64 3
		.amdhsa_dx10_clamp 1
		.amdhsa_ieee_mode 1
		.amdhsa_fp16_overflow 0
		.amdhsa_workgroup_processor_mode 1
		.amdhsa_memory_ordered 1
		.amdhsa_forward_progress 1
		.amdhsa_shared_vgpr_count 0
		.amdhsa_exception_fp_ieee_invalid_op 0
		.amdhsa_exception_fp_denorm_src 0
		.amdhsa_exception_fp_ieee_div_zero 0
		.amdhsa_exception_fp_ieee_overflow 0
		.amdhsa_exception_fp_ieee_underflow 0
		.amdhsa_exception_fp_ieee_inexact 0
		.amdhsa_exception_int_div_zero 0
	.end_amdhsa_kernel
	.section	.text._ZN7rocprim17ROCPRIM_400000_NS6detail17trampoline_kernelINS0_14default_configENS1_29binary_search_config_selectorIxiEEZNS1_14transform_implILb0ES3_S5_N6thrust23THRUST_200600_302600_NS6detail15normal_iteratorINS8_7pointerIxNS8_11hip_rocprim5par_tENS8_11use_defaultESE_EEEENSA_INSB_IiSD_SE_SE_EEEEZNS1_13binary_searchIS3_S5_NSA_INS8_10device_ptrIxEEEESG_SI_NS1_16binary_search_opENS9_16wrapped_functionINS8_6system6detail7generic6detail18binary_search_lessEbEEEE10hipError_tPvRmT1_T2_T3_mmT4_T5_P12ihipStream_tbEUlRKxE_EESV_SZ_S10_mS11_S14_bEUlT_E_NS1_11comp_targetILNS1_3genE3ELNS1_11target_archE908ELNS1_3gpuE7ELNS1_3repE0EEENS1_30default_config_static_selectorELNS0_4arch9wavefront6targetE0EEEvSY_,"axG",@progbits,_ZN7rocprim17ROCPRIM_400000_NS6detail17trampoline_kernelINS0_14default_configENS1_29binary_search_config_selectorIxiEEZNS1_14transform_implILb0ES3_S5_N6thrust23THRUST_200600_302600_NS6detail15normal_iteratorINS8_7pointerIxNS8_11hip_rocprim5par_tENS8_11use_defaultESE_EEEENSA_INSB_IiSD_SE_SE_EEEEZNS1_13binary_searchIS3_S5_NSA_INS8_10device_ptrIxEEEESG_SI_NS1_16binary_search_opENS9_16wrapped_functionINS8_6system6detail7generic6detail18binary_search_lessEbEEEE10hipError_tPvRmT1_T2_T3_mmT4_T5_P12ihipStream_tbEUlRKxE_EESV_SZ_S10_mS11_S14_bEUlT_E_NS1_11comp_targetILNS1_3genE3ELNS1_11target_archE908ELNS1_3gpuE7ELNS1_3repE0EEENS1_30default_config_static_selectorELNS0_4arch9wavefront6targetE0EEEvSY_,comdat
.Lfunc_end692:
	.size	_ZN7rocprim17ROCPRIM_400000_NS6detail17trampoline_kernelINS0_14default_configENS1_29binary_search_config_selectorIxiEEZNS1_14transform_implILb0ES3_S5_N6thrust23THRUST_200600_302600_NS6detail15normal_iteratorINS8_7pointerIxNS8_11hip_rocprim5par_tENS8_11use_defaultESE_EEEENSA_INSB_IiSD_SE_SE_EEEEZNS1_13binary_searchIS3_S5_NSA_INS8_10device_ptrIxEEEESG_SI_NS1_16binary_search_opENS9_16wrapped_functionINS8_6system6detail7generic6detail18binary_search_lessEbEEEE10hipError_tPvRmT1_T2_T3_mmT4_T5_P12ihipStream_tbEUlRKxE_EESV_SZ_S10_mS11_S14_bEUlT_E_NS1_11comp_targetILNS1_3genE3ELNS1_11target_archE908ELNS1_3gpuE7ELNS1_3repE0EEENS1_30default_config_static_selectorELNS0_4arch9wavefront6targetE0EEEvSY_, .Lfunc_end692-_ZN7rocprim17ROCPRIM_400000_NS6detail17trampoline_kernelINS0_14default_configENS1_29binary_search_config_selectorIxiEEZNS1_14transform_implILb0ES3_S5_N6thrust23THRUST_200600_302600_NS6detail15normal_iteratorINS8_7pointerIxNS8_11hip_rocprim5par_tENS8_11use_defaultESE_EEEENSA_INSB_IiSD_SE_SE_EEEEZNS1_13binary_searchIS3_S5_NSA_INS8_10device_ptrIxEEEESG_SI_NS1_16binary_search_opENS9_16wrapped_functionINS8_6system6detail7generic6detail18binary_search_lessEbEEEE10hipError_tPvRmT1_T2_T3_mmT4_T5_P12ihipStream_tbEUlRKxE_EESV_SZ_S10_mS11_S14_bEUlT_E_NS1_11comp_targetILNS1_3genE3ELNS1_11target_archE908ELNS1_3gpuE7ELNS1_3repE0EEENS1_30default_config_static_selectorELNS0_4arch9wavefront6targetE0EEEvSY_
                                        ; -- End function
	.set _ZN7rocprim17ROCPRIM_400000_NS6detail17trampoline_kernelINS0_14default_configENS1_29binary_search_config_selectorIxiEEZNS1_14transform_implILb0ES3_S5_N6thrust23THRUST_200600_302600_NS6detail15normal_iteratorINS8_7pointerIxNS8_11hip_rocprim5par_tENS8_11use_defaultESE_EEEENSA_INSB_IiSD_SE_SE_EEEEZNS1_13binary_searchIS3_S5_NSA_INS8_10device_ptrIxEEEESG_SI_NS1_16binary_search_opENS9_16wrapped_functionINS8_6system6detail7generic6detail18binary_search_lessEbEEEE10hipError_tPvRmT1_T2_T3_mmT4_T5_P12ihipStream_tbEUlRKxE_EESV_SZ_S10_mS11_S14_bEUlT_E_NS1_11comp_targetILNS1_3genE3ELNS1_11target_archE908ELNS1_3gpuE7ELNS1_3repE0EEENS1_30default_config_static_selectorELNS0_4arch9wavefront6targetE0EEEvSY_.num_vgpr, 0
	.set _ZN7rocprim17ROCPRIM_400000_NS6detail17trampoline_kernelINS0_14default_configENS1_29binary_search_config_selectorIxiEEZNS1_14transform_implILb0ES3_S5_N6thrust23THRUST_200600_302600_NS6detail15normal_iteratorINS8_7pointerIxNS8_11hip_rocprim5par_tENS8_11use_defaultESE_EEEENSA_INSB_IiSD_SE_SE_EEEEZNS1_13binary_searchIS3_S5_NSA_INS8_10device_ptrIxEEEESG_SI_NS1_16binary_search_opENS9_16wrapped_functionINS8_6system6detail7generic6detail18binary_search_lessEbEEEE10hipError_tPvRmT1_T2_T3_mmT4_T5_P12ihipStream_tbEUlRKxE_EESV_SZ_S10_mS11_S14_bEUlT_E_NS1_11comp_targetILNS1_3genE3ELNS1_11target_archE908ELNS1_3gpuE7ELNS1_3repE0EEENS1_30default_config_static_selectorELNS0_4arch9wavefront6targetE0EEEvSY_.num_agpr, 0
	.set _ZN7rocprim17ROCPRIM_400000_NS6detail17trampoline_kernelINS0_14default_configENS1_29binary_search_config_selectorIxiEEZNS1_14transform_implILb0ES3_S5_N6thrust23THRUST_200600_302600_NS6detail15normal_iteratorINS8_7pointerIxNS8_11hip_rocprim5par_tENS8_11use_defaultESE_EEEENSA_INSB_IiSD_SE_SE_EEEEZNS1_13binary_searchIS3_S5_NSA_INS8_10device_ptrIxEEEESG_SI_NS1_16binary_search_opENS9_16wrapped_functionINS8_6system6detail7generic6detail18binary_search_lessEbEEEE10hipError_tPvRmT1_T2_T3_mmT4_T5_P12ihipStream_tbEUlRKxE_EESV_SZ_S10_mS11_S14_bEUlT_E_NS1_11comp_targetILNS1_3genE3ELNS1_11target_archE908ELNS1_3gpuE7ELNS1_3repE0EEENS1_30default_config_static_selectorELNS0_4arch9wavefront6targetE0EEEvSY_.numbered_sgpr, 0
	.set _ZN7rocprim17ROCPRIM_400000_NS6detail17trampoline_kernelINS0_14default_configENS1_29binary_search_config_selectorIxiEEZNS1_14transform_implILb0ES3_S5_N6thrust23THRUST_200600_302600_NS6detail15normal_iteratorINS8_7pointerIxNS8_11hip_rocprim5par_tENS8_11use_defaultESE_EEEENSA_INSB_IiSD_SE_SE_EEEEZNS1_13binary_searchIS3_S5_NSA_INS8_10device_ptrIxEEEESG_SI_NS1_16binary_search_opENS9_16wrapped_functionINS8_6system6detail7generic6detail18binary_search_lessEbEEEE10hipError_tPvRmT1_T2_T3_mmT4_T5_P12ihipStream_tbEUlRKxE_EESV_SZ_S10_mS11_S14_bEUlT_E_NS1_11comp_targetILNS1_3genE3ELNS1_11target_archE908ELNS1_3gpuE7ELNS1_3repE0EEENS1_30default_config_static_selectorELNS0_4arch9wavefront6targetE0EEEvSY_.num_named_barrier, 0
	.set _ZN7rocprim17ROCPRIM_400000_NS6detail17trampoline_kernelINS0_14default_configENS1_29binary_search_config_selectorIxiEEZNS1_14transform_implILb0ES3_S5_N6thrust23THRUST_200600_302600_NS6detail15normal_iteratorINS8_7pointerIxNS8_11hip_rocprim5par_tENS8_11use_defaultESE_EEEENSA_INSB_IiSD_SE_SE_EEEEZNS1_13binary_searchIS3_S5_NSA_INS8_10device_ptrIxEEEESG_SI_NS1_16binary_search_opENS9_16wrapped_functionINS8_6system6detail7generic6detail18binary_search_lessEbEEEE10hipError_tPvRmT1_T2_T3_mmT4_T5_P12ihipStream_tbEUlRKxE_EESV_SZ_S10_mS11_S14_bEUlT_E_NS1_11comp_targetILNS1_3genE3ELNS1_11target_archE908ELNS1_3gpuE7ELNS1_3repE0EEENS1_30default_config_static_selectorELNS0_4arch9wavefront6targetE0EEEvSY_.private_seg_size, 0
	.set _ZN7rocprim17ROCPRIM_400000_NS6detail17trampoline_kernelINS0_14default_configENS1_29binary_search_config_selectorIxiEEZNS1_14transform_implILb0ES3_S5_N6thrust23THRUST_200600_302600_NS6detail15normal_iteratorINS8_7pointerIxNS8_11hip_rocprim5par_tENS8_11use_defaultESE_EEEENSA_INSB_IiSD_SE_SE_EEEEZNS1_13binary_searchIS3_S5_NSA_INS8_10device_ptrIxEEEESG_SI_NS1_16binary_search_opENS9_16wrapped_functionINS8_6system6detail7generic6detail18binary_search_lessEbEEEE10hipError_tPvRmT1_T2_T3_mmT4_T5_P12ihipStream_tbEUlRKxE_EESV_SZ_S10_mS11_S14_bEUlT_E_NS1_11comp_targetILNS1_3genE3ELNS1_11target_archE908ELNS1_3gpuE7ELNS1_3repE0EEENS1_30default_config_static_selectorELNS0_4arch9wavefront6targetE0EEEvSY_.uses_vcc, 0
	.set _ZN7rocprim17ROCPRIM_400000_NS6detail17trampoline_kernelINS0_14default_configENS1_29binary_search_config_selectorIxiEEZNS1_14transform_implILb0ES3_S5_N6thrust23THRUST_200600_302600_NS6detail15normal_iteratorINS8_7pointerIxNS8_11hip_rocprim5par_tENS8_11use_defaultESE_EEEENSA_INSB_IiSD_SE_SE_EEEEZNS1_13binary_searchIS3_S5_NSA_INS8_10device_ptrIxEEEESG_SI_NS1_16binary_search_opENS9_16wrapped_functionINS8_6system6detail7generic6detail18binary_search_lessEbEEEE10hipError_tPvRmT1_T2_T3_mmT4_T5_P12ihipStream_tbEUlRKxE_EESV_SZ_S10_mS11_S14_bEUlT_E_NS1_11comp_targetILNS1_3genE3ELNS1_11target_archE908ELNS1_3gpuE7ELNS1_3repE0EEENS1_30default_config_static_selectorELNS0_4arch9wavefront6targetE0EEEvSY_.uses_flat_scratch, 0
	.set _ZN7rocprim17ROCPRIM_400000_NS6detail17trampoline_kernelINS0_14default_configENS1_29binary_search_config_selectorIxiEEZNS1_14transform_implILb0ES3_S5_N6thrust23THRUST_200600_302600_NS6detail15normal_iteratorINS8_7pointerIxNS8_11hip_rocprim5par_tENS8_11use_defaultESE_EEEENSA_INSB_IiSD_SE_SE_EEEEZNS1_13binary_searchIS3_S5_NSA_INS8_10device_ptrIxEEEESG_SI_NS1_16binary_search_opENS9_16wrapped_functionINS8_6system6detail7generic6detail18binary_search_lessEbEEEE10hipError_tPvRmT1_T2_T3_mmT4_T5_P12ihipStream_tbEUlRKxE_EESV_SZ_S10_mS11_S14_bEUlT_E_NS1_11comp_targetILNS1_3genE3ELNS1_11target_archE908ELNS1_3gpuE7ELNS1_3repE0EEENS1_30default_config_static_selectorELNS0_4arch9wavefront6targetE0EEEvSY_.has_dyn_sized_stack, 0
	.set _ZN7rocprim17ROCPRIM_400000_NS6detail17trampoline_kernelINS0_14default_configENS1_29binary_search_config_selectorIxiEEZNS1_14transform_implILb0ES3_S5_N6thrust23THRUST_200600_302600_NS6detail15normal_iteratorINS8_7pointerIxNS8_11hip_rocprim5par_tENS8_11use_defaultESE_EEEENSA_INSB_IiSD_SE_SE_EEEEZNS1_13binary_searchIS3_S5_NSA_INS8_10device_ptrIxEEEESG_SI_NS1_16binary_search_opENS9_16wrapped_functionINS8_6system6detail7generic6detail18binary_search_lessEbEEEE10hipError_tPvRmT1_T2_T3_mmT4_T5_P12ihipStream_tbEUlRKxE_EESV_SZ_S10_mS11_S14_bEUlT_E_NS1_11comp_targetILNS1_3genE3ELNS1_11target_archE908ELNS1_3gpuE7ELNS1_3repE0EEENS1_30default_config_static_selectorELNS0_4arch9wavefront6targetE0EEEvSY_.has_recursion, 0
	.set _ZN7rocprim17ROCPRIM_400000_NS6detail17trampoline_kernelINS0_14default_configENS1_29binary_search_config_selectorIxiEEZNS1_14transform_implILb0ES3_S5_N6thrust23THRUST_200600_302600_NS6detail15normal_iteratorINS8_7pointerIxNS8_11hip_rocprim5par_tENS8_11use_defaultESE_EEEENSA_INSB_IiSD_SE_SE_EEEEZNS1_13binary_searchIS3_S5_NSA_INS8_10device_ptrIxEEEESG_SI_NS1_16binary_search_opENS9_16wrapped_functionINS8_6system6detail7generic6detail18binary_search_lessEbEEEE10hipError_tPvRmT1_T2_T3_mmT4_T5_P12ihipStream_tbEUlRKxE_EESV_SZ_S10_mS11_S14_bEUlT_E_NS1_11comp_targetILNS1_3genE3ELNS1_11target_archE908ELNS1_3gpuE7ELNS1_3repE0EEENS1_30default_config_static_selectorELNS0_4arch9wavefront6targetE0EEEvSY_.has_indirect_call, 0
	.section	.AMDGPU.csdata,"",@progbits
; Kernel info:
; codeLenInByte = 0
; TotalNumSgprs: 0
; NumVgprs: 0
; ScratchSize: 0
; MemoryBound: 0
; FloatMode: 240
; IeeeMode: 1
; LDSByteSize: 0 bytes/workgroup (compile time only)
; SGPRBlocks: 0
; VGPRBlocks: 0
; NumSGPRsForWavesPerEU: 1
; NumVGPRsForWavesPerEU: 1
; Occupancy: 16
; WaveLimiterHint : 0
; COMPUTE_PGM_RSRC2:SCRATCH_EN: 0
; COMPUTE_PGM_RSRC2:USER_SGPR: 6
; COMPUTE_PGM_RSRC2:TRAP_HANDLER: 0
; COMPUTE_PGM_RSRC2:TGID_X_EN: 1
; COMPUTE_PGM_RSRC2:TGID_Y_EN: 0
; COMPUTE_PGM_RSRC2:TGID_Z_EN: 0
; COMPUTE_PGM_RSRC2:TIDIG_COMP_CNT: 0
	.section	.text._ZN7rocprim17ROCPRIM_400000_NS6detail17trampoline_kernelINS0_14default_configENS1_29binary_search_config_selectorIxiEEZNS1_14transform_implILb0ES3_S5_N6thrust23THRUST_200600_302600_NS6detail15normal_iteratorINS8_7pointerIxNS8_11hip_rocprim5par_tENS8_11use_defaultESE_EEEENSA_INSB_IiSD_SE_SE_EEEEZNS1_13binary_searchIS3_S5_NSA_INS8_10device_ptrIxEEEESG_SI_NS1_16binary_search_opENS9_16wrapped_functionINS8_6system6detail7generic6detail18binary_search_lessEbEEEE10hipError_tPvRmT1_T2_T3_mmT4_T5_P12ihipStream_tbEUlRKxE_EESV_SZ_S10_mS11_S14_bEUlT_E_NS1_11comp_targetILNS1_3genE2ELNS1_11target_archE906ELNS1_3gpuE6ELNS1_3repE0EEENS1_30default_config_static_selectorELNS0_4arch9wavefront6targetE0EEEvSY_,"axG",@progbits,_ZN7rocprim17ROCPRIM_400000_NS6detail17trampoline_kernelINS0_14default_configENS1_29binary_search_config_selectorIxiEEZNS1_14transform_implILb0ES3_S5_N6thrust23THRUST_200600_302600_NS6detail15normal_iteratorINS8_7pointerIxNS8_11hip_rocprim5par_tENS8_11use_defaultESE_EEEENSA_INSB_IiSD_SE_SE_EEEEZNS1_13binary_searchIS3_S5_NSA_INS8_10device_ptrIxEEEESG_SI_NS1_16binary_search_opENS9_16wrapped_functionINS8_6system6detail7generic6detail18binary_search_lessEbEEEE10hipError_tPvRmT1_T2_T3_mmT4_T5_P12ihipStream_tbEUlRKxE_EESV_SZ_S10_mS11_S14_bEUlT_E_NS1_11comp_targetILNS1_3genE2ELNS1_11target_archE906ELNS1_3gpuE6ELNS1_3repE0EEENS1_30default_config_static_selectorELNS0_4arch9wavefront6targetE0EEEvSY_,comdat
	.protected	_ZN7rocprim17ROCPRIM_400000_NS6detail17trampoline_kernelINS0_14default_configENS1_29binary_search_config_selectorIxiEEZNS1_14transform_implILb0ES3_S5_N6thrust23THRUST_200600_302600_NS6detail15normal_iteratorINS8_7pointerIxNS8_11hip_rocprim5par_tENS8_11use_defaultESE_EEEENSA_INSB_IiSD_SE_SE_EEEEZNS1_13binary_searchIS3_S5_NSA_INS8_10device_ptrIxEEEESG_SI_NS1_16binary_search_opENS9_16wrapped_functionINS8_6system6detail7generic6detail18binary_search_lessEbEEEE10hipError_tPvRmT1_T2_T3_mmT4_T5_P12ihipStream_tbEUlRKxE_EESV_SZ_S10_mS11_S14_bEUlT_E_NS1_11comp_targetILNS1_3genE2ELNS1_11target_archE906ELNS1_3gpuE6ELNS1_3repE0EEENS1_30default_config_static_selectorELNS0_4arch9wavefront6targetE0EEEvSY_ ; -- Begin function _ZN7rocprim17ROCPRIM_400000_NS6detail17trampoline_kernelINS0_14default_configENS1_29binary_search_config_selectorIxiEEZNS1_14transform_implILb0ES3_S5_N6thrust23THRUST_200600_302600_NS6detail15normal_iteratorINS8_7pointerIxNS8_11hip_rocprim5par_tENS8_11use_defaultESE_EEEENSA_INSB_IiSD_SE_SE_EEEEZNS1_13binary_searchIS3_S5_NSA_INS8_10device_ptrIxEEEESG_SI_NS1_16binary_search_opENS9_16wrapped_functionINS8_6system6detail7generic6detail18binary_search_lessEbEEEE10hipError_tPvRmT1_T2_T3_mmT4_T5_P12ihipStream_tbEUlRKxE_EESV_SZ_S10_mS11_S14_bEUlT_E_NS1_11comp_targetILNS1_3genE2ELNS1_11target_archE906ELNS1_3gpuE6ELNS1_3repE0EEENS1_30default_config_static_selectorELNS0_4arch9wavefront6targetE0EEEvSY_
	.globl	_ZN7rocprim17ROCPRIM_400000_NS6detail17trampoline_kernelINS0_14default_configENS1_29binary_search_config_selectorIxiEEZNS1_14transform_implILb0ES3_S5_N6thrust23THRUST_200600_302600_NS6detail15normal_iteratorINS8_7pointerIxNS8_11hip_rocprim5par_tENS8_11use_defaultESE_EEEENSA_INSB_IiSD_SE_SE_EEEEZNS1_13binary_searchIS3_S5_NSA_INS8_10device_ptrIxEEEESG_SI_NS1_16binary_search_opENS9_16wrapped_functionINS8_6system6detail7generic6detail18binary_search_lessEbEEEE10hipError_tPvRmT1_T2_T3_mmT4_T5_P12ihipStream_tbEUlRKxE_EESV_SZ_S10_mS11_S14_bEUlT_E_NS1_11comp_targetILNS1_3genE2ELNS1_11target_archE906ELNS1_3gpuE6ELNS1_3repE0EEENS1_30default_config_static_selectorELNS0_4arch9wavefront6targetE0EEEvSY_
	.p2align	8
	.type	_ZN7rocprim17ROCPRIM_400000_NS6detail17trampoline_kernelINS0_14default_configENS1_29binary_search_config_selectorIxiEEZNS1_14transform_implILb0ES3_S5_N6thrust23THRUST_200600_302600_NS6detail15normal_iteratorINS8_7pointerIxNS8_11hip_rocprim5par_tENS8_11use_defaultESE_EEEENSA_INSB_IiSD_SE_SE_EEEEZNS1_13binary_searchIS3_S5_NSA_INS8_10device_ptrIxEEEESG_SI_NS1_16binary_search_opENS9_16wrapped_functionINS8_6system6detail7generic6detail18binary_search_lessEbEEEE10hipError_tPvRmT1_T2_T3_mmT4_T5_P12ihipStream_tbEUlRKxE_EESV_SZ_S10_mS11_S14_bEUlT_E_NS1_11comp_targetILNS1_3genE2ELNS1_11target_archE906ELNS1_3gpuE6ELNS1_3repE0EEENS1_30default_config_static_selectorELNS0_4arch9wavefront6targetE0EEEvSY_,@function
_ZN7rocprim17ROCPRIM_400000_NS6detail17trampoline_kernelINS0_14default_configENS1_29binary_search_config_selectorIxiEEZNS1_14transform_implILb0ES3_S5_N6thrust23THRUST_200600_302600_NS6detail15normal_iteratorINS8_7pointerIxNS8_11hip_rocprim5par_tENS8_11use_defaultESE_EEEENSA_INSB_IiSD_SE_SE_EEEEZNS1_13binary_searchIS3_S5_NSA_INS8_10device_ptrIxEEEESG_SI_NS1_16binary_search_opENS9_16wrapped_functionINS8_6system6detail7generic6detail18binary_search_lessEbEEEE10hipError_tPvRmT1_T2_T3_mmT4_T5_P12ihipStream_tbEUlRKxE_EESV_SZ_S10_mS11_S14_bEUlT_E_NS1_11comp_targetILNS1_3genE2ELNS1_11target_archE906ELNS1_3gpuE6ELNS1_3repE0EEENS1_30default_config_static_selectorELNS0_4arch9wavefront6targetE0EEEvSY_: ; @_ZN7rocprim17ROCPRIM_400000_NS6detail17trampoline_kernelINS0_14default_configENS1_29binary_search_config_selectorIxiEEZNS1_14transform_implILb0ES3_S5_N6thrust23THRUST_200600_302600_NS6detail15normal_iteratorINS8_7pointerIxNS8_11hip_rocprim5par_tENS8_11use_defaultESE_EEEENSA_INSB_IiSD_SE_SE_EEEEZNS1_13binary_searchIS3_S5_NSA_INS8_10device_ptrIxEEEESG_SI_NS1_16binary_search_opENS9_16wrapped_functionINS8_6system6detail7generic6detail18binary_search_lessEbEEEE10hipError_tPvRmT1_T2_T3_mmT4_T5_P12ihipStream_tbEUlRKxE_EESV_SZ_S10_mS11_S14_bEUlT_E_NS1_11comp_targetILNS1_3genE2ELNS1_11target_archE906ELNS1_3gpuE6ELNS1_3repE0EEENS1_30default_config_static_selectorELNS0_4arch9wavefront6targetE0EEEvSY_
; %bb.0:
	.section	.rodata,"a",@progbits
	.p2align	6, 0x0
	.amdhsa_kernel _ZN7rocprim17ROCPRIM_400000_NS6detail17trampoline_kernelINS0_14default_configENS1_29binary_search_config_selectorIxiEEZNS1_14transform_implILb0ES3_S5_N6thrust23THRUST_200600_302600_NS6detail15normal_iteratorINS8_7pointerIxNS8_11hip_rocprim5par_tENS8_11use_defaultESE_EEEENSA_INSB_IiSD_SE_SE_EEEEZNS1_13binary_searchIS3_S5_NSA_INS8_10device_ptrIxEEEESG_SI_NS1_16binary_search_opENS9_16wrapped_functionINS8_6system6detail7generic6detail18binary_search_lessEbEEEE10hipError_tPvRmT1_T2_T3_mmT4_T5_P12ihipStream_tbEUlRKxE_EESV_SZ_S10_mS11_S14_bEUlT_E_NS1_11comp_targetILNS1_3genE2ELNS1_11target_archE906ELNS1_3gpuE6ELNS1_3repE0EEENS1_30default_config_static_selectorELNS0_4arch9wavefront6targetE0EEEvSY_
		.amdhsa_group_segment_fixed_size 0
		.amdhsa_private_segment_fixed_size 0
		.amdhsa_kernarg_size 56
		.amdhsa_user_sgpr_count 6
		.amdhsa_user_sgpr_private_segment_buffer 1
		.amdhsa_user_sgpr_dispatch_ptr 0
		.amdhsa_user_sgpr_queue_ptr 0
		.amdhsa_user_sgpr_kernarg_segment_ptr 1
		.amdhsa_user_sgpr_dispatch_id 0
		.amdhsa_user_sgpr_flat_scratch_init 0
		.amdhsa_user_sgpr_private_segment_size 0
		.amdhsa_wavefront_size32 1
		.amdhsa_uses_dynamic_stack 0
		.amdhsa_system_sgpr_private_segment_wavefront_offset 0
		.amdhsa_system_sgpr_workgroup_id_x 1
		.amdhsa_system_sgpr_workgroup_id_y 0
		.amdhsa_system_sgpr_workgroup_id_z 0
		.amdhsa_system_sgpr_workgroup_info 0
		.amdhsa_system_vgpr_workitem_id 0
		.amdhsa_next_free_vgpr 1
		.amdhsa_next_free_sgpr 1
		.amdhsa_reserve_vcc 0
		.amdhsa_reserve_flat_scratch 0
		.amdhsa_float_round_mode_32 0
		.amdhsa_float_round_mode_16_64 0
		.amdhsa_float_denorm_mode_32 3
		.amdhsa_float_denorm_mode_16_64 3
		.amdhsa_dx10_clamp 1
		.amdhsa_ieee_mode 1
		.amdhsa_fp16_overflow 0
		.amdhsa_workgroup_processor_mode 1
		.amdhsa_memory_ordered 1
		.amdhsa_forward_progress 1
		.amdhsa_shared_vgpr_count 0
		.amdhsa_exception_fp_ieee_invalid_op 0
		.amdhsa_exception_fp_denorm_src 0
		.amdhsa_exception_fp_ieee_div_zero 0
		.amdhsa_exception_fp_ieee_overflow 0
		.amdhsa_exception_fp_ieee_underflow 0
		.amdhsa_exception_fp_ieee_inexact 0
		.amdhsa_exception_int_div_zero 0
	.end_amdhsa_kernel
	.section	.text._ZN7rocprim17ROCPRIM_400000_NS6detail17trampoline_kernelINS0_14default_configENS1_29binary_search_config_selectorIxiEEZNS1_14transform_implILb0ES3_S5_N6thrust23THRUST_200600_302600_NS6detail15normal_iteratorINS8_7pointerIxNS8_11hip_rocprim5par_tENS8_11use_defaultESE_EEEENSA_INSB_IiSD_SE_SE_EEEEZNS1_13binary_searchIS3_S5_NSA_INS8_10device_ptrIxEEEESG_SI_NS1_16binary_search_opENS9_16wrapped_functionINS8_6system6detail7generic6detail18binary_search_lessEbEEEE10hipError_tPvRmT1_T2_T3_mmT4_T5_P12ihipStream_tbEUlRKxE_EESV_SZ_S10_mS11_S14_bEUlT_E_NS1_11comp_targetILNS1_3genE2ELNS1_11target_archE906ELNS1_3gpuE6ELNS1_3repE0EEENS1_30default_config_static_selectorELNS0_4arch9wavefront6targetE0EEEvSY_,"axG",@progbits,_ZN7rocprim17ROCPRIM_400000_NS6detail17trampoline_kernelINS0_14default_configENS1_29binary_search_config_selectorIxiEEZNS1_14transform_implILb0ES3_S5_N6thrust23THRUST_200600_302600_NS6detail15normal_iteratorINS8_7pointerIxNS8_11hip_rocprim5par_tENS8_11use_defaultESE_EEEENSA_INSB_IiSD_SE_SE_EEEEZNS1_13binary_searchIS3_S5_NSA_INS8_10device_ptrIxEEEESG_SI_NS1_16binary_search_opENS9_16wrapped_functionINS8_6system6detail7generic6detail18binary_search_lessEbEEEE10hipError_tPvRmT1_T2_T3_mmT4_T5_P12ihipStream_tbEUlRKxE_EESV_SZ_S10_mS11_S14_bEUlT_E_NS1_11comp_targetILNS1_3genE2ELNS1_11target_archE906ELNS1_3gpuE6ELNS1_3repE0EEENS1_30default_config_static_selectorELNS0_4arch9wavefront6targetE0EEEvSY_,comdat
.Lfunc_end693:
	.size	_ZN7rocprim17ROCPRIM_400000_NS6detail17trampoline_kernelINS0_14default_configENS1_29binary_search_config_selectorIxiEEZNS1_14transform_implILb0ES3_S5_N6thrust23THRUST_200600_302600_NS6detail15normal_iteratorINS8_7pointerIxNS8_11hip_rocprim5par_tENS8_11use_defaultESE_EEEENSA_INSB_IiSD_SE_SE_EEEEZNS1_13binary_searchIS3_S5_NSA_INS8_10device_ptrIxEEEESG_SI_NS1_16binary_search_opENS9_16wrapped_functionINS8_6system6detail7generic6detail18binary_search_lessEbEEEE10hipError_tPvRmT1_T2_T3_mmT4_T5_P12ihipStream_tbEUlRKxE_EESV_SZ_S10_mS11_S14_bEUlT_E_NS1_11comp_targetILNS1_3genE2ELNS1_11target_archE906ELNS1_3gpuE6ELNS1_3repE0EEENS1_30default_config_static_selectorELNS0_4arch9wavefront6targetE0EEEvSY_, .Lfunc_end693-_ZN7rocprim17ROCPRIM_400000_NS6detail17trampoline_kernelINS0_14default_configENS1_29binary_search_config_selectorIxiEEZNS1_14transform_implILb0ES3_S5_N6thrust23THRUST_200600_302600_NS6detail15normal_iteratorINS8_7pointerIxNS8_11hip_rocprim5par_tENS8_11use_defaultESE_EEEENSA_INSB_IiSD_SE_SE_EEEEZNS1_13binary_searchIS3_S5_NSA_INS8_10device_ptrIxEEEESG_SI_NS1_16binary_search_opENS9_16wrapped_functionINS8_6system6detail7generic6detail18binary_search_lessEbEEEE10hipError_tPvRmT1_T2_T3_mmT4_T5_P12ihipStream_tbEUlRKxE_EESV_SZ_S10_mS11_S14_bEUlT_E_NS1_11comp_targetILNS1_3genE2ELNS1_11target_archE906ELNS1_3gpuE6ELNS1_3repE0EEENS1_30default_config_static_selectorELNS0_4arch9wavefront6targetE0EEEvSY_
                                        ; -- End function
	.set _ZN7rocprim17ROCPRIM_400000_NS6detail17trampoline_kernelINS0_14default_configENS1_29binary_search_config_selectorIxiEEZNS1_14transform_implILb0ES3_S5_N6thrust23THRUST_200600_302600_NS6detail15normal_iteratorINS8_7pointerIxNS8_11hip_rocprim5par_tENS8_11use_defaultESE_EEEENSA_INSB_IiSD_SE_SE_EEEEZNS1_13binary_searchIS3_S5_NSA_INS8_10device_ptrIxEEEESG_SI_NS1_16binary_search_opENS9_16wrapped_functionINS8_6system6detail7generic6detail18binary_search_lessEbEEEE10hipError_tPvRmT1_T2_T3_mmT4_T5_P12ihipStream_tbEUlRKxE_EESV_SZ_S10_mS11_S14_bEUlT_E_NS1_11comp_targetILNS1_3genE2ELNS1_11target_archE906ELNS1_3gpuE6ELNS1_3repE0EEENS1_30default_config_static_selectorELNS0_4arch9wavefront6targetE0EEEvSY_.num_vgpr, 0
	.set _ZN7rocprim17ROCPRIM_400000_NS6detail17trampoline_kernelINS0_14default_configENS1_29binary_search_config_selectorIxiEEZNS1_14transform_implILb0ES3_S5_N6thrust23THRUST_200600_302600_NS6detail15normal_iteratorINS8_7pointerIxNS8_11hip_rocprim5par_tENS8_11use_defaultESE_EEEENSA_INSB_IiSD_SE_SE_EEEEZNS1_13binary_searchIS3_S5_NSA_INS8_10device_ptrIxEEEESG_SI_NS1_16binary_search_opENS9_16wrapped_functionINS8_6system6detail7generic6detail18binary_search_lessEbEEEE10hipError_tPvRmT1_T2_T3_mmT4_T5_P12ihipStream_tbEUlRKxE_EESV_SZ_S10_mS11_S14_bEUlT_E_NS1_11comp_targetILNS1_3genE2ELNS1_11target_archE906ELNS1_3gpuE6ELNS1_3repE0EEENS1_30default_config_static_selectorELNS0_4arch9wavefront6targetE0EEEvSY_.num_agpr, 0
	.set _ZN7rocprim17ROCPRIM_400000_NS6detail17trampoline_kernelINS0_14default_configENS1_29binary_search_config_selectorIxiEEZNS1_14transform_implILb0ES3_S5_N6thrust23THRUST_200600_302600_NS6detail15normal_iteratorINS8_7pointerIxNS8_11hip_rocprim5par_tENS8_11use_defaultESE_EEEENSA_INSB_IiSD_SE_SE_EEEEZNS1_13binary_searchIS3_S5_NSA_INS8_10device_ptrIxEEEESG_SI_NS1_16binary_search_opENS9_16wrapped_functionINS8_6system6detail7generic6detail18binary_search_lessEbEEEE10hipError_tPvRmT1_T2_T3_mmT4_T5_P12ihipStream_tbEUlRKxE_EESV_SZ_S10_mS11_S14_bEUlT_E_NS1_11comp_targetILNS1_3genE2ELNS1_11target_archE906ELNS1_3gpuE6ELNS1_3repE0EEENS1_30default_config_static_selectorELNS0_4arch9wavefront6targetE0EEEvSY_.numbered_sgpr, 0
	.set _ZN7rocprim17ROCPRIM_400000_NS6detail17trampoline_kernelINS0_14default_configENS1_29binary_search_config_selectorIxiEEZNS1_14transform_implILb0ES3_S5_N6thrust23THRUST_200600_302600_NS6detail15normal_iteratorINS8_7pointerIxNS8_11hip_rocprim5par_tENS8_11use_defaultESE_EEEENSA_INSB_IiSD_SE_SE_EEEEZNS1_13binary_searchIS3_S5_NSA_INS8_10device_ptrIxEEEESG_SI_NS1_16binary_search_opENS9_16wrapped_functionINS8_6system6detail7generic6detail18binary_search_lessEbEEEE10hipError_tPvRmT1_T2_T3_mmT4_T5_P12ihipStream_tbEUlRKxE_EESV_SZ_S10_mS11_S14_bEUlT_E_NS1_11comp_targetILNS1_3genE2ELNS1_11target_archE906ELNS1_3gpuE6ELNS1_3repE0EEENS1_30default_config_static_selectorELNS0_4arch9wavefront6targetE0EEEvSY_.num_named_barrier, 0
	.set _ZN7rocprim17ROCPRIM_400000_NS6detail17trampoline_kernelINS0_14default_configENS1_29binary_search_config_selectorIxiEEZNS1_14transform_implILb0ES3_S5_N6thrust23THRUST_200600_302600_NS6detail15normal_iteratorINS8_7pointerIxNS8_11hip_rocprim5par_tENS8_11use_defaultESE_EEEENSA_INSB_IiSD_SE_SE_EEEEZNS1_13binary_searchIS3_S5_NSA_INS8_10device_ptrIxEEEESG_SI_NS1_16binary_search_opENS9_16wrapped_functionINS8_6system6detail7generic6detail18binary_search_lessEbEEEE10hipError_tPvRmT1_T2_T3_mmT4_T5_P12ihipStream_tbEUlRKxE_EESV_SZ_S10_mS11_S14_bEUlT_E_NS1_11comp_targetILNS1_3genE2ELNS1_11target_archE906ELNS1_3gpuE6ELNS1_3repE0EEENS1_30default_config_static_selectorELNS0_4arch9wavefront6targetE0EEEvSY_.private_seg_size, 0
	.set _ZN7rocprim17ROCPRIM_400000_NS6detail17trampoline_kernelINS0_14default_configENS1_29binary_search_config_selectorIxiEEZNS1_14transform_implILb0ES3_S5_N6thrust23THRUST_200600_302600_NS6detail15normal_iteratorINS8_7pointerIxNS8_11hip_rocprim5par_tENS8_11use_defaultESE_EEEENSA_INSB_IiSD_SE_SE_EEEEZNS1_13binary_searchIS3_S5_NSA_INS8_10device_ptrIxEEEESG_SI_NS1_16binary_search_opENS9_16wrapped_functionINS8_6system6detail7generic6detail18binary_search_lessEbEEEE10hipError_tPvRmT1_T2_T3_mmT4_T5_P12ihipStream_tbEUlRKxE_EESV_SZ_S10_mS11_S14_bEUlT_E_NS1_11comp_targetILNS1_3genE2ELNS1_11target_archE906ELNS1_3gpuE6ELNS1_3repE0EEENS1_30default_config_static_selectorELNS0_4arch9wavefront6targetE0EEEvSY_.uses_vcc, 0
	.set _ZN7rocprim17ROCPRIM_400000_NS6detail17trampoline_kernelINS0_14default_configENS1_29binary_search_config_selectorIxiEEZNS1_14transform_implILb0ES3_S5_N6thrust23THRUST_200600_302600_NS6detail15normal_iteratorINS8_7pointerIxNS8_11hip_rocprim5par_tENS8_11use_defaultESE_EEEENSA_INSB_IiSD_SE_SE_EEEEZNS1_13binary_searchIS3_S5_NSA_INS8_10device_ptrIxEEEESG_SI_NS1_16binary_search_opENS9_16wrapped_functionINS8_6system6detail7generic6detail18binary_search_lessEbEEEE10hipError_tPvRmT1_T2_T3_mmT4_T5_P12ihipStream_tbEUlRKxE_EESV_SZ_S10_mS11_S14_bEUlT_E_NS1_11comp_targetILNS1_3genE2ELNS1_11target_archE906ELNS1_3gpuE6ELNS1_3repE0EEENS1_30default_config_static_selectorELNS0_4arch9wavefront6targetE0EEEvSY_.uses_flat_scratch, 0
	.set _ZN7rocprim17ROCPRIM_400000_NS6detail17trampoline_kernelINS0_14default_configENS1_29binary_search_config_selectorIxiEEZNS1_14transform_implILb0ES3_S5_N6thrust23THRUST_200600_302600_NS6detail15normal_iteratorINS8_7pointerIxNS8_11hip_rocprim5par_tENS8_11use_defaultESE_EEEENSA_INSB_IiSD_SE_SE_EEEEZNS1_13binary_searchIS3_S5_NSA_INS8_10device_ptrIxEEEESG_SI_NS1_16binary_search_opENS9_16wrapped_functionINS8_6system6detail7generic6detail18binary_search_lessEbEEEE10hipError_tPvRmT1_T2_T3_mmT4_T5_P12ihipStream_tbEUlRKxE_EESV_SZ_S10_mS11_S14_bEUlT_E_NS1_11comp_targetILNS1_3genE2ELNS1_11target_archE906ELNS1_3gpuE6ELNS1_3repE0EEENS1_30default_config_static_selectorELNS0_4arch9wavefront6targetE0EEEvSY_.has_dyn_sized_stack, 0
	.set _ZN7rocprim17ROCPRIM_400000_NS6detail17trampoline_kernelINS0_14default_configENS1_29binary_search_config_selectorIxiEEZNS1_14transform_implILb0ES3_S5_N6thrust23THRUST_200600_302600_NS6detail15normal_iteratorINS8_7pointerIxNS8_11hip_rocprim5par_tENS8_11use_defaultESE_EEEENSA_INSB_IiSD_SE_SE_EEEEZNS1_13binary_searchIS3_S5_NSA_INS8_10device_ptrIxEEEESG_SI_NS1_16binary_search_opENS9_16wrapped_functionINS8_6system6detail7generic6detail18binary_search_lessEbEEEE10hipError_tPvRmT1_T2_T3_mmT4_T5_P12ihipStream_tbEUlRKxE_EESV_SZ_S10_mS11_S14_bEUlT_E_NS1_11comp_targetILNS1_3genE2ELNS1_11target_archE906ELNS1_3gpuE6ELNS1_3repE0EEENS1_30default_config_static_selectorELNS0_4arch9wavefront6targetE0EEEvSY_.has_recursion, 0
	.set _ZN7rocprim17ROCPRIM_400000_NS6detail17trampoline_kernelINS0_14default_configENS1_29binary_search_config_selectorIxiEEZNS1_14transform_implILb0ES3_S5_N6thrust23THRUST_200600_302600_NS6detail15normal_iteratorINS8_7pointerIxNS8_11hip_rocprim5par_tENS8_11use_defaultESE_EEEENSA_INSB_IiSD_SE_SE_EEEEZNS1_13binary_searchIS3_S5_NSA_INS8_10device_ptrIxEEEESG_SI_NS1_16binary_search_opENS9_16wrapped_functionINS8_6system6detail7generic6detail18binary_search_lessEbEEEE10hipError_tPvRmT1_T2_T3_mmT4_T5_P12ihipStream_tbEUlRKxE_EESV_SZ_S10_mS11_S14_bEUlT_E_NS1_11comp_targetILNS1_3genE2ELNS1_11target_archE906ELNS1_3gpuE6ELNS1_3repE0EEENS1_30default_config_static_selectorELNS0_4arch9wavefront6targetE0EEEvSY_.has_indirect_call, 0
	.section	.AMDGPU.csdata,"",@progbits
; Kernel info:
; codeLenInByte = 0
; TotalNumSgprs: 0
; NumVgprs: 0
; ScratchSize: 0
; MemoryBound: 0
; FloatMode: 240
; IeeeMode: 1
; LDSByteSize: 0 bytes/workgroup (compile time only)
; SGPRBlocks: 0
; VGPRBlocks: 0
; NumSGPRsForWavesPerEU: 1
; NumVGPRsForWavesPerEU: 1
; Occupancy: 16
; WaveLimiterHint : 0
; COMPUTE_PGM_RSRC2:SCRATCH_EN: 0
; COMPUTE_PGM_RSRC2:USER_SGPR: 6
; COMPUTE_PGM_RSRC2:TRAP_HANDLER: 0
; COMPUTE_PGM_RSRC2:TGID_X_EN: 1
; COMPUTE_PGM_RSRC2:TGID_Y_EN: 0
; COMPUTE_PGM_RSRC2:TGID_Z_EN: 0
; COMPUTE_PGM_RSRC2:TIDIG_COMP_CNT: 0
	.section	.text._ZN7rocprim17ROCPRIM_400000_NS6detail17trampoline_kernelINS0_14default_configENS1_29binary_search_config_selectorIxiEEZNS1_14transform_implILb0ES3_S5_N6thrust23THRUST_200600_302600_NS6detail15normal_iteratorINS8_7pointerIxNS8_11hip_rocprim5par_tENS8_11use_defaultESE_EEEENSA_INSB_IiSD_SE_SE_EEEEZNS1_13binary_searchIS3_S5_NSA_INS8_10device_ptrIxEEEESG_SI_NS1_16binary_search_opENS9_16wrapped_functionINS8_6system6detail7generic6detail18binary_search_lessEbEEEE10hipError_tPvRmT1_T2_T3_mmT4_T5_P12ihipStream_tbEUlRKxE_EESV_SZ_S10_mS11_S14_bEUlT_E_NS1_11comp_targetILNS1_3genE10ELNS1_11target_archE1201ELNS1_3gpuE5ELNS1_3repE0EEENS1_30default_config_static_selectorELNS0_4arch9wavefront6targetE0EEEvSY_,"axG",@progbits,_ZN7rocprim17ROCPRIM_400000_NS6detail17trampoline_kernelINS0_14default_configENS1_29binary_search_config_selectorIxiEEZNS1_14transform_implILb0ES3_S5_N6thrust23THRUST_200600_302600_NS6detail15normal_iteratorINS8_7pointerIxNS8_11hip_rocprim5par_tENS8_11use_defaultESE_EEEENSA_INSB_IiSD_SE_SE_EEEEZNS1_13binary_searchIS3_S5_NSA_INS8_10device_ptrIxEEEESG_SI_NS1_16binary_search_opENS9_16wrapped_functionINS8_6system6detail7generic6detail18binary_search_lessEbEEEE10hipError_tPvRmT1_T2_T3_mmT4_T5_P12ihipStream_tbEUlRKxE_EESV_SZ_S10_mS11_S14_bEUlT_E_NS1_11comp_targetILNS1_3genE10ELNS1_11target_archE1201ELNS1_3gpuE5ELNS1_3repE0EEENS1_30default_config_static_selectorELNS0_4arch9wavefront6targetE0EEEvSY_,comdat
	.protected	_ZN7rocprim17ROCPRIM_400000_NS6detail17trampoline_kernelINS0_14default_configENS1_29binary_search_config_selectorIxiEEZNS1_14transform_implILb0ES3_S5_N6thrust23THRUST_200600_302600_NS6detail15normal_iteratorINS8_7pointerIxNS8_11hip_rocprim5par_tENS8_11use_defaultESE_EEEENSA_INSB_IiSD_SE_SE_EEEEZNS1_13binary_searchIS3_S5_NSA_INS8_10device_ptrIxEEEESG_SI_NS1_16binary_search_opENS9_16wrapped_functionINS8_6system6detail7generic6detail18binary_search_lessEbEEEE10hipError_tPvRmT1_T2_T3_mmT4_T5_P12ihipStream_tbEUlRKxE_EESV_SZ_S10_mS11_S14_bEUlT_E_NS1_11comp_targetILNS1_3genE10ELNS1_11target_archE1201ELNS1_3gpuE5ELNS1_3repE0EEENS1_30default_config_static_selectorELNS0_4arch9wavefront6targetE0EEEvSY_ ; -- Begin function _ZN7rocprim17ROCPRIM_400000_NS6detail17trampoline_kernelINS0_14default_configENS1_29binary_search_config_selectorIxiEEZNS1_14transform_implILb0ES3_S5_N6thrust23THRUST_200600_302600_NS6detail15normal_iteratorINS8_7pointerIxNS8_11hip_rocprim5par_tENS8_11use_defaultESE_EEEENSA_INSB_IiSD_SE_SE_EEEEZNS1_13binary_searchIS3_S5_NSA_INS8_10device_ptrIxEEEESG_SI_NS1_16binary_search_opENS9_16wrapped_functionINS8_6system6detail7generic6detail18binary_search_lessEbEEEE10hipError_tPvRmT1_T2_T3_mmT4_T5_P12ihipStream_tbEUlRKxE_EESV_SZ_S10_mS11_S14_bEUlT_E_NS1_11comp_targetILNS1_3genE10ELNS1_11target_archE1201ELNS1_3gpuE5ELNS1_3repE0EEENS1_30default_config_static_selectorELNS0_4arch9wavefront6targetE0EEEvSY_
	.globl	_ZN7rocprim17ROCPRIM_400000_NS6detail17trampoline_kernelINS0_14default_configENS1_29binary_search_config_selectorIxiEEZNS1_14transform_implILb0ES3_S5_N6thrust23THRUST_200600_302600_NS6detail15normal_iteratorINS8_7pointerIxNS8_11hip_rocprim5par_tENS8_11use_defaultESE_EEEENSA_INSB_IiSD_SE_SE_EEEEZNS1_13binary_searchIS3_S5_NSA_INS8_10device_ptrIxEEEESG_SI_NS1_16binary_search_opENS9_16wrapped_functionINS8_6system6detail7generic6detail18binary_search_lessEbEEEE10hipError_tPvRmT1_T2_T3_mmT4_T5_P12ihipStream_tbEUlRKxE_EESV_SZ_S10_mS11_S14_bEUlT_E_NS1_11comp_targetILNS1_3genE10ELNS1_11target_archE1201ELNS1_3gpuE5ELNS1_3repE0EEENS1_30default_config_static_selectorELNS0_4arch9wavefront6targetE0EEEvSY_
	.p2align	8
	.type	_ZN7rocprim17ROCPRIM_400000_NS6detail17trampoline_kernelINS0_14default_configENS1_29binary_search_config_selectorIxiEEZNS1_14transform_implILb0ES3_S5_N6thrust23THRUST_200600_302600_NS6detail15normal_iteratorINS8_7pointerIxNS8_11hip_rocprim5par_tENS8_11use_defaultESE_EEEENSA_INSB_IiSD_SE_SE_EEEEZNS1_13binary_searchIS3_S5_NSA_INS8_10device_ptrIxEEEESG_SI_NS1_16binary_search_opENS9_16wrapped_functionINS8_6system6detail7generic6detail18binary_search_lessEbEEEE10hipError_tPvRmT1_T2_T3_mmT4_T5_P12ihipStream_tbEUlRKxE_EESV_SZ_S10_mS11_S14_bEUlT_E_NS1_11comp_targetILNS1_3genE10ELNS1_11target_archE1201ELNS1_3gpuE5ELNS1_3repE0EEENS1_30default_config_static_selectorELNS0_4arch9wavefront6targetE0EEEvSY_,@function
_ZN7rocprim17ROCPRIM_400000_NS6detail17trampoline_kernelINS0_14default_configENS1_29binary_search_config_selectorIxiEEZNS1_14transform_implILb0ES3_S5_N6thrust23THRUST_200600_302600_NS6detail15normal_iteratorINS8_7pointerIxNS8_11hip_rocprim5par_tENS8_11use_defaultESE_EEEENSA_INSB_IiSD_SE_SE_EEEEZNS1_13binary_searchIS3_S5_NSA_INS8_10device_ptrIxEEEESG_SI_NS1_16binary_search_opENS9_16wrapped_functionINS8_6system6detail7generic6detail18binary_search_lessEbEEEE10hipError_tPvRmT1_T2_T3_mmT4_T5_P12ihipStream_tbEUlRKxE_EESV_SZ_S10_mS11_S14_bEUlT_E_NS1_11comp_targetILNS1_3genE10ELNS1_11target_archE1201ELNS1_3gpuE5ELNS1_3repE0EEENS1_30default_config_static_selectorELNS0_4arch9wavefront6targetE0EEEvSY_: ; @_ZN7rocprim17ROCPRIM_400000_NS6detail17trampoline_kernelINS0_14default_configENS1_29binary_search_config_selectorIxiEEZNS1_14transform_implILb0ES3_S5_N6thrust23THRUST_200600_302600_NS6detail15normal_iteratorINS8_7pointerIxNS8_11hip_rocprim5par_tENS8_11use_defaultESE_EEEENSA_INSB_IiSD_SE_SE_EEEEZNS1_13binary_searchIS3_S5_NSA_INS8_10device_ptrIxEEEESG_SI_NS1_16binary_search_opENS9_16wrapped_functionINS8_6system6detail7generic6detail18binary_search_lessEbEEEE10hipError_tPvRmT1_T2_T3_mmT4_T5_P12ihipStream_tbEUlRKxE_EESV_SZ_S10_mS11_S14_bEUlT_E_NS1_11comp_targetILNS1_3genE10ELNS1_11target_archE1201ELNS1_3gpuE5ELNS1_3repE0EEENS1_30default_config_static_selectorELNS0_4arch9wavefront6targetE0EEEvSY_
; %bb.0:
	.section	.rodata,"a",@progbits
	.p2align	6, 0x0
	.amdhsa_kernel _ZN7rocprim17ROCPRIM_400000_NS6detail17trampoline_kernelINS0_14default_configENS1_29binary_search_config_selectorIxiEEZNS1_14transform_implILb0ES3_S5_N6thrust23THRUST_200600_302600_NS6detail15normal_iteratorINS8_7pointerIxNS8_11hip_rocprim5par_tENS8_11use_defaultESE_EEEENSA_INSB_IiSD_SE_SE_EEEEZNS1_13binary_searchIS3_S5_NSA_INS8_10device_ptrIxEEEESG_SI_NS1_16binary_search_opENS9_16wrapped_functionINS8_6system6detail7generic6detail18binary_search_lessEbEEEE10hipError_tPvRmT1_T2_T3_mmT4_T5_P12ihipStream_tbEUlRKxE_EESV_SZ_S10_mS11_S14_bEUlT_E_NS1_11comp_targetILNS1_3genE10ELNS1_11target_archE1201ELNS1_3gpuE5ELNS1_3repE0EEENS1_30default_config_static_selectorELNS0_4arch9wavefront6targetE0EEEvSY_
		.amdhsa_group_segment_fixed_size 0
		.amdhsa_private_segment_fixed_size 0
		.amdhsa_kernarg_size 56
		.amdhsa_user_sgpr_count 6
		.amdhsa_user_sgpr_private_segment_buffer 1
		.amdhsa_user_sgpr_dispatch_ptr 0
		.amdhsa_user_sgpr_queue_ptr 0
		.amdhsa_user_sgpr_kernarg_segment_ptr 1
		.amdhsa_user_sgpr_dispatch_id 0
		.amdhsa_user_sgpr_flat_scratch_init 0
		.amdhsa_user_sgpr_private_segment_size 0
		.amdhsa_wavefront_size32 1
		.amdhsa_uses_dynamic_stack 0
		.amdhsa_system_sgpr_private_segment_wavefront_offset 0
		.amdhsa_system_sgpr_workgroup_id_x 1
		.amdhsa_system_sgpr_workgroup_id_y 0
		.amdhsa_system_sgpr_workgroup_id_z 0
		.amdhsa_system_sgpr_workgroup_info 0
		.amdhsa_system_vgpr_workitem_id 0
		.amdhsa_next_free_vgpr 1
		.amdhsa_next_free_sgpr 1
		.amdhsa_reserve_vcc 0
		.amdhsa_reserve_flat_scratch 0
		.amdhsa_float_round_mode_32 0
		.amdhsa_float_round_mode_16_64 0
		.amdhsa_float_denorm_mode_32 3
		.amdhsa_float_denorm_mode_16_64 3
		.amdhsa_dx10_clamp 1
		.amdhsa_ieee_mode 1
		.amdhsa_fp16_overflow 0
		.amdhsa_workgroup_processor_mode 1
		.amdhsa_memory_ordered 1
		.amdhsa_forward_progress 1
		.amdhsa_shared_vgpr_count 0
		.amdhsa_exception_fp_ieee_invalid_op 0
		.amdhsa_exception_fp_denorm_src 0
		.amdhsa_exception_fp_ieee_div_zero 0
		.amdhsa_exception_fp_ieee_overflow 0
		.amdhsa_exception_fp_ieee_underflow 0
		.amdhsa_exception_fp_ieee_inexact 0
		.amdhsa_exception_int_div_zero 0
	.end_amdhsa_kernel
	.section	.text._ZN7rocprim17ROCPRIM_400000_NS6detail17trampoline_kernelINS0_14default_configENS1_29binary_search_config_selectorIxiEEZNS1_14transform_implILb0ES3_S5_N6thrust23THRUST_200600_302600_NS6detail15normal_iteratorINS8_7pointerIxNS8_11hip_rocprim5par_tENS8_11use_defaultESE_EEEENSA_INSB_IiSD_SE_SE_EEEEZNS1_13binary_searchIS3_S5_NSA_INS8_10device_ptrIxEEEESG_SI_NS1_16binary_search_opENS9_16wrapped_functionINS8_6system6detail7generic6detail18binary_search_lessEbEEEE10hipError_tPvRmT1_T2_T3_mmT4_T5_P12ihipStream_tbEUlRKxE_EESV_SZ_S10_mS11_S14_bEUlT_E_NS1_11comp_targetILNS1_3genE10ELNS1_11target_archE1201ELNS1_3gpuE5ELNS1_3repE0EEENS1_30default_config_static_selectorELNS0_4arch9wavefront6targetE0EEEvSY_,"axG",@progbits,_ZN7rocprim17ROCPRIM_400000_NS6detail17trampoline_kernelINS0_14default_configENS1_29binary_search_config_selectorIxiEEZNS1_14transform_implILb0ES3_S5_N6thrust23THRUST_200600_302600_NS6detail15normal_iteratorINS8_7pointerIxNS8_11hip_rocprim5par_tENS8_11use_defaultESE_EEEENSA_INSB_IiSD_SE_SE_EEEEZNS1_13binary_searchIS3_S5_NSA_INS8_10device_ptrIxEEEESG_SI_NS1_16binary_search_opENS9_16wrapped_functionINS8_6system6detail7generic6detail18binary_search_lessEbEEEE10hipError_tPvRmT1_T2_T3_mmT4_T5_P12ihipStream_tbEUlRKxE_EESV_SZ_S10_mS11_S14_bEUlT_E_NS1_11comp_targetILNS1_3genE10ELNS1_11target_archE1201ELNS1_3gpuE5ELNS1_3repE0EEENS1_30default_config_static_selectorELNS0_4arch9wavefront6targetE0EEEvSY_,comdat
.Lfunc_end694:
	.size	_ZN7rocprim17ROCPRIM_400000_NS6detail17trampoline_kernelINS0_14default_configENS1_29binary_search_config_selectorIxiEEZNS1_14transform_implILb0ES3_S5_N6thrust23THRUST_200600_302600_NS6detail15normal_iteratorINS8_7pointerIxNS8_11hip_rocprim5par_tENS8_11use_defaultESE_EEEENSA_INSB_IiSD_SE_SE_EEEEZNS1_13binary_searchIS3_S5_NSA_INS8_10device_ptrIxEEEESG_SI_NS1_16binary_search_opENS9_16wrapped_functionINS8_6system6detail7generic6detail18binary_search_lessEbEEEE10hipError_tPvRmT1_T2_T3_mmT4_T5_P12ihipStream_tbEUlRKxE_EESV_SZ_S10_mS11_S14_bEUlT_E_NS1_11comp_targetILNS1_3genE10ELNS1_11target_archE1201ELNS1_3gpuE5ELNS1_3repE0EEENS1_30default_config_static_selectorELNS0_4arch9wavefront6targetE0EEEvSY_, .Lfunc_end694-_ZN7rocprim17ROCPRIM_400000_NS6detail17trampoline_kernelINS0_14default_configENS1_29binary_search_config_selectorIxiEEZNS1_14transform_implILb0ES3_S5_N6thrust23THRUST_200600_302600_NS6detail15normal_iteratorINS8_7pointerIxNS8_11hip_rocprim5par_tENS8_11use_defaultESE_EEEENSA_INSB_IiSD_SE_SE_EEEEZNS1_13binary_searchIS3_S5_NSA_INS8_10device_ptrIxEEEESG_SI_NS1_16binary_search_opENS9_16wrapped_functionINS8_6system6detail7generic6detail18binary_search_lessEbEEEE10hipError_tPvRmT1_T2_T3_mmT4_T5_P12ihipStream_tbEUlRKxE_EESV_SZ_S10_mS11_S14_bEUlT_E_NS1_11comp_targetILNS1_3genE10ELNS1_11target_archE1201ELNS1_3gpuE5ELNS1_3repE0EEENS1_30default_config_static_selectorELNS0_4arch9wavefront6targetE0EEEvSY_
                                        ; -- End function
	.set _ZN7rocprim17ROCPRIM_400000_NS6detail17trampoline_kernelINS0_14default_configENS1_29binary_search_config_selectorIxiEEZNS1_14transform_implILb0ES3_S5_N6thrust23THRUST_200600_302600_NS6detail15normal_iteratorINS8_7pointerIxNS8_11hip_rocprim5par_tENS8_11use_defaultESE_EEEENSA_INSB_IiSD_SE_SE_EEEEZNS1_13binary_searchIS3_S5_NSA_INS8_10device_ptrIxEEEESG_SI_NS1_16binary_search_opENS9_16wrapped_functionINS8_6system6detail7generic6detail18binary_search_lessEbEEEE10hipError_tPvRmT1_T2_T3_mmT4_T5_P12ihipStream_tbEUlRKxE_EESV_SZ_S10_mS11_S14_bEUlT_E_NS1_11comp_targetILNS1_3genE10ELNS1_11target_archE1201ELNS1_3gpuE5ELNS1_3repE0EEENS1_30default_config_static_selectorELNS0_4arch9wavefront6targetE0EEEvSY_.num_vgpr, 0
	.set _ZN7rocprim17ROCPRIM_400000_NS6detail17trampoline_kernelINS0_14default_configENS1_29binary_search_config_selectorIxiEEZNS1_14transform_implILb0ES3_S5_N6thrust23THRUST_200600_302600_NS6detail15normal_iteratorINS8_7pointerIxNS8_11hip_rocprim5par_tENS8_11use_defaultESE_EEEENSA_INSB_IiSD_SE_SE_EEEEZNS1_13binary_searchIS3_S5_NSA_INS8_10device_ptrIxEEEESG_SI_NS1_16binary_search_opENS9_16wrapped_functionINS8_6system6detail7generic6detail18binary_search_lessEbEEEE10hipError_tPvRmT1_T2_T3_mmT4_T5_P12ihipStream_tbEUlRKxE_EESV_SZ_S10_mS11_S14_bEUlT_E_NS1_11comp_targetILNS1_3genE10ELNS1_11target_archE1201ELNS1_3gpuE5ELNS1_3repE0EEENS1_30default_config_static_selectorELNS0_4arch9wavefront6targetE0EEEvSY_.num_agpr, 0
	.set _ZN7rocprim17ROCPRIM_400000_NS6detail17trampoline_kernelINS0_14default_configENS1_29binary_search_config_selectorIxiEEZNS1_14transform_implILb0ES3_S5_N6thrust23THRUST_200600_302600_NS6detail15normal_iteratorINS8_7pointerIxNS8_11hip_rocprim5par_tENS8_11use_defaultESE_EEEENSA_INSB_IiSD_SE_SE_EEEEZNS1_13binary_searchIS3_S5_NSA_INS8_10device_ptrIxEEEESG_SI_NS1_16binary_search_opENS9_16wrapped_functionINS8_6system6detail7generic6detail18binary_search_lessEbEEEE10hipError_tPvRmT1_T2_T3_mmT4_T5_P12ihipStream_tbEUlRKxE_EESV_SZ_S10_mS11_S14_bEUlT_E_NS1_11comp_targetILNS1_3genE10ELNS1_11target_archE1201ELNS1_3gpuE5ELNS1_3repE0EEENS1_30default_config_static_selectorELNS0_4arch9wavefront6targetE0EEEvSY_.numbered_sgpr, 0
	.set _ZN7rocprim17ROCPRIM_400000_NS6detail17trampoline_kernelINS0_14default_configENS1_29binary_search_config_selectorIxiEEZNS1_14transform_implILb0ES3_S5_N6thrust23THRUST_200600_302600_NS6detail15normal_iteratorINS8_7pointerIxNS8_11hip_rocprim5par_tENS8_11use_defaultESE_EEEENSA_INSB_IiSD_SE_SE_EEEEZNS1_13binary_searchIS3_S5_NSA_INS8_10device_ptrIxEEEESG_SI_NS1_16binary_search_opENS9_16wrapped_functionINS8_6system6detail7generic6detail18binary_search_lessEbEEEE10hipError_tPvRmT1_T2_T3_mmT4_T5_P12ihipStream_tbEUlRKxE_EESV_SZ_S10_mS11_S14_bEUlT_E_NS1_11comp_targetILNS1_3genE10ELNS1_11target_archE1201ELNS1_3gpuE5ELNS1_3repE0EEENS1_30default_config_static_selectorELNS0_4arch9wavefront6targetE0EEEvSY_.num_named_barrier, 0
	.set _ZN7rocprim17ROCPRIM_400000_NS6detail17trampoline_kernelINS0_14default_configENS1_29binary_search_config_selectorIxiEEZNS1_14transform_implILb0ES3_S5_N6thrust23THRUST_200600_302600_NS6detail15normal_iteratorINS8_7pointerIxNS8_11hip_rocprim5par_tENS8_11use_defaultESE_EEEENSA_INSB_IiSD_SE_SE_EEEEZNS1_13binary_searchIS3_S5_NSA_INS8_10device_ptrIxEEEESG_SI_NS1_16binary_search_opENS9_16wrapped_functionINS8_6system6detail7generic6detail18binary_search_lessEbEEEE10hipError_tPvRmT1_T2_T3_mmT4_T5_P12ihipStream_tbEUlRKxE_EESV_SZ_S10_mS11_S14_bEUlT_E_NS1_11comp_targetILNS1_3genE10ELNS1_11target_archE1201ELNS1_3gpuE5ELNS1_3repE0EEENS1_30default_config_static_selectorELNS0_4arch9wavefront6targetE0EEEvSY_.private_seg_size, 0
	.set _ZN7rocprim17ROCPRIM_400000_NS6detail17trampoline_kernelINS0_14default_configENS1_29binary_search_config_selectorIxiEEZNS1_14transform_implILb0ES3_S5_N6thrust23THRUST_200600_302600_NS6detail15normal_iteratorINS8_7pointerIxNS8_11hip_rocprim5par_tENS8_11use_defaultESE_EEEENSA_INSB_IiSD_SE_SE_EEEEZNS1_13binary_searchIS3_S5_NSA_INS8_10device_ptrIxEEEESG_SI_NS1_16binary_search_opENS9_16wrapped_functionINS8_6system6detail7generic6detail18binary_search_lessEbEEEE10hipError_tPvRmT1_T2_T3_mmT4_T5_P12ihipStream_tbEUlRKxE_EESV_SZ_S10_mS11_S14_bEUlT_E_NS1_11comp_targetILNS1_3genE10ELNS1_11target_archE1201ELNS1_3gpuE5ELNS1_3repE0EEENS1_30default_config_static_selectorELNS0_4arch9wavefront6targetE0EEEvSY_.uses_vcc, 0
	.set _ZN7rocprim17ROCPRIM_400000_NS6detail17trampoline_kernelINS0_14default_configENS1_29binary_search_config_selectorIxiEEZNS1_14transform_implILb0ES3_S5_N6thrust23THRUST_200600_302600_NS6detail15normal_iteratorINS8_7pointerIxNS8_11hip_rocprim5par_tENS8_11use_defaultESE_EEEENSA_INSB_IiSD_SE_SE_EEEEZNS1_13binary_searchIS3_S5_NSA_INS8_10device_ptrIxEEEESG_SI_NS1_16binary_search_opENS9_16wrapped_functionINS8_6system6detail7generic6detail18binary_search_lessEbEEEE10hipError_tPvRmT1_T2_T3_mmT4_T5_P12ihipStream_tbEUlRKxE_EESV_SZ_S10_mS11_S14_bEUlT_E_NS1_11comp_targetILNS1_3genE10ELNS1_11target_archE1201ELNS1_3gpuE5ELNS1_3repE0EEENS1_30default_config_static_selectorELNS0_4arch9wavefront6targetE0EEEvSY_.uses_flat_scratch, 0
	.set _ZN7rocprim17ROCPRIM_400000_NS6detail17trampoline_kernelINS0_14default_configENS1_29binary_search_config_selectorIxiEEZNS1_14transform_implILb0ES3_S5_N6thrust23THRUST_200600_302600_NS6detail15normal_iteratorINS8_7pointerIxNS8_11hip_rocprim5par_tENS8_11use_defaultESE_EEEENSA_INSB_IiSD_SE_SE_EEEEZNS1_13binary_searchIS3_S5_NSA_INS8_10device_ptrIxEEEESG_SI_NS1_16binary_search_opENS9_16wrapped_functionINS8_6system6detail7generic6detail18binary_search_lessEbEEEE10hipError_tPvRmT1_T2_T3_mmT4_T5_P12ihipStream_tbEUlRKxE_EESV_SZ_S10_mS11_S14_bEUlT_E_NS1_11comp_targetILNS1_3genE10ELNS1_11target_archE1201ELNS1_3gpuE5ELNS1_3repE0EEENS1_30default_config_static_selectorELNS0_4arch9wavefront6targetE0EEEvSY_.has_dyn_sized_stack, 0
	.set _ZN7rocprim17ROCPRIM_400000_NS6detail17trampoline_kernelINS0_14default_configENS1_29binary_search_config_selectorIxiEEZNS1_14transform_implILb0ES3_S5_N6thrust23THRUST_200600_302600_NS6detail15normal_iteratorINS8_7pointerIxNS8_11hip_rocprim5par_tENS8_11use_defaultESE_EEEENSA_INSB_IiSD_SE_SE_EEEEZNS1_13binary_searchIS3_S5_NSA_INS8_10device_ptrIxEEEESG_SI_NS1_16binary_search_opENS9_16wrapped_functionINS8_6system6detail7generic6detail18binary_search_lessEbEEEE10hipError_tPvRmT1_T2_T3_mmT4_T5_P12ihipStream_tbEUlRKxE_EESV_SZ_S10_mS11_S14_bEUlT_E_NS1_11comp_targetILNS1_3genE10ELNS1_11target_archE1201ELNS1_3gpuE5ELNS1_3repE0EEENS1_30default_config_static_selectorELNS0_4arch9wavefront6targetE0EEEvSY_.has_recursion, 0
	.set _ZN7rocprim17ROCPRIM_400000_NS6detail17trampoline_kernelINS0_14default_configENS1_29binary_search_config_selectorIxiEEZNS1_14transform_implILb0ES3_S5_N6thrust23THRUST_200600_302600_NS6detail15normal_iteratorINS8_7pointerIxNS8_11hip_rocprim5par_tENS8_11use_defaultESE_EEEENSA_INSB_IiSD_SE_SE_EEEEZNS1_13binary_searchIS3_S5_NSA_INS8_10device_ptrIxEEEESG_SI_NS1_16binary_search_opENS9_16wrapped_functionINS8_6system6detail7generic6detail18binary_search_lessEbEEEE10hipError_tPvRmT1_T2_T3_mmT4_T5_P12ihipStream_tbEUlRKxE_EESV_SZ_S10_mS11_S14_bEUlT_E_NS1_11comp_targetILNS1_3genE10ELNS1_11target_archE1201ELNS1_3gpuE5ELNS1_3repE0EEENS1_30default_config_static_selectorELNS0_4arch9wavefront6targetE0EEEvSY_.has_indirect_call, 0
	.section	.AMDGPU.csdata,"",@progbits
; Kernel info:
; codeLenInByte = 0
; TotalNumSgprs: 0
; NumVgprs: 0
; ScratchSize: 0
; MemoryBound: 0
; FloatMode: 240
; IeeeMode: 1
; LDSByteSize: 0 bytes/workgroup (compile time only)
; SGPRBlocks: 0
; VGPRBlocks: 0
; NumSGPRsForWavesPerEU: 1
; NumVGPRsForWavesPerEU: 1
; Occupancy: 16
; WaveLimiterHint : 0
; COMPUTE_PGM_RSRC2:SCRATCH_EN: 0
; COMPUTE_PGM_RSRC2:USER_SGPR: 6
; COMPUTE_PGM_RSRC2:TRAP_HANDLER: 0
; COMPUTE_PGM_RSRC2:TGID_X_EN: 1
; COMPUTE_PGM_RSRC2:TGID_Y_EN: 0
; COMPUTE_PGM_RSRC2:TGID_Z_EN: 0
; COMPUTE_PGM_RSRC2:TIDIG_COMP_CNT: 0
	.section	.text._ZN7rocprim17ROCPRIM_400000_NS6detail17trampoline_kernelINS0_14default_configENS1_29binary_search_config_selectorIxiEEZNS1_14transform_implILb0ES3_S5_N6thrust23THRUST_200600_302600_NS6detail15normal_iteratorINS8_7pointerIxNS8_11hip_rocprim5par_tENS8_11use_defaultESE_EEEENSA_INSB_IiSD_SE_SE_EEEEZNS1_13binary_searchIS3_S5_NSA_INS8_10device_ptrIxEEEESG_SI_NS1_16binary_search_opENS9_16wrapped_functionINS8_6system6detail7generic6detail18binary_search_lessEbEEEE10hipError_tPvRmT1_T2_T3_mmT4_T5_P12ihipStream_tbEUlRKxE_EESV_SZ_S10_mS11_S14_bEUlT_E_NS1_11comp_targetILNS1_3genE10ELNS1_11target_archE1200ELNS1_3gpuE4ELNS1_3repE0EEENS1_30default_config_static_selectorELNS0_4arch9wavefront6targetE0EEEvSY_,"axG",@progbits,_ZN7rocprim17ROCPRIM_400000_NS6detail17trampoline_kernelINS0_14default_configENS1_29binary_search_config_selectorIxiEEZNS1_14transform_implILb0ES3_S5_N6thrust23THRUST_200600_302600_NS6detail15normal_iteratorINS8_7pointerIxNS8_11hip_rocprim5par_tENS8_11use_defaultESE_EEEENSA_INSB_IiSD_SE_SE_EEEEZNS1_13binary_searchIS3_S5_NSA_INS8_10device_ptrIxEEEESG_SI_NS1_16binary_search_opENS9_16wrapped_functionINS8_6system6detail7generic6detail18binary_search_lessEbEEEE10hipError_tPvRmT1_T2_T3_mmT4_T5_P12ihipStream_tbEUlRKxE_EESV_SZ_S10_mS11_S14_bEUlT_E_NS1_11comp_targetILNS1_3genE10ELNS1_11target_archE1200ELNS1_3gpuE4ELNS1_3repE0EEENS1_30default_config_static_selectorELNS0_4arch9wavefront6targetE0EEEvSY_,comdat
	.protected	_ZN7rocprim17ROCPRIM_400000_NS6detail17trampoline_kernelINS0_14default_configENS1_29binary_search_config_selectorIxiEEZNS1_14transform_implILb0ES3_S5_N6thrust23THRUST_200600_302600_NS6detail15normal_iteratorINS8_7pointerIxNS8_11hip_rocprim5par_tENS8_11use_defaultESE_EEEENSA_INSB_IiSD_SE_SE_EEEEZNS1_13binary_searchIS3_S5_NSA_INS8_10device_ptrIxEEEESG_SI_NS1_16binary_search_opENS9_16wrapped_functionINS8_6system6detail7generic6detail18binary_search_lessEbEEEE10hipError_tPvRmT1_T2_T3_mmT4_T5_P12ihipStream_tbEUlRKxE_EESV_SZ_S10_mS11_S14_bEUlT_E_NS1_11comp_targetILNS1_3genE10ELNS1_11target_archE1200ELNS1_3gpuE4ELNS1_3repE0EEENS1_30default_config_static_selectorELNS0_4arch9wavefront6targetE0EEEvSY_ ; -- Begin function _ZN7rocprim17ROCPRIM_400000_NS6detail17trampoline_kernelINS0_14default_configENS1_29binary_search_config_selectorIxiEEZNS1_14transform_implILb0ES3_S5_N6thrust23THRUST_200600_302600_NS6detail15normal_iteratorINS8_7pointerIxNS8_11hip_rocprim5par_tENS8_11use_defaultESE_EEEENSA_INSB_IiSD_SE_SE_EEEEZNS1_13binary_searchIS3_S5_NSA_INS8_10device_ptrIxEEEESG_SI_NS1_16binary_search_opENS9_16wrapped_functionINS8_6system6detail7generic6detail18binary_search_lessEbEEEE10hipError_tPvRmT1_T2_T3_mmT4_T5_P12ihipStream_tbEUlRKxE_EESV_SZ_S10_mS11_S14_bEUlT_E_NS1_11comp_targetILNS1_3genE10ELNS1_11target_archE1200ELNS1_3gpuE4ELNS1_3repE0EEENS1_30default_config_static_selectorELNS0_4arch9wavefront6targetE0EEEvSY_
	.globl	_ZN7rocprim17ROCPRIM_400000_NS6detail17trampoline_kernelINS0_14default_configENS1_29binary_search_config_selectorIxiEEZNS1_14transform_implILb0ES3_S5_N6thrust23THRUST_200600_302600_NS6detail15normal_iteratorINS8_7pointerIxNS8_11hip_rocprim5par_tENS8_11use_defaultESE_EEEENSA_INSB_IiSD_SE_SE_EEEEZNS1_13binary_searchIS3_S5_NSA_INS8_10device_ptrIxEEEESG_SI_NS1_16binary_search_opENS9_16wrapped_functionINS8_6system6detail7generic6detail18binary_search_lessEbEEEE10hipError_tPvRmT1_T2_T3_mmT4_T5_P12ihipStream_tbEUlRKxE_EESV_SZ_S10_mS11_S14_bEUlT_E_NS1_11comp_targetILNS1_3genE10ELNS1_11target_archE1200ELNS1_3gpuE4ELNS1_3repE0EEENS1_30default_config_static_selectorELNS0_4arch9wavefront6targetE0EEEvSY_
	.p2align	8
	.type	_ZN7rocprim17ROCPRIM_400000_NS6detail17trampoline_kernelINS0_14default_configENS1_29binary_search_config_selectorIxiEEZNS1_14transform_implILb0ES3_S5_N6thrust23THRUST_200600_302600_NS6detail15normal_iteratorINS8_7pointerIxNS8_11hip_rocprim5par_tENS8_11use_defaultESE_EEEENSA_INSB_IiSD_SE_SE_EEEEZNS1_13binary_searchIS3_S5_NSA_INS8_10device_ptrIxEEEESG_SI_NS1_16binary_search_opENS9_16wrapped_functionINS8_6system6detail7generic6detail18binary_search_lessEbEEEE10hipError_tPvRmT1_T2_T3_mmT4_T5_P12ihipStream_tbEUlRKxE_EESV_SZ_S10_mS11_S14_bEUlT_E_NS1_11comp_targetILNS1_3genE10ELNS1_11target_archE1200ELNS1_3gpuE4ELNS1_3repE0EEENS1_30default_config_static_selectorELNS0_4arch9wavefront6targetE0EEEvSY_,@function
_ZN7rocprim17ROCPRIM_400000_NS6detail17trampoline_kernelINS0_14default_configENS1_29binary_search_config_selectorIxiEEZNS1_14transform_implILb0ES3_S5_N6thrust23THRUST_200600_302600_NS6detail15normal_iteratorINS8_7pointerIxNS8_11hip_rocprim5par_tENS8_11use_defaultESE_EEEENSA_INSB_IiSD_SE_SE_EEEEZNS1_13binary_searchIS3_S5_NSA_INS8_10device_ptrIxEEEESG_SI_NS1_16binary_search_opENS9_16wrapped_functionINS8_6system6detail7generic6detail18binary_search_lessEbEEEE10hipError_tPvRmT1_T2_T3_mmT4_T5_P12ihipStream_tbEUlRKxE_EESV_SZ_S10_mS11_S14_bEUlT_E_NS1_11comp_targetILNS1_3genE10ELNS1_11target_archE1200ELNS1_3gpuE4ELNS1_3repE0EEENS1_30default_config_static_selectorELNS0_4arch9wavefront6targetE0EEEvSY_: ; @_ZN7rocprim17ROCPRIM_400000_NS6detail17trampoline_kernelINS0_14default_configENS1_29binary_search_config_selectorIxiEEZNS1_14transform_implILb0ES3_S5_N6thrust23THRUST_200600_302600_NS6detail15normal_iteratorINS8_7pointerIxNS8_11hip_rocprim5par_tENS8_11use_defaultESE_EEEENSA_INSB_IiSD_SE_SE_EEEEZNS1_13binary_searchIS3_S5_NSA_INS8_10device_ptrIxEEEESG_SI_NS1_16binary_search_opENS9_16wrapped_functionINS8_6system6detail7generic6detail18binary_search_lessEbEEEE10hipError_tPvRmT1_T2_T3_mmT4_T5_P12ihipStream_tbEUlRKxE_EESV_SZ_S10_mS11_S14_bEUlT_E_NS1_11comp_targetILNS1_3genE10ELNS1_11target_archE1200ELNS1_3gpuE4ELNS1_3repE0EEENS1_30default_config_static_selectorELNS0_4arch9wavefront6targetE0EEEvSY_
; %bb.0:
	.section	.rodata,"a",@progbits
	.p2align	6, 0x0
	.amdhsa_kernel _ZN7rocprim17ROCPRIM_400000_NS6detail17trampoline_kernelINS0_14default_configENS1_29binary_search_config_selectorIxiEEZNS1_14transform_implILb0ES3_S5_N6thrust23THRUST_200600_302600_NS6detail15normal_iteratorINS8_7pointerIxNS8_11hip_rocprim5par_tENS8_11use_defaultESE_EEEENSA_INSB_IiSD_SE_SE_EEEEZNS1_13binary_searchIS3_S5_NSA_INS8_10device_ptrIxEEEESG_SI_NS1_16binary_search_opENS9_16wrapped_functionINS8_6system6detail7generic6detail18binary_search_lessEbEEEE10hipError_tPvRmT1_T2_T3_mmT4_T5_P12ihipStream_tbEUlRKxE_EESV_SZ_S10_mS11_S14_bEUlT_E_NS1_11comp_targetILNS1_3genE10ELNS1_11target_archE1200ELNS1_3gpuE4ELNS1_3repE0EEENS1_30default_config_static_selectorELNS0_4arch9wavefront6targetE0EEEvSY_
		.amdhsa_group_segment_fixed_size 0
		.amdhsa_private_segment_fixed_size 0
		.amdhsa_kernarg_size 56
		.amdhsa_user_sgpr_count 6
		.amdhsa_user_sgpr_private_segment_buffer 1
		.amdhsa_user_sgpr_dispatch_ptr 0
		.amdhsa_user_sgpr_queue_ptr 0
		.amdhsa_user_sgpr_kernarg_segment_ptr 1
		.amdhsa_user_sgpr_dispatch_id 0
		.amdhsa_user_sgpr_flat_scratch_init 0
		.amdhsa_user_sgpr_private_segment_size 0
		.amdhsa_wavefront_size32 1
		.amdhsa_uses_dynamic_stack 0
		.amdhsa_system_sgpr_private_segment_wavefront_offset 0
		.amdhsa_system_sgpr_workgroup_id_x 1
		.amdhsa_system_sgpr_workgroup_id_y 0
		.amdhsa_system_sgpr_workgroup_id_z 0
		.amdhsa_system_sgpr_workgroup_info 0
		.amdhsa_system_vgpr_workitem_id 0
		.amdhsa_next_free_vgpr 1
		.amdhsa_next_free_sgpr 1
		.amdhsa_reserve_vcc 0
		.amdhsa_reserve_flat_scratch 0
		.amdhsa_float_round_mode_32 0
		.amdhsa_float_round_mode_16_64 0
		.amdhsa_float_denorm_mode_32 3
		.amdhsa_float_denorm_mode_16_64 3
		.amdhsa_dx10_clamp 1
		.amdhsa_ieee_mode 1
		.amdhsa_fp16_overflow 0
		.amdhsa_workgroup_processor_mode 1
		.amdhsa_memory_ordered 1
		.amdhsa_forward_progress 1
		.amdhsa_shared_vgpr_count 0
		.amdhsa_exception_fp_ieee_invalid_op 0
		.amdhsa_exception_fp_denorm_src 0
		.amdhsa_exception_fp_ieee_div_zero 0
		.amdhsa_exception_fp_ieee_overflow 0
		.amdhsa_exception_fp_ieee_underflow 0
		.amdhsa_exception_fp_ieee_inexact 0
		.amdhsa_exception_int_div_zero 0
	.end_amdhsa_kernel
	.section	.text._ZN7rocprim17ROCPRIM_400000_NS6detail17trampoline_kernelINS0_14default_configENS1_29binary_search_config_selectorIxiEEZNS1_14transform_implILb0ES3_S5_N6thrust23THRUST_200600_302600_NS6detail15normal_iteratorINS8_7pointerIxNS8_11hip_rocprim5par_tENS8_11use_defaultESE_EEEENSA_INSB_IiSD_SE_SE_EEEEZNS1_13binary_searchIS3_S5_NSA_INS8_10device_ptrIxEEEESG_SI_NS1_16binary_search_opENS9_16wrapped_functionINS8_6system6detail7generic6detail18binary_search_lessEbEEEE10hipError_tPvRmT1_T2_T3_mmT4_T5_P12ihipStream_tbEUlRKxE_EESV_SZ_S10_mS11_S14_bEUlT_E_NS1_11comp_targetILNS1_3genE10ELNS1_11target_archE1200ELNS1_3gpuE4ELNS1_3repE0EEENS1_30default_config_static_selectorELNS0_4arch9wavefront6targetE0EEEvSY_,"axG",@progbits,_ZN7rocprim17ROCPRIM_400000_NS6detail17trampoline_kernelINS0_14default_configENS1_29binary_search_config_selectorIxiEEZNS1_14transform_implILb0ES3_S5_N6thrust23THRUST_200600_302600_NS6detail15normal_iteratorINS8_7pointerIxNS8_11hip_rocprim5par_tENS8_11use_defaultESE_EEEENSA_INSB_IiSD_SE_SE_EEEEZNS1_13binary_searchIS3_S5_NSA_INS8_10device_ptrIxEEEESG_SI_NS1_16binary_search_opENS9_16wrapped_functionINS8_6system6detail7generic6detail18binary_search_lessEbEEEE10hipError_tPvRmT1_T2_T3_mmT4_T5_P12ihipStream_tbEUlRKxE_EESV_SZ_S10_mS11_S14_bEUlT_E_NS1_11comp_targetILNS1_3genE10ELNS1_11target_archE1200ELNS1_3gpuE4ELNS1_3repE0EEENS1_30default_config_static_selectorELNS0_4arch9wavefront6targetE0EEEvSY_,comdat
.Lfunc_end695:
	.size	_ZN7rocprim17ROCPRIM_400000_NS6detail17trampoline_kernelINS0_14default_configENS1_29binary_search_config_selectorIxiEEZNS1_14transform_implILb0ES3_S5_N6thrust23THRUST_200600_302600_NS6detail15normal_iteratorINS8_7pointerIxNS8_11hip_rocprim5par_tENS8_11use_defaultESE_EEEENSA_INSB_IiSD_SE_SE_EEEEZNS1_13binary_searchIS3_S5_NSA_INS8_10device_ptrIxEEEESG_SI_NS1_16binary_search_opENS9_16wrapped_functionINS8_6system6detail7generic6detail18binary_search_lessEbEEEE10hipError_tPvRmT1_T2_T3_mmT4_T5_P12ihipStream_tbEUlRKxE_EESV_SZ_S10_mS11_S14_bEUlT_E_NS1_11comp_targetILNS1_3genE10ELNS1_11target_archE1200ELNS1_3gpuE4ELNS1_3repE0EEENS1_30default_config_static_selectorELNS0_4arch9wavefront6targetE0EEEvSY_, .Lfunc_end695-_ZN7rocprim17ROCPRIM_400000_NS6detail17trampoline_kernelINS0_14default_configENS1_29binary_search_config_selectorIxiEEZNS1_14transform_implILb0ES3_S5_N6thrust23THRUST_200600_302600_NS6detail15normal_iteratorINS8_7pointerIxNS8_11hip_rocprim5par_tENS8_11use_defaultESE_EEEENSA_INSB_IiSD_SE_SE_EEEEZNS1_13binary_searchIS3_S5_NSA_INS8_10device_ptrIxEEEESG_SI_NS1_16binary_search_opENS9_16wrapped_functionINS8_6system6detail7generic6detail18binary_search_lessEbEEEE10hipError_tPvRmT1_T2_T3_mmT4_T5_P12ihipStream_tbEUlRKxE_EESV_SZ_S10_mS11_S14_bEUlT_E_NS1_11comp_targetILNS1_3genE10ELNS1_11target_archE1200ELNS1_3gpuE4ELNS1_3repE0EEENS1_30default_config_static_selectorELNS0_4arch9wavefront6targetE0EEEvSY_
                                        ; -- End function
	.set _ZN7rocprim17ROCPRIM_400000_NS6detail17trampoline_kernelINS0_14default_configENS1_29binary_search_config_selectorIxiEEZNS1_14transform_implILb0ES3_S5_N6thrust23THRUST_200600_302600_NS6detail15normal_iteratorINS8_7pointerIxNS8_11hip_rocprim5par_tENS8_11use_defaultESE_EEEENSA_INSB_IiSD_SE_SE_EEEEZNS1_13binary_searchIS3_S5_NSA_INS8_10device_ptrIxEEEESG_SI_NS1_16binary_search_opENS9_16wrapped_functionINS8_6system6detail7generic6detail18binary_search_lessEbEEEE10hipError_tPvRmT1_T2_T3_mmT4_T5_P12ihipStream_tbEUlRKxE_EESV_SZ_S10_mS11_S14_bEUlT_E_NS1_11comp_targetILNS1_3genE10ELNS1_11target_archE1200ELNS1_3gpuE4ELNS1_3repE0EEENS1_30default_config_static_selectorELNS0_4arch9wavefront6targetE0EEEvSY_.num_vgpr, 0
	.set _ZN7rocprim17ROCPRIM_400000_NS6detail17trampoline_kernelINS0_14default_configENS1_29binary_search_config_selectorIxiEEZNS1_14transform_implILb0ES3_S5_N6thrust23THRUST_200600_302600_NS6detail15normal_iteratorINS8_7pointerIxNS8_11hip_rocprim5par_tENS8_11use_defaultESE_EEEENSA_INSB_IiSD_SE_SE_EEEEZNS1_13binary_searchIS3_S5_NSA_INS8_10device_ptrIxEEEESG_SI_NS1_16binary_search_opENS9_16wrapped_functionINS8_6system6detail7generic6detail18binary_search_lessEbEEEE10hipError_tPvRmT1_T2_T3_mmT4_T5_P12ihipStream_tbEUlRKxE_EESV_SZ_S10_mS11_S14_bEUlT_E_NS1_11comp_targetILNS1_3genE10ELNS1_11target_archE1200ELNS1_3gpuE4ELNS1_3repE0EEENS1_30default_config_static_selectorELNS0_4arch9wavefront6targetE0EEEvSY_.num_agpr, 0
	.set _ZN7rocprim17ROCPRIM_400000_NS6detail17trampoline_kernelINS0_14default_configENS1_29binary_search_config_selectorIxiEEZNS1_14transform_implILb0ES3_S5_N6thrust23THRUST_200600_302600_NS6detail15normal_iteratorINS8_7pointerIxNS8_11hip_rocprim5par_tENS8_11use_defaultESE_EEEENSA_INSB_IiSD_SE_SE_EEEEZNS1_13binary_searchIS3_S5_NSA_INS8_10device_ptrIxEEEESG_SI_NS1_16binary_search_opENS9_16wrapped_functionINS8_6system6detail7generic6detail18binary_search_lessEbEEEE10hipError_tPvRmT1_T2_T3_mmT4_T5_P12ihipStream_tbEUlRKxE_EESV_SZ_S10_mS11_S14_bEUlT_E_NS1_11comp_targetILNS1_3genE10ELNS1_11target_archE1200ELNS1_3gpuE4ELNS1_3repE0EEENS1_30default_config_static_selectorELNS0_4arch9wavefront6targetE0EEEvSY_.numbered_sgpr, 0
	.set _ZN7rocprim17ROCPRIM_400000_NS6detail17trampoline_kernelINS0_14default_configENS1_29binary_search_config_selectorIxiEEZNS1_14transform_implILb0ES3_S5_N6thrust23THRUST_200600_302600_NS6detail15normal_iteratorINS8_7pointerIxNS8_11hip_rocprim5par_tENS8_11use_defaultESE_EEEENSA_INSB_IiSD_SE_SE_EEEEZNS1_13binary_searchIS3_S5_NSA_INS8_10device_ptrIxEEEESG_SI_NS1_16binary_search_opENS9_16wrapped_functionINS8_6system6detail7generic6detail18binary_search_lessEbEEEE10hipError_tPvRmT1_T2_T3_mmT4_T5_P12ihipStream_tbEUlRKxE_EESV_SZ_S10_mS11_S14_bEUlT_E_NS1_11comp_targetILNS1_3genE10ELNS1_11target_archE1200ELNS1_3gpuE4ELNS1_3repE0EEENS1_30default_config_static_selectorELNS0_4arch9wavefront6targetE0EEEvSY_.num_named_barrier, 0
	.set _ZN7rocprim17ROCPRIM_400000_NS6detail17trampoline_kernelINS0_14default_configENS1_29binary_search_config_selectorIxiEEZNS1_14transform_implILb0ES3_S5_N6thrust23THRUST_200600_302600_NS6detail15normal_iteratorINS8_7pointerIxNS8_11hip_rocprim5par_tENS8_11use_defaultESE_EEEENSA_INSB_IiSD_SE_SE_EEEEZNS1_13binary_searchIS3_S5_NSA_INS8_10device_ptrIxEEEESG_SI_NS1_16binary_search_opENS9_16wrapped_functionINS8_6system6detail7generic6detail18binary_search_lessEbEEEE10hipError_tPvRmT1_T2_T3_mmT4_T5_P12ihipStream_tbEUlRKxE_EESV_SZ_S10_mS11_S14_bEUlT_E_NS1_11comp_targetILNS1_3genE10ELNS1_11target_archE1200ELNS1_3gpuE4ELNS1_3repE0EEENS1_30default_config_static_selectorELNS0_4arch9wavefront6targetE0EEEvSY_.private_seg_size, 0
	.set _ZN7rocprim17ROCPRIM_400000_NS6detail17trampoline_kernelINS0_14default_configENS1_29binary_search_config_selectorIxiEEZNS1_14transform_implILb0ES3_S5_N6thrust23THRUST_200600_302600_NS6detail15normal_iteratorINS8_7pointerIxNS8_11hip_rocprim5par_tENS8_11use_defaultESE_EEEENSA_INSB_IiSD_SE_SE_EEEEZNS1_13binary_searchIS3_S5_NSA_INS8_10device_ptrIxEEEESG_SI_NS1_16binary_search_opENS9_16wrapped_functionINS8_6system6detail7generic6detail18binary_search_lessEbEEEE10hipError_tPvRmT1_T2_T3_mmT4_T5_P12ihipStream_tbEUlRKxE_EESV_SZ_S10_mS11_S14_bEUlT_E_NS1_11comp_targetILNS1_3genE10ELNS1_11target_archE1200ELNS1_3gpuE4ELNS1_3repE0EEENS1_30default_config_static_selectorELNS0_4arch9wavefront6targetE0EEEvSY_.uses_vcc, 0
	.set _ZN7rocprim17ROCPRIM_400000_NS6detail17trampoline_kernelINS0_14default_configENS1_29binary_search_config_selectorIxiEEZNS1_14transform_implILb0ES3_S5_N6thrust23THRUST_200600_302600_NS6detail15normal_iteratorINS8_7pointerIxNS8_11hip_rocprim5par_tENS8_11use_defaultESE_EEEENSA_INSB_IiSD_SE_SE_EEEEZNS1_13binary_searchIS3_S5_NSA_INS8_10device_ptrIxEEEESG_SI_NS1_16binary_search_opENS9_16wrapped_functionINS8_6system6detail7generic6detail18binary_search_lessEbEEEE10hipError_tPvRmT1_T2_T3_mmT4_T5_P12ihipStream_tbEUlRKxE_EESV_SZ_S10_mS11_S14_bEUlT_E_NS1_11comp_targetILNS1_3genE10ELNS1_11target_archE1200ELNS1_3gpuE4ELNS1_3repE0EEENS1_30default_config_static_selectorELNS0_4arch9wavefront6targetE0EEEvSY_.uses_flat_scratch, 0
	.set _ZN7rocprim17ROCPRIM_400000_NS6detail17trampoline_kernelINS0_14default_configENS1_29binary_search_config_selectorIxiEEZNS1_14transform_implILb0ES3_S5_N6thrust23THRUST_200600_302600_NS6detail15normal_iteratorINS8_7pointerIxNS8_11hip_rocprim5par_tENS8_11use_defaultESE_EEEENSA_INSB_IiSD_SE_SE_EEEEZNS1_13binary_searchIS3_S5_NSA_INS8_10device_ptrIxEEEESG_SI_NS1_16binary_search_opENS9_16wrapped_functionINS8_6system6detail7generic6detail18binary_search_lessEbEEEE10hipError_tPvRmT1_T2_T3_mmT4_T5_P12ihipStream_tbEUlRKxE_EESV_SZ_S10_mS11_S14_bEUlT_E_NS1_11comp_targetILNS1_3genE10ELNS1_11target_archE1200ELNS1_3gpuE4ELNS1_3repE0EEENS1_30default_config_static_selectorELNS0_4arch9wavefront6targetE0EEEvSY_.has_dyn_sized_stack, 0
	.set _ZN7rocprim17ROCPRIM_400000_NS6detail17trampoline_kernelINS0_14default_configENS1_29binary_search_config_selectorIxiEEZNS1_14transform_implILb0ES3_S5_N6thrust23THRUST_200600_302600_NS6detail15normal_iteratorINS8_7pointerIxNS8_11hip_rocprim5par_tENS8_11use_defaultESE_EEEENSA_INSB_IiSD_SE_SE_EEEEZNS1_13binary_searchIS3_S5_NSA_INS8_10device_ptrIxEEEESG_SI_NS1_16binary_search_opENS9_16wrapped_functionINS8_6system6detail7generic6detail18binary_search_lessEbEEEE10hipError_tPvRmT1_T2_T3_mmT4_T5_P12ihipStream_tbEUlRKxE_EESV_SZ_S10_mS11_S14_bEUlT_E_NS1_11comp_targetILNS1_3genE10ELNS1_11target_archE1200ELNS1_3gpuE4ELNS1_3repE0EEENS1_30default_config_static_selectorELNS0_4arch9wavefront6targetE0EEEvSY_.has_recursion, 0
	.set _ZN7rocprim17ROCPRIM_400000_NS6detail17trampoline_kernelINS0_14default_configENS1_29binary_search_config_selectorIxiEEZNS1_14transform_implILb0ES3_S5_N6thrust23THRUST_200600_302600_NS6detail15normal_iteratorINS8_7pointerIxNS8_11hip_rocprim5par_tENS8_11use_defaultESE_EEEENSA_INSB_IiSD_SE_SE_EEEEZNS1_13binary_searchIS3_S5_NSA_INS8_10device_ptrIxEEEESG_SI_NS1_16binary_search_opENS9_16wrapped_functionINS8_6system6detail7generic6detail18binary_search_lessEbEEEE10hipError_tPvRmT1_T2_T3_mmT4_T5_P12ihipStream_tbEUlRKxE_EESV_SZ_S10_mS11_S14_bEUlT_E_NS1_11comp_targetILNS1_3genE10ELNS1_11target_archE1200ELNS1_3gpuE4ELNS1_3repE0EEENS1_30default_config_static_selectorELNS0_4arch9wavefront6targetE0EEEvSY_.has_indirect_call, 0
	.section	.AMDGPU.csdata,"",@progbits
; Kernel info:
; codeLenInByte = 0
; TotalNumSgprs: 0
; NumVgprs: 0
; ScratchSize: 0
; MemoryBound: 0
; FloatMode: 240
; IeeeMode: 1
; LDSByteSize: 0 bytes/workgroup (compile time only)
; SGPRBlocks: 0
; VGPRBlocks: 0
; NumSGPRsForWavesPerEU: 1
; NumVGPRsForWavesPerEU: 1
; Occupancy: 16
; WaveLimiterHint : 0
; COMPUTE_PGM_RSRC2:SCRATCH_EN: 0
; COMPUTE_PGM_RSRC2:USER_SGPR: 6
; COMPUTE_PGM_RSRC2:TRAP_HANDLER: 0
; COMPUTE_PGM_RSRC2:TGID_X_EN: 1
; COMPUTE_PGM_RSRC2:TGID_Y_EN: 0
; COMPUTE_PGM_RSRC2:TGID_Z_EN: 0
; COMPUTE_PGM_RSRC2:TIDIG_COMP_CNT: 0
	.section	.text._ZN7rocprim17ROCPRIM_400000_NS6detail17trampoline_kernelINS0_14default_configENS1_29binary_search_config_selectorIxiEEZNS1_14transform_implILb0ES3_S5_N6thrust23THRUST_200600_302600_NS6detail15normal_iteratorINS8_7pointerIxNS8_11hip_rocprim5par_tENS8_11use_defaultESE_EEEENSA_INSB_IiSD_SE_SE_EEEEZNS1_13binary_searchIS3_S5_NSA_INS8_10device_ptrIxEEEESG_SI_NS1_16binary_search_opENS9_16wrapped_functionINS8_6system6detail7generic6detail18binary_search_lessEbEEEE10hipError_tPvRmT1_T2_T3_mmT4_T5_P12ihipStream_tbEUlRKxE_EESV_SZ_S10_mS11_S14_bEUlT_E_NS1_11comp_targetILNS1_3genE9ELNS1_11target_archE1100ELNS1_3gpuE3ELNS1_3repE0EEENS1_30default_config_static_selectorELNS0_4arch9wavefront6targetE0EEEvSY_,"axG",@progbits,_ZN7rocprim17ROCPRIM_400000_NS6detail17trampoline_kernelINS0_14default_configENS1_29binary_search_config_selectorIxiEEZNS1_14transform_implILb0ES3_S5_N6thrust23THRUST_200600_302600_NS6detail15normal_iteratorINS8_7pointerIxNS8_11hip_rocprim5par_tENS8_11use_defaultESE_EEEENSA_INSB_IiSD_SE_SE_EEEEZNS1_13binary_searchIS3_S5_NSA_INS8_10device_ptrIxEEEESG_SI_NS1_16binary_search_opENS9_16wrapped_functionINS8_6system6detail7generic6detail18binary_search_lessEbEEEE10hipError_tPvRmT1_T2_T3_mmT4_T5_P12ihipStream_tbEUlRKxE_EESV_SZ_S10_mS11_S14_bEUlT_E_NS1_11comp_targetILNS1_3genE9ELNS1_11target_archE1100ELNS1_3gpuE3ELNS1_3repE0EEENS1_30default_config_static_selectorELNS0_4arch9wavefront6targetE0EEEvSY_,comdat
	.protected	_ZN7rocprim17ROCPRIM_400000_NS6detail17trampoline_kernelINS0_14default_configENS1_29binary_search_config_selectorIxiEEZNS1_14transform_implILb0ES3_S5_N6thrust23THRUST_200600_302600_NS6detail15normal_iteratorINS8_7pointerIxNS8_11hip_rocprim5par_tENS8_11use_defaultESE_EEEENSA_INSB_IiSD_SE_SE_EEEEZNS1_13binary_searchIS3_S5_NSA_INS8_10device_ptrIxEEEESG_SI_NS1_16binary_search_opENS9_16wrapped_functionINS8_6system6detail7generic6detail18binary_search_lessEbEEEE10hipError_tPvRmT1_T2_T3_mmT4_T5_P12ihipStream_tbEUlRKxE_EESV_SZ_S10_mS11_S14_bEUlT_E_NS1_11comp_targetILNS1_3genE9ELNS1_11target_archE1100ELNS1_3gpuE3ELNS1_3repE0EEENS1_30default_config_static_selectorELNS0_4arch9wavefront6targetE0EEEvSY_ ; -- Begin function _ZN7rocprim17ROCPRIM_400000_NS6detail17trampoline_kernelINS0_14default_configENS1_29binary_search_config_selectorIxiEEZNS1_14transform_implILb0ES3_S5_N6thrust23THRUST_200600_302600_NS6detail15normal_iteratorINS8_7pointerIxNS8_11hip_rocprim5par_tENS8_11use_defaultESE_EEEENSA_INSB_IiSD_SE_SE_EEEEZNS1_13binary_searchIS3_S5_NSA_INS8_10device_ptrIxEEEESG_SI_NS1_16binary_search_opENS9_16wrapped_functionINS8_6system6detail7generic6detail18binary_search_lessEbEEEE10hipError_tPvRmT1_T2_T3_mmT4_T5_P12ihipStream_tbEUlRKxE_EESV_SZ_S10_mS11_S14_bEUlT_E_NS1_11comp_targetILNS1_3genE9ELNS1_11target_archE1100ELNS1_3gpuE3ELNS1_3repE0EEENS1_30default_config_static_selectorELNS0_4arch9wavefront6targetE0EEEvSY_
	.globl	_ZN7rocprim17ROCPRIM_400000_NS6detail17trampoline_kernelINS0_14default_configENS1_29binary_search_config_selectorIxiEEZNS1_14transform_implILb0ES3_S5_N6thrust23THRUST_200600_302600_NS6detail15normal_iteratorINS8_7pointerIxNS8_11hip_rocprim5par_tENS8_11use_defaultESE_EEEENSA_INSB_IiSD_SE_SE_EEEEZNS1_13binary_searchIS3_S5_NSA_INS8_10device_ptrIxEEEESG_SI_NS1_16binary_search_opENS9_16wrapped_functionINS8_6system6detail7generic6detail18binary_search_lessEbEEEE10hipError_tPvRmT1_T2_T3_mmT4_T5_P12ihipStream_tbEUlRKxE_EESV_SZ_S10_mS11_S14_bEUlT_E_NS1_11comp_targetILNS1_3genE9ELNS1_11target_archE1100ELNS1_3gpuE3ELNS1_3repE0EEENS1_30default_config_static_selectorELNS0_4arch9wavefront6targetE0EEEvSY_
	.p2align	8
	.type	_ZN7rocprim17ROCPRIM_400000_NS6detail17trampoline_kernelINS0_14default_configENS1_29binary_search_config_selectorIxiEEZNS1_14transform_implILb0ES3_S5_N6thrust23THRUST_200600_302600_NS6detail15normal_iteratorINS8_7pointerIxNS8_11hip_rocprim5par_tENS8_11use_defaultESE_EEEENSA_INSB_IiSD_SE_SE_EEEEZNS1_13binary_searchIS3_S5_NSA_INS8_10device_ptrIxEEEESG_SI_NS1_16binary_search_opENS9_16wrapped_functionINS8_6system6detail7generic6detail18binary_search_lessEbEEEE10hipError_tPvRmT1_T2_T3_mmT4_T5_P12ihipStream_tbEUlRKxE_EESV_SZ_S10_mS11_S14_bEUlT_E_NS1_11comp_targetILNS1_3genE9ELNS1_11target_archE1100ELNS1_3gpuE3ELNS1_3repE0EEENS1_30default_config_static_selectorELNS0_4arch9wavefront6targetE0EEEvSY_,@function
_ZN7rocprim17ROCPRIM_400000_NS6detail17trampoline_kernelINS0_14default_configENS1_29binary_search_config_selectorIxiEEZNS1_14transform_implILb0ES3_S5_N6thrust23THRUST_200600_302600_NS6detail15normal_iteratorINS8_7pointerIxNS8_11hip_rocprim5par_tENS8_11use_defaultESE_EEEENSA_INSB_IiSD_SE_SE_EEEEZNS1_13binary_searchIS3_S5_NSA_INS8_10device_ptrIxEEEESG_SI_NS1_16binary_search_opENS9_16wrapped_functionINS8_6system6detail7generic6detail18binary_search_lessEbEEEE10hipError_tPvRmT1_T2_T3_mmT4_T5_P12ihipStream_tbEUlRKxE_EESV_SZ_S10_mS11_S14_bEUlT_E_NS1_11comp_targetILNS1_3genE9ELNS1_11target_archE1100ELNS1_3gpuE3ELNS1_3repE0EEENS1_30default_config_static_selectorELNS0_4arch9wavefront6targetE0EEEvSY_: ; @_ZN7rocprim17ROCPRIM_400000_NS6detail17trampoline_kernelINS0_14default_configENS1_29binary_search_config_selectorIxiEEZNS1_14transform_implILb0ES3_S5_N6thrust23THRUST_200600_302600_NS6detail15normal_iteratorINS8_7pointerIxNS8_11hip_rocprim5par_tENS8_11use_defaultESE_EEEENSA_INSB_IiSD_SE_SE_EEEEZNS1_13binary_searchIS3_S5_NSA_INS8_10device_ptrIxEEEESG_SI_NS1_16binary_search_opENS9_16wrapped_functionINS8_6system6detail7generic6detail18binary_search_lessEbEEEE10hipError_tPvRmT1_T2_T3_mmT4_T5_P12ihipStream_tbEUlRKxE_EESV_SZ_S10_mS11_S14_bEUlT_E_NS1_11comp_targetILNS1_3genE9ELNS1_11target_archE1100ELNS1_3gpuE3ELNS1_3repE0EEENS1_30default_config_static_selectorELNS0_4arch9wavefront6targetE0EEEvSY_
; %bb.0:
	.section	.rodata,"a",@progbits
	.p2align	6, 0x0
	.amdhsa_kernel _ZN7rocprim17ROCPRIM_400000_NS6detail17trampoline_kernelINS0_14default_configENS1_29binary_search_config_selectorIxiEEZNS1_14transform_implILb0ES3_S5_N6thrust23THRUST_200600_302600_NS6detail15normal_iteratorINS8_7pointerIxNS8_11hip_rocprim5par_tENS8_11use_defaultESE_EEEENSA_INSB_IiSD_SE_SE_EEEEZNS1_13binary_searchIS3_S5_NSA_INS8_10device_ptrIxEEEESG_SI_NS1_16binary_search_opENS9_16wrapped_functionINS8_6system6detail7generic6detail18binary_search_lessEbEEEE10hipError_tPvRmT1_T2_T3_mmT4_T5_P12ihipStream_tbEUlRKxE_EESV_SZ_S10_mS11_S14_bEUlT_E_NS1_11comp_targetILNS1_3genE9ELNS1_11target_archE1100ELNS1_3gpuE3ELNS1_3repE0EEENS1_30default_config_static_selectorELNS0_4arch9wavefront6targetE0EEEvSY_
		.amdhsa_group_segment_fixed_size 0
		.amdhsa_private_segment_fixed_size 0
		.amdhsa_kernarg_size 56
		.amdhsa_user_sgpr_count 6
		.amdhsa_user_sgpr_private_segment_buffer 1
		.amdhsa_user_sgpr_dispatch_ptr 0
		.amdhsa_user_sgpr_queue_ptr 0
		.amdhsa_user_sgpr_kernarg_segment_ptr 1
		.amdhsa_user_sgpr_dispatch_id 0
		.amdhsa_user_sgpr_flat_scratch_init 0
		.amdhsa_user_sgpr_private_segment_size 0
		.amdhsa_wavefront_size32 1
		.amdhsa_uses_dynamic_stack 0
		.amdhsa_system_sgpr_private_segment_wavefront_offset 0
		.amdhsa_system_sgpr_workgroup_id_x 1
		.amdhsa_system_sgpr_workgroup_id_y 0
		.amdhsa_system_sgpr_workgroup_id_z 0
		.amdhsa_system_sgpr_workgroup_info 0
		.amdhsa_system_vgpr_workitem_id 0
		.amdhsa_next_free_vgpr 1
		.amdhsa_next_free_sgpr 1
		.amdhsa_reserve_vcc 0
		.amdhsa_reserve_flat_scratch 0
		.amdhsa_float_round_mode_32 0
		.amdhsa_float_round_mode_16_64 0
		.amdhsa_float_denorm_mode_32 3
		.amdhsa_float_denorm_mode_16_64 3
		.amdhsa_dx10_clamp 1
		.amdhsa_ieee_mode 1
		.amdhsa_fp16_overflow 0
		.amdhsa_workgroup_processor_mode 1
		.amdhsa_memory_ordered 1
		.amdhsa_forward_progress 1
		.amdhsa_shared_vgpr_count 0
		.amdhsa_exception_fp_ieee_invalid_op 0
		.amdhsa_exception_fp_denorm_src 0
		.amdhsa_exception_fp_ieee_div_zero 0
		.amdhsa_exception_fp_ieee_overflow 0
		.amdhsa_exception_fp_ieee_underflow 0
		.amdhsa_exception_fp_ieee_inexact 0
		.amdhsa_exception_int_div_zero 0
	.end_amdhsa_kernel
	.section	.text._ZN7rocprim17ROCPRIM_400000_NS6detail17trampoline_kernelINS0_14default_configENS1_29binary_search_config_selectorIxiEEZNS1_14transform_implILb0ES3_S5_N6thrust23THRUST_200600_302600_NS6detail15normal_iteratorINS8_7pointerIxNS8_11hip_rocprim5par_tENS8_11use_defaultESE_EEEENSA_INSB_IiSD_SE_SE_EEEEZNS1_13binary_searchIS3_S5_NSA_INS8_10device_ptrIxEEEESG_SI_NS1_16binary_search_opENS9_16wrapped_functionINS8_6system6detail7generic6detail18binary_search_lessEbEEEE10hipError_tPvRmT1_T2_T3_mmT4_T5_P12ihipStream_tbEUlRKxE_EESV_SZ_S10_mS11_S14_bEUlT_E_NS1_11comp_targetILNS1_3genE9ELNS1_11target_archE1100ELNS1_3gpuE3ELNS1_3repE0EEENS1_30default_config_static_selectorELNS0_4arch9wavefront6targetE0EEEvSY_,"axG",@progbits,_ZN7rocprim17ROCPRIM_400000_NS6detail17trampoline_kernelINS0_14default_configENS1_29binary_search_config_selectorIxiEEZNS1_14transform_implILb0ES3_S5_N6thrust23THRUST_200600_302600_NS6detail15normal_iteratorINS8_7pointerIxNS8_11hip_rocprim5par_tENS8_11use_defaultESE_EEEENSA_INSB_IiSD_SE_SE_EEEEZNS1_13binary_searchIS3_S5_NSA_INS8_10device_ptrIxEEEESG_SI_NS1_16binary_search_opENS9_16wrapped_functionINS8_6system6detail7generic6detail18binary_search_lessEbEEEE10hipError_tPvRmT1_T2_T3_mmT4_T5_P12ihipStream_tbEUlRKxE_EESV_SZ_S10_mS11_S14_bEUlT_E_NS1_11comp_targetILNS1_3genE9ELNS1_11target_archE1100ELNS1_3gpuE3ELNS1_3repE0EEENS1_30default_config_static_selectorELNS0_4arch9wavefront6targetE0EEEvSY_,comdat
.Lfunc_end696:
	.size	_ZN7rocprim17ROCPRIM_400000_NS6detail17trampoline_kernelINS0_14default_configENS1_29binary_search_config_selectorIxiEEZNS1_14transform_implILb0ES3_S5_N6thrust23THRUST_200600_302600_NS6detail15normal_iteratorINS8_7pointerIxNS8_11hip_rocprim5par_tENS8_11use_defaultESE_EEEENSA_INSB_IiSD_SE_SE_EEEEZNS1_13binary_searchIS3_S5_NSA_INS8_10device_ptrIxEEEESG_SI_NS1_16binary_search_opENS9_16wrapped_functionINS8_6system6detail7generic6detail18binary_search_lessEbEEEE10hipError_tPvRmT1_T2_T3_mmT4_T5_P12ihipStream_tbEUlRKxE_EESV_SZ_S10_mS11_S14_bEUlT_E_NS1_11comp_targetILNS1_3genE9ELNS1_11target_archE1100ELNS1_3gpuE3ELNS1_3repE0EEENS1_30default_config_static_selectorELNS0_4arch9wavefront6targetE0EEEvSY_, .Lfunc_end696-_ZN7rocprim17ROCPRIM_400000_NS6detail17trampoline_kernelINS0_14default_configENS1_29binary_search_config_selectorIxiEEZNS1_14transform_implILb0ES3_S5_N6thrust23THRUST_200600_302600_NS6detail15normal_iteratorINS8_7pointerIxNS8_11hip_rocprim5par_tENS8_11use_defaultESE_EEEENSA_INSB_IiSD_SE_SE_EEEEZNS1_13binary_searchIS3_S5_NSA_INS8_10device_ptrIxEEEESG_SI_NS1_16binary_search_opENS9_16wrapped_functionINS8_6system6detail7generic6detail18binary_search_lessEbEEEE10hipError_tPvRmT1_T2_T3_mmT4_T5_P12ihipStream_tbEUlRKxE_EESV_SZ_S10_mS11_S14_bEUlT_E_NS1_11comp_targetILNS1_3genE9ELNS1_11target_archE1100ELNS1_3gpuE3ELNS1_3repE0EEENS1_30default_config_static_selectorELNS0_4arch9wavefront6targetE0EEEvSY_
                                        ; -- End function
	.set _ZN7rocprim17ROCPRIM_400000_NS6detail17trampoline_kernelINS0_14default_configENS1_29binary_search_config_selectorIxiEEZNS1_14transform_implILb0ES3_S5_N6thrust23THRUST_200600_302600_NS6detail15normal_iteratorINS8_7pointerIxNS8_11hip_rocprim5par_tENS8_11use_defaultESE_EEEENSA_INSB_IiSD_SE_SE_EEEEZNS1_13binary_searchIS3_S5_NSA_INS8_10device_ptrIxEEEESG_SI_NS1_16binary_search_opENS9_16wrapped_functionINS8_6system6detail7generic6detail18binary_search_lessEbEEEE10hipError_tPvRmT1_T2_T3_mmT4_T5_P12ihipStream_tbEUlRKxE_EESV_SZ_S10_mS11_S14_bEUlT_E_NS1_11comp_targetILNS1_3genE9ELNS1_11target_archE1100ELNS1_3gpuE3ELNS1_3repE0EEENS1_30default_config_static_selectorELNS0_4arch9wavefront6targetE0EEEvSY_.num_vgpr, 0
	.set _ZN7rocprim17ROCPRIM_400000_NS6detail17trampoline_kernelINS0_14default_configENS1_29binary_search_config_selectorIxiEEZNS1_14transform_implILb0ES3_S5_N6thrust23THRUST_200600_302600_NS6detail15normal_iteratorINS8_7pointerIxNS8_11hip_rocprim5par_tENS8_11use_defaultESE_EEEENSA_INSB_IiSD_SE_SE_EEEEZNS1_13binary_searchIS3_S5_NSA_INS8_10device_ptrIxEEEESG_SI_NS1_16binary_search_opENS9_16wrapped_functionINS8_6system6detail7generic6detail18binary_search_lessEbEEEE10hipError_tPvRmT1_T2_T3_mmT4_T5_P12ihipStream_tbEUlRKxE_EESV_SZ_S10_mS11_S14_bEUlT_E_NS1_11comp_targetILNS1_3genE9ELNS1_11target_archE1100ELNS1_3gpuE3ELNS1_3repE0EEENS1_30default_config_static_selectorELNS0_4arch9wavefront6targetE0EEEvSY_.num_agpr, 0
	.set _ZN7rocprim17ROCPRIM_400000_NS6detail17trampoline_kernelINS0_14default_configENS1_29binary_search_config_selectorIxiEEZNS1_14transform_implILb0ES3_S5_N6thrust23THRUST_200600_302600_NS6detail15normal_iteratorINS8_7pointerIxNS8_11hip_rocprim5par_tENS8_11use_defaultESE_EEEENSA_INSB_IiSD_SE_SE_EEEEZNS1_13binary_searchIS3_S5_NSA_INS8_10device_ptrIxEEEESG_SI_NS1_16binary_search_opENS9_16wrapped_functionINS8_6system6detail7generic6detail18binary_search_lessEbEEEE10hipError_tPvRmT1_T2_T3_mmT4_T5_P12ihipStream_tbEUlRKxE_EESV_SZ_S10_mS11_S14_bEUlT_E_NS1_11comp_targetILNS1_3genE9ELNS1_11target_archE1100ELNS1_3gpuE3ELNS1_3repE0EEENS1_30default_config_static_selectorELNS0_4arch9wavefront6targetE0EEEvSY_.numbered_sgpr, 0
	.set _ZN7rocprim17ROCPRIM_400000_NS6detail17trampoline_kernelINS0_14default_configENS1_29binary_search_config_selectorIxiEEZNS1_14transform_implILb0ES3_S5_N6thrust23THRUST_200600_302600_NS6detail15normal_iteratorINS8_7pointerIxNS8_11hip_rocprim5par_tENS8_11use_defaultESE_EEEENSA_INSB_IiSD_SE_SE_EEEEZNS1_13binary_searchIS3_S5_NSA_INS8_10device_ptrIxEEEESG_SI_NS1_16binary_search_opENS9_16wrapped_functionINS8_6system6detail7generic6detail18binary_search_lessEbEEEE10hipError_tPvRmT1_T2_T3_mmT4_T5_P12ihipStream_tbEUlRKxE_EESV_SZ_S10_mS11_S14_bEUlT_E_NS1_11comp_targetILNS1_3genE9ELNS1_11target_archE1100ELNS1_3gpuE3ELNS1_3repE0EEENS1_30default_config_static_selectorELNS0_4arch9wavefront6targetE0EEEvSY_.num_named_barrier, 0
	.set _ZN7rocprim17ROCPRIM_400000_NS6detail17trampoline_kernelINS0_14default_configENS1_29binary_search_config_selectorIxiEEZNS1_14transform_implILb0ES3_S5_N6thrust23THRUST_200600_302600_NS6detail15normal_iteratorINS8_7pointerIxNS8_11hip_rocprim5par_tENS8_11use_defaultESE_EEEENSA_INSB_IiSD_SE_SE_EEEEZNS1_13binary_searchIS3_S5_NSA_INS8_10device_ptrIxEEEESG_SI_NS1_16binary_search_opENS9_16wrapped_functionINS8_6system6detail7generic6detail18binary_search_lessEbEEEE10hipError_tPvRmT1_T2_T3_mmT4_T5_P12ihipStream_tbEUlRKxE_EESV_SZ_S10_mS11_S14_bEUlT_E_NS1_11comp_targetILNS1_3genE9ELNS1_11target_archE1100ELNS1_3gpuE3ELNS1_3repE0EEENS1_30default_config_static_selectorELNS0_4arch9wavefront6targetE0EEEvSY_.private_seg_size, 0
	.set _ZN7rocprim17ROCPRIM_400000_NS6detail17trampoline_kernelINS0_14default_configENS1_29binary_search_config_selectorIxiEEZNS1_14transform_implILb0ES3_S5_N6thrust23THRUST_200600_302600_NS6detail15normal_iteratorINS8_7pointerIxNS8_11hip_rocprim5par_tENS8_11use_defaultESE_EEEENSA_INSB_IiSD_SE_SE_EEEEZNS1_13binary_searchIS3_S5_NSA_INS8_10device_ptrIxEEEESG_SI_NS1_16binary_search_opENS9_16wrapped_functionINS8_6system6detail7generic6detail18binary_search_lessEbEEEE10hipError_tPvRmT1_T2_T3_mmT4_T5_P12ihipStream_tbEUlRKxE_EESV_SZ_S10_mS11_S14_bEUlT_E_NS1_11comp_targetILNS1_3genE9ELNS1_11target_archE1100ELNS1_3gpuE3ELNS1_3repE0EEENS1_30default_config_static_selectorELNS0_4arch9wavefront6targetE0EEEvSY_.uses_vcc, 0
	.set _ZN7rocprim17ROCPRIM_400000_NS6detail17trampoline_kernelINS0_14default_configENS1_29binary_search_config_selectorIxiEEZNS1_14transform_implILb0ES3_S5_N6thrust23THRUST_200600_302600_NS6detail15normal_iteratorINS8_7pointerIxNS8_11hip_rocprim5par_tENS8_11use_defaultESE_EEEENSA_INSB_IiSD_SE_SE_EEEEZNS1_13binary_searchIS3_S5_NSA_INS8_10device_ptrIxEEEESG_SI_NS1_16binary_search_opENS9_16wrapped_functionINS8_6system6detail7generic6detail18binary_search_lessEbEEEE10hipError_tPvRmT1_T2_T3_mmT4_T5_P12ihipStream_tbEUlRKxE_EESV_SZ_S10_mS11_S14_bEUlT_E_NS1_11comp_targetILNS1_3genE9ELNS1_11target_archE1100ELNS1_3gpuE3ELNS1_3repE0EEENS1_30default_config_static_selectorELNS0_4arch9wavefront6targetE0EEEvSY_.uses_flat_scratch, 0
	.set _ZN7rocprim17ROCPRIM_400000_NS6detail17trampoline_kernelINS0_14default_configENS1_29binary_search_config_selectorIxiEEZNS1_14transform_implILb0ES3_S5_N6thrust23THRUST_200600_302600_NS6detail15normal_iteratorINS8_7pointerIxNS8_11hip_rocprim5par_tENS8_11use_defaultESE_EEEENSA_INSB_IiSD_SE_SE_EEEEZNS1_13binary_searchIS3_S5_NSA_INS8_10device_ptrIxEEEESG_SI_NS1_16binary_search_opENS9_16wrapped_functionINS8_6system6detail7generic6detail18binary_search_lessEbEEEE10hipError_tPvRmT1_T2_T3_mmT4_T5_P12ihipStream_tbEUlRKxE_EESV_SZ_S10_mS11_S14_bEUlT_E_NS1_11comp_targetILNS1_3genE9ELNS1_11target_archE1100ELNS1_3gpuE3ELNS1_3repE0EEENS1_30default_config_static_selectorELNS0_4arch9wavefront6targetE0EEEvSY_.has_dyn_sized_stack, 0
	.set _ZN7rocprim17ROCPRIM_400000_NS6detail17trampoline_kernelINS0_14default_configENS1_29binary_search_config_selectorIxiEEZNS1_14transform_implILb0ES3_S5_N6thrust23THRUST_200600_302600_NS6detail15normal_iteratorINS8_7pointerIxNS8_11hip_rocprim5par_tENS8_11use_defaultESE_EEEENSA_INSB_IiSD_SE_SE_EEEEZNS1_13binary_searchIS3_S5_NSA_INS8_10device_ptrIxEEEESG_SI_NS1_16binary_search_opENS9_16wrapped_functionINS8_6system6detail7generic6detail18binary_search_lessEbEEEE10hipError_tPvRmT1_T2_T3_mmT4_T5_P12ihipStream_tbEUlRKxE_EESV_SZ_S10_mS11_S14_bEUlT_E_NS1_11comp_targetILNS1_3genE9ELNS1_11target_archE1100ELNS1_3gpuE3ELNS1_3repE0EEENS1_30default_config_static_selectorELNS0_4arch9wavefront6targetE0EEEvSY_.has_recursion, 0
	.set _ZN7rocprim17ROCPRIM_400000_NS6detail17trampoline_kernelINS0_14default_configENS1_29binary_search_config_selectorIxiEEZNS1_14transform_implILb0ES3_S5_N6thrust23THRUST_200600_302600_NS6detail15normal_iteratorINS8_7pointerIxNS8_11hip_rocprim5par_tENS8_11use_defaultESE_EEEENSA_INSB_IiSD_SE_SE_EEEEZNS1_13binary_searchIS3_S5_NSA_INS8_10device_ptrIxEEEESG_SI_NS1_16binary_search_opENS9_16wrapped_functionINS8_6system6detail7generic6detail18binary_search_lessEbEEEE10hipError_tPvRmT1_T2_T3_mmT4_T5_P12ihipStream_tbEUlRKxE_EESV_SZ_S10_mS11_S14_bEUlT_E_NS1_11comp_targetILNS1_3genE9ELNS1_11target_archE1100ELNS1_3gpuE3ELNS1_3repE0EEENS1_30default_config_static_selectorELNS0_4arch9wavefront6targetE0EEEvSY_.has_indirect_call, 0
	.section	.AMDGPU.csdata,"",@progbits
; Kernel info:
; codeLenInByte = 0
; TotalNumSgprs: 0
; NumVgprs: 0
; ScratchSize: 0
; MemoryBound: 0
; FloatMode: 240
; IeeeMode: 1
; LDSByteSize: 0 bytes/workgroup (compile time only)
; SGPRBlocks: 0
; VGPRBlocks: 0
; NumSGPRsForWavesPerEU: 1
; NumVGPRsForWavesPerEU: 1
; Occupancy: 16
; WaveLimiterHint : 0
; COMPUTE_PGM_RSRC2:SCRATCH_EN: 0
; COMPUTE_PGM_RSRC2:USER_SGPR: 6
; COMPUTE_PGM_RSRC2:TRAP_HANDLER: 0
; COMPUTE_PGM_RSRC2:TGID_X_EN: 1
; COMPUTE_PGM_RSRC2:TGID_Y_EN: 0
; COMPUTE_PGM_RSRC2:TGID_Z_EN: 0
; COMPUTE_PGM_RSRC2:TIDIG_COMP_CNT: 0
	.section	.text._ZN7rocprim17ROCPRIM_400000_NS6detail17trampoline_kernelINS0_14default_configENS1_29binary_search_config_selectorIxiEEZNS1_14transform_implILb0ES3_S5_N6thrust23THRUST_200600_302600_NS6detail15normal_iteratorINS8_7pointerIxNS8_11hip_rocprim5par_tENS8_11use_defaultESE_EEEENSA_INSB_IiSD_SE_SE_EEEEZNS1_13binary_searchIS3_S5_NSA_INS8_10device_ptrIxEEEESG_SI_NS1_16binary_search_opENS9_16wrapped_functionINS8_6system6detail7generic6detail18binary_search_lessEbEEEE10hipError_tPvRmT1_T2_T3_mmT4_T5_P12ihipStream_tbEUlRKxE_EESV_SZ_S10_mS11_S14_bEUlT_E_NS1_11comp_targetILNS1_3genE8ELNS1_11target_archE1030ELNS1_3gpuE2ELNS1_3repE0EEENS1_30default_config_static_selectorELNS0_4arch9wavefront6targetE0EEEvSY_,"axG",@progbits,_ZN7rocprim17ROCPRIM_400000_NS6detail17trampoline_kernelINS0_14default_configENS1_29binary_search_config_selectorIxiEEZNS1_14transform_implILb0ES3_S5_N6thrust23THRUST_200600_302600_NS6detail15normal_iteratorINS8_7pointerIxNS8_11hip_rocprim5par_tENS8_11use_defaultESE_EEEENSA_INSB_IiSD_SE_SE_EEEEZNS1_13binary_searchIS3_S5_NSA_INS8_10device_ptrIxEEEESG_SI_NS1_16binary_search_opENS9_16wrapped_functionINS8_6system6detail7generic6detail18binary_search_lessEbEEEE10hipError_tPvRmT1_T2_T3_mmT4_T5_P12ihipStream_tbEUlRKxE_EESV_SZ_S10_mS11_S14_bEUlT_E_NS1_11comp_targetILNS1_3genE8ELNS1_11target_archE1030ELNS1_3gpuE2ELNS1_3repE0EEENS1_30default_config_static_selectorELNS0_4arch9wavefront6targetE0EEEvSY_,comdat
	.protected	_ZN7rocprim17ROCPRIM_400000_NS6detail17trampoline_kernelINS0_14default_configENS1_29binary_search_config_selectorIxiEEZNS1_14transform_implILb0ES3_S5_N6thrust23THRUST_200600_302600_NS6detail15normal_iteratorINS8_7pointerIxNS8_11hip_rocprim5par_tENS8_11use_defaultESE_EEEENSA_INSB_IiSD_SE_SE_EEEEZNS1_13binary_searchIS3_S5_NSA_INS8_10device_ptrIxEEEESG_SI_NS1_16binary_search_opENS9_16wrapped_functionINS8_6system6detail7generic6detail18binary_search_lessEbEEEE10hipError_tPvRmT1_T2_T3_mmT4_T5_P12ihipStream_tbEUlRKxE_EESV_SZ_S10_mS11_S14_bEUlT_E_NS1_11comp_targetILNS1_3genE8ELNS1_11target_archE1030ELNS1_3gpuE2ELNS1_3repE0EEENS1_30default_config_static_selectorELNS0_4arch9wavefront6targetE0EEEvSY_ ; -- Begin function _ZN7rocprim17ROCPRIM_400000_NS6detail17trampoline_kernelINS0_14default_configENS1_29binary_search_config_selectorIxiEEZNS1_14transform_implILb0ES3_S5_N6thrust23THRUST_200600_302600_NS6detail15normal_iteratorINS8_7pointerIxNS8_11hip_rocprim5par_tENS8_11use_defaultESE_EEEENSA_INSB_IiSD_SE_SE_EEEEZNS1_13binary_searchIS3_S5_NSA_INS8_10device_ptrIxEEEESG_SI_NS1_16binary_search_opENS9_16wrapped_functionINS8_6system6detail7generic6detail18binary_search_lessEbEEEE10hipError_tPvRmT1_T2_T3_mmT4_T5_P12ihipStream_tbEUlRKxE_EESV_SZ_S10_mS11_S14_bEUlT_E_NS1_11comp_targetILNS1_3genE8ELNS1_11target_archE1030ELNS1_3gpuE2ELNS1_3repE0EEENS1_30default_config_static_selectorELNS0_4arch9wavefront6targetE0EEEvSY_
	.globl	_ZN7rocprim17ROCPRIM_400000_NS6detail17trampoline_kernelINS0_14default_configENS1_29binary_search_config_selectorIxiEEZNS1_14transform_implILb0ES3_S5_N6thrust23THRUST_200600_302600_NS6detail15normal_iteratorINS8_7pointerIxNS8_11hip_rocprim5par_tENS8_11use_defaultESE_EEEENSA_INSB_IiSD_SE_SE_EEEEZNS1_13binary_searchIS3_S5_NSA_INS8_10device_ptrIxEEEESG_SI_NS1_16binary_search_opENS9_16wrapped_functionINS8_6system6detail7generic6detail18binary_search_lessEbEEEE10hipError_tPvRmT1_T2_T3_mmT4_T5_P12ihipStream_tbEUlRKxE_EESV_SZ_S10_mS11_S14_bEUlT_E_NS1_11comp_targetILNS1_3genE8ELNS1_11target_archE1030ELNS1_3gpuE2ELNS1_3repE0EEENS1_30default_config_static_selectorELNS0_4arch9wavefront6targetE0EEEvSY_
	.p2align	8
	.type	_ZN7rocprim17ROCPRIM_400000_NS6detail17trampoline_kernelINS0_14default_configENS1_29binary_search_config_selectorIxiEEZNS1_14transform_implILb0ES3_S5_N6thrust23THRUST_200600_302600_NS6detail15normal_iteratorINS8_7pointerIxNS8_11hip_rocprim5par_tENS8_11use_defaultESE_EEEENSA_INSB_IiSD_SE_SE_EEEEZNS1_13binary_searchIS3_S5_NSA_INS8_10device_ptrIxEEEESG_SI_NS1_16binary_search_opENS9_16wrapped_functionINS8_6system6detail7generic6detail18binary_search_lessEbEEEE10hipError_tPvRmT1_T2_T3_mmT4_T5_P12ihipStream_tbEUlRKxE_EESV_SZ_S10_mS11_S14_bEUlT_E_NS1_11comp_targetILNS1_3genE8ELNS1_11target_archE1030ELNS1_3gpuE2ELNS1_3repE0EEENS1_30default_config_static_selectorELNS0_4arch9wavefront6targetE0EEEvSY_,@function
_ZN7rocprim17ROCPRIM_400000_NS6detail17trampoline_kernelINS0_14default_configENS1_29binary_search_config_selectorIxiEEZNS1_14transform_implILb0ES3_S5_N6thrust23THRUST_200600_302600_NS6detail15normal_iteratorINS8_7pointerIxNS8_11hip_rocprim5par_tENS8_11use_defaultESE_EEEENSA_INSB_IiSD_SE_SE_EEEEZNS1_13binary_searchIS3_S5_NSA_INS8_10device_ptrIxEEEESG_SI_NS1_16binary_search_opENS9_16wrapped_functionINS8_6system6detail7generic6detail18binary_search_lessEbEEEE10hipError_tPvRmT1_T2_T3_mmT4_T5_P12ihipStream_tbEUlRKxE_EESV_SZ_S10_mS11_S14_bEUlT_E_NS1_11comp_targetILNS1_3genE8ELNS1_11target_archE1030ELNS1_3gpuE2ELNS1_3repE0EEENS1_30default_config_static_selectorELNS0_4arch9wavefront6targetE0EEEvSY_: ; @_ZN7rocprim17ROCPRIM_400000_NS6detail17trampoline_kernelINS0_14default_configENS1_29binary_search_config_selectorIxiEEZNS1_14transform_implILb0ES3_S5_N6thrust23THRUST_200600_302600_NS6detail15normal_iteratorINS8_7pointerIxNS8_11hip_rocprim5par_tENS8_11use_defaultESE_EEEENSA_INSB_IiSD_SE_SE_EEEEZNS1_13binary_searchIS3_S5_NSA_INS8_10device_ptrIxEEEESG_SI_NS1_16binary_search_opENS9_16wrapped_functionINS8_6system6detail7generic6detail18binary_search_lessEbEEEE10hipError_tPvRmT1_T2_T3_mmT4_T5_P12ihipStream_tbEUlRKxE_EESV_SZ_S10_mS11_S14_bEUlT_E_NS1_11comp_targetILNS1_3genE8ELNS1_11target_archE1030ELNS1_3gpuE2ELNS1_3repE0EEENS1_30default_config_static_selectorELNS0_4arch9wavefront6targetE0EEEvSY_
; %bb.0:
	s_clause 0x3
	s_load_dwordx4 s[0:3], s[4:5], 0x0
	s_load_dword s12, s[4:5], 0x38
	s_load_dwordx2 s[14:15], s[4:5], 0x28
	s_load_dwordx4 s[8:11], s[4:5], 0x18
	s_mov_b32 s13, 0
	s_mov_b32 s17, -1
                                        ; kill: def $vgpr0 killed $vgpr0 def $vgpr1
                                        ; implicit-def: $vgpr2_vgpr3
                                        ; implicit-def: $vgpr4_vgpr5
	s_waitcnt lgkmcnt(0)
	s_lshl_b64 s[18:19], s[2:3], 3
	s_add_u32 s7, s0, s18
	s_addc_u32 s16, s1, s19
	s_add_i32 s0, s12, -1
	s_lshl_b32 s12, s6, 8
	s_cmp_lg_u32 s6, s0
	s_mov_b32 s6, s13
	s_mov_b32 s1, s13
	s_cbranch_scc1 .LBB697_5
; %bb.1:
	s_and_b32 vcc_lo, exec_lo, s17
	s_cbranch_vccnz .LBB697_10
.LBB697_2:
	v_mov_b32_e32 v6, 0
	s_and_saveexec_b32 s0, s6
	s_cbranch_execnz .LBB697_17
.LBB697_3:
	s_or_b32 exec_lo, exec_lo, s0
	s_and_saveexec_b32 s0, s1
	s_cbranch_execnz .LBB697_18
.LBB697_4:
	s_endpgm
.LBB697_5:
	v_lshlrev_b32_e32 v1, 3, v0
	s_lshl_b64 s[0:1], s[12:13], 3
	v_mov_b32_e32 v4, 0
	s_add_u32 s0, s7, s0
	s_addc_u32 s1, s16, s1
	v_add_co_u32 v1, s0, s0, v1
	v_add_co_ci_u32_e64 v2, null, s1, 0, s0
	v_mov_b32_e32 v5, 0
	s_cmp_eq_u64 s[14:15], 0
	flat_load_dwordx2 v[2:3], v[1:2]
	v_mov_b32_e32 v1, 0
	s_cbranch_scc1 .LBB697_9
; %bb.6:
	v_mov_b32_e32 v6, s14
	v_mov_b32_e32 v7, s15
	s_mov_b32 s1, 0
	s_inst_prefetch 0x1
	.p2align	6
.LBB697_7:                              ; =>This Inner Loop Header: Depth=1
	v_sub_co_u32 v8, vcc_lo, v6, v4
	v_sub_co_ci_u32_e64 v9, null, v7, v5, vcc_lo
	v_lshrrev_b64 v[10:11], 1, v[8:9]
	v_lshrrev_b64 v[8:9], 6, v[8:9]
	v_add_co_u32 v10, vcc_lo, v10, v4
	v_add_co_ci_u32_e64 v11, null, v11, v5, vcc_lo
	v_add_co_u32 v8, vcc_lo, v10, v8
	v_add_co_ci_u32_e64 v9, null, v11, v9, vcc_lo
	v_lshlrev_b64 v[10:11], 3, v[8:9]
	v_add_co_u32 v10, vcc_lo, s10, v10
	v_add_co_ci_u32_e64 v11, null, s11, v11, vcc_lo
	v_add_co_u32 v12, vcc_lo, v8, 1
	global_load_dwordx2 v[10:11], v[10:11], off
	s_waitcnt vmcnt(0) lgkmcnt(0)
	v_cmp_lt_i64_e64 s0, v[10:11], v[2:3]
	v_add_co_ci_u32_e64 v10, null, 0, v9, vcc_lo
	v_cndmask_b32_e64 v7, v9, v7, s0
	v_cndmask_b32_e64 v6, v8, v6, s0
	;; [unrolled: 1-line block ×4, first 2 shown]
	v_cmp_ge_u64_e32 vcc_lo, v[4:5], v[6:7]
	s_or_b32 s1, vcc_lo, s1
	s_andn2_b32 exec_lo, exec_lo, s1
	s_cbranch_execnz .LBB697_7
; %bb.8:
	s_inst_prefetch 0x2
	s_or_b32 exec_lo, exec_lo, s1
.LBB697_9:
	v_cmp_eq_u64_e64 s1, s[14:15], v[4:5]
	v_cmp_ne_u64_e64 s6, s[14:15], v[4:5]
	s_branch .LBB697_2
.LBB697_10:
	s_load_dword s0, s[4:5], 0x10
	s_mov_b32 s4, exec_lo
                                        ; implicit-def: $vgpr2_vgpr3
                                        ; implicit-def: $vgpr4_vgpr5
	s_waitcnt lgkmcnt(0)
	s_sub_i32 s0, s0, s12
	v_cmpx_gt_u32_e64 s0, v0
	s_cbranch_execz .LBB697_16
; %bb.11:
	v_lshlrev_b32_e32 v1, 3, v0
	s_lshl_b64 s[18:19], s[12:13], 3
	v_mov_b32_e32 v4, 0
	s_add_u32 s0, s7, s18
	s_addc_u32 s5, s16, s19
	v_add_co_u32 v1, s0, s0, v1
	s_waitcnt vmcnt(0)
	v_add_co_ci_u32_e64 v2, null, s5, 0, s0
	v_mov_b32_e32 v5, 0
	s_cmp_eq_u64 s[14:15], 0
	flat_load_dwordx2 v[2:3], v[1:2]
	v_mov_b32_e32 v1, 0
	s_cbranch_scc1 .LBB697_15
; %bb.12:
	v_mov_b32_e32 v6, s14
	v_mov_b32_e32 v7, s15
	s_mov_b32 s5, 0
	s_inst_prefetch 0x1
	.p2align	6
.LBB697_13:                             ; =>This Inner Loop Header: Depth=1
	v_sub_co_u32 v8, vcc_lo, v6, v4
	v_sub_co_ci_u32_e64 v9, null, v7, v5, vcc_lo
	v_lshrrev_b64 v[10:11], 1, v[8:9]
	v_lshrrev_b64 v[8:9], 6, v[8:9]
	v_add_co_u32 v10, vcc_lo, v10, v4
	v_add_co_ci_u32_e64 v11, null, v11, v5, vcc_lo
	v_add_co_u32 v8, vcc_lo, v10, v8
	v_add_co_ci_u32_e64 v9, null, v11, v9, vcc_lo
	v_lshlrev_b64 v[10:11], 3, v[8:9]
	v_add_co_u32 v10, vcc_lo, s10, v10
	v_add_co_ci_u32_e64 v11, null, s11, v11, vcc_lo
	v_add_co_u32 v12, vcc_lo, v8, 1
	global_load_dwordx2 v[10:11], v[10:11], off
	s_waitcnt vmcnt(0) lgkmcnt(0)
	v_cmp_lt_i64_e64 s0, v[10:11], v[2:3]
	v_add_co_ci_u32_e64 v10, null, 0, v9, vcc_lo
	v_cndmask_b32_e64 v7, v9, v7, s0
	v_cndmask_b32_e64 v6, v8, v6, s0
	;; [unrolled: 1-line block ×4, first 2 shown]
	v_cmp_ge_u64_e32 vcc_lo, v[4:5], v[6:7]
	s_or_b32 s5, vcc_lo, s5
	s_andn2_b32 exec_lo, exec_lo, s5
	s_cbranch_execnz .LBB697_13
; %bb.14:
	s_inst_prefetch 0x2
	s_or_b32 exec_lo, exec_lo, s5
.LBB697_15:
	v_cmp_eq_u64_e32 vcc_lo, s[14:15], v[4:5]
	v_cmp_ne_u64_e64 s0, s[14:15], v[4:5]
	s_andn2_b32 s1, s1, exec_lo
	s_andn2_b32 s5, s6, exec_lo
	s_and_b32 s6, vcc_lo, exec_lo
	s_and_b32 s0, s0, exec_lo
	s_or_b32 s1, s1, s6
	s_or_b32 s6, s5, s0
.LBB697_16:
	s_or_b32 exec_lo, exec_lo, s4
	v_mov_b32_e32 v6, 0
	s_and_saveexec_b32 s0, s6
	s_cbranch_execz .LBB697_3
.LBB697_17:
	v_lshlrev_b64 v[4:5], 3, v[4:5]
	s_or_b32 s1, s1, exec_lo
	v_add_co_u32 v4, vcc_lo, s10, v4
	v_add_co_ci_u32_e64 v5, null, s11, v5, vcc_lo
	global_load_dwordx2 v[4:5], v[4:5], off
	s_waitcnt vmcnt(0) lgkmcnt(0)
	v_cmp_ge_i64_e32 vcc_lo, v[2:3], v[4:5]
	v_cndmask_b32_e64 v6, 0, 1, vcc_lo
	s_or_b32 exec_lo, exec_lo, s0
	s_and_saveexec_b32 s0, s1
	s_cbranch_execz .LBB697_4
.LBB697_18:
	s_lshl_b64 s[0:1], s[2:3], 2
	v_lshlrev_b64 v[0:1], 2, v[0:1]
	s_add_u32 s2, s8, s0
	s_addc_u32 s3, s9, s1
	s_lshl_b64 s[0:1], s[12:13], 2
	s_add_u32 s0, s2, s0
	s_addc_u32 s1, s3, s1
	v_add_co_u32 v0, vcc_lo, s0, v0
	v_add_co_ci_u32_e64 v1, null, s1, v1, vcc_lo
	flat_store_dword v[0:1], v6
	s_endpgm
	.section	.rodata,"a",@progbits
	.p2align	6, 0x0
	.amdhsa_kernel _ZN7rocprim17ROCPRIM_400000_NS6detail17trampoline_kernelINS0_14default_configENS1_29binary_search_config_selectorIxiEEZNS1_14transform_implILb0ES3_S5_N6thrust23THRUST_200600_302600_NS6detail15normal_iteratorINS8_7pointerIxNS8_11hip_rocprim5par_tENS8_11use_defaultESE_EEEENSA_INSB_IiSD_SE_SE_EEEEZNS1_13binary_searchIS3_S5_NSA_INS8_10device_ptrIxEEEESG_SI_NS1_16binary_search_opENS9_16wrapped_functionINS8_6system6detail7generic6detail18binary_search_lessEbEEEE10hipError_tPvRmT1_T2_T3_mmT4_T5_P12ihipStream_tbEUlRKxE_EESV_SZ_S10_mS11_S14_bEUlT_E_NS1_11comp_targetILNS1_3genE8ELNS1_11target_archE1030ELNS1_3gpuE2ELNS1_3repE0EEENS1_30default_config_static_selectorELNS0_4arch9wavefront6targetE0EEEvSY_
		.amdhsa_group_segment_fixed_size 0
		.amdhsa_private_segment_fixed_size 0
		.amdhsa_kernarg_size 312
		.amdhsa_user_sgpr_count 6
		.amdhsa_user_sgpr_private_segment_buffer 1
		.amdhsa_user_sgpr_dispatch_ptr 0
		.amdhsa_user_sgpr_queue_ptr 0
		.amdhsa_user_sgpr_kernarg_segment_ptr 1
		.amdhsa_user_sgpr_dispatch_id 0
		.amdhsa_user_sgpr_flat_scratch_init 0
		.amdhsa_user_sgpr_private_segment_size 0
		.amdhsa_wavefront_size32 1
		.amdhsa_uses_dynamic_stack 0
		.amdhsa_system_sgpr_private_segment_wavefront_offset 0
		.amdhsa_system_sgpr_workgroup_id_x 1
		.amdhsa_system_sgpr_workgroup_id_y 0
		.amdhsa_system_sgpr_workgroup_id_z 0
		.amdhsa_system_sgpr_workgroup_info 0
		.amdhsa_system_vgpr_workitem_id 0
		.amdhsa_next_free_vgpr 13
		.amdhsa_next_free_sgpr 20
		.amdhsa_reserve_vcc 1
		.amdhsa_reserve_flat_scratch 0
		.amdhsa_float_round_mode_32 0
		.amdhsa_float_round_mode_16_64 0
		.amdhsa_float_denorm_mode_32 3
		.amdhsa_float_denorm_mode_16_64 3
		.amdhsa_dx10_clamp 1
		.amdhsa_ieee_mode 1
		.amdhsa_fp16_overflow 0
		.amdhsa_workgroup_processor_mode 1
		.amdhsa_memory_ordered 1
		.amdhsa_forward_progress 1
		.amdhsa_shared_vgpr_count 0
		.amdhsa_exception_fp_ieee_invalid_op 0
		.amdhsa_exception_fp_denorm_src 0
		.amdhsa_exception_fp_ieee_div_zero 0
		.amdhsa_exception_fp_ieee_overflow 0
		.amdhsa_exception_fp_ieee_underflow 0
		.amdhsa_exception_fp_ieee_inexact 0
		.amdhsa_exception_int_div_zero 0
	.end_amdhsa_kernel
	.section	.text._ZN7rocprim17ROCPRIM_400000_NS6detail17trampoline_kernelINS0_14default_configENS1_29binary_search_config_selectorIxiEEZNS1_14transform_implILb0ES3_S5_N6thrust23THRUST_200600_302600_NS6detail15normal_iteratorINS8_7pointerIxNS8_11hip_rocprim5par_tENS8_11use_defaultESE_EEEENSA_INSB_IiSD_SE_SE_EEEEZNS1_13binary_searchIS3_S5_NSA_INS8_10device_ptrIxEEEESG_SI_NS1_16binary_search_opENS9_16wrapped_functionINS8_6system6detail7generic6detail18binary_search_lessEbEEEE10hipError_tPvRmT1_T2_T3_mmT4_T5_P12ihipStream_tbEUlRKxE_EESV_SZ_S10_mS11_S14_bEUlT_E_NS1_11comp_targetILNS1_3genE8ELNS1_11target_archE1030ELNS1_3gpuE2ELNS1_3repE0EEENS1_30default_config_static_selectorELNS0_4arch9wavefront6targetE0EEEvSY_,"axG",@progbits,_ZN7rocprim17ROCPRIM_400000_NS6detail17trampoline_kernelINS0_14default_configENS1_29binary_search_config_selectorIxiEEZNS1_14transform_implILb0ES3_S5_N6thrust23THRUST_200600_302600_NS6detail15normal_iteratorINS8_7pointerIxNS8_11hip_rocprim5par_tENS8_11use_defaultESE_EEEENSA_INSB_IiSD_SE_SE_EEEEZNS1_13binary_searchIS3_S5_NSA_INS8_10device_ptrIxEEEESG_SI_NS1_16binary_search_opENS9_16wrapped_functionINS8_6system6detail7generic6detail18binary_search_lessEbEEEE10hipError_tPvRmT1_T2_T3_mmT4_T5_P12ihipStream_tbEUlRKxE_EESV_SZ_S10_mS11_S14_bEUlT_E_NS1_11comp_targetILNS1_3genE8ELNS1_11target_archE1030ELNS1_3gpuE2ELNS1_3repE0EEENS1_30default_config_static_selectorELNS0_4arch9wavefront6targetE0EEEvSY_,comdat
.Lfunc_end697:
	.size	_ZN7rocprim17ROCPRIM_400000_NS6detail17trampoline_kernelINS0_14default_configENS1_29binary_search_config_selectorIxiEEZNS1_14transform_implILb0ES3_S5_N6thrust23THRUST_200600_302600_NS6detail15normal_iteratorINS8_7pointerIxNS8_11hip_rocprim5par_tENS8_11use_defaultESE_EEEENSA_INSB_IiSD_SE_SE_EEEEZNS1_13binary_searchIS3_S5_NSA_INS8_10device_ptrIxEEEESG_SI_NS1_16binary_search_opENS9_16wrapped_functionINS8_6system6detail7generic6detail18binary_search_lessEbEEEE10hipError_tPvRmT1_T2_T3_mmT4_T5_P12ihipStream_tbEUlRKxE_EESV_SZ_S10_mS11_S14_bEUlT_E_NS1_11comp_targetILNS1_3genE8ELNS1_11target_archE1030ELNS1_3gpuE2ELNS1_3repE0EEENS1_30default_config_static_selectorELNS0_4arch9wavefront6targetE0EEEvSY_, .Lfunc_end697-_ZN7rocprim17ROCPRIM_400000_NS6detail17trampoline_kernelINS0_14default_configENS1_29binary_search_config_selectorIxiEEZNS1_14transform_implILb0ES3_S5_N6thrust23THRUST_200600_302600_NS6detail15normal_iteratorINS8_7pointerIxNS8_11hip_rocprim5par_tENS8_11use_defaultESE_EEEENSA_INSB_IiSD_SE_SE_EEEEZNS1_13binary_searchIS3_S5_NSA_INS8_10device_ptrIxEEEESG_SI_NS1_16binary_search_opENS9_16wrapped_functionINS8_6system6detail7generic6detail18binary_search_lessEbEEEE10hipError_tPvRmT1_T2_T3_mmT4_T5_P12ihipStream_tbEUlRKxE_EESV_SZ_S10_mS11_S14_bEUlT_E_NS1_11comp_targetILNS1_3genE8ELNS1_11target_archE1030ELNS1_3gpuE2ELNS1_3repE0EEENS1_30default_config_static_selectorELNS0_4arch9wavefront6targetE0EEEvSY_
                                        ; -- End function
	.set _ZN7rocprim17ROCPRIM_400000_NS6detail17trampoline_kernelINS0_14default_configENS1_29binary_search_config_selectorIxiEEZNS1_14transform_implILb0ES3_S5_N6thrust23THRUST_200600_302600_NS6detail15normal_iteratorINS8_7pointerIxNS8_11hip_rocprim5par_tENS8_11use_defaultESE_EEEENSA_INSB_IiSD_SE_SE_EEEEZNS1_13binary_searchIS3_S5_NSA_INS8_10device_ptrIxEEEESG_SI_NS1_16binary_search_opENS9_16wrapped_functionINS8_6system6detail7generic6detail18binary_search_lessEbEEEE10hipError_tPvRmT1_T2_T3_mmT4_T5_P12ihipStream_tbEUlRKxE_EESV_SZ_S10_mS11_S14_bEUlT_E_NS1_11comp_targetILNS1_3genE8ELNS1_11target_archE1030ELNS1_3gpuE2ELNS1_3repE0EEENS1_30default_config_static_selectorELNS0_4arch9wavefront6targetE0EEEvSY_.num_vgpr, 13
	.set _ZN7rocprim17ROCPRIM_400000_NS6detail17trampoline_kernelINS0_14default_configENS1_29binary_search_config_selectorIxiEEZNS1_14transform_implILb0ES3_S5_N6thrust23THRUST_200600_302600_NS6detail15normal_iteratorINS8_7pointerIxNS8_11hip_rocprim5par_tENS8_11use_defaultESE_EEEENSA_INSB_IiSD_SE_SE_EEEEZNS1_13binary_searchIS3_S5_NSA_INS8_10device_ptrIxEEEESG_SI_NS1_16binary_search_opENS9_16wrapped_functionINS8_6system6detail7generic6detail18binary_search_lessEbEEEE10hipError_tPvRmT1_T2_T3_mmT4_T5_P12ihipStream_tbEUlRKxE_EESV_SZ_S10_mS11_S14_bEUlT_E_NS1_11comp_targetILNS1_3genE8ELNS1_11target_archE1030ELNS1_3gpuE2ELNS1_3repE0EEENS1_30default_config_static_selectorELNS0_4arch9wavefront6targetE0EEEvSY_.num_agpr, 0
	.set _ZN7rocprim17ROCPRIM_400000_NS6detail17trampoline_kernelINS0_14default_configENS1_29binary_search_config_selectorIxiEEZNS1_14transform_implILb0ES3_S5_N6thrust23THRUST_200600_302600_NS6detail15normal_iteratorINS8_7pointerIxNS8_11hip_rocprim5par_tENS8_11use_defaultESE_EEEENSA_INSB_IiSD_SE_SE_EEEEZNS1_13binary_searchIS3_S5_NSA_INS8_10device_ptrIxEEEESG_SI_NS1_16binary_search_opENS9_16wrapped_functionINS8_6system6detail7generic6detail18binary_search_lessEbEEEE10hipError_tPvRmT1_T2_T3_mmT4_T5_P12ihipStream_tbEUlRKxE_EESV_SZ_S10_mS11_S14_bEUlT_E_NS1_11comp_targetILNS1_3genE8ELNS1_11target_archE1030ELNS1_3gpuE2ELNS1_3repE0EEENS1_30default_config_static_selectorELNS0_4arch9wavefront6targetE0EEEvSY_.numbered_sgpr, 20
	.set _ZN7rocprim17ROCPRIM_400000_NS6detail17trampoline_kernelINS0_14default_configENS1_29binary_search_config_selectorIxiEEZNS1_14transform_implILb0ES3_S5_N6thrust23THRUST_200600_302600_NS6detail15normal_iteratorINS8_7pointerIxNS8_11hip_rocprim5par_tENS8_11use_defaultESE_EEEENSA_INSB_IiSD_SE_SE_EEEEZNS1_13binary_searchIS3_S5_NSA_INS8_10device_ptrIxEEEESG_SI_NS1_16binary_search_opENS9_16wrapped_functionINS8_6system6detail7generic6detail18binary_search_lessEbEEEE10hipError_tPvRmT1_T2_T3_mmT4_T5_P12ihipStream_tbEUlRKxE_EESV_SZ_S10_mS11_S14_bEUlT_E_NS1_11comp_targetILNS1_3genE8ELNS1_11target_archE1030ELNS1_3gpuE2ELNS1_3repE0EEENS1_30default_config_static_selectorELNS0_4arch9wavefront6targetE0EEEvSY_.num_named_barrier, 0
	.set _ZN7rocprim17ROCPRIM_400000_NS6detail17trampoline_kernelINS0_14default_configENS1_29binary_search_config_selectorIxiEEZNS1_14transform_implILb0ES3_S5_N6thrust23THRUST_200600_302600_NS6detail15normal_iteratorINS8_7pointerIxNS8_11hip_rocprim5par_tENS8_11use_defaultESE_EEEENSA_INSB_IiSD_SE_SE_EEEEZNS1_13binary_searchIS3_S5_NSA_INS8_10device_ptrIxEEEESG_SI_NS1_16binary_search_opENS9_16wrapped_functionINS8_6system6detail7generic6detail18binary_search_lessEbEEEE10hipError_tPvRmT1_T2_T3_mmT4_T5_P12ihipStream_tbEUlRKxE_EESV_SZ_S10_mS11_S14_bEUlT_E_NS1_11comp_targetILNS1_3genE8ELNS1_11target_archE1030ELNS1_3gpuE2ELNS1_3repE0EEENS1_30default_config_static_selectorELNS0_4arch9wavefront6targetE0EEEvSY_.private_seg_size, 0
	.set _ZN7rocprim17ROCPRIM_400000_NS6detail17trampoline_kernelINS0_14default_configENS1_29binary_search_config_selectorIxiEEZNS1_14transform_implILb0ES3_S5_N6thrust23THRUST_200600_302600_NS6detail15normal_iteratorINS8_7pointerIxNS8_11hip_rocprim5par_tENS8_11use_defaultESE_EEEENSA_INSB_IiSD_SE_SE_EEEEZNS1_13binary_searchIS3_S5_NSA_INS8_10device_ptrIxEEEESG_SI_NS1_16binary_search_opENS9_16wrapped_functionINS8_6system6detail7generic6detail18binary_search_lessEbEEEE10hipError_tPvRmT1_T2_T3_mmT4_T5_P12ihipStream_tbEUlRKxE_EESV_SZ_S10_mS11_S14_bEUlT_E_NS1_11comp_targetILNS1_3genE8ELNS1_11target_archE1030ELNS1_3gpuE2ELNS1_3repE0EEENS1_30default_config_static_selectorELNS0_4arch9wavefront6targetE0EEEvSY_.uses_vcc, 1
	.set _ZN7rocprim17ROCPRIM_400000_NS6detail17trampoline_kernelINS0_14default_configENS1_29binary_search_config_selectorIxiEEZNS1_14transform_implILb0ES3_S5_N6thrust23THRUST_200600_302600_NS6detail15normal_iteratorINS8_7pointerIxNS8_11hip_rocprim5par_tENS8_11use_defaultESE_EEEENSA_INSB_IiSD_SE_SE_EEEEZNS1_13binary_searchIS3_S5_NSA_INS8_10device_ptrIxEEEESG_SI_NS1_16binary_search_opENS9_16wrapped_functionINS8_6system6detail7generic6detail18binary_search_lessEbEEEE10hipError_tPvRmT1_T2_T3_mmT4_T5_P12ihipStream_tbEUlRKxE_EESV_SZ_S10_mS11_S14_bEUlT_E_NS1_11comp_targetILNS1_3genE8ELNS1_11target_archE1030ELNS1_3gpuE2ELNS1_3repE0EEENS1_30default_config_static_selectorELNS0_4arch9wavefront6targetE0EEEvSY_.uses_flat_scratch, 0
	.set _ZN7rocprim17ROCPRIM_400000_NS6detail17trampoline_kernelINS0_14default_configENS1_29binary_search_config_selectorIxiEEZNS1_14transform_implILb0ES3_S5_N6thrust23THRUST_200600_302600_NS6detail15normal_iteratorINS8_7pointerIxNS8_11hip_rocprim5par_tENS8_11use_defaultESE_EEEENSA_INSB_IiSD_SE_SE_EEEEZNS1_13binary_searchIS3_S5_NSA_INS8_10device_ptrIxEEEESG_SI_NS1_16binary_search_opENS9_16wrapped_functionINS8_6system6detail7generic6detail18binary_search_lessEbEEEE10hipError_tPvRmT1_T2_T3_mmT4_T5_P12ihipStream_tbEUlRKxE_EESV_SZ_S10_mS11_S14_bEUlT_E_NS1_11comp_targetILNS1_3genE8ELNS1_11target_archE1030ELNS1_3gpuE2ELNS1_3repE0EEENS1_30default_config_static_selectorELNS0_4arch9wavefront6targetE0EEEvSY_.has_dyn_sized_stack, 0
	.set _ZN7rocprim17ROCPRIM_400000_NS6detail17trampoline_kernelINS0_14default_configENS1_29binary_search_config_selectorIxiEEZNS1_14transform_implILb0ES3_S5_N6thrust23THRUST_200600_302600_NS6detail15normal_iteratorINS8_7pointerIxNS8_11hip_rocprim5par_tENS8_11use_defaultESE_EEEENSA_INSB_IiSD_SE_SE_EEEEZNS1_13binary_searchIS3_S5_NSA_INS8_10device_ptrIxEEEESG_SI_NS1_16binary_search_opENS9_16wrapped_functionINS8_6system6detail7generic6detail18binary_search_lessEbEEEE10hipError_tPvRmT1_T2_T3_mmT4_T5_P12ihipStream_tbEUlRKxE_EESV_SZ_S10_mS11_S14_bEUlT_E_NS1_11comp_targetILNS1_3genE8ELNS1_11target_archE1030ELNS1_3gpuE2ELNS1_3repE0EEENS1_30default_config_static_selectorELNS0_4arch9wavefront6targetE0EEEvSY_.has_recursion, 0
	.set _ZN7rocprim17ROCPRIM_400000_NS6detail17trampoline_kernelINS0_14default_configENS1_29binary_search_config_selectorIxiEEZNS1_14transform_implILb0ES3_S5_N6thrust23THRUST_200600_302600_NS6detail15normal_iteratorINS8_7pointerIxNS8_11hip_rocprim5par_tENS8_11use_defaultESE_EEEENSA_INSB_IiSD_SE_SE_EEEEZNS1_13binary_searchIS3_S5_NSA_INS8_10device_ptrIxEEEESG_SI_NS1_16binary_search_opENS9_16wrapped_functionINS8_6system6detail7generic6detail18binary_search_lessEbEEEE10hipError_tPvRmT1_T2_T3_mmT4_T5_P12ihipStream_tbEUlRKxE_EESV_SZ_S10_mS11_S14_bEUlT_E_NS1_11comp_targetILNS1_3genE8ELNS1_11target_archE1030ELNS1_3gpuE2ELNS1_3repE0EEENS1_30default_config_static_selectorELNS0_4arch9wavefront6targetE0EEEvSY_.has_indirect_call, 0
	.section	.AMDGPU.csdata,"",@progbits
; Kernel info:
; codeLenInByte = 932
; TotalNumSgprs: 22
; NumVgprs: 13
; ScratchSize: 0
; MemoryBound: 0
; FloatMode: 240
; IeeeMode: 1
; LDSByteSize: 0 bytes/workgroup (compile time only)
; SGPRBlocks: 0
; VGPRBlocks: 1
; NumSGPRsForWavesPerEU: 22
; NumVGPRsForWavesPerEU: 13
; Occupancy: 16
; WaveLimiterHint : 0
; COMPUTE_PGM_RSRC2:SCRATCH_EN: 0
; COMPUTE_PGM_RSRC2:USER_SGPR: 6
; COMPUTE_PGM_RSRC2:TRAP_HANDLER: 0
; COMPUTE_PGM_RSRC2:TGID_X_EN: 1
; COMPUTE_PGM_RSRC2:TGID_Y_EN: 0
; COMPUTE_PGM_RSRC2:TGID_Z_EN: 0
; COMPUTE_PGM_RSRC2:TIDIG_COMP_CNT: 0
	.section	.text._ZN7rocprim17ROCPRIM_400000_NS6detail17trampoline_kernelINS0_14default_configENS1_29binary_search_config_selectorIiiEEZNS1_14transform_implILb0ES3_S5_N6thrust23THRUST_200600_302600_NS6detail15normal_iteratorINS8_7pointerIiNS8_11hip_rocprim12par_nosync_tENS8_11use_defaultESE_EEEESG_ZNS1_13binary_searchIS3_S5_NSA_INS8_10device_ptrIiEEEESG_SG_NS1_16binary_search_opENS9_16wrapped_functionINS8_6system6detail7generic6detail18binary_search_lessEbEEEE10hipError_tPvRmT1_T2_T3_mmT4_T5_P12ihipStream_tbEUlRKiE_EEST_SX_SY_mSZ_S12_bEUlT_E_NS1_11comp_targetILNS1_3genE0ELNS1_11target_archE4294967295ELNS1_3gpuE0ELNS1_3repE0EEENS1_30default_config_static_selectorELNS0_4arch9wavefront6targetE0EEEvSW_,"axG",@progbits,_ZN7rocprim17ROCPRIM_400000_NS6detail17trampoline_kernelINS0_14default_configENS1_29binary_search_config_selectorIiiEEZNS1_14transform_implILb0ES3_S5_N6thrust23THRUST_200600_302600_NS6detail15normal_iteratorINS8_7pointerIiNS8_11hip_rocprim12par_nosync_tENS8_11use_defaultESE_EEEESG_ZNS1_13binary_searchIS3_S5_NSA_INS8_10device_ptrIiEEEESG_SG_NS1_16binary_search_opENS9_16wrapped_functionINS8_6system6detail7generic6detail18binary_search_lessEbEEEE10hipError_tPvRmT1_T2_T3_mmT4_T5_P12ihipStream_tbEUlRKiE_EEST_SX_SY_mSZ_S12_bEUlT_E_NS1_11comp_targetILNS1_3genE0ELNS1_11target_archE4294967295ELNS1_3gpuE0ELNS1_3repE0EEENS1_30default_config_static_selectorELNS0_4arch9wavefront6targetE0EEEvSW_,comdat
	.protected	_ZN7rocprim17ROCPRIM_400000_NS6detail17trampoline_kernelINS0_14default_configENS1_29binary_search_config_selectorIiiEEZNS1_14transform_implILb0ES3_S5_N6thrust23THRUST_200600_302600_NS6detail15normal_iteratorINS8_7pointerIiNS8_11hip_rocprim12par_nosync_tENS8_11use_defaultESE_EEEESG_ZNS1_13binary_searchIS3_S5_NSA_INS8_10device_ptrIiEEEESG_SG_NS1_16binary_search_opENS9_16wrapped_functionINS8_6system6detail7generic6detail18binary_search_lessEbEEEE10hipError_tPvRmT1_T2_T3_mmT4_T5_P12ihipStream_tbEUlRKiE_EEST_SX_SY_mSZ_S12_bEUlT_E_NS1_11comp_targetILNS1_3genE0ELNS1_11target_archE4294967295ELNS1_3gpuE0ELNS1_3repE0EEENS1_30default_config_static_selectorELNS0_4arch9wavefront6targetE0EEEvSW_ ; -- Begin function _ZN7rocprim17ROCPRIM_400000_NS6detail17trampoline_kernelINS0_14default_configENS1_29binary_search_config_selectorIiiEEZNS1_14transform_implILb0ES3_S5_N6thrust23THRUST_200600_302600_NS6detail15normal_iteratorINS8_7pointerIiNS8_11hip_rocprim12par_nosync_tENS8_11use_defaultESE_EEEESG_ZNS1_13binary_searchIS3_S5_NSA_INS8_10device_ptrIiEEEESG_SG_NS1_16binary_search_opENS9_16wrapped_functionINS8_6system6detail7generic6detail18binary_search_lessEbEEEE10hipError_tPvRmT1_T2_T3_mmT4_T5_P12ihipStream_tbEUlRKiE_EEST_SX_SY_mSZ_S12_bEUlT_E_NS1_11comp_targetILNS1_3genE0ELNS1_11target_archE4294967295ELNS1_3gpuE0ELNS1_3repE0EEENS1_30default_config_static_selectorELNS0_4arch9wavefront6targetE0EEEvSW_
	.globl	_ZN7rocprim17ROCPRIM_400000_NS6detail17trampoline_kernelINS0_14default_configENS1_29binary_search_config_selectorIiiEEZNS1_14transform_implILb0ES3_S5_N6thrust23THRUST_200600_302600_NS6detail15normal_iteratorINS8_7pointerIiNS8_11hip_rocprim12par_nosync_tENS8_11use_defaultESE_EEEESG_ZNS1_13binary_searchIS3_S5_NSA_INS8_10device_ptrIiEEEESG_SG_NS1_16binary_search_opENS9_16wrapped_functionINS8_6system6detail7generic6detail18binary_search_lessEbEEEE10hipError_tPvRmT1_T2_T3_mmT4_T5_P12ihipStream_tbEUlRKiE_EEST_SX_SY_mSZ_S12_bEUlT_E_NS1_11comp_targetILNS1_3genE0ELNS1_11target_archE4294967295ELNS1_3gpuE0ELNS1_3repE0EEENS1_30default_config_static_selectorELNS0_4arch9wavefront6targetE0EEEvSW_
	.p2align	8
	.type	_ZN7rocprim17ROCPRIM_400000_NS6detail17trampoline_kernelINS0_14default_configENS1_29binary_search_config_selectorIiiEEZNS1_14transform_implILb0ES3_S5_N6thrust23THRUST_200600_302600_NS6detail15normal_iteratorINS8_7pointerIiNS8_11hip_rocprim12par_nosync_tENS8_11use_defaultESE_EEEESG_ZNS1_13binary_searchIS3_S5_NSA_INS8_10device_ptrIiEEEESG_SG_NS1_16binary_search_opENS9_16wrapped_functionINS8_6system6detail7generic6detail18binary_search_lessEbEEEE10hipError_tPvRmT1_T2_T3_mmT4_T5_P12ihipStream_tbEUlRKiE_EEST_SX_SY_mSZ_S12_bEUlT_E_NS1_11comp_targetILNS1_3genE0ELNS1_11target_archE4294967295ELNS1_3gpuE0ELNS1_3repE0EEENS1_30default_config_static_selectorELNS0_4arch9wavefront6targetE0EEEvSW_,@function
_ZN7rocprim17ROCPRIM_400000_NS6detail17trampoline_kernelINS0_14default_configENS1_29binary_search_config_selectorIiiEEZNS1_14transform_implILb0ES3_S5_N6thrust23THRUST_200600_302600_NS6detail15normal_iteratorINS8_7pointerIiNS8_11hip_rocprim12par_nosync_tENS8_11use_defaultESE_EEEESG_ZNS1_13binary_searchIS3_S5_NSA_INS8_10device_ptrIiEEEESG_SG_NS1_16binary_search_opENS9_16wrapped_functionINS8_6system6detail7generic6detail18binary_search_lessEbEEEE10hipError_tPvRmT1_T2_T3_mmT4_T5_P12ihipStream_tbEUlRKiE_EEST_SX_SY_mSZ_S12_bEUlT_E_NS1_11comp_targetILNS1_3genE0ELNS1_11target_archE4294967295ELNS1_3gpuE0ELNS1_3repE0EEENS1_30default_config_static_selectorELNS0_4arch9wavefront6targetE0EEEvSW_: ; @_ZN7rocprim17ROCPRIM_400000_NS6detail17trampoline_kernelINS0_14default_configENS1_29binary_search_config_selectorIiiEEZNS1_14transform_implILb0ES3_S5_N6thrust23THRUST_200600_302600_NS6detail15normal_iteratorINS8_7pointerIiNS8_11hip_rocprim12par_nosync_tENS8_11use_defaultESE_EEEESG_ZNS1_13binary_searchIS3_S5_NSA_INS8_10device_ptrIiEEEESG_SG_NS1_16binary_search_opENS9_16wrapped_functionINS8_6system6detail7generic6detail18binary_search_lessEbEEEE10hipError_tPvRmT1_T2_T3_mmT4_T5_P12ihipStream_tbEUlRKiE_EEST_SX_SY_mSZ_S12_bEUlT_E_NS1_11comp_targetILNS1_3genE0ELNS1_11target_archE4294967295ELNS1_3gpuE0ELNS1_3repE0EEENS1_30default_config_static_selectorELNS0_4arch9wavefront6targetE0EEEvSW_
; %bb.0:
	.section	.rodata,"a",@progbits
	.p2align	6, 0x0
	.amdhsa_kernel _ZN7rocprim17ROCPRIM_400000_NS6detail17trampoline_kernelINS0_14default_configENS1_29binary_search_config_selectorIiiEEZNS1_14transform_implILb0ES3_S5_N6thrust23THRUST_200600_302600_NS6detail15normal_iteratorINS8_7pointerIiNS8_11hip_rocprim12par_nosync_tENS8_11use_defaultESE_EEEESG_ZNS1_13binary_searchIS3_S5_NSA_INS8_10device_ptrIiEEEESG_SG_NS1_16binary_search_opENS9_16wrapped_functionINS8_6system6detail7generic6detail18binary_search_lessEbEEEE10hipError_tPvRmT1_T2_T3_mmT4_T5_P12ihipStream_tbEUlRKiE_EEST_SX_SY_mSZ_S12_bEUlT_E_NS1_11comp_targetILNS1_3genE0ELNS1_11target_archE4294967295ELNS1_3gpuE0ELNS1_3repE0EEENS1_30default_config_static_selectorELNS0_4arch9wavefront6targetE0EEEvSW_
		.amdhsa_group_segment_fixed_size 0
		.amdhsa_private_segment_fixed_size 0
		.amdhsa_kernarg_size 56
		.amdhsa_user_sgpr_count 6
		.amdhsa_user_sgpr_private_segment_buffer 1
		.amdhsa_user_sgpr_dispatch_ptr 0
		.amdhsa_user_sgpr_queue_ptr 0
		.amdhsa_user_sgpr_kernarg_segment_ptr 1
		.amdhsa_user_sgpr_dispatch_id 0
		.amdhsa_user_sgpr_flat_scratch_init 0
		.amdhsa_user_sgpr_private_segment_size 0
		.amdhsa_wavefront_size32 1
		.amdhsa_uses_dynamic_stack 0
		.amdhsa_system_sgpr_private_segment_wavefront_offset 0
		.amdhsa_system_sgpr_workgroup_id_x 1
		.amdhsa_system_sgpr_workgroup_id_y 0
		.amdhsa_system_sgpr_workgroup_id_z 0
		.amdhsa_system_sgpr_workgroup_info 0
		.amdhsa_system_vgpr_workitem_id 0
		.amdhsa_next_free_vgpr 1
		.amdhsa_next_free_sgpr 1
		.amdhsa_reserve_vcc 0
		.amdhsa_reserve_flat_scratch 0
		.amdhsa_float_round_mode_32 0
		.amdhsa_float_round_mode_16_64 0
		.amdhsa_float_denorm_mode_32 3
		.amdhsa_float_denorm_mode_16_64 3
		.amdhsa_dx10_clamp 1
		.amdhsa_ieee_mode 1
		.amdhsa_fp16_overflow 0
		.amdhsa_workgroup_processor_mode 1
		.amdhsa_memory_ordered 1
		.amdhsa_forward_progress 1
		.amdhsa_shared_vgpr_count 0
		.amdhsa_exception_fp_ieee_invalid_op 0
		.amdhsa_exception_fp_denorm_src 0
		.amdhsa_exception_fp_ieee_div_zero 0
		.amdhsa_exception_fp_ieee_overflow 0
		.amdhsa_exception_fp_ieee_underflow 0
		.amdhsa_exception_fp_ieee_inexact 0
		.amdhsa_exception_int_div_zero 0
	.end_amdhsa_kernel
	.section	.text._ZN7rocprim17ROCPRIM_400000_NS6detail17trampoline_kernelINS0_14default_configENS1_29binary_search_config_selectorIiiEEZNS1_14transform_implILb0ES3_S5_N6thrust23THRUST_200600_302600_NS6detail15normal_iteratorINS8_7pointerIiNS8_11hip_rocprim12par_nosync_tENS8_11use_defaultESE_EEEESG_ZNS1_13binary_searchIS3_S5_NSA_INS8_10device_ptrIiEEEESG_SG_NS1_16binary_search_opENS9_16wrapped_functionINS8_6system6detail7generic6detail18binary_search_lessEbEEEE10hipError_tPvRmT1_T2_T3_mmT4_T5_P12ihipStream_tbEUlRKiE_EEST_SX_SY_mSZ_S12_bEUlT_E_NS1_11comp_targetILNS1_3genE0ELNS1_11target_archE4294967295ELNS1_3gpuE0ELNS1_3repE0EEENS1_30default_config_static_selectorELNS0_4arch9wavefront6targetE0EEEvSW_,"axG",@progbits,_ZN7rocprim17ROCPRIM_400000_NS6detail17trampoline_kernelINS0_14default_configENS1_29binary_search_config_selectorIiiEEZNS1_14transform_implILb0ES3_S5_N6thrust23THRUST_200600_302600_NS6detail15normal_iteratorINS8_7pointerIiNS8_11hip_rocprim12par_nosync_tENS8_11use_defaultESE_EEEESG_ZNS1_13binary_searchIS3_S5_NSA_INS8_10device_ptrIiEEEESG_SG_NS1_16binary_search_opENS9_16wrapped_functionINS8_6system6detail7generic6detail18binary_search_lessEbEEEE10hipError_tPvRmT1_T2_T3_mmT4_T5_P12ihipStream_tbEUlRKiE_EEST_SX_SY_mSZ_S12_bEUlT_E_NS1_11comp_targetILNS1_3genE0ELNS1_11target_archE4294967295ELNS1_3gpuE0ELNS1_3repE0EEENS1_30default_config_static_selectorELNS0_4arch9wavefront6targetE0EEEvSW_,comdat
.Lfunc_end698:
	.size	_ZN7rocprim17ROCPRIM_400000_NS6detail17trampoline_kernelINS0_14default_configENS1_29binary_search_config_selectorIiiEEZNS1_14transform_implILb0ES3_S5_N6thrust23THRUST_200600_302600_NS6detail15normal_iteratorINS8_7pointerIiNS8_11hip_rocprim12par_nosync_tENS8_11use_defaultESE_EEEESG_ZNS1_13binary_searchIS3_S5_NSA_INS8_10device_ptrIiEEEESG_SG_NS1_16binary_search_opENS9_16wrapped_functionINS8_6system6detail7generic6detail18binary_search_lessEbEEEE10hipError_tPvRmT1_T2_T3_mmT4_T5_P12ihipStream_tbEUlRKiE_EEST_SX_SY_mSZ_S12_bEUlT_E_NS1_11comp_targetILNS1_3genE0ELNS1_11target_archE4294967295ELNS1_3gpuE0ELNS1_3repE0EEENS1_30default_config_static_selectorELNS0_4arch9wavefront6targetE0EEEvSW_, .Lfunc_end698-_ZN7rocprim17ROCPRIM_400000_NS6detail17trampoline_kernelINS0_14default_configENS1_29binary_search_config_selectorIiiEEZNS1_14transform_implILb0ES3_S5_N6thrust23THRUST_200600_302600_NS6detail15normal_iteratorINS8_7pointerIiNS8_11hip_rocprim12par_nosync_tENS8_11use_defaultESE_EEEESG_ZNS1_13binary_searchIS3_S5_NSA_INS8_10device_ptrIiEEEESG_SG_NS1_16binary_search_opENS9_16wrapped_functionINS8_6system6detail7generic6detail18binary_search_lessEbEEEE10hipError_tPvRmT1_T2_T3_mmT4_T5_P12ihipStream_tbEUlRKiE_EEST_SX_SY_mSZ_S12_bEUlT_E_NS1_11comp_targetILNS1_3genE0ELNS1_11target_archE4294967295ELNS1_3gpuE0ELNS1_3repE0EEENS1_30default_config_static_selectorELNS0_4arch9wavefront6targetE0EEEvSW_
                                        ; -- End function
	.set _ZN7rocprim17ROCPRIM_400000_NS6detail17trampoline_kernelINS0_14default_configENS1_29binary_search_config_selectorIiiEEZNS1_14transform_implILb0ES3_S5_N6thrust23THRUST_200600_302600_NS6detail15normal_iteratorINS8_7pointerIiNS8_11hip_rocprim12par_nosync_tENS8_11use_defaultESE_EEEESG_ZNS1_13binary_searchIS3_S5_NSA_INS8_10device_ptrIiEEEESG_SG_NS1_16binary_search_opENS9_16wrapped_functionINS8_6system6detail7generic6detail18binary_search_lessEbEEEE10hipError_tPvRmT1_T2_T3_mmT4_T5_P12ihipStream_tbEUlRKiE_EEST_SX_SY_mSZ_S12_bEUlT_E_NS1_11comp_targetILNS1_3genE0ELNS1_11target_archE4294967295ELNS1_3gpuE0ELNS1_3repE0EEENS1_30default_config_static_selectorELNS0_4arch9wavefront6targetE0EEEvSW_.num_vgpr, 0
	.set _ZN7rocprim17ROCPRIM_400000_NS6detail17trampoline_kernelINS0_14default_configENS1_29binary_search_config_selectorIiiEEZNS1_14transform_implILb0ES3_S5_N6thrust23THRUST_200600_302600_NS6detail15normal_iteratorINS8_7pointerIiNS8_11hip_rocprim12par_nosync_tENS8_11use_defaultESE_EEEESG_ZNS1_13binary_searchIS3_S5_NSA_INS8_10device_ptrIiEEEESG_SG_NS1_16binary_search_opENS9_16wrapped_functionINS8_6system6detail7generic6detail18binary_search_lessEbEEEE10hipError_tPvRmT1_T2_T3_mmT4_T5_P12ihipStream_tbEUlRKiE_EEST_SX_SY_mSZ_S12_bEUlT_E_NS1_11comp_targetILNS1_3genE0ELNS1_11target_archE4294967295ELNS1_3gpuE0ELNS1_3repE0EEENS1_30default_config_static_selectorELNS0_4arch9wavefront6targetE0EEEvSW_.num_agpr, 0
	.set _ZN7rocprim17ROCPRIM_400000_NS6detail17trampoline_kernelINS0_14default_configENS1_29binary_search_config_selectorIiiEEZNS1_14transform_implILb0ES3_S5_N6thrust23THRUST_200600_302600_NS6detail15normal_iteratorINS8_7pointerIiNS8_11hip_rocprim12par_nosync_tENS8_11use_defaultESE_EEEESG_ZNS1_13binary_searchIS3_S5_NSA_INS8_10device_ptrIiEEEESG_SG_NS1_16binary_search_opENS9_16wrapped_functionINS8_6system6detail7generic6detail18binary_search_lessEbEEEE10hipError_tPvRmT1_T2_T3_mmT4_T5_P12ihipStream_tbEUlRKiE_EEST_SX_SY_mSZ_S12_bEUlT_E_NS1_11comp_targetILNS1_3genE0ELNS1_11target_archE4294967295ELNS1_3gpuE0ELNS1_3repE0EEENS1_30default_config_static_selectorELNS0_4arch9wavefront6targetE0EEEvSW_.numbered_sgpr, 0
	.set _ZN7rocprim17ROCPRIM_400000_NS6detail17trampoline_kernelINS0_14default_configENS1_29binary_search_config_selectorIiiEEZNS1_14transform_implILb0ES3_S5_N6thrust23THRUST_200600_302600_NS6detail15normal_iteratorINS8_7pointerIiNS8_11hip_rocprim12par_nosync_tENS8_11use_defaultESE_EEEESG_ZNS1_13binary_searchIS3_S5_NSA_INS8_10device_ptrIiEEEESG_SG_NS1_16binary_search_opENS9_16wrapped_functionINS8_6system6detail7generic6detail18binary_search_lessEbEEEE10hipError_tPvRmT1_T2_T3_mmT4_T5_P12ihipStream_tbEUlRKiE_EEST_SX_SY_mSZ_S12_bEUlT_E_NS1_11comp_targetILNS1_3genE0ELNS1_11target_archE4294967295ELNS1_3gpuE0ELNS1_3repE0EEENS1_30default_config_static_selectorELNS0_4arch9wavefront6targetE0EEEvSW_.num_named_barrier, 0
	.set _ZN7rocprim17ROCPRIM_400000_NS6detail17trampoline_kernelINS0_14default_configENS1_29binary_search_config_selectorIiiEEZNS1_14transform_implILb0ES3_S5_N6thrust23THRUST_200600_302600_NS6detail15normal_iteratorINS8_7pointerIiNS8_11hip_rocprim12par_nosync_tENS8_11use_defaultESE_EEEESG_ZNS1_13binary_searchIS3_S5_NSA_INS8_10device_ptrIiEEEESG_SG_NS1_16binary_search_opENS9_16wrapped_functionINS8_6system6detail7generic6detail18binary_search_lessEbEEEE10hipError_tPvRmT1_T2_T3_mmT4_T5_P12ihipStream_tbEUlRKiE_EEST_SX_SY_mSZ_S12_bEUlT_E_NS1_11comp_targetILNS1_3genE0ELNS1_11target_archE4294967295ELNS1_3gpuE0ELNS1_3repE0EEENS1_30default_config_static_selectorELNS0_4arch9wavefront6targetE0EEEvSW_.private_seg_size, 0
	.set _ZN7rocprim17ROCPRIM_400000_NS6detail17trampoline_kernelINS0_14default_configENS1_29binary_search_config_selectorIiiEEZNS1_14transform_implILb0ES3_S5_N6thrust23THRUST_200600_302600_NS6detail15normal_iteratorINS8_7pointerIiNS8_11hip_rocprim12par_nosync_tENS8_11use_defaultESE_EEEESG_ZNS1_13binary_searchIS3_S5_NSA_INS8_10device_ptrIiEEEESG_SG_NS1_16binary_search_opENS9_16wrapped_functionINS8_6system6detail7generic6detail18binary_search_lessEbEEEE10hipError_tPvRmT1_T2_T3_mmT4_T5_P12ihipStream_tbEUlRKiE_EEST_SX_SY_mSZ_S12_bEUlT_E_NS1_11comp_targetILNS1_3genE0ELNS1_11target_archE4294967295ELNS1_3gpuE0ELNS1_3repE0EEENS1_30default_config_static_selectorELNS0_4arch9wavefront6targetE0EEEvSW_.uses_vcc, 0
	.set _ZN7rocprim17ROCPRIM_400000_NS6detail17trampoline_kernelINS0_14default_configENS1_29binary_search_config_selectorIiiEEZNS1_14transform_implILb0ES3_S5_N6thrust23THRUST_200600_302600_NS6detail15normal_iteratorINS8_7pointerIiNS8_11hip_rocprim12par_nosync_tENS8_11use_defaultESE_EEEESG_ZNS1_13binary_searchIS3_S5_NSA_INS8_10device_ptrIiEEEESG_SG_NS1_16binary_search_opENS9_16wrapped_functionINS8_6system6detail7generic6detail18binary_search_lessEbEEEE10hipError_tPvRmT1_T2_T3_mmT4_T5_P12ihipStream_tbEUlRKiE_EEST_SX_SY_mSZ_S12_bEUlT_E_NS1_11comp_targetILNS1_3genE0ELNS1_11target_archE4294967295ELNS1_3gpuE0ELNS1_3repE0EEENS1_30default_config_static_selectorELNS0_4arch9wavefront6targetE0EEEvSW_.uses_flat_scratch, 0
	.set _ZN7rocprim17ROCPRIM_400000_NS6detail17trampoline_kernelINS0_14default_configENS1_29binary_search_config_selectorIiiEEZNS1_14transform_implILb0ES3_S5_N6thrust23THRUST_200600_302600_NS6detail15normal_iteratorINS8_7pointerIiNS8_11hip_rocprim12par_nosync_tENS8_11use_defaultESE_EEEESG_ZNS1_13binary_searchIS3_S5_NSA_INS8_10device_ptrIiEEEESG_SG_NS1_16binary_search_opENS9_16wrapped_functionINS8_6system6detail7generic6detail18binary_search_lessEbEEEE10hipError_tPvRmT1_T2_T3_mmT4_T5_P12ihipStream_tbEUlRKiE_EEST_SX_SY_mSZ_S12_bEUlT_E_NS1_11comp_targetILNS1_3genE0ELNS1_11target_archE4294967295ELNS1_3gpuE0ELNS1_3repE0EEENS1_30default_config_static_selectorELNS0_4arch9wavefront6targetE0EEEvSW_.has_dyn_sized_stack, 0
	.set _ZN7rocprim17ROCPRIM_400000_NS6detail17trampoline_kernelINS0_14default_configENS1_29binary_search_config_selectorIiiEEZNS1_14transform_implILb0ES3_S5_N6thrust23THRUST_200600_302600_NS6detail15normal_iteratorINS8_7pointerIiNS8_11hip_rocprim12par_nosync_tENS8_11use_defaultESE_EEEESG_ZNS1_13binary_searchIS3_S5_NSA_INS8_10device_ptrIiEEEESG_SG_NS1_16binary_search_opENS9_16wrapped_functionINS8_6system6detail7generic6detail18binary_search_lessEbEEEE10hipError_tPvRmT1_T2_T3_mmT4_T5_P12ihipStream_tbEUlRKiE_EEST_SX_SY_mSZ_S12_bEUlT_E_NS1_11comp_targetILNS1_3genE0ELNS1_11target_archE4294967295ELNS1_3gpuE0ELNS1_3repE0EEENS1_30default_config_static_selectorELNS0_4arch9wavefront6targetE0EEEvSW_.has_recursion, 0
	.set _ZN7rocprim17ROCPRIM_400000_NS6detail17trampoline_kernelINS0_14default_configENS1_29binary_search_config_selectorIiiEEZNS1_14transform_implILb0ES3_S5_N6thrust23THRUST_200600_302600_NS6detail15normal_iteratorINS8_7pointerIiNS8_11hip_rocprim12par_nosync_tENS8_11use_defaultESE_EEEESG_ZNS1_13binary_searchIS3_S5_NSA_INS8_10device_ptrIiEEEESG_SG_NS1_16binary_search_opENS9_16wrapped_functionINS8_6system6detail7generic6detail18binary_search_lessEbEEEE10hipError_tPvRmT1_T2_T3_mmT4_T5_P12ihipStream_tbEUlRKiE_EEST_SX_SY_mSZ_S12_bEUlT_E_NS1_11comp_targetILNS1_3genE0ELNS1_11target_archE4294967295ELNS1_3gpuE0ELNS1_3repE0EEENS1_30default_config_static_selectorELNS0_4arch9wavefront6targetE0EEEvSW_.has_indirect_call, 0
	.section	.AMDGPU.csdata,"",@progbits
; Kernel info:
; codeLenInByte = 0
; TotalNumSgprs: 0
; NumVgprs: 0
; ScratchSize: 0
; MemoryBound: 0
; FloatMode: 240
; IeeeMode: 1
; LDSByteSize: 0 bytes/workgroup (compile time only)
; SGPRBlocks: 0
; VGPRBlocks: 0
; NumSGPRsForWavesPerEU: 1
; NumVGPRsForWavesPerEU: 1
; Occupancy: 16
; WaveLimiterHint : 0
; COMPUTE_PGM_RSRC2:SCRATCH_EN: 0
; COMPUTE_PGM_RSRC2:USER_SGPR: 6
; COMPUTE_PGM_RSRC2:TRAP_HANDLER: 0
; COMPUTE_PGM_RSRC2:TGID_X_EN: 1
; COMPUTE_PGM_RSRC2:TGID_Y_EN: 0
; COMPUTE_PGM_RSRC2:TGID_Z_EN: 0
; COMPUTE_PGM_RSRC2:TIDIG_COMP_CNT: 0
	.section	.text._ZN7rocprim17ROCPRIM_400000_NS6detail17trampoline_kernelINS0_14default_configENS1_29binary_search_config_selectorIiiEEZNS1_14transform_implILb0ES3_S5_N6thrust23THRUST_200600_302600_NS6detail15normal_iteratorINS8_7pointerIiNS8_11hip_rocprim12par_nosync_tENS8_11use_defaultESE_EEEESG_ZNS1_13binary_searchIS3_S5_NSA_INS8_10device_ptrIiEEEESG_SG_NS1_16binary_search_opENS9_16wrapped_functionINS8_6system6detail7generic6detail18binary_search_lessEbEEEE10hipError_tPvRmT1_T2_T3_mmT4_T5_P12ihipStream_tbEUlRKiE_EEST_SX_SY_mSZ_S12_bEUlT_E_NS1_11comp_targetILNS1_3genE5ELNS1_11target_archE942ELNS1_3gpuE9ELNS1_3repE0EEENS1_30default_config_static_selectorELNS0_4arch9wavefront6targetE0EEEvSW_,"axG",@progbits,_ZN7rocprim17ROCPRIM_400000_NS6detail17trampoline_kernelINS0_14default_configENS1_29binary_search_config_selectorIiiEEZNS1_14transform_implILb0ES3_S5_N6thrust23THRUST_200600_302600_NS6detail15normal_iteratorINS8_7pointerIiNS8_11hip_rocprim12par_nosync_tENS8_11use_defaultESE_EEEESG_ZNS1_13binary_searchIS3_S5_NSA_INS8_10device_ptrIiEEEESG_SG_NS1_16binary_search_opENS9_16wrapped_functionINS8_6system6detail7generic6detail18binary_search_lessEbEEEE10hipError_tPvRmT1_T2_T3_mmT4_T5_P12ihipStream_tbEUlRKiE_EEST_SX_SY_mSZ_S12_bEUlT_E_NS1_11comp_targetILNS1_3genE5ELNS1_11target_archE942ELNS1_3gpuE9ELNS1_3repE0EEENS1_30default_config_static_selectorELNS0_4arch9wavefront6targetE0EEEvSW_,comdat
	.protected	_ZN7rocprim17ROCPRIM_400000_NS6detail17trampoline_kernelINS0_14default_configENS1_29binary_search_config_selectorIiiEEZNS1_14transform_implILb0ES3_S5_N6thrust23THRUST_200600_302600_NS6detail15normal_iteratorINS8_7pointerIiNS8_11hip_rocprim12par_nosync_tENS8_11use_defaultESE_EEEESG_ZNS1_13binary_searchIS3_S5_NSA_INS8_10device_ptrIiEEEESG_SG_NS1_16binary_search_opENS9_16wrapped_functionINS8_6system6detail7generic6detail18binary_search_lessEbEEEE10hipError_tPvRmT1_T2_T3_mmT4_T5_P12ihipStream_tbEUlRKiE_EEST_SX_SY_mSZ_S12_bEUlT_E_NS1_11comp_targetILNS1_3genE5ELNS1_11target_archE942ELNS1_3gpuE9ELNS1_3repE0EEENS1_30default_config_static_selectorELNS0_4arch9wavefront6targetE0EEEvSW_ ; -- Begin function _ZN7rocprim17ROCPRIM_400000_NS6detail17trampoline_kernelINS0_14default_configENS1_29binary_search_config_selectorIiiEEZNS1_14transform_implILb0ES3_S5_N6thrust23THRUST_200600_302600_NS6detail15normal_iteratorINS8_7pointerIiNS8_11hip_rocprim12par_nosync_tENS8_11use_defaultESE_EEEESG_ZNS1_13binary_searchIS3_S5_NSA_INS8_10device_ptrIiEEEESG_SG_NS1_16binary_search_opENS9_16wrapped_functionINS8_6system6detail7generic6detail18binary_search_lessEbEEEE10hipError_tPvRmT1_T2_T3_mmT4_T5_P12ihipStream_tbEUlRKiE_EEST_SX_SY_mSZ_S12_bEUlT_E_NS1_11comp_targetILNS1_3genE5ELNS1_11target_archE942ELNS1_3gpuE9ELNS1_3repE0EEENS1_30default_config_static_selectorELNS0_4arch9wavefront6targetE0EEEvSW_
	.globl	_ZN7rocprim17ROCPRIM_400000_NS6detail17trampoline_kernelINS0_14default_configENS1_29binary_search_config_selectorIiiEEZNS1_14transform_implILb0ES3_S5_N6thrust23THRUST_200600_302600_NS6detail15normal_iteratorINS8_7pointerIiNS8_11hip_rocprim12par_nosync_tENS8_11use_defaultESE_EEEESG_ZNS1_13binary_searchIS3_S5_NSA_INS8_10device_ptrIiEEEESG_SG_NS1_16binary_search_opENS9_16wrapped_functionINS8_6system6detail7generic6detail18binary_search_lessEbEEEE10hipError_tPvRmT1_T2_T3_mmT4_T5_P12ihipStream_tbEUlRKiE_EEST_SX_SY_mSZ_S12_bEUlT_E_NS1_11comp_targetILNS1_3genE5ELNS1_11target_archE942ELNS1_3gpuE9ELNS1_3repE0EEENS1_30default_config_static_selectorELNS0_4arch9wavefront6targetE0EEEvSW_
	.p2align	8
	.type	_ZN7rocprim17ROCPRIM_400000_NS6detail17trampoline_kernelINS0_14default_configENS1_29binary_search_config_selectorIiiEEZNS1_14transform_implILb0ES3_S5_N6thrust23THRUST_200600_302600_NS6detail15normal_iteratorINS8_7pointerIiNS8_11hip_rocprim12par_nosync_tENS8_11use_defaultESE_EEEESG_ZNS1_13binary_searchIS3_S5_NSA_INS8_10device_ptrIiEEEESG_SG_NS1_16binary_search_opENS9_16wrapped_functionINS8_6system6detail7generic6detail18binary_search_lessEbEEEE10hipError_tPvRmT1_T2_T3_mmT4_T5_P12ihipStream_tbEUlRKiE_EEST_SX_SY_mSZ_S12_bEUlT_E_NS1_11comp_targetILNS1_3genE5ELNS1_11target_archE942ELNS1_3gpuE9ELNS1_3repE0EEENS1_30default_config_static_selectorELNS0_4arch9wavefront6targetE0EEEvSW_,@function
_ZN7rocprim17ROCPRIM_400000_NS6detail17trampoline_kernelINS0_14default_configENS1_29binary_search_config_selectorIiiEEZNS1_14transform_implILb0ES3_S5_N6thrust23THRUST_200600_302600_NS6detail15normal_iteratorINS8_7pointerIiNS8_11hip_rocprim12par_nosync_tENS8_11use_defaultESE_EEEESG_ZNS1_13binary_searchIS3_S5_NSA_INS8_10device_ptrIiEEEESG_SG_NS1_16binary_search_opENS9_16wrapped_functionINS8_6system6detail7generic6detail18binary_search_lessEbEEEE10hipError_tPvRmT1_T2_T3_mmT4_T5_P12ihipStream_tbEUlRKiE_EEST_SX_SY_mSZ_S12_bEUlT_E_NS1_11comp_targetILNS1_3genE5ELNS1_11target_archE942ELNS1_3gpuE9ELNS1_3repE0EEENS1_30default_config_static_selectorELNS0_4arch9wavefront6targetE0EEEvSW_: ; @_ZN7rocprim17ROCPRIM_400000_NS6detail17trampoline_kernelINS0_14default_configENS1_29binary_search_config_selectorIiiEEZNS1_14transform_implILb0ES3_S5_N6thrust23THRUST_200600_302600_NS6detail15normal_iteratorINS8_7pointerIiNS8_11hip_rocprim12par_nosync_tENS8_11use_defaultESE_EEEESG_ZNS1_13binary_searchIS3_S5_NSA_INS8_10device_ptrIiEEEESG_SG_NS1_16binary_search_opENS9_16wrapped_functionINS8_6system6detail7generic6detail18binary_search_lessEbEEEE10hipError_tPvRmT1_T2_T3_mmT4_T5_P12ihipStream_tbEUlRKiE_EEST_SX_SY_mSZ_S12_bEUlT_E_NS1_11comp_targetILNS1_3genE5ELNS1_11target_archE942ELNS1_3gpuE9ELNS1_3repE0EEENS1_30default_config_static_selectorELNS0_4arch9wavefront6targetE0EEEvSW_
; %bb.0:
	.section	.rodata,"a",@progbits
	.p2align	6, 0x0
	.amdhsa_kernel _ZN7rocprim17ROCPRIM_400000_NS6detail17trampoline_kernelINS0_14default_configENS1_29binary_search_config_selectorIiiEEZNS1_14transform_implILb0ES3_S5_N6thrust23THRUST_200600_302600_NS6detail15normal_iteratorINS8_7pointerIiNS8_11hip_rocprim12par_nosync_tENS8_11use_defaultESE_EEEESG_ZNS1_13binary_searchIS3_S5_NSA_INS8_10device_ptrIiEEEESG_SG_NS1_16binary_search_opENS9_16wrapped_functionINS8_6system6detail7generic6detail18binary_search_lessEbEEEE10hipError_tPvRmT1_T2_T3_mmT4_T5_P12ihipStream_tbEUlRKiE_EEST_SX_SY_mSZ_S12_bEUlT_E_NS1_11comp_targetILNS1_3genE5ELNS1_11target_archE942ELNS1_3gpuE9ELNS1_3repE0EEENS1_30default_config_static_selectorELNS0_4arch9wavefront6targetE0EEEvSW_
		.amdhsa_group_segment_fixed_size 0
		.amdhsa_private_segment_fixed_size 0
		.amdhsa_kernarg_size 56
		.amdhsa_user_sgpr_count 6
		.amdhsa_user_sgpr_private_segment_buffer 1
		.amdhsa_user_sgpr_dispatch_ptr 0
		.amdhsa_user_sgpr_queue_ptr 0
		.amdhsa_user_sgpr_kernarg_segment_ptr 1
		.amdhsa_user_sgpr_dispatch_id 0
		.amdhsa_user_sgpr_flat_scratch_init 0
		.amdhsa_user_sgpr_private_segment_size 0
		.amdhsa_wavefront_size32 1
		.amdhsa_uses_dynamic_stack 0
		.amdhsa_system_sgpr_private_segment_wavefront_offset 0
		.amdhsa_system_sgpr_workgroup_id_x 1
		.amdhsa_system_sgpr_workgroup_id_y 0
		.amdhsa_system_sgpr_workgroup_id_z 0
		.amdhsa_system_sgpr_workgroup_info 0
		.amdhsa_system_vgpr_workitem_id 0
		.amdhsa_next_free_vgpr 1
		.amdhsa_next_free_sgpr 1
		.amdhsa_reserve_vcc 0
		.amdhsa_reserve_flat_scratch 0
		.amdhsa_float_round_mode_32 0
		.amdhsa_float_round_mode_16_64 0
		.amdhsa_float_denorm_mode_32 3
		.amdhsa_float_denorm_mode_16_64 3
		.amdhsa_dx10_clamp 1
		.amdhsa_ieee_mode 1
		.amdhsa_fp16_overflow 0
		.amdhsa_workgroup_processor_mode 1
		.amdhsa_memory_ordered 1
		.amdhsa_forward_progress 1
		.amdhsa_shared_vgpr_count 0
		.amdhsa_exception_fp_ieee_invalid_op 0
		.amdhsa_exception_fp_denorm_src 0
		.amdhsa_exception_fp_ieee_div_zero 0
		.amdhsa_exception_fp_ieee_overflow 0
		.amdhsa_exception_fp_ieee_underflow 0
		.amdhsa_exception_fp_ieee_inexact 0
		.amdhsa_exception_int_div_zero 0
	.end_amdhsa_kernel
	.section	.text._ZN7rocprim17ROCPRIM_400000_NS6detail17trampoline_kernelINS0_14default_configENS1_29binary_search_config_selectorIiiEEZNS1_14transform_implILb0ES3_S5_N6thrust23THRUST_200600_302600_NS6detail15normal_iteratorINS8_7pointerIiNS8_11hip_rocprim12par_nosync_tENS8_11use_defaultESE_EEEESG_ZNS1_13binary_searchIS3_S5_NSA_INS8_10device_ptrIiEEEESG_SG_NS1_16binary_search_opENS9_16wrapped_functionINS8_6system6detail7generic6detail18binary_search_lessEbEEEE10hipError_tPvRmT1_T2_T3_mmT4_T5_P12ihipStream_tbEUlRKiE_EEST_SX_SY_mSZ_S12_bEUlT_E_NS1_11comp_targetILNS1_3genE5ELNS1_11target_archE942ELNS1_3gpuE9ELNS1_3repE0EEENS1_30default_config_static_selectorELNS0_4arch9wavefront6targetE0EEEvSW_,"axG",@progbits,_ZN7rocprim17ROCPRIM_400000_NS6detail17trampoline_kernelINS0_14default_configENS1_29binary_search_config_selectorIiiEEZNS1_14transform_implILb0ES3_S5_N6thrust23THRUST_200600_302600_NS6detail15normal_iteratorINS8_7pointerIiNS8_11hip_rocprim12par_nosync_tENS8_11use_defaultESE_EEEESG_ZNS1_13binary_searchIS3_S5_NSA_INS8_10device_ptrIiEEEESG_SG_NS1_16binary_search_opENS9_16wrapped_functionINS8_6system6detail7generic6detail18binary_search_lessEbEEEE10hipError_tPvRmT1_T2_T3_mmT4_T5_P12ihipStream_tbEUlRKiE_EEST_SX_SY_mSZ_S12_bEUlT_E_NS1_11comp_targetILNS1_3genE5ELNS1_11target_archE942ELNS1_3gpuE9ELNS1_3repE0EEENS1_30default_config_static_selectorELNS0_4arch9wavefront6targetE0EEEvSW_,comdat
.Lfunc_end699:
	.size	_ZN7rocprim17ROCPRIM_400000_NS6detail17trampoline_kernelINS0_14default_configENS1_29binary_search_config_selectorIiiEEZNS1_14transform_implILb0ES3_S5_N6thrust23THRUST_200600_302600_NS6detail15normal_iteratorINS8_7pointerIiNS8_11hip_rocprim12par_nosync_tENS8_11use_defaultESE_EEEESG_ZNS1_13binary_searchIS3_S5_NSA_INS8_10device_ptrIiEEEESG_SG_NS1_16binary_search_opENS9_16wrapped_functionINS8_6system6detail7generic6detail18binary_search_lessEbEEEE10hipError_tPvRmT1_T2_T3_mmT4_T5_P12ihipStream_tbEUlRKiE_EEST_SX_SY_mSZ_S12_bEUlT_E_NS1_11comp_targetILNS1_3genE5ELNS1_11target_archE942ELNS1_3gpuE9ELNS1_3repE0EEENS1_30default_config_static_selectorELNS0_4arch9wavefront6targetE0EEEvSW_, .Lfunc_end699-_ZN7rocprim17ROCPRIM_400000_NS6detail17trampoline_kernelINS0_14default_configENS1_29binary_search_config_selectorIiiEEZNS1_14transform_implILb0ES3_S5_N6thrust23THRUST_200600_302600_NS6detail15normal_iteratorINS8_7pointerIiNS8_11hip_rocprim12par_nosync_tENS8_11use_defaultESE_EEEESG_ZNS1_13binary_searchIS3_S5_NSA_INS8_10device_ptrIiEEEESG_SG_NS1_16binary_search_opENS9_16wrapped_functionINS8_6system6detail7generic6detail18binary_search_lessEbEEEE10hipError_tPvRmT1_T2_T3_mmT4_T5_P12ihipStream_tbEUlRKiE_EEST_SX_SY_mSZ_S12_bEUlT_E_NS1_11comp_targetILNS1_3genE5ELNS1_11target_archE942ELNS1_3gpuE9ELNS1_3repE0EEENS1_30default_config_static_selectorELNS0_4arch9wavefront6targetE0EEEvSW_
                                        ; -- End function
	.set _ZN7rocprim17ROCPRIM_400000_NS6detail17trampoline_kernelINS0_14default_configENS1_29binary_search_config_selectorIiiEEZNS1_14transform_implILb0ES3_S5_N6thrust23THRUST_200600_302600_NS6detail15normal_iteratorINS8_7pointerIiNS8_11hip_rocprim12par_nosync_tENS8_11use_defaultESE_EEEESG_ZNS1_13binary_searchIS3_S5_NSA_INS8_10device_ptrIiEEEESG_SG_NS1_16binary_search_opENS9_16wrapped_functionINS8_6system6detail7generic6detail18binary_search_lessEbEEEE10hipError_tPvRmT1_T2_T3_mmT4_T5_P12ihipStream_tbEUlRKiE_EEST_SX_SY_mSZ_S12_bEUlT_E_NS1_11comp_targetILNS1_3genE5ELNS1_11target_archE942ELNS1_3gpuE9ELNS1_3repE0EEENS1_30default_config_static_selectorELNS0_4arch9wavefront6targetE0EEEvSW_.num_vgpr, 0
	.set _ZN7rocprim17ROCPRIM_400000_NS6detail17trampoline_kernelINS0_14default_configENS1_29binary_search_config_selectorIiiEEZNS1_14transform_implILb0ES3_S5_N6thrust23THRUST_200600_302600_NS6detail15normal_iteratorINS8_7pointerIiNS8_11hip_rocprim12par_nosync_tENS8_11use_defaultESE_EEEESG_ZNS1_13binary_searchIS3_S5_NSA_INS8_10device_ptrIiEEEESG_SG_NS1_16binary_search_opENS9_16wrapped_functionINS8_6system6detail7generic6detail18binary_search_lessEbEEEE10hipError_tPvRmT1_T2_T3_mmT4_T5_P12ihipStream_tbEUlRKiE_EEST_SX_SY_mSZ_S12_bEUlT_E_NS1_11comp_targetILNS1_3genE5ELNS1_11target_archE942ELNS1_3gpuE9ELNS1_3repE0EEENS1_30default_config_static_selectorELNS0_4arch9wavefront6targetE0EEEvSW_.num_agpr, 0
	.set _ZN7rocprim17ROCPRIM_400000_NS6detail17trampoline_kernelINS0_14default_configENS1_29binary_search_config_selectorIiiEEZNS1_14transform_implILb0ES3_S5_N6thrust23THRUST_200600_302600_NS6detail15normal_iteratorINS8_7pointerIiNS8_11hip_rocprim12par_nosync_tENS8_11use_defaultESE_EEEESG_ZNS1_13binary_searchIS3_S5_NSA_INS8_10device_ptrIiEEEESG_SG_NS1_16binary_search_opENS9_16wrapped_functionINS8_6system6detail7generic6detail18binary_search_lessEbEEEE10hipError_tPvRmT1_T2_T3_mmT4_T5_P12ihipStream_tbEUlRKiE_EEST_SX_SY_mSZ_S12_bEUlT_E_NS1_11comp_targetILNS1_3genE5ELNS1_11target_archE942ELNS1_3gpuE9ELNS1_3repE0EEENS1_30default_config_static_selectorELNS0_4arch9wavefront6targetE0EEEvSW_.numbered_sgpr, 0
	.set _ZN7rocprim17ROCPRIM_400000_NS6detail17trampoline_kernelINS0_14default_configENS1_29binary_search_config_selectorIiiEEZNS1_14transform_implILb0ES3_S5_N6thrust23THRUST_200600_302600_NS6detail15normal_iteratorINS8_7pointerIiNS8_11hip_rocprim12par_nosync_tENS8_11use_defaultESE_EEEESG_ZNS1_13binary_searchIS3_S5_NSA_INS8_10device_ptrIiEEEESG_SG_NS1_16binary_search_opENS9_16wrapped_functionINS8_6system6detail7generic6detail18binary_search_lessEbEEEE10hipError_tPvRmT1_T2_T3_mmT4_T5_P12ihipStream_tbEUlRKiE_EEST_SX_SY_mSZ_S12_bEUlT_E_NS1_11comp_targetILNS1_3genE5ELNS1_11target_archE942ELNS1_3gpuE9ELNS1_3repE0EEENS1_30default_config_static_selectorELNS0_4arch9wavefront6targetE0EEEvSW_.num_named_barrier, 0
	.set _ZN7rocprim17ROCPRIM_400000_NS6detail17trampoline_kernelINS0_14default_configENS1_29binary_search_config_selectorIiiEEZNS1_14transform_implILb0ES3_S5_N6thrust23THRUST_200600_302600_NS6detail15normal_iteratorINS8_7pointerIiNS8_11hip_rocprim12par_nosync_tENS8_11use_defaultESE_EEEESG_ZNS1_13binary_searchIS3_S5_NSA_INS8_10device_ptrIiEEEESG_SG_NS1_16binary_search_opENS9_16wrapped_functionINS8_6system6detail7generic6detail18binary_search_lessEbEEEE10hipError_tPvRmT1_T2_T3_mmT4_T5_P12ihipStream_tbEUlRKiE_EEST_SX_SY_mSZ_S12_bEUlT_E_NS1_11comp_targetILNS1_3genE5ELNS1_11target_archE942ELNS1_3gpuE9ELNS1_3repE0EEENS1_30default_config_static_selectorELNS0_4arch9wavefront6targetE0EEEvSW_.private_seg_size, 0
	.set _ZN7rocprim17ROCPRIM_400000_NS6detail17trampoline_kernelINS0_14default_configENS1_29binary_search_config_selectorIiiEEZNS1_14transform_implILb0ES3_S5_N6thrust23THRUST_200600_302600_NS6detail15normal_iteratorINS8_7pointerIiNS8_11hip_rocprim12par_nosync_tENS8_11use_defaultESE_EEEESG_ZNS1_13binary_searchIS3_S5_NSA_INS8_10device_ptrIiEEEESG_SG_NS1_16binary_search_opENS9_16wrapped_functionINS8_6system6detail7generic6detail18binary_search_lessEbEEEE10hipError_tPvRmT1_T2_T3_mmT4_T5_P12ihipStream_tbEUlRKiE_EEST_SX_SY_mSZ_S12_bEUlT_E_NS1_11comp_targetILNS1_3genE5ELNS1_11target_archE942ELNS1_3gpuE9ELNS1_3repE0EEENS1_30default_config_static_selectorELNS0_4arch9wavefront6targetE0EEEvSW_.uses_vcc, 0
	.set _ZN7rocprim17ROCPRIM_400000_NS6detail17trampoline_kernelINS0_14default_configENS1_29binary_search_config_selectorIiiEEZNS1_14transform_implILb0ES3_S5_N6thrust23THRUST_200600_302600_NS6detail15normal_iteratorINS8_7pointerIiNS8_11hip_rocprim12par_nosync_tENS8_11use_defaultESE_EEEESG_ZNS1_13binary_searchIS3_S5_NSA_INS8_10device_ptrIiEEEESG_SG_NS1_16binary_search_opENS9_16wrapped_functionINS8_6system6detail7generic6detail18binary_search_lessEbEEEE10hipError_tPvRmT1_T2_T3_mmT4_T5_P12ihipStream_tbEUlRKiE_EEST_SX_SY_mSZ_S12_bEUlT_E_NS1_11comp_targetILNS1_3genE5ELNS1_11target_archE942ELNS1_3gpuE9ELNS1_3repE0EEENS1_30default_config_static_selectorELNS0_4arch9wavefront6targetE0EEEvSW_.uses_flat_scratch, 0
	.set _ZN7rocprim17ROCPRIM_400000_NS6detail17trampoline_kernelINS0_14default_configENS1_29binary_search_config_selectorIiiEEZNS1_14transform_implILb0ES3_S5_N6thrust23THRUST_200600_302600_NS6detail15normal_iteratorINS8_7pointerIiNS8_11hip_rocprim12par_nosync_tENS8_11use_defaultESE_EEEESG_ZNS1_13binary_searchIS3_S5_NSA_INS8_10device_ptrIiEEEESG_SG_NS1_16binary_search_opENS9_16wrapped_functionINS8_6system6detail7generic6detail18binary_search_lessEbEEEE10hipError_tPvRmT1_T2_T3_mmT4_T5_P12ihipStream_tbEUlRKiE_EEST_SX_SY_mSZ_S12_bEUlT_E_NS1_11comp_targetILNS1_3genE5ELNS1_11target_archE942ELNS1_3gpuE9ELNS1_3repE0EEENS1_30default_config_static_selectorELNS0_4arch9wavefront6targetE0EEEvSW_.has_dyn_sized_stack, 0
	.set _ZN7rocprim17ROCPRIM_400000_NS6detail17trampoline_kernelINS0_14default_configENS1_29binary_search_config_selectorIiiEEZNS1_14transform_implILb0ES3_S5_N6thrust23THRUST_200600_302600_NS6detail15normal_iteratorINS8_7pointerIiNS8_11hip_rocprim12par_nosync_tENS8_11use_defaultESE_EEEESG_ZNS1_13binary_searchIS3_S5_NSA_INS8_10device_ptrIiEEEESG_SG_NS1_16binary_search_opENS9_16wrapped_functionINS8_6system6detail7generic6detail18binary_search_lessEbEEEE10hipError_tPvRmT1_T2_T3_mmT4_T5_P12ihipStream_tbEUlRKiE_EEST_SX_SY_mSZ_S12_bEUlT_E_NS1_11comp_targetILNS1_3genE5ELNS1_11target_archE942ELNS1_3gpuE9ELNS1_3repE0EEENS1_30default_config_static_selectorELNS0_4arch9wavefront6targetE0EEEvSW_.has_recursion, 0
	.set _ZN7rocprim17ROCPRIM_400000_NS6detail17trampoline_kernelINS0_14default_configENS1_29binary_search_config_selectorIiiEEZNS1_14transform_implILb0ES3_S5_N6thrust23THRUST_200600_302600_NS6detail15normal_iteratorINS8_7pointerIiNS8_11hip_rocprim12par_nosync_tENS8_11use_defaultESE_EEEESG_ZNS1_13binary_searchIS3_S5_NSA_INS8_10device_ptrIiEEEESG_SG_NS1_16binary_search_opENS9_16wrapped_functionINS8_6system6detail7generic6detail18binary_search_lessEbEEEE10hipError_tPvRmT1_T2_T3_mmT4_T5_P12ihipStream_tbEUlRKiE_EEST_SX_SY_mSZ_S12_bEUlT_E_NS1_11comp_targetILNS1_3genE5ELNS1_11target_archE942ELNS1_3gpuE9ELNS1_3repE0EEENS1_30default_config_static_selectorELNS0_4arch9wavefront6targetE0EEEvSW_.has_indirect_call, 0
	.section	.AMDGPU.csdata,"",@progbits
; Kernel info:
; codeLenInByte = 0
; TotalNumSgprs: 0
; NumVgprs: 0
; ScratchSize: 0
; MemoryBound: 0
; FloatMode: 240
; IeeeMode: 1
; LDSByteSize: 0 bytes/workgroup (compile time only)
; SGPRBlocks: 0
; VGPRBlocks: 0
; NumSGPRsForWavesPerEU: 1
; NumVGPRsForWavesPerEU: 1
; Occupancy: 16
; WaveLimiterHint : 0
; COMPUTE_PGM_RSRC2:SCRATCH_EN: 0
; COMPUTE_PGM_RSRC2:USER_SGPR: 6
; COMPUTE_PGM_RSRC2:TRAP_HANDLER: 0
; COMPUTE_PGM_RSRC2:TGID_X_EN: 1
; COMPUTE_PGM_RSRC2:TGID_Y_EN: 0
; COMPUTE_PGM_RSRC2:TGID_Z_EN: 0
; COMPUTE_PGM_RSRC2:TIDIG_COMP_CNT: 0
	.section	.text._ZN7rocprim17ROCPRIM_400000_NS6detail17trampoline_kernelINS0_14default_configENS1_29binary_search_config_selectorIiiEEZNS1_14transform_implILb0ES3_S5_N6thrust23THRUST_200600_302600_NS6detail15normal_iteratorINS8_7pointerIiNS8_11hip_rocprim12par_nosync_tENS8_11use_defaultESE_EEEESG_ZNS1_13binary_searchIS3_S5_NSA_INS8_10device_ptrIiEEEESG_SG_NS1_16binary_search_opENS9_16wrapped_functionINS8_6system6detail7generic6detail18binary_search_lessEbEEEE10hipError_tPvRmT1_T2_T3_mmT4_T5_P12ihipStream_tbEUlRKiE_EEST_SX_SY_mSZ_S12_bEUlT_E_NS1_11comp_targetILNS1_3genE4ELNS1_11target_archE910ELNS1_3gpuE8ELNS1_3repE0EEENS1_30default_config_static_selectorELNS0_4arch9wavefront6targetE0EEEvSW_,"axG",@progbits,_ZN7rocprim17ROCPRIM_400000_NS6detail17trampoline_kernelINS0_14default_configENS1_29binary_search_config_selectorIiiEEZNS1_14transform_implILb0ES3_S5_N6thrust23THRUST_200600_302600_NS6detail15normal_iteratorINS8_7pointerIiNS8_11hip_rocprim12par_nosync_tENS8_11use_defaultESE_EEEESG_ZNS1_13binary_searchIS3_S5_NSA_INS8_10device_ptrIiEEEESG_SG_NS1_16binary_search_opENS9_16wrapped_functionINS8_6system6detail7generic6detail18binary_search_lessEbEEEE10hipError_tPvRmT1_T2_T3_mmT4_T5_P12ihipStream_tbEUlRKiE_EEST_SX_SY_mSZ_S12_bEUlT_E_NS1_11comp_targetILNS1_3genE4ELNS1_11target_archE910ELNS1_3gpuE8ELNS1_3repE0EEENS1_30default_config_static_selectorELNS0_4arch9wavefront6targetE0EEEvSW_,comdat
	.protected	_ZN7rocprim17ROCPRIM_400000_NS6detail17trampoline_kernelINS0_14default_configENS1_29binary_search_config_selectorIiiEEZNS1_14transform_implILb0ES3_S5_N6thrust23THRUST_200600_302600_NS6detail15normal_iteratorINS8_7pointerIiNS8_11hip_rocprim12par_nosync_tENS8_11use_defaultESE_EEEESG_ZNS1_13binary_searchIS3_S5_NSA_INS8_10device_ptrIiEEEESG_SG_NS1_16binary_search_opENS9_16wrapped_functionINS8_6system6detail7generic6detail18binary_search_lessEbEEEE10hipError_tPvRmT1_T2_T3_mmT4_T5_P12ihipStream_tbEUlRKiE_EEST_SX_SY_mSZ_S12_bEUlT_E_NS1_11comp_targetILNS1_3genE4ELNS1_11target_archE910ELNS1_3gpuE8ELNS1_3repE0EEENS1_30default_config_static_selectorELNS0_4arch9wavefront6targetE0EEEvSW_ ; -- Begin function _ZN7rocprim17ROCPRIM_400000_NS6detail17trampoline_kernelINS0_14default_configENS1_29binary_search_config_selectorIiiEEZNS1_14transform_implILb0ES3_S5_N6thrust23THRUST_200600_302600_NS6detail15normal_iteratorINS8_7pointerIiNS8_11hip_rocprim12par_nosync_tENS8_11use_defaultESE_EEEESG_ZNS1_13binary_searchIS3_S5_NSA_INS8_10device_ptrIiEEEESG_SG_NS1_16binary_search_opENS9_16wrapped_functionINS8_6system6detail7generic6detail18binary_search_lessEbEEEE10hipError_tPvRmT1_T2_T3_mmT4_T5_P12ihipStream_tbEUlRKiE_EEST_SX_SY_mSZ_S12_bEUlT_E_NS1_11comp_targetILNS1_3genE4ELNS1_11target_archE910ELNS1_3gpuE8ELNS1_3repE0EEENS1_30default_config_static_selectorELNS0_4arch9wavefront6targetE0EEEvSW_
	.globl	_ZN7rocprim17ROCPRIM_400000_NS6detail17trampoline_kernelINS0_14default_configENS1_29binary_search_config_selectorIiiEEZNS1_14transform_implILb0ES3_S5_N6thrust23THRUST_200600_302600_NS6detail15normal_iteratorINS8_7pointerIiNS8_11hip_rocprim12par_nosync_tENS8_11use_defaultESE_EEEESG_ZNS1_13binary_searchIS3_S5_NSA_INS8_10device_ptrIiEEEESG_SG_NS1_16binary_search_opENS9_16wrapped_functionINS8_6system6detail7generic6detail18binary_search_lessEbEEEE10hipError_tPvRmT1_T2_T3_mmT4_T5_P12ihipStream_tbEUlRKiE_EEST_SX_SY_mSZ_S12_bEUlT_E_NS1_11comp_targetILNS1_3genE4ELNS1_11target_archE910ELNS1_3gpuE8ELNS1_3repE0EEENS1_30default_config_static_selectorELNS0_4arch9wavefront6targetE0EEEvSW_
	.p2align	8
	.type	_ZN7rocprim17ROCPRIM_400000_NS6detail17trampoline_kernelINS0_14default_configENS1_29binary_search_config_selectorIiiEEZNS1_14transform_implILb0ES3_S5_N6thrust23THRUST_200600_302600_NS6detail15normal_iteratorINS8_7pointerIiNS8_11hip_rocprim12par_nosync_tENS8_11use_defaultESE_EEEESG_ZNS1_13binary_searchIS3_S5_NSA_INS8_10device_ptrIiEEEESG_SG_NS1_16binary_search_opENS9_16wrapped_functionINS8_6system6detail7generic6detail18binary_search_lessEbEEEE10hipError_tPvRmT1_T2_T3_mmT4_T5_P12ihipStream_tbEUlRKiE_EEST_SX_SY_mSZ_S12_bEUlT_E_NS1_11comp_targetILNS1_3genE4ELNS1_11target_archE910ELNS1_3gpuE8ELNS1_3repE0EEENS1_30default_config_static_selectorELNS0_4arch9wavefront6targetE0EEEvSW_,@function
_ZN7rocprim17ROCPRIM_400000_NS6detail17trampoline_kernelINS0_14default_configENS1_29binary_search_config_selectorIiiEEZNS1_14transform_implILb0ES3_S5_N6thrust23THRUST_200600_302600_NS6detail15normal_iteratorINS8_7pointerIiNS8_11hip_rocprim12par_nosync_tENS8_11use_defaultESE_EEEESG_ZNS1_13binary_searchIS3_S5_NSA_INS8_10device_ptrIiEEEESG_SG_NS1_16binary_search_opENS9_16wrapped_functionINS8_6system6detail7generic6detail18binary_search_lessEbEEEE10hipError_tPvRmT1_T2_T3_mmT4_T5_P12ihipStream_tbEUlRKiE_EEST_SX_SY_mSZ_S12_bEUlT_E_NS1_11comp_targetILNS1_3genE4ELNS1_11target_archE910ELNS1_3gpuE8ELNS1_3repE0EEENS1_30default_config_static_selectorELNS0_4arch9wavefront6targetE0EEEvSW_: ; @_ZN7rocprim17ROCPRIM_400000_NS6detail17trampoline_kernelINS0_14default_configENS1_29binary_search_config_selectorIiiEEZNS1_14transform_implILb0ES3_S5_N6thrust23THRUST_200600_302600_NS6detail15normal_iteratorINS8_7pointerIiNS8_11hip_rocprim12par_nosync_tENS8_11use_defaultESE_EEEESG_ZNS1_13binary_searchIS3_S5_NSA_INS8_10device_ptrIiEEEESG_SG_NS1_16binary_search_opENS9_16wrapped_functionINS8_6system6detail7generic6detail18binary_search_lessEbEEEE10hipError_tPvRmT1_T2_T3_mmT4_T5_P12ihipStream_tbEUlRKiE_EEST_SX_SY_mSZ_S12_bEUlT_E_NS1_11comp_targetILNS1_3genE4ELNS1_11target_archE910ELNS1_3gpuE8ELNS1_3repE0EEENS1_30default_config_static_selectorELNS0_4arch9wavefront6targetE0EEEvSW_
; %bb.0:
	.section	.rodata,"a",@progbits
	.p2align	6, 0x0
	.amdhsa_kernel _ZN7rocprim17ROCPRIM_400000_NS6detail17trampoline_kernelINS0_14default_configENS1_29binary_search_config_selectorIiiEEZNS1_14transform_implILb0ES3_S5_N6thrust23THRUST_200600_302600_NS6detail15normal_iteratorINS8_7pointerIiNS8_11hip_rocprim12par_nosync_tENS8_11use_defaultESE_EEEESG_ZNS1_13binary_searchIS3_S5_NSA_INS8_10device_ptrIiEEEESG_SG_NS1_16binary_search_opENS9_16wrapped_functionINS8_6system6detail7generic6detail18binary_search_lessEbEEEE10hipError_tPvRmT1_T2_T3_mmT4_T5_P12ihipStream_tbEUlRKiE_EEST_SX_SY_mSZ_S12_bEUlT_E_NS1_11comp_targetILNS1_3genE4ELNS1_11target_archE910ELNS1_3gpuE8ELNS1_3repE0EEENS1_30default_config_static_selectorELNS0_4arch9wavefront6targetE0EEEvSW_
		.amdhsa_group_segment_fixed_size 0
		.amdhsa_private_segment_fixed_size 0
		.amdhsa_kernarg_size 56
		.amdhsa_user_sgpr_count 6
		.amdhsa_user_sgpr_private_segment_buffer 1
		.amdhsa_user_sgpr_dispatch_ptr 0
		.amdhsa_user_sgpr_queue_ptr 0
		.amdhsa_user_sgpr_kernarg_segment_ptr 1
		.amdhsa_user_sgpr_dispatch_id 0
		.amdhsa_user_sgpr_flat_scratch_init 0
		.amdhsa_user_sgpr_private_segment_size 0
		.amdhsa_wavefront_size32 1
		.amdhsa_uses_dynamic_stack 0
		.amdhsa_system_sgpr_private_segment_wavefront_offset 0
		.amdhsa_system_sgpr_workgroup_id_x 1
		.amdhsa_system_sgpr_workgroup_id_y 0
		.amdhsa_system_sgpr_workgroup_id_z 0
		.amdhsa_system_sgpr_workgroup_info 0
		.amdhsa_system_vgpr_workitem_id 0
		.amdhsa_next_free_vgpr 1
		.amdhsa_next_free_sgpr 1
		.amdhsa_reserve_vcc 0
		.amdhsa_reserve_flat_scratch 0
		.amdhsa_float_round_mode_32 0
		.amdhsa_float_round_mode_16_64 0
		.amdhsa_float_denorm_mode_32 3
		.amdhsa_float_denorm_mode_16_64 3
		.amdhsa_dx10_clamp 1
		.amdhsa_ieee_mode 1
		.amdhsa_fp16_overflow 0
		.amdhsa_workgroup_processor_mode 1
		.amdhsa_memory_ordered 1
		.amdhsa_forward_progress 1
		.amdhsa_shared_vgpr_count 0
		.amdhsa_exception_fp_ieee_invalid_op 0
		.amdhsa_exception_fp_denorm_src 0
		.amdhsa_exception_fp_ieee_div_zero 0
		.amdhsa_exception_fp_ieee_overflow 0
		.amdhsa_exception_fp_ieee_underflow 0
		.amdhsa_exception_fp_ieee_inexact 0
		.amdhsa_exception_int_div_zero 0
	.end_amdhsa_kernel
	.section	.text._ZN7rocprim17ROCPRIM_400000_NS6detail17trampoline_kernelINS0_14default_configENS1_29binary_search_config_selectorIiiEEZNS1_14transform_implILb0ES3_S5_N6thrust23THRUST_200600_302600_NS6detail15normal_iteratorINS8_7pointerIiNS8_11hip_rocprim12par_nosync_tENS8_11use_defaultESE_EEEESG_ZNS1_13binary_searchIS3_S5_NSA_INS8_10device_ptrIiEEEESG_SG_NS1_16binary_search_opENS9_16wrapped_functionINS8_6system6detail7generic6detail18binary_search_lessEbEEEE10hipError_tPvRmT1_T2_T3_mmT4_T5_P12ihipStream_tbEUlRKiE_EEST_SX_SY_mSZ_S12_bEUlT_E_NS1_11comp_targetILNS1_3genE4ELNS1_11target_archE910ELNS1_3gpuE8ELNS1_3repE0EEENS1_30default_config_static_selectorELNS0_4arch9wavefront6targetE0EEEvSW_,"axG",@progbits,_ZN7rocprim17ROCPRIM_400000_NS6detail17trampoline_kernelINS0_14default_configENS1_29binary_search_config_selectorIiiEEZNS1_14transform_implILb0ES3_S5_N6thrust23THRUST_200600_302600_NS6detail15normal_iteratorINS8_7pointerIiNS8_11hip_rocprim12par_nosync_tENS8_11use_defaultESE_EEEESG_ZNS1_13binary_searchIS3_S5_NSA_INS8_10device_ptrIiEEEESG_SG_NS1_16binary_search_opENS9_16wrapped_functionINS8_6system6detail7generic6detail18binary_search_lessEbEEEE10hipError_tPvRmT1_T2_T3_mmT4_T5_P12ihipStream_tbEUlRKiE_EEST_SX_SY_mSZ_S12_bEUlT_E_NS1_11comp_targetILNS1_3genE4ELNS1_11target_archE910ELNS1_3gpuE8ELNS1_3repE0EEENS1_30default_config_static_selectorELNS0_4arch9wavefront6targetE0EEEvSW_,comdat
.Lfunc_end700:
	.size	_ZN7rocprim17ROCPRIM_400000_NS6detail17trampoline_kernelINS0_14default_configENS1_29binary_search_config_selectorIiiEEZNS1_14transform_implILb0ES3_S5_N6thrust23THRUST_200600_302600_NS6detail15normal_iteratorINS8_7pointerIiNS8_11hip_rocprim12par_nosync_tENS8_11use_defaultESE_EEEESG_ZNS1_13binary_searchIS3_S5_NSA_INS8_10device_ptrIiEEEESG_SG_NS1_16binary_search_opENS9_16wrapped_functionINS8_6system6detail7generic6detail18binary_search_lessEbEEEE10hipError_tPvRmT1_T2_T3_mmT4_T5_P12ihipStream_tbEUlRKiE_EEST_SX_SY_mSZ_S12_bEUlT_E_NS1_11comp_targetILNS1_3genE4ELNS1_11target_archE910ELNS1_3gpuE8ELNS1_3repE0EEENS1_30default_config_static_selectorELNS0_4arch9wavefront6targetE0EEEvSW_, .Lfunc_end700-_ZN7rocprim17ROCPRIM_400000_NS6detail17trampoline_kernelINS0_14default_configENS1_29binary_search_config_selectorIiiEEZNS1_14transform_implILb0ES3_S5_N6thrust23THRUST_200600_302600_NS6detail15normal_iteratorINS8_7pointerIiNS8_11hip_rocprim12par_nosync_tENS8_11use_defaultESE_EEEESG_ZNS1_13binary_searchIS3_S5_NSA_INS8_10device_ptrIiEEEESG_SG_NS1_16binary_search_opENS9_16wrapped_functionINS8_6system6detail7generic6detail18binary_search_lessEbEEEE10hipError_tPvRmT1_T2_T3_mmT4_T5_P12ihipStream_tbEUlRKiE_EEST_SX_SY_mSZ_S12_bEUlT_E_NS1_11comp_targetILNS1_3genE4ELNS1_11target_archE910ELNS1_3gpuE8ELNS1_3repE0EEENS1_30default_config_static_selectorELNS0_4arch9wavefront6targetE0EEEvSW_
                                        ; -- End function
	.set _ZN7rocprim17ROCPRIM_400000_NS6detail17trampoline_kernelINS0_14default_configENS1_29binary_search_config_selectorIiiEEZNS1_14transform_implILb0ES3_S5_N6thrust23THRUST_200600_302600_NS6detail15normal_iteratorINS8_7pointerIiNS8_11hip_rocprim12par_nosync_tENS8_11use_defaultESE_EEEESG_ZNS1_13binary_searchIS3_S5_NSA_INS8_10device_ptrIiEEEESG_SG_NS1_16binary_search_opENS9_16wrapped_functionINS8_6system6detail7generic6detail18binary_search_lessEbEEEE10hipError_tPvRmT1_T2_T3_mmT4_T5_P12ihipStream_tbEUlRKiE_EEST_SX_SY_mSZ_S12_bEUlT_E_NS1_11comp_targetILNS1_3genE4ELNS1_11target_archE910ELNS1_3gpuE8ELNS1_3repE0EEENS1_30default_config_static_selectorELNS0_4arch9wavefront6targetE0EEEvSW_.num_vgpr, 0
	.set _ZN7rocprim17ROCPRIM_400000_NS6detail17trampoline_kernelINS0_14default_configENS1_29binary_search_config_selectorIiiEEZNS1_14transform_implILb0ES3_S5_N6thrust23THRUST_200600_302600_NS6detail15normal_iteratorINS8_7pointerIiNS8_11hip_rocprim12par_nosync_tENS8_11use_defaultESE_EEEESG_ZNS1_13binary_searchIS3_S5_NSA_INS8_10device_ptrIiEEEESG_SG_NS1_16binary_search_opENS9_16wrapped_functionINS8_6system6detail7generic6detail18binary_search_lessEbEEEE10hipError_tPvRmT1_T2_T3_mmT4_T5_P12ihipStream_tbEUlRKiE_EEST_SX_SY_mSZ_S12_bEUlT_E_NS1_11comp_targetILNS1_3genE4ELNS1_11target_archE910ELNS1_3gpuE8ELNS1_3repE0EEENS1_30default_config_static_selectorELNS0_4arch9wavefront6targetE0EEEvSW_.num_agpr, 0
	.set _ZN7rocprim17ROCPRIM_400000_NS6detail17trampoline_kernelINS0_14default_configENS1_29binary_search_config_selectorIiiEEZNS1_14transform_implILb0ES3_S5_N6thrust23THRUST_200600_302600_NS6detail15normal_iteratorINS8_7pointerIiNS8_11hip_rocprim12par_nosync_tENS8_11use_defaultESE_EEEESG_ZNS1_13binary_searchIS3_S5_NSA_INS8_10device_ptrIiEEEESG_SG_NS1_16binary_search_opENS9_16wrapped_functionINS8_6system6detail7generic6detail18binary_search_lessEbEEEE10hipError_tPvRmT1_T2_T3_mmT4_T5_P12ihipStream_tbEUlRKiE_EEST_SX_SY_mSZ_S12_bEUlT_E_NS1_11comp_targetILNS1_3genE4ELNS1_11target_archE910ELNS1_3gpuE8ELNS1_3repE0EEENS1_30default_config_static_selectorELNS0_4arch9wavefront6targetE0EEEvSW_.numbered_sgpr, 0
	.set _ZN7rocprim17ROCPRIM_400000_NS6detail17trampoline_kernelINS0_14default_configENS1_29binary_search_config_selectorIiiEEZNS1_14transform_implILb0ES3_S5_N6thrust23THRUST_200600_302600_NS6detail15normal_iteratorINS8_7pointerIiNS8_11hip_rocprim12par_nosync_tENS8_11use_defaultESE_EEEESG_ZNS1_13binary_searchIS3_S5_NSA_INS8_10device_ptrIiEEEESG_SG_NS1_16binary_search_opENS9_16wrapped_functionINS8_6system6detail7generic6detail18binary_search_lessEbEEEE10hipError_tPvRmT1_T2_T3_mmT4_T5_P12ihipStream_tbEUlRKiE_EEST_SX_SY_mSZ_S12_bEUlT_E_NS1_11comp_targetILNS1_3genE4ELNS1_11target_archE910ELNS1_3gpuE8ELNS1_3repE0EEENS1_30default_config_static_selectorELNS0_4arch9wavefront6targetE0EEEvSW_.num_named_barrier, 0
	.set _ZN7rocprim17ROCPRIM_400000_NS6detail17trampoline_kernelINS0_14default_configENS1_29binary_search_config_selectorIiiEEZNS1_14transform_implILb0ES3_S5_N6thrust23THRUST_200600_302600_NS6detail15normal_iteratorINS8_7pointerIiNS8_11hip_rocprim12par_nosync_tENS8_11use_defaultESE_EEEESG_ZNS1_13binary_searchIS3_S5_NSA_INS8_10device_ptrIiEEEESG_SG_NS1_16binary_search_opENS9_16wrapped_functionINS8_6system6detail7generic6detail18binary_search_lessEbEEEE10hipError_tPvRmT1_T2_T3_mmT4_T5_P12ihipStream_tbEUlRKiE_EEST_SX_SY_mSZ_S12_bEUlT_E_NS1_11comp_targetILNS1_3genE4ELNS1_11target_archE910ELNS1_3gpuE8ELNS1_3repE0EEENS1_30default_config_static_selectorELNS0_4arch9wavefront6targetE0EEEvSW_.private_seg_size, 0
	.set _ZN7rocprim17ROCPRIM_400000_NS6detail17trampoline_kernelINS0_14default_configENS1_29binary_search_config_selectorIiiEEZNS1_14transform_implILb0ES3_S5_N6thrust23THRUST_200600_302600_NS6detail15normal_iteratorINS8_7pointerIiNS8_11hip_rocprim12par_nosync_tENS8_11use_defaultESE_EEEESG_ZNS1_13binary_searchIS3_S5_NSA_INS8_10device_ptrIiEEEESG_SG_NS1_16binary_search_opENS9_16wrapped_functionINS8_6system6detail7generic6detail18binary_search_lessEbEEEE10hipError_tPvRmT1_T2_T3_mmT4_T5_P12ihipStream_tbEUlRKiE_EEST_SX_SY_mSZ_S12_bEUlT_E_NS1_11comp_targetILNS1_3genE4ELNS1_11target_archE910ELNS1_3gpuE8ELNS1_3repE0EEENS1_30default_config_static_selectorELNS0_4arch9wavefront6targetE0EEEvSW_.uses_vcc, 0
	.set _ZN7rocprim17ROCPRIM_400000_NS6detail17trampoline_kernelINS0_14default_configENS1_29binary_search_config_selectorIiiEEZNS1_14transform_implILb0ES3_S5_N6thrust23THRUST_200600_302600_NS6detail15normal_iteratorINS8_7pointerIiNS8_11hip_rocprim12par_nosync_tENS8_11use_defaultESE_EEEESG_ZNS1_13binary_searchIS3_S5_NSA_INS8_10device_ptrIiEEEESG_SG_NS1_16binary_search_opENS9_16wrapped_functionINS8_6system6detail7generic6detail18binary_search_lessEbEEEE10hipError_tPvRmT1_T2_T3_mmT4_T5_P12ihipStream_tbEUlRKiE_EEST_SX_SY_mSZ_S12_bEUlT_E_NS1_11comp_targetILNS1_3genE4ELNS1_11target_archE910ELNS1_3gpuE8ELNS1_3repE0EEENS1_30default_config_static_selectorELNS0_4arch9wavefront6targetE0EEEvSW_.uses_flat_scratch, 0
	.set _ZN7rocprim17ROCPRIM_400000_NS6detail17trampoline_kernelINS0_14default_configENS1_29binary_search_config_selectorIiiEEZNS1_14transform_implILb0ES3_S5_N6thrust23THRUST_200600_302600_NS6detail15normal_iteratorINS8_7pointerIiNS8_11hip_rocprim12par_nosync_tENS8_11use_defaultESE_EEEESG_ZNS1_13binary_searchIS3_S5_NSA_INS8_10device_ptrIiEEEESG_SG_NS1_16binary_search_opENS9_16wrapped_functionINS8_6system6detail7generic6detail18binary_search_lessEbEEEE10hipError_tPvRmT1_T2_T3_mmT4_T5_P12ihipStream_tbEUlRKiE_EEST_SX_SY_mSZ_S12_bEUlT_E_NS1_11comp_targetILNS1_3genE4ELNS1_11target_archE910ELNS1_3gpuE8ELNS1_3repE0EEENS1_30default_config_static_selectorELNS0_4arch9wavefront6targetE0EEEvSW_.has_dyn_sized_stack, 0
	.set _ZN7rocprim17ROCPRIM_400000_NS6detail17trampoline_kernelINS0_14default_configENS1_29binary_search_config_selectorIiiEEZNS1_14transform_implILb0ES3_S5_N6thrust23THRUST_200600_302600_NS6detail15normal_iteratorINS8_7pointerIiNS8_11hip_rocprim12par_nosync_tENS8_11use_defaultESE_EEEESG_ZNS1_13binary_searchIS3_S5_NSA_INS8_10device_ptrIiEEEESG_SG_NS1_16binary_search_opENS9_16wrapped_functionINS8_6system6detail7generic6detail18binary_search_lessEbEEEE10hipError_tPvRmT1_T2_T3_mmT4_T5_P12ihipStream_tbEUlRKiE_EEST_SX_SY_mSZ_S12_bEUlT_E_NS1_11comp_targetILNS1_3genE4ELNS1_11target_archE910ELNS1_3gpuE8ELNS1_3repE0EEENS1_30default_config_static_selectorELNS0_4arch9wavefront6targetE0EEEvSW_.has_recursion, 0
	.set _ZN7rocprim17ROCPRIM_400000_NS6detail17trampoline_kernelINS0_14default_configENS1_29binary_search_config_selectorIiiEEZNS1_14transform_implILb0ES3_S5_N6thrust23THRUST_200600_302600_NS6detail15normal_iteratorINS8_7pointerIiNS8_11hip_rocprim12par_nosync_tENS8_11use_defaultESE_EEEESG_ZNS1_13binary_searchIS3_S5_NSA_INS8_10device_ptrIiEEEESG_SG_NS1_16binary_search_opENS9_16wrapped_functionINS8_6system6detail7generic6detail18binary_search_lessEbEEEE10hipError_tPvRmT1_T2_T3_mmT4_T5_P12ihipStream_tbEUlRKiE_EEST_SX_SY_mSZ_S12_bEUlT_E_NS1_11comp_targetILNS1_3genE4ELNS1_11target_archE910ELNS1_3gpuE8ELNS1_3repE0EEENS1_30default_config_static_selectorELNS0_4arch9wavefront6targetE0EEEvSW_.has_indirect_call, 0
	.section	.AMDGPU.csdata,"",@progbits
; Kernel info:
; codeLenInByte = 0
; TotalNumSgprs: 0
; NumVgprs: 0
; ScratchSize: 0
; MemoryBound: 0
; FloatMode: 240
; IeeeMode: 1
; LDSByteSize: 0 bytes/workgroup (compile time only)
; SGPRBlocks: 0
; VGPRBlocks: 0
; NumSGPRsForWavesPerEU: 1
; NumVGPRsForWavesPerEU: 1
; Occupancy: 16
; WaveLimiterHint : 0
; COMPUTE_PGM_RSRC2:SCRATCH_EN: 0
; COMPUTE_PGM_RSRC2:USER_SGPR: 6
; COMPUTE_PGM_RSRC2:TRAP_HANDLER: 0
; COMPUTE_PGM_RSRC2:TGID_X_EN: 1
; COMPUTE_PGM_RSRC2:TGID_Y_EN: 0
; COMPUTE_PGM_RSRC2:TGID_Z_EN: 0
; COMPUTE_PGM_RSRC2:TIDIG_COMP_CNT: 0
	.section	.text._ZN7rocprim17ROCPRIM_400000_NS6detail17trampoline_kernelINS0_14default_configENS1_29binary_search_config_selectorIiiEEZNS1_14transform_implILb0ES3_S5_N6thrust23THRUST_200600_302600_NS6detail15normal_iteratorINS8_7pointerIiNS8_11hip_rocprim12par_nosync_tENS8_11use_defaultESE_EEEESG_ZNS1_13binary_searchIS3_S5_NSA_INS8_10device_ptrIiEEEESG_SG_NS1_16binary_search_opENS9_16wrapped_functionINS8_6system6detail7generic6detail18binary_search_lessEbEEEE10hipError_tPvRmT1_T2_T3_mmT4_T5_P12ihipStream_tbEUlRKiE_EEST_SX_SY_mSZ_S12_bEUlT_E_NS1_11comp_targetILNS1_3genE3ELNS1_11target_archE908ELNS1_3gpuE7ELNS1_3repE0EEENS1_30default_config_static_selectorELNS0_4arch9wavefront6targetE0EEEvSW_,"axG",@progbits,_ZN7rocprim17ROCPRIM_400000_NS6detail17trampoline_kernelINS0_14default_configENS1_29binary_search_config_selectorIiiEEZNS1_14transform_implILb0ES3_S5_N6thrust23THRUST_200600_302600_NS6detail15normal_iteratorINS8_7pointerIiNS8_11hip_rocprim12par_nosync_tENS8_11use_defaultESE_EEEESG_ZNS1_13binary_searchIS3_S5_NSA_INS8_10device_ptrIiEEEESG_SG_NS1_16binary_search_opENS9_16wrapped_functionINS8_6system6detail7generic6detail18binary_search_lessEbEEEE10hipError_tPvRmT1_T2_T3_mmT4_T5_P12ihipStream_tbEUlRKiE_EEST_SX_SY_mSZ_S12_bEUlT_E_NS1_11comp_targetILNS1_3genE3ELNS1_11target_archE908ELNS1_3gpuE7ELNS1_3repE0EEENS1_30default_config_static_selectorELNS0_4arch9wavefront6targetE0EEEvSW_,comdat
	.protected	_ZN7rocprim17ROCPRIM_400000_NS6detail17trampoline_kernelINS0_14default_configENS1_29binary_search_config_selectorIiiEEZNS1_14transform_implILb0ES3_S5_N6thrust23THRUST_200600_302600_NS6detail15normal_iteratorINS8_7pointerIiNS8_11hip_rocprim12par_nosync_tENS8_11use_defaultESE_EEEESG_ZNS1_13binary_searchIS3_S5_NSA_INS8_10device_ptrIiEEEESG_SG_NS1_16binary_search_opENS9_16wrapped_functionINS8_6system6detail7generic6detail18binary_search_lessEbEEEE10hipError_tPvRmT1_T2_T3_mmT4_T5_P12ihipStream_tbEUlRKiE_EEST_SX_SY_mSZ_S12_bEUlT_E_NS1_11comp_targetILNS1_3genE3ELNS1_11target_archE908ELNS1_3gpuE7ELNS1_3repE0EEENS1_30default_config_static_selectorELNS0_4arch9wavefront6targetE0EEEvSW_ ; -- Begin function _ZN7rocprim17ROCPRIM_400000_NS6detail17trampoline_kernelINS0_14default_configENS1_29binary_search_config_selectorIiiEEZNS1_14transform_implILb0ES3_S5_N6thrust23THRUST_200600_302600_NS6detail15normal_iteratorINS8_7pointerIiNS8_11hip_rocprim12par_nosync_tENS8_11use_defaultESE_EEEESG_ZNS1_13binary_searchIS3_S5_NSA_INS8_10device_ptrIiEEEESG_SG_NS1_16binary_search_opENS9_16wrapped_functionINS8_6system6detail7generic6detail18binary_search_lessEbEEEE10hipError_tPvRmT1_T2_T3_mmT4_T5_P12ihipStream_tbEUlRKiE_EEST_SX_SY_mSZ_S12_bEUlT_E_NS1_11comp_targetILNS1_3genE3ELNS1_11target_archE908ELNS1_3gpuE7ELNS1_3repE0EEENS1_30default_config_static_selectorELNS0_4arch9wavefront6targetE0EEEvSW_
	.globl	_ZN7rocprim17ROCPRIM_400000_NS6detail17trampoline_kernelINS0_14default_configENS1_29binary_search_config_selectorIiiEEZNS1_14transform_implILb0ES3_S5_N6thrust23THRUST_200600_302600_NS6detail15normal_iteratorINS8_7pointerIiNS8_11hip_rocprim12par_nosync_tENS8_11use_defaultESE_EEEESG_ZNS1_13binary_searchIS3_S5_NSA_INS8_10device_ptrIiEEEESG_SG_NS1_16binary_search_opENS9_16wrapped_functionINS8_6system6detail7generic6detail18binary_search_lessEbEEEE10hipError_tPvRmT1_T2_T3_mmT4_T5_P12ihipStream_tbEUlRKiE_EEST_SX_SY_mSZ_S12_bEUlT_E_NS1_11comp_targetILNS1_3genE3ELNS1_11target_archE908ELNS1_3gpuE7ELNS1_3repE0EEENS1_30default_config_static_selectorELNS0_4arch9wavefront6targetE0EEEvSW_
	.p2align	8
	.type	_ZN7rocprim17ROCPRIM_400000_NS6detail17trampoline_kernelINS0_14default_configENS1_29binary_search_config_selectorIiiEEZNS1_14transform_implILb0ES3_S5_N6thrust23THRUST_200600_302600_NS6detail15normal_iteratorINS8_7pointerIiNS8_11hip_rocprim12par_nosync_tENS8_11use_defaultESE_EEEESG_ZNS1_13binary_searchIS3_S5_NSA_INS8_10device_ptrIiEEEESG_SG_NS1_16binary_search_opENS9_16wrapped_functionINS8_6system6detail7generic6detail18binary_search_lessEbEEEE10hipError_tPvRmT1_T2_T3_mmT4_T5_P12ihipStream_tbEUlRKiE_EEST_SX_SY_mSZ_S12_bEUlT_E_NS1_11comp_targetILNS1_3genE3ELNS1_11target_archE908ELNS1_3gpuE7ELNS1_3repE0EEENS1_30default_config_static_selectorELNS0_4arch9wavefront6targetE0EEEvSW_,@function
_ZN7rocprim17ROCPRIM_400000_NS6detail17trampoline_kernelINS0_14default_configENS1_29binary_search_config_selectorIiiEEZNS1_14transform_implILb0ES3_S5_N6thrust23THRUST_200600_302600_NS6detail15normal_iteratorINS8_7pointerIiNS8_11hip_rocprim12par_nosync_tENS8_11use_defaultESE_EEEESG_ZNS1_13binary_searchIS3_S5_NSA_INS8_10device_ptrIiEEEESG_SG_NS1_16binary_search_opENS9_16wrapped_functionINS8_6system6detail7generic6detail18binary_search_lessEbEEEE10hipError_tPvRmT1_T2_T3_mmT4_T5_P12ihipStream_tbEUlRKiE_EEST_SX_SY_mSZ_S12_bEUlT_E_NS1_11comp_targetILNS1_3genE3ELNS1_11target_archE908ELNS1_3gpuE7ELNS1_3repE0EEENS1_30default_config_static_selectorELNS0_4arch9wavefront6targetE0EEEvSW_: ; @_ZN7rocprim17ROCPRIM_400000_NS6detail17trampoline_kernelINS0_14default_configENS1_29binary_search_config_selectorIiiEEZNS1_14transform_implILb0ES3_S5_N6thrust23THRUST_200600_302600_NS6detail15normal_iteratorINS8_7pointerIiNS8_11hip_rocprim12par_nosync_tENS8_11use_defaultESE_EEEESG_ZNS1_13binary_searchIS3_S5_NSA_INS8_10device_ptrIiEEEESG_SG_NS1_16binary_search_opENS9_16wrapped_functionINS8_6system6detail7generic6detail18binary_search_lessEbEEEE10hipError_tPvRmT1_T2_T3_mmT4_T5_P12ihipStream_tbEUlRKiE_EEST_SX_SY_mSZ_S12_bEUlT_E_NS1_11comp_targetILNS1_3genE3ELNS1_11target_archE908ELNS1_3gpuE7ELNS1_3repE0EEENS1_30default_config_static_selectorELNS0_4arch9wavefront6targetE0EEEvSW_
; %bb.0:
	.section	.rodata,"a",@progbits
	.p2align	6, 0x0
	.amdhsa_kernel _ZN7rocprim17ROCPRIM_400000_NS6detail17trampoline_kernelINS0_14default_configENS1_29binary_search_config_selectorIiiEEZNS1_14transform_implILb0ES3_S5_N6thrust23THRUST_200600_302600_NS6detail15normal_iteratorINS8_7pointerIiNS8_11hip_rocprim12par_nosync_tENS8_11use_defaultESE_EEEESG_ZNS1_13binary_searchIS3_S5_NSA_INS8_10device_ptrIiEEEESG_SG_NS1_16binary_search_opENS9_16wrapped_functionINS8_6system6detail7generic6detail18binary_search_lessEbEEEE10hipError_tPvRmT1_T2_T3_mmT4_T5_P12ihipStream_tbEUlRKiE_EEST_SX_SY_mSZ_S12_bEUlT_E_NS1_11comp_targetILNS1_3genE3ELNS1_11target_archE908ELNS1_3gpuE7ELNS1_3repE0EEENS1_30default_config_static_selectorELNS0_4arch9wavefront6targetE0EEEvSW_
		.amdhsa_group_segment_fixed_size 0
		.amdhsa_private_segment_fixed_size 0
		.amdhsa_kernarg_size 56
		.amdhsa_user_sgpr_count 6
		.amdhsa_user_sgpr_private_segment_buffer 1
		.amdhsa_user_sgpr_dispatch_ptr 0
		.amdhsa_user_sgpr_queue_ptr 0
		.amdhsa_user_sgpr_kernarg_segment_ptr 1
		.amdhsa_user_sgpr_dispatch_id 0
		.amdhsa_user_sgpr_flat_scratch_init 0
		.amdhsa_user_sgpr_private_segment_size 0
		.amdhsa_wavefront_size32 1
		.amdhsa_uses_dynamic_stack 0
		.amdhsa_system_sgpr_private_segment_wavefront_offset 0
		.amdhsa_system_sgpr_workgroup_id_x 1
		.amdhsa_system_sgpr_workgroup_id_y 0
		.amdhsa_system_sgpr_workgroup_id_z 0
		.amdhsa_system_sgpr_workgroup_info 0
		.amdhsa_system_vgpr_workitem_id 0
		.amdhsa_next_free_vgpr 1
		.amdhsa_next_free_sgpr 1
		.amdhsa_reserve_vcc 0
		.amdhsa_reserve_flat_scratch 0
		.amdhsa_float_round_mode_32 0
		.amdhsa_float_round_mode_16_64 0
		.amdhsa_float_denorm_mode_32 3
		.amdhsa_float_denorm_mode_16_64 3
		.amdhsa_dx10_clamp 1
		.amdhsa_ieee_mode 1
		.amdhsa_fp16_overflow 0
		.amdhsa_workgroup_processor_mode 1
		.amdhsa_memory_ordered 1
		.amdhsa_forward_progress 1
		.amdhsa_shared_vgpr_count 0
		.amdhsa_exception_fp_ieee_invalid_op 0
		.amdhsa_exception_fp_denorm_src 0
		.amdhsa_exception_fp_ieee_div_zero 0
		.amdhsa_exception_fp_ieee_overflow 0
		.amdhsa_exception_fp_ieee_underflow 0
		.amdhsa_exception_fp_ieee_inexact 0
		.amdhsa_exception_int_div_zero 0
	.end_amdhsa_kernel
	.section	.text._ZN7rocprim17ROCPRIM_400000_NS6detail17trampoline_kernelINS0_14default_configENS1_29binary_search_config_selectorIiiEEZNS1_14transform_implILb0ES3_S5_N6thrust23THRUST_200600_302600_NS6detail15normal_iteratorINS8_7pointerIiNS8_11hip_rocprim12par_nosync_tENS8_11use_defaultESE_EEEESG_ZNS1_13binary_searchIS3_S5_NSA_INS8_10device_ptrIiEEEESG_SG_NS1_16binary_search_opENS9_16wrapped_functionINS8_6system6detail7generic6detail18binary_search_lessEbEEEE10hipError_tPvRmT1_T2_T3_mmT4_T5_P12ihipStream_tbEUlRKiE_EEST_SX_SY_mSZ_S12_bEUlT_E_NS1_11comp_targetILNS1_3genE3ELNS1_11target_archE908ELNS1_3gpuE7ELNS1_3repE0EEENS1_30default_config_static_selectorELNS0_4arch9wavefront6targetE0EEEvSW_,"axG",@progbits,_ZN7rocprim17ROCPRIM_400000_NS6detail17trampoline_kernelINS0_14default_configENS1_29binary_search_config_selectorIiiEEZNS1_14transform_implILb0ES3_S5_N6thrust23THRUST_200600_302600_NS6detail15normal_iteratorINS8_7pointerIiNS8_11hip_rocprim12par_nosync_tENS8_11use_defaultESE_EEEESG_ZNS1_13binary_searchIS3_S5_NSA_INS8_10device_ptrIiEEEESG_SG_NS1_16binary_search_opENS9_16wrapped_functionINS8_6system6detail7generic6detail18binary_search_lessEbEEEE10hipError_tPvRmT1_T2_T3_mmT4_T5_P12ihipStream_tbEUlRKiE_EEST_SX_SY_mSZ_S12_bEUlT_E_NS1_11comp_targetILNS1_3genE3ELNS1_11target_archE908ELNS1_3gpuE7ELNS1_3repE0EEENS1_30default_config_static_selectorELNS0_4arch9wavefront6targetE0EEEvSW_,comdat
.Lfunc_end701:
	.size	_ZN7rocprim17ROCPRIM_400000_NS6detail17trampoline_kernelINS0_14default_configENS1_29binary_search_config_selectorIiiEEZNS1_14transform_implILb0ES3_S5_N6thrust23THRUST_200600_302600_NS6detail15normal_iteratorINS8_7pointerIiNS8_11hip_rocprim12par_nosync_tENS8_11use_defaultESE_EEEESG_ZNS1_13binary_searchIS3_S5_NSA_INS8_10device_ptrIiEEEESG_SG_NS1_16binary_search_opENS9_16wrapped_functionINS8_6system6detail7generic6detail18binary_search_lessEbEEEE10hipError_tPvRmT1_T2_T3_mmT4_T5_P12ihipStream_tbEUlRKiE_EEST_SX_SY_mSZ_S12_bEUlT_E_NS1_11comp_targetILNS1_3genE3ELNS1_11target_archE908ELNS1_3gpuE7ELNS1_3repE0EEENS1_30default_config_static_selectorELNS0_4arch9wavefront6targetE0EEEvSW_, .Lfunc_end701-_ZN7rocprim17ROCPRIM_400000_NS6detail17trampoline_kernelINS0_14default_configENS1_29binary_search_config_selectorIiiEEZNS1_14transform_implILb0ES3_S5_N6thrust23THRUST_200600_302600_NS6detail15normal_iteratorINS8_7pointerIiNS8_11hip_rocprim12par_nosync_tENS8_11use_defaultESE_EEEESG_ZNS1_13binary_searchIS3_S5_NSA_INS8_10device_ptrIiEEEESG_SG_NS1_16binary_search_opENS9_16wrapped_functionINS8_6system6detail7generic6detail18binary_search_lessEbEEEE10hipError_tPvRmT1_T2_T3_mmT4_T5_P12ihipStream_tbEUlRKiE_EEST_SX_SY_mSZ_S12_bEUlT_E_NS1_11comp_targetILNS1_3genE3ELNS1_11target_archE908ELNS1_3gpuE7ELNS1_3repE0EEENS1_30default_config_static_selectorELNS0_4arch9wavefront6targetE0EEEvSW_
                                        ; -- End function
	.set _ZN7rocprim17ROCPRIM_400000_NS6detail17trampoline_kernelINS0_14default_configENS1_29binary_search_config_selectorIiiEEZNS1_14transform_implILb0ES3_S5_N6thrust23THRUST_200600_302600_NS6detail15normal_iteratorINS8_7pointerIiNS8_11hip_rocprim12par_nosync_tENS8_11use_defaultESE_EEEESG_ZNS1_13binary_searchIS3_S5_NSA_INS8_10device_ptrIiEEEESG_SG_NS1_16binary_search_opENS9_16wrapped_functionINS8_6system6detail7generic6detail18binary_search_lessEbEEEE10hipError_tPvRmT1_T2_T3_mmT4_T5_P12ihipStream_tbEUlRKiE_EEST_SX_SY_mSZ_S12_bEUlT_E_NS1_11comp_targetILNS1_3genE3ELNS1_11target_archE908ELNS1_3gpuE7ELNS1_3repE0EEENS1_30default_config_static_selectorELNS0_4arch9wavefront6targetE0EEEvSW_.num_vgpr, 0
	.set _ZN7rocprim17ROCPRIM_400000_NS6detail17trampoline_kernelINS0_14default_configENS1_29binary_search_config_selectorIiiEEZNS1_14transform_implILb0ES3_S5_N6thrust23THRUST_200600_302600_NS6detail15normal_iteratorINS8_7pointerIiNS8_11hip_rocprim12par_nosync_tENS8_11use_defaultESE_EEEESG_ZNS1_13binary_searchIS3_S5_NSA_INS8_10device_ptrIiEEEESG_SG_NS1_16binary_search_opENS9_16wrapped_functionINS8_6system6detail7generic6detail18binary_search_lessEbEEEE10hipError_tPvRmT1_T2_T3_mmT4_T5_P12ihipStream_tbEUlRKiE_EEST_SX_SY_mSZ_S12_bEUlT_E_NS1_11comp_targetILNS1_3genE3ELNS1_11target_archE908ELNS1_3gpuE7ELNS1_3repE0EEENS1_30default_config_static_selectorELNS0_4arch9wavefront6targetE0EEEvSW_.num_agpr, 0
	.set _ZN7rocprim17ROCPRIM_400000_NS6detail17trampoline_kernelINS0_14default_configENS1_29binary_search_config_selectorIiiEEZNS1_14transform_implILb0ES3_S5_N6thrust23THRUST_200600_302600_NS6detail15normal_iteratorINS8_7pointerIiNS8_11hip_rocprim12par_nosync_tENS8_11use_defaultESE_EEEESG_ZNS1_13binary_searchIS3_S5_NSA_INS8_10device_ptrIiEEEESG_SG_NS1_16binary_search_opENS9_16wrapped_functionINS8_6system6detail7generic6detail18binary_search_lessEbEEEE10hipError_tPvRmT1_T2_T3_mmT4_T5_P12ihipStream_tbEUlRKiE_EEST_SX_SY_mSZ_S12_bEUlT_E_NS1_11comp_targetILNS1_3genE3ELNS1_11target_archE908ELNS1_3gpuE7ELNS1_3repE0EEENS1_30default_config_static_selectorELNS0_4arch9wavefront6targetE0EEEvSW_.numbered_sgpr, 0
	.set _ZN7rocprim17ROCPRIM_400000_NS6detail17trampoline_kernelINS0_14default_configENS1_29binary_search_config_selectorIiiEEZNS1_14transform_implILb0ES3_S5_N6thrust23THRUST_200600_302600_NS6detail15normal_iteratorINS8_7pointerIiNS8_11hip_rocprim12par_nosync_tENS8_11use_defaultESE_EEEESG_ZNS1_13binary_searchIS3_S5_NSA_INS8_10device_ptrIiEEEESG_SG_NS1_16binary_search_opENS9_16wrapped_functionINS8_6system6detail7generic6detail18binary_search_lessEbEEEE10hipError_tPvRmT1_T2_T3_mmT4_T5_P12ihipStream_tbEUlRKiE_EEST_SX_SY_mSZ_S12_bEUlT_E_NS1_11comp_targetILNS1_3genE3ELNS1_11target_archE908ELNS1_3gpuE7ELNS1_3repE0EEENS1_30default_config_static_selectorELNS0_4arch9wavefront6targetE0EEEvSW_.num_named_barrier, 0
	.set _ZN7rocprim17ROCPRIM_400000_NS6detail17trampoline_kernelINS0_14default_configENS1_29binary_search_config_selectorIiiEEZNS1_14transform_implILb0ES3_S5_N6thrust23THRUST_200600_302600_NS6detail15normal_iteratorINS8_7pointerIiNS8_11hip_rocprim12par_nosync_tENS8_11use_defaultESE_EEEESG_ZNS1_13binary_searchIS3_S5_NSA_INS8_10device_ptrIiEEEESG_SG_NS1_16binary_search_opENS9_16wrapped_functionINS8_6system6detail7generic6detail18binary_search_lessEbEEEE10hipError_tPvRmT1_T2_T3_mmT4_T5_P12ihipStream_tbEUlRKiE_EEST_SX_SY_mSZ_S12_bEUlT_E_NS1_11comp_targetILNS1_3genE3ELNS1_11target_archE908ELNS1_3gpuE7ELNS1_3repE0EEENS1_30default_config_static_selectorELNS0_4arch9wavefront6targetE0EEEvSW_.private_seg_size, 0
	.set _ZN7rocprim17ROCPRIM_400000_NS6detail17trampoline_kernelINS0_14default_configENS1_29binary_search_config_selectorIiiEEZNS1_14transform_implILb0ES3_S5_N6thrust23THRUST_200600_302600_NS6detail15normal_iteratorINS8_7pointerIiNS8_11hip_rocprim12par_nosync_tENS8_11use_defaultESE_EEEESG_ZNS1_13binary_searchIS3_S5_NSA_INS8_10device_ptrIiEEEESG_SG_NS1_16binary_search_opENS9_16wrapped_functionINS8_6system6detail7generic6detail18binary_search_lessEbEEEE10hipError_tPvRmT1_T2_T3_mmT4_T5_P12ihipStream_tbEUlRKiE_EEST_SX_SY_mSZ_S12_bEUlT_E_NS1_11comp_targetILNS1_3genE3ELNS1_11target_archE908ELNS1_3gpuE7ELNS1_3repE0EEENS1_30default_config_static_selectorELNS0_4arch9wavefront6targetE0EEEvSW_.uses_vcc, 0
	.set _ZN7rocprim17ROCPRIM_400000_NS6detail17trampoline_kernelINS0_14default_configENS1_29binary_search_config_selectorIiiEEZNS1_14transform_implILb0ES3_S5_N6thrust23THRUST_200600_302600_NS6detail15normal_iteratorINS8_7pointerIiNS8_11hip_rocprim12par_nosync_tENS8_11use_defaultESE_EEEESG_ZNS1_13binary_searchIS3_S5_NSA_INS8_10device_ptrIiEEEESG_SG_NS1_16binary_search_opENS9_16wrapped_functionINS8_6system6detail7generic6detail18binary_search_lessEbEEEE10hipError_tPvRmT1_T2_T3_mmT4_T5_P12ihipStream_tbEUlRKiE_EEST_SX_SY_mSZ_S12_bEUlT_E_NS1_11comp_targetILNS1_3genE3ELNS1_11target_archE908ELNS1_3gpuE7ELNS1_3repE0EEENS1_30default_config_static_selectorELNS0_4arch9wavefront6targetE0EEEvSW_.uses_flat_scratch, 0
	.set _ZN7rocprim17ROCPRIM_400000_NS6detail17trampoline_kernelINS0_14default_configENS1_29binary_search_config_selectorIiiEEZNS1_14transform_implILb0ES3_S5_N6thrust23THRUST_200600_302600_NS6detail15normal_iteratorINS8_7pointerIiNS8_11hip_rocprim12par_nosync_tENS8_11use_defaultESE_EEEESG_ZNS1_13binary_searchIS3_S5_NSA_INS8_10device_ptrIiEEEESG_SG_NS1_16binary_search_opENS9_16wrapped_functionINS8_6system6detail7generic6detail18binary_search_lessEbEEEE10hipError_tPvRmT1_T2_T3_mmT4_T5_P12ihipStream_tbEUlRKiE_EEST_SX_SY_mSZ_S12_bEUlT_E_NS1_11comp_targetILNS1_3genE3ELNS1_11target_archE908ELNS1_3gpuE7ELNS1_3repE0EEENS1_30default_config_static_selectorELNS0_4arch9wavefront6targetE0EEEvSW_.has_dyn_sized_stack, 0
	.set _ZN7rocprim17ROCPRIM_400000_NS6detail17trampoline_kernelINS0_14default_configENS1_29binary_search_config_selectorIiiEEZNS1_14transform_implILb0ES3_S5_N6thrust23THRUST_200600_302600_NS6detail15normal_iteratorINS8_7pointerIiNS8_11hip_rocprim12par_nosync_tENS8_11use_defaultESE_EEEESG_ZNS1_13binary_searchIS3_S5_NSA_INS8_10device_ptrIiEEEESG_SG_NS1_16binary_search_opENS9_16wrapped_functionINS8_6system6detail7generic6detail18binary_search_lessEbEEEE10hipError_tPvRmT1_T2_T3_mmT4_T5_P12ihipStream_tbEUlRKiE_EEST_SX_SY_mSZ_S12_bEUlT_E_NS1_11comp_targetILNS1_3genE3ELNS1_11target_archE908ELNS1_3gpuE7ELNS1_3repE0EEENS1_30default_config_static_selectorELNS0_4arch9wavefront6targetE0EEEvSW_.has_recursion, 0
	.set _ZN7rocprim17ROCPRIM_400000_NS6detail17trampoline_kernelINS0_14default_configENS1_29binary_search_config_selectorIiiEEZNS1_14transform_implILb0ES3_S5_N6thrust23THRUST_200600_302600_NS6detail15normal_iteratorINS8_7pointerIiNS8_11hip_rocprim12par_nosync_tENS8_11use_defaultESE_EEEESG_ZNS1_13binary_searchIS3_S5_NSA_INS8_10device_ptrIiEEEESG_SG_NS1_16binary_search_opENS9_16wrapped_functionINS8_6system6detail7generic6detail18binary_search_lessEbEEEE10hipError_tPvRmT1_T2_T3_mmT4_T5_P12ihipStream_tbEUlRKiE_EEST_SX_SY_mSZ_S12_bEUlT_E_NS1_11comp_targetILNS1_3genE3ELNS1_11target_archE908ELNS1_3gpuE7ELNS1_3repE0EEENS1_30default_config_static_selectorELNS0_4arch9wavefront6targetE0EEEvSW_.has_indirect_call, 0
	.section	.AMDGPU.csdata,"",@progbits
; Kernel info:
; codeLenInByte = 0
; TotalNumSgprs: 0
; NumVgprs: 0
; ScratchSize: 0
; MemoryBound: 0
; FloatMode: 240
; IeeeMode: 1
; LDSByteSize: 0 bytes/workgroup (compile time only)
; SGPRBlocks: 0
; VGPRBlocks: 0
; NumSGPRsForWavesPerEU: 1
; NumVGPRsForWavesPerEU: 1
; Occupancy: 16
; WaveLimiterHint : 0
; COMPUTE_PGM_RSRC2:SCRATCH_EN: 0
; COMPUTE_PGM_RSRC2:USER_SGPR: 6
; COMPUTE_PGM_RSRC2:TRAP_HANDLER: 0
; COMPUTE_PGM_RSRC2:TGID_X_EN: 1
; COMPUTE_PGM_RSRC2:TGID_Y_EN: 0
; COMPUTE_PGM_RSRC2:TGID_Z_EN: 0
; COMPUTE_PGM_RSRC2:TIDIG_COMP_CNT: 0
	.section	.text._ZN7rocprim17ROCPRIM_400000_NS6detail17trampoline_kernelINS0_14default_configENS1_29binary_search_config_selectorIiiEEZNS1_14transform_implILb0ES3_S5_N6thrust23THRUST_200600_302600_NS6detail15normal_iteratorINS8_7pointerIiNS8_11hip_rocprim12par_nosync_tENS8_11use_defaultESE_EEEESG_ZNS1_13binary_searchIS3_S5_NSA_INS8_10device_ptrIiEEEESG_SG_NS1_16binary_search_opENS9_16wrapped_functionINS8_6system6detail7generic6detail18binary_search_lessEbEEEE10hipError_tPvRmT1_T2_T3_mmT4_T5_P12ihipStream_tbEUlRKiE_EEST_SX_SY_mSZ_S12_bEUlT_E_NS1_11comp_targetILNS1_3genE2ELNS1_11target_archE906ELNS1_3gpuE6ELNS1_3repE0EEENS1_30default_config_static_selectorELNS0_4arch9wavefront6targetE0EEEvSW_,"axG",@progbits,_ZN7rocprim17ROCPRIM_400000_NS6detail17trampoline_kernelINS0_14default_configENS1_29binary_search_config_selectorIiiEEZNS1_14transform_implILb0ES3_S5_N6thrust23THRUST_200600_302600_NS6detail15normal_iteratorINS8_7pointerIiNS8_11hip_rocprim12par_nosync_tENS8_11use_defaultESE_EEEESG_ZNS1_13binary_searchIS3_S5_NSA_INS8_10device_ptrIiEEEESG_SG_NS1_16binary_search_opENS9_16wrapped_functionINS8_6system6detail7generic6detail18binary_search_lessEbEEEE10hipError_tPvRmT1_T2_T3_mmT4_T5_P12ihipStream_tbEUlRKiE_EEST_SX_SY_mSZ_S12_bEUlT_E_NS1_11comp_targetILNS1_3genE2ELNS1_11target_archE906ELNS1_3gpuE6ELNS1_3repE0EEENS1_30default_config_static_selectorELNS0_4arch9wavefront6targetE0EEEvSW_,comdat
	.protected	_ZN7rocprim17ROCPRIM_400000_NS6detail17trampoline_kernelINS0_14default_configENS1_29binary_search_config_selectorIiiEEZNS1_14transform_implILb0ES3_S5_N6thrust23THRUST_200600_302600_NS6detail15normal_iteratorINS8_7pointerIiNS8_11hip_rocprim12par_nosync_tENS8_11use_defaultESE_EEEESG_ZNS1_13binary_searchIS3_S5_NSA_INS8_10device_ptrIiEEEESG_SG_NS1_16binary_search_opENS9_16wrapped_functionINS8_6system6detail7generic6detail18binary_search_lessEbEEEE10hipError_tPvRmT1_T2_T3_mmT4_T5_P12ihipStream_tbEUlRKiE_EEST_SX_SY_mSZ_S12_bEUlT_E_NS1_11comp_targetILNS1_3genE2ELNS1_11target_archE906ELNS1_3gpuE6ELNS1_3repE0EEENS1_30default_config_static_selectorELNS0_4arch9wavefront6targetE0EEEvSW_ ; -- Begin function _ZN7rocprim17ROCPRIM_400000_NS6detail17trampoline_kernelINS0_14default_configENS1_29binary_search_config_selectorIiiEEZNS1_14transform_implILb0ES3_S5_N6thrust23THRUST_200600_302600_NS6detail15normal_iteratorINS8_7pointerIiNS8_11hip_rocprim12par_nosync_tENS8_11use_defaultESE_EEEESG_ZNS1_13binary_searchIS3_S5_NSA_INS8_10device_ptrIiEEEESG_SG_NS1_16binary_search_opENS9_16wrapped_functionINS8_6system6detail7generic6detail18binary_search_lessEbEEEE10hipError_tPvRmT1_T2_T3_mmT4_T5_P12ihipStream_tbEUlRKiE_EEST_SX_SY_mSZ_S12_bEUlT_E_NS1_11comp_targetILNS1_3genE2ELNS1_11target_archE906ELNS1_3gpuE6ELNS1_3repE0EEENS1_30default_config_static_selectorELNS0_4arch9wavefront6targetE0EEEvSW_
	.globl	_ZN7rocprim17ROCPRIM_400000_NS6detail17trampoline_kernelINS0_14default_configENS1_29binary_search_config_selectorIiiEEZNS1_14transform_implILb0ES3_S5_N6thrust23THRUST_200600_302600_NS6detail15normal_iteratorINS8_7pointerIiNS8_11hip_rocprim12par_nosync_tENS8_11use_defaultESE_EEEESG_ZNS1_13binary_searchIS3_S5_NSA_INS8_10device_ptrIiEEEESG_SG_NS1_16binary_search_opENS9_16wrapped_functionINS8_6system6detail7generic6detail18binary_search_lessEbEEEE10hipError_tPvRmT1_T2_T3_mmT4_T5_P12ihipStream_tbEUlRKiE_EEST_SX_SY_mSZ_S12_bEUlT_E_NS1_11comp_targetILNS1_3genE2ELNS1_11target_archE906ELNS1_3gpuE6ELNS1_3repE0EEENS1_30default_config_static_selectorELNS0_4arch9wavefront6targetE0EEEvSW_
	.p2align	8
	.type	_ZN7rocprim17ROCPRIM_400000_NS6detail17trampoline_kernelINS0_14default_configENS1_29binary_search_config_selectorIiiEEZNS1_14transform_implILb0ES3_S5_N6thrust23THRUST_200600_302600_NS6detail15normal_iteratorINS8_7pointerIiNS8_11hip_rocprim12par_nosync_tENS8_11use_defaultESE_EEEESG_ZNS1_13binary_searchIS3_S5_NSA_INS8_10device_ptrIiEEEESG_SG_NS1_16binary_search_opENS9_16wrapped_functionINS8_6system6detail7generic6detail18binary_search_lessEbEEEE10hipError_tPvRmT1_T2_T3_mmT4_T5_P12ihipStream_tbEUlRKiE_EEST_SX_SY_mSZ_S12_bEUlT_E_NS1_11comp_targetILNS1_3genE2ELNS1_11target_archE906ELNS1_3gpuE6ELNS1_3repE0EEENS1_30default_config_static_selectorELNS0_4arch9wavefront6targetE0EEEvSW_,@function
_ZN7rocprim17ROCPRIM_400000_NS6detail17trampoline_kernelINS0_14default_configENS1_29binary_search_config_selectorIiiEEZNS1_14transform_implILb0ES3_S5_N6thrust23THRUST_200600_302600_NS6detail15normal_iteratorINS8_7pointerIiNS8_11hip_rocprim12par_nosync_tENS8_11use_defaultESE_EEEESG_ZNS1_13binary_searchIS3_S5_NSA_INS8_10device_ptrIiEEEESG_SG_NS1_16binary_search_opENS9_16wrapped_functionINS8_6system6detail7generic6detail18binary_search_lessEbEEEE10hipError_tPvRmT1_T2_T3_mmT4_T5_P12ihipStream_tbEUlRKiE_EEST_SX_SY_mSZ_S12_bEUlT_E_NS1_11comp_targetILNS1_3genE2ELNS1_11target_archE906ELNS1_3gpuE6ELNS1_3repE0EEENS1_30default_config_static_selectorELNS0_4arch9wavefront6targetE0EEEvSW_: ; @_ZN7rocprim17ROCPRIM_400000_NS6detail17trampoline_kernelINS0_14default_configENS1_29binary_search_config_selectorIiiEEZNS1_14transform_implILb0ES3_S5_N6thrust23THRUST_200600_302600_NS6detail15normal_iteratorINS8_7pointerIiNS8_11hip_rocprim12par_nosync_tENS8_11use_defaultESE_EEEESG_ZNS1_13binary_searchIS3_S5_NSA_INS8_10device_ptrIiEEEESG_SG_NS1_16binary_search_opENS9_16wrapped_functionINS8_6system6detail7generic6detail18binary_search_lessEbEEEE10hipError_tPvRmT1_T2_T3_mmT4_T5_P12ihipStream_tbEUlRKiE_EEST_SX_SY_mSZ_S12_bEUlT_E_NS1_11comp_targetILNS1_3genE2ELNS1_11target_archE906ELNS1_3gpuE6ELNS1_3repE0EEENS1_30default_config_static_selectorELNS0_4arch9wavefront6targetE0EEEvSW_
; %bb.0:
	.section	.rodata,"a",@progbits
	.p2align	6, 0x0
	.amdhsa_kernel _ZN7rocprim17ROCPRIM_400000_NS6detail17trampoline_kernelINS0_14default_configENS1_29binary_search_config_selectorIiiEEZNS1_14transform_implILb0ES3_S5_N6thrust23THRUST_200600_302600_NS6detail15normal_iteratorINS8_7pointerIiNS8_11hip_rocprim12par_nosync_tENS8_11use_defaultESE_EEEESG_ZNS1_13binary_searchIS3_S5_NSA_INS8_10device_ptrIiEEEESG_SG_NS1_16binary_search_opENS9_16wrapped_functionINS8_6system6detail7generic6detail18binary_search_lessEbEEEE10hipError_tPvRmT1_T2_T3_mmT4_T5_P12ihipStream_tbEUlRKiE_EEST_SX_SY_mSZ_S12_bEUlT_E_NS1_11comp_targetILNS1_3genE2ELNS1_11target_archE906ELNS1_3gpuE6ELNS1_3repE0EEENS1_30default_config_static_selectorELNS0_4arch9wavefront6targetE0EEEvSW_
		.amdhsa_group_segment_fixed_size 0
		.amdhsa_private_segment_fixed_size 0
		.amdhsa_kernarg_size 56
		.amdhsa_user_sgpr_count 6
		.amdhsa_user_sgpr_private_segment_buffer 1
		.amdhsa_user_sgpr_dispatch_ptr 0
		.amdhsa_user_sgpr_queue_ptr 0
		.amdhsa_user_sgpr_kernarg_segment_ptr 1
		.amdhsa_user_sgpr_dispatch_id 0
		.amdhsa_user_sgpr_flat_scratch_init 0
		.amdhsa_user_sgpr_private_segment_size 0
		.amdhsa_wavefront_size32 1
		.amdhsa_uses_dynamic_stack 0
		.amdhsa_system_sgpr_private_segment_wavefront_offset 0
		.amdhsa_system_sgpr_workgroup_id_x 1
		.amdhsa_system_sgpr_workgroup_id_y 0
		.amdhsa_system_sgpr_workgroup_id_z 0
		.amdhsa_system_sgpr_workgroup_info 0
		.amdhsa_system_vgpr_workitem_id 0
		.amdhsa_next_free_vgpr 1
		.amdhsa_next_free_sgpr 1
		.amdhsa_reserve_vcc 0
		.amdhsa_reserve_flat_scratch 0
		.amdhsa_float_round_mode_32 0
		.amdhsa_float_round_mode_16_64 0
		.amdhsa_float_denorm_mode_32 3
		.amdhsa_float_denorm_mode_16_64 3
		.amdhsa_dx10_clamp 1
		.amdhsa_ieee_mode 1
		.amdhsa_fp16_overflow 0
		.amdhsa_workgroup_processor_mode 1
		.amdhsa_memory_ordered 1
		.amdhsa_forward_progress 1
		.amdhsa_shared_vgpr_count 0
		.amdhsa_exception_fp_ieee_invalid_op 0
		.amdhsa_exception_fp_denorm_src 0
		.amdhsa_exception_fp_ieee_div_zero 0
		.amdhsa_exception_fp_ieee_overflow 0
		.amdhsa_exception_fp_ieee_underflow 0
		.amdhsa_exception_fp_ieee_inexact 0
		.amdhsa_exception_int_div_zero 0
	.end_amdhsa_kernel
	.section	.text._ZN7rocprim17ROCPRIM_400000_NS6detail17trampoline_kernelINS0_14default_configENS1_29binary_search_config_selectorIiiEEZNS1_14transform_implILb0ES3_S5_N6thrust23THRUST_200600_302600_NS6detail15normal_iteratorINS8_7pointerIiNS8_11hip_rocprim12par_nosync_tENS8_11use_defaultESE_EEEESG_ZNS1_13binary_searchIS3_S5_NSA_INS8_10device_ptrIiEEEESG_SG_NS1_16binary_search_opENS9_16wrapped_functionINS8_6system6detail7generic6detail18binary_search_lessEbEEEE10hipError_tPvRmT1_T2_T3_mmT4_T5_P12ihipStream_tbEUlRKiE_EEST_SX_SY_mSZ_S12_bEUlT_E_NS1_11comp_targetILNS1_3genE2ELNS1_11target_archE906ELNS1_3gpuE6ELNS1_3repE0EEENS1_30default_config_static_selectorELNS0_4arch9wavefront6targetE0EEEvSW_,"axG",@progbits,_ZN7rocprim17ROCPRIM_400000_NS6detail17trampoline_kernelINS0_14default_configENS1_29binary_search_config_selectorIiiEEZNS1_14transform_implILb0ES3_S5_N6thrust23THRUST_200600_302600_NS6detail15normal_iteratorINS8_7pointerIiNS8_11hip_rocprim12par_nosync_tENS8_11use_defaultESE_EEEESG_ZNS1_13binary_searchIS3_S5_NSA_INS8_10device_ptrIiEEEESG_SG_NS1_16binary_search_opENS9_16wrapped_functionINS8_6system6detail7generic6detail18binary_search_lessEbEEEE10hipError_tPvRmT1_T2_T3_mmT4_T5_P12ihipStream_tbEUlRKiE_EEST_SX_SY_mSZ_S12_bEUlT_E_NS1_11comp_targetILNS1_3genE2ELNS1_11target_archE906ELNS1_3gpuE6ELNS1_3repE0EEENS1_30default_config_static_selectorELNS0_4arch9wavefront6targetE0EEEvSW_,comdat
.Lfunc_end702:
	.size	_ZN7rocprim17ROCPRIM_400000_NS6detail17trampoline_kernelINS0_14default_configENS1_29binary_search_config_selectorIiiEEZNS1_14transform_implILb0ES3_S5_N6thrust23THRUST_200600_302600_NS6detail15normal_iteratorINS8_7pointerIiNS8_11hip_rocprim12par_nosync_tENS8_11use_defaultESE_EEEESG_ZNS1_13binary_searchIS3_S5_NSA_INS8_10device_ptrIiEEEESG_SG_NS1_16binary_search_opENS9_16wrapped_functionINS8_6system6detail7generic6detail18binary_search_lessEbEEEE10hipError_tPvRmT1_T2_T3_mmT4_T5_P12ihipStream_tbEUlRKiE_EEST_SX_SY_mSZ_S12_bEUlT_E_NS1_11comp_targetILNS1_3genE2ELNS1_11target_archE906ELNS1_3gpuE6ELNS1_3repE0EEENS1_30default_config_static_selectorELNS0_4arch9wavefront6targetE0EEEvSW_, .Lfunc_end702-_ZN7rocprim17ROCPRIM_400000_NS6detail17trampoline_kernelINS0_14default_configENS1_29binary_search_config_selectorIiiEEZNS1_14transform_implILb0ES3_S5_N6thrust23THRUST_200600_302600_NS6detail15normal_iteratorINS8_7pointerIiNS8_11hip_rocprim12par_nosync_tENS8_11use_defaultESE_EEEESG_ZNS1_13binary_searchIS3_S5_NSA_INS8_10device_ptrIiEEEESG_SG_NS1_16binary_search_opENS9_16wrapped_functionINS8_6system6detail7generic6detail18binary_search_lessEbEEEE10hipError_tPvRmT1_T2_T3_mmT4_T5_P12ihipStream_tbEUlRKiE_EEST_SX_SY_mSZ_S12_bEUlT_E_NS1_11comp_targetILNS1_3genE2ELNS1_11target_archE906ELNS1_3gpuE6ELNS1_3repE0EEENS1_30default_config_static_selectorELNS0_4arch9wavefront6targetE0EEEvSW_
                                        ; -- End function
	.set _ZN7rocprim17ROCPRIM_400000_NS6detail17trampoline_kernelINS0_14default_configENS1_29binary_search_config_selectorIiiEEZNS1_14transform_implILb0ES3_S5_N6thrust23THRUST_200600_302600_NS6detail15normal_iteratorINS8_7pointerIiNS8_11hip_rocprim12par_nosync_tENS8_11use_defaultESE_EEEESG_ZNS1_13binary_searchIS3_S5_NSA_INS8_10device_ptrIiEEEESG_SG_NS1_16binary_search_opENS9_16wrapped_functionINS8_6system6detail7generic6detail18binary_search_lessEbEEEE10hipError_tPvRmT1_T2_T3_mmT4_T5_P12ihipStream_tbEUlRKiE_EEST_SX_SY_mSZ_S12_bEUlT_E_NS1_11comp_targetILNS1_3genE2ELNS1_11target_archE906ELNS1_3gpuE6ELNS1_3repE0EEENS1_30default_config_static_selectorELNS0_4arch9wavefront6targetE0EEEvSW_.num_vgpr, 0
	.set _ZN7rocprim17ROCPRIM_400000_NS6detail17trampoline_kernelINS0_14default_configENS1_29binary_search_config_selectorIiiEEZNS1_14transform_implILb0ES3_S5_N6thrust23THRUST_200600_302600_NS6detail15normal_iteratorINS8_7pointerIiNS8_11hip_rocprim12par_nosync_tENS8_11use_defaultESE_EEEESG_ZNS1_13binary_searchIS3_S5_NSA_INS8_10device_ptrIiEEEESG_SG_NS1_16binary_search_opENS9_16wrapped_functionINS8_6system6detail7generic6detail18binary_search_lessEbEEEE10hipError_tPvRmT1_T2_T3_mmT4_T5_P12ihipStream_tbEUlRKiE_EEST_SX_SY_mSZ_S12_bEUlT_E_NS1_11comp_targetILNS1_3genE2ELNS1_11target_archE906ELNS1_3gpuE6ELNS1_3repE0EEENS1_30default_config_static_selectorELNS0_4arch9wavefront6targetE0EEEvSW_.num_agpr, 0
	.set _ZN7rocprim17ROCPRIM_400000_NS6detail17trampoline_kernelINS0_14default_configENS1_29binary_search_config_selectorIiiEEZNS1_14transform_implILb0ES3_S5_N6thrust23THRUST_200600_302600_NS6detail15normal_iteratorINS8_7pointerIiNS8_11hip_rocprim12par_nosync_tENS8_11use_defaultESE_EEEESG_ZNS1_13binary_searchIS3_S5_NSA_INS8_10device_ptrIiEEEESG_SG_NS1_16binary_search_opENS9_16wrapped_functionINS8_6system6detail7generic6detail18binary_search_lessEbEEEE10hipError_tPvRmT1_T2_T3_mmT4_T5_P12ihipStream_tbEUlRKiE_EEST_SX_SY_mSZ_S12_bEUlT_E_NS1_11comp_targetILNS1_3genE2ELNS1_11target_archE906ELNS1_3gpuE6ELNS1_3repE0EEENS1_30default_config_static_selectorELNS0_4arch9wavefront6targetE0EEEvSW_.numbered_sgpr, 0
	.set _ZN7rocprim17ROCPRIM_400000_NS6detail17trampoline_kernelINS0_14default_configENS1_29binary_search_config_selectorIiiEEZNS1_14transform_implILb0ES3_S5_N6thrust23THRUST_200600_302600_NS6detail15normal_iteratorINS8_7pointerIiNS8_11hip_rocprim12par_nosync_tENS8_11use_defaultESE_EEEESG_ZNS1_13binary_searchIS3_S5_NSA_INS8_10device_ptrIiEEEESG_SG_NS1_16binary_search_opENS9_16wrapped_functionINS8_6system6detail7generic6detail18binary_search_lessEbEEEE10hipError_tPvRmT1_T2_T3_mmT4_T5_P12ihipStream_tbEUlRKiE_EEST_SX_SY_mSZ_S12_bEUlT_E_NS1_11comp_targetILNS1_3genE2ELNS1_11target_archE906ELNS1_3gpuE6ELNS1_3repE0EEENS1_30default_config_static_selectorELNS0_4arch9wavefront6targetE0EEEvSW_.num_named_barrier, 0
	.set _ZN7rocprim17ROCPRIM_400000_NS6detail17trampoline_kernelINS0_14default_configENS1_29binary_search_config_selectorIiiEEZNS1_14transform_implILb0ES3_S5_N6thrust23THRUST_200600_302600_NS6detail15normal_iteratorINS8_7pointerIiNS8_11hip_rocprim12par_nosync_tENS8_11use_defaultESE_EEEESG_ZNS1_13binary_searchIS3_S5_NSA_INS8_10device_ptrIiEEEESG_SG_NS1_16binary_search_opENS9_16wrapped_functionINS8_6system6detail7generic6detail18binary_search_lessEbEEEE10hipError_tPvRmT1_T2_T3_mmT4_T5_P12ihipStream_tbEUlRKiE_EEST_SX_SY_mSZ_S12_bEUlT_E_NS1_11comp_targetILNS1_3genE2ELNS1_11target_archE906ELNS1_3gpuE6ELNS1_3repE0EEENS1_30default_config_static_selectorELNS0_4arch9wavefront6targetE0EEEvSW_.private_seg_size, 0
	.set _ZN7rocprim17ROCPRIM_400000_NS6detail17trampoline_kernelINS0_14default_configENS1_29binary_search_config_selectorIiiEEZNS1_14transform_implILb0ES3_S5_N6thrust23THRUST_200600_302600_NS6detail15normal_iteratorINS8_7pointerIiNS8_11hip_rocprim12par_nosync_tENS8_11use_defaultESE_EEEESG_ZNS1_13binary_searchIS3_S5_NSA_INS8_10device_ptrIiEEEESG_SG_NS1_16binary_search_opENS9_16wrapped_functionINS8_6system6detail7generic6detail18binary_search_lessEbEEEE10hipError_tPvRmT1_T2_T3_mmT4_T5_P12ihipStream_tbEUlRKiE_EEST_SX_SY_mSZ_S12_bEUlT_E_NS1_11comp_targetILNS1_3genE2ELNS1_11target_archE906ELNS1_3gpuE6ELNS1_3repE0EEENS1_30default_config_static_selectorELNS0_4arch9wavefront6targetE0EEEvSW_.uses_vcc, 0
	.set _ZN7rocprim17ROCPRIM_400000_NS6detail17trampoline_kernelINS0_14default_configENS1_29binary_search_config_selectorIiiEEZNS1_14transform_implILb0ES3_S5_N6thrust23THRUST_200600_302600_NS6detail15normal_iteratorINS8_7pointerIiNS8_11hip_rocprim12par_nosync_tENS8_11use_defaultESE_EEEESG_ZNS1_13binary_searchIS3_S5_NSA_INS8_10device_ptrIiEEEESG_SG_NS1_16binary_search_opENS9_16wrapped_functionINS8_6system6detail7generic6detail18binary_search_lessEbEEEE10hipError_tPvRmT1_T2_T3_mmT4_T5_P12ihipStream_tbEUlRKiE_EEST_SX_SY_mSZ_S12_bEUlT_E_NS1_11comp_targetILNS1_3genE2ELNS1_11target_archE906ELNS1_3gpuE6ELNS1_3repE0EEENS1_30default_config_static_selectorELNS0_4arch9wavefront6targetE0EEEvSW_.uses_flat_scratch, 0
	.set _ZN7rocprim17ROCPRIM_400000_NS6detail17trampoline_kernelINS0_14default_configENS1_29binary_search_config_selectorIiiEEZNS1_14transform_implILb0ES3_S5_N6thrust23THRUST_200600_302600_NS6detail15normal_iteratorINS8_7pointerIiNS8_11hip_rocprim12par_nosync_tENS8_11use_defaultESE_EEEESG_ZNS1_13binary_searchIS3_S5_NSA_INS8_10device_ptrIiEEEESG_SG_NS1_16binary_search_opENS9_16wrapped_functionINS8_6system6detail7generic6detail18binary_search_lessEbEEEE10hipError_tPvRmT1_T2_T3_mmT4_T5_P12ihipStream_tbEUlRKiE_EEST_SX_SY_mSZ_S12_bEUlT_E_NS1_11comp_targetILNS1_3genE2ELNS1_11target_archE906ELNS1_3gpuE6ELNS1_3repE0EEENS1_30default_config_static_selectorELNS0_4arch9wavefront6targetE0EEEvSW_.has_dyn_sized_stack, 0
	.set _ZN7rocprim17ROCPRIM_400000_NS6detail17trampoline_kernelINS0_14default_configENS1_29binary_search_config_selectorIiiEEZNS1_14transform_implILb0ES3_S5_N6thrust23THRUST_200600_302600_NS6detail15normal_iteratorINS8_7pointerIiNS8_11hip_rocprim12par_nosync_tENS8_11use_defaultESE_EEEESG_ZNS1_13binary_searchIS3_S5_NSA_INS8_10device_ptrIiEEEESG_SG_NS1_16binary_search_opENS9_16wrapped_functionINS8_6system6detail7generic6detail18binary_search_lessEbEEEE10hipError_tPvRmT1_T2_T3_mmT4_T5_P12ihipStream_tbEUlRKiE_EEST_SX_SY_mSZ_S12_bEUlT_E_NS1_11comp_targetILNS1_3genE2ELNS1_11target_archE906ELNS1_3gpuE6ELNS1_3repE0EEENS1_30default_config_static_selectorELNS0_4arch9wavefront6targetE0EEEvSW_.has_recursion, 0
	.set _ZN7rocprim17ROCPRIM_400000_NS6detail17trampoline_kernelINS0_14default_configENS1_29binary_search_config_selectorIiiEEZNS1_14transform_implILb0ES3_S5_N6thrust23THRUST_200600_302600_NS6detail15normal_iteratorINS8_7pointerIiNS8_11hip_rocprim12par_nosync_tENS8_11use_defaultESE_EEEESG_ZNS1_13binary_searchIS3_S5_NSA_INS8_10device_ptrIiEEEESG_SG_NS1_16binary_search_opENS9_16wrapped_functionINS8_6system6detail7generic6detail18binary_search_lessEbEEEE10hipError_tPvRmT1_T2_T3_mmT4_T5_P12ihipStream_tbEUlRKiE_EEST_SX_SY_mSZ_S12_bEUlT_E_NS1_11comp_targetILNS1_3genE2ELNS1_11target_archE906ELNS1_3gpuE6ELNS1_3repE0EEENS1_30default_config_static_selectorELNS0_4arch9wavefront6targetE0EEEvSW_.has_indirect_call, 0
	.section	.AMDGPU.csdata,"",@progbits
; Kernel info:
; codeLenInByte = 0
; TotalNumSgprs: 0
; NumVgprs: 0
; ScratchSize: 0
; MemoryBound: 0
; FloatMode: 240
; IeeeMode: 1
; LDSByteSize: 0 bytes/workgroup (compile time only)
; SGPRBlocks: 0
; VGPRBlocks: 0
; NumSGPRsForWavesPerEU: 1
; NumVGPRsForWavesPerEU: 1
; Occupancy: 16
; WaveLimiterHint : 0
; COMPUTE_PGM_RSRC2:SCRATCH_EN: 0
; COMPUTE_PGM_RSRC2:USER_SGPR: 6
; COMPUTE_PGM_RSRC2:TRAP_HANDLER: 0
; COMPUTE_PGM_RSRC2:TGID_X_EN: 1
; COMPUTE_PGM_RSRC2:TGID_Y_EN: 0
; COMPUTE_PGM_RSRC2:TGID_Z_EN: 0
; COMPUTE_PGM_RSRC2:TIDIG_COMP_CNT: 0
	.section	.text._ZN7rocprim17ROCPRIM_400000_NS6detail17trampoline_kernelINS0_14default_configENS1_29binary_search_config_selectorIiiEEZNS1_14transform_implILb0ES3_S5_N6thrust23THRUST_200600_302600_NS6detail15normal_iteratorINS8_7pointerIiNS8_11hip_rocprim12par_nosync_tENS8_11use_defaultESE_EEEESG_ZNS1_13binary_searchIS3_S5_NSA_INS8_10device_ptrIiEEEESG_SG_NS1_16binary_search_opENS9_16wrapped_functionINS8_6system6detail7generic6detail18binary_search_lessEbEEEE10hipError_tPvRmT1_T2_T3_mmT4_T5_P12ihipStream_tbEUlRKiE_EEST_SX_SY_mSZ_S12_bEUlT_E_NS1_11comp_targetILNS1_3genE10ELNS1_11target_archE1201ELNS1_3gpuE5ELNS1_3repE0EEENS1_30default_config_static_selectorELNS0_4arch9wavefront6targetE0EEEvSW_,"axG",@progbits,_ZN7rocprim17ROCPRIM_400000_NS6detail17trampoline_kernelINS0_14default_configENS1_29binary_search_config_selectorIiiEEZNS1_14transform_implILb0ES3_S5_N6thrust23THRUST_200600_302600_NS6detail15normal_iteratorINS8_7pointerIiNS8_11hip_rocprim12par_nosync_tENS8_11use_defaultESE_EEEESG_ZNS1_13binary_searchIS3_S5_NSA_INS8_10device_ptrIiEEEESG_SG_NS1_16binary_search_opENS9_16wrapped_functionINS8_6system6detail7generic6detail18binary_search_lessEbEEEE10hipError_tPvRmT1_T2_T3_mmT4_T5_P12ihipStream_tbEUlRKiE_EEST_SX_SY_mSZ_S12_bEUlT_E_NS1_11comp_targetILNS1_3genE10ELNS1_11target_archE1201ELNS1_3gpuE5ELNS1_3repE0EEENS1_30default_config_static_selectorELNS0_4arch9wavefront6targetE0EEEvSW_,comdat
	.protected	_ZN7rocprim17ROCPRIM_400000_NS6detail17trampoline_kernelINS0_14default_configENS1_29binary_search_config_selectorIiiEEZNS1_14transform_implILb0ES3_S5_N6thrust23THRUST_200600_302600_NS6detail15normal_iteratorINS8_7pointerIiNS8_11hip_rocprim12par_nosync_tENS8_11use_defaultESE_EEEESG_ZNS1_13binary_searchIS3_S5_NSA_INS8_10device_ptrIiEEEESG_SG_NS1_16binary_search_opENS9_16wrapped_functionINS8_6system6detail7generic6detail18binary_search_lessEbEEEE10hipError_tPvRmT1_T2_T3_mmT4_T5_P12ihipStream_tbEUlRKiE_EEST_SX_SY_mSZ_S12_bEUlT_E_NS1_11comp_targetILNS1_3genE10ELNS1_11target_archE1201ELNS1_3gpuE5ELNS1_3repE0EEENS1_30default_config_static_selectorELNS0_4arch9wavefront6targetE0EEEvSW_ ; -- Begin function _ZN7rocprim17ROCPRIM_400000_NS6detail17trampoline_kernelINS0_14default_configENS1_29binary_search_config_selectorIiiEEZNS1_14transform_implILb0ES3_S5_N6thrust23THRUST_200600_302600_NS6detail15normal_iteratorINS8_7pointerIiNS8_11hip_rocprim12par_nosync_tENS8_11use_defaultESE_EEEESG_ZNS1_13binary_searchIS3_S5_NSA_INS8_10device_ptrIiEEEESG_SG_NS1_16binary_search_opENS9_16wrapped_functionINS8_6system6detail7generic6detail18binary_search_lessEbEEEE10hipError_tPvRmT1_T2_T3_mmT4_T5_P12ihipStream_tbEUlRKiE_EEST_SX_SY_mSZ_S12_bEUlT_E_NS1_11comp_targetILNS1_3genE10ELNS1_11target_archE1201ELNS1_3gpuE5ELNS1_3repE0EEENS1_30default_config_static_selectorELNS0_4arch9wavefront6targetE0EEEvSW_
	.globl	_ZN7rocprim17ROCPRIM_400000_NS6detail17trampoline_kernelINS0_14default_configENS1_29binary_search_config_selectorIiiEEZNS1_14transform_implILb0ES3_S5_N6thrust23THRUST_200600_302600_NS6detail15normal_iteratorINS8_7pointerIiNS8_11hip_rocprim12par_nosync_tENS8_11use_defaultESE_EEEESG_ZNS1_13binary_searchIS3_S5_NSA_INS8_10device_ptrIiEEEESG_SG_NS1_16binary_search_opENS9_16wrapped_functionINS8_6system6detail7generic6detail18binary_search_lessEbEEEE10hipError_tPvRmT1_T2_T3_mmT4_T5_P12ihipStream_tbEUlRKiE_EEST_SX_SY_mSZ_S12_bEUlT_E_NS1_11comp_targetILNS1_3genE10ELNS1_11target_archE1201ELNS1_3gpuE5ELNS1_3repE0EEENS1_30default_config_static_selectorELNS0_4arch9wavefront6targetE0EEEvSW_
	.p2align	8
	.type	_ZN7rocprim17ROCPRIM_400000_NS6detail17trampoline_kernelINS0_14default_configENS1_29binary_search_config_selectorIiiEEZNS1_14transform_implILb0ES3_S5_N6thrust23THRUST_200600_302600_NS6detail15normal_iteratorINS8_7pointerIiNS8_11hip_rocprim12par_nosync_tENS8_11use_defaultESE_EEEESG_ZNS1_13binary_searchIS3_S5_NSA_INS8_10device_ptrIiEEEESG_SG_NS1_16binary_search_opENS9_16wrapped_functionINS8_6system6detail7generic6detail18binary_search_lessEbEEEE10hipError_tPvRmT1_T2_T3_mmT4_T5_P12ihipStream_tbEUlRKiE_EEST_SX_SY_mSZ_S12_bEUlT_E_NS1_11comp_targetILNS1_3genE10ELNS1_11target_archE1201ELNS1_3gpuE5ELNS1_3repE0EEENS1_30default_config_static_selectorELNS0_4arch9wavefront6targetE0EEEvSW_,@function
_ZN7rocprim17ROCPRIM_400000_NS6detail17trampoline_kernelINS0_14default_configENS1_29binary_search_config_selectorIiiEEZNS1_14transform_implILb0ES3_S5_N6thrust23THRUST_200600_302600_NS6detail15normal_iteratorINS8_7pointerIiNS8_11hip_rocprim12par_nosync_tENS8_11use_defaultESE_EEEESG_ZNS1_13binary_searchIS3_S5_NSA_INS8_10device_ptrIiEEEESG_SG_NS1_16binary_search_opENS9_16wrapped_functionINS8_6system6detail7generic6detail18binary_search_lessEbEEEE10hipError_tPvRmT1_T2_T3_mmT4_T5_P12ihipStream_tbEUlRKiE_EEST_SX_SY_mSZ_S12_bEUlT_E_NS1_11comp_targetILNS1_3genE10ELNS1_11target_archE1201ELNS1_3gpuE5ELNS1_3repE0EEENS1_30default_config_static_selectorELNS0_4arch9wavefront6targetE0EEEvSW_: ; @_ZN7rocprim17ROCPRIM_400000_NS6detail17trampoline_kernelINS0_14default_configENS1_29binary_search_config_selectorIiiEEZNS1_14transform_implILb0ES3_S5_N6thrust23THRUST_200600_302600_NS6detail15normal_iteratorINS8_7pointerIiNS8_11hip_rocprim12par_nosync_tENS8_11use_defaultESE_EEEESG_ZNS1_13binary_searchIS3_S5_NSA_INS8_10device_ptrIiEEEESG_SG_NS1_16binary_search_opENS9_16wrapped_functionINS8_6system6detail7generic6detail18binary_search_lessEbEEEE10hipError_tPvRmT1_T2_T3_mmT4_T5_P12ihipStream_tbEUlRKiE_EEST_SX_SY_mSZ_S12_bEUlT_E_NS1_11comp_targetILNS1_3genE10ELNS1_11target_archE1201ELNS1_3gpuE5ELNS1_3repE0EEENS1_30default_config_static_selectorELNS0_4arch9wavefront6targetE0EEEvSW_
; %bb.0:
	.section	.rodata,"a",@progbits
	.p2align	6, 0x0
	.amdhsa_kernel _ZN7rocprim17ROCPRIM_400000_NS6detail17trampoline_kernelINS0_14default_configENS1_29binary_search_config_selectorIiiEEZNS1_14transform_implILb0ES3_S5_N6thrust23THRUST_200600_302600_NS6detail15normal_iteratorINS8_7pointerIiNS8_11hip_rocprim12par_nosync_tENS8_11use_defaultESE_EEEESG_ZNS1_13binary_searchIS3_S5_NSA_INS8_10device_ptrIiEEEESG_SG_NS1_16binary_search_opENS9_16wrapped_functionINS8_6system6detail7generic6detail18binary_search_lessEbEEEE10hipError_tPvRmT1_T2_T3_mmT4_T5_P12ihipStream_tbEUlRKiE_EEST_SX_SY_mSZ_S12_bEUlT_E_NS1_11comp_targetILNS1_3genE10ELNS1_11target_archE1201ELNS1_3gpuE5ELNS1_3repE0EEENS1_30default_config_static_selectorELNS0_4arch9wavefront6targetE0EEEvSW_
		.amdhsa_group_segment_fixed_size 0
		.amdhsa_private_segment_fixed_size 0
		.amdhsa_kernarg_size 56
		.amdhsa_user_sgpr_count 6
		.amdhsa_user_sgpr_private_segment_buffer 1
		.amdhsa_user_sgpr_dispatch_ptr 0
		.amdhsa_user_sgpr_queue_ptr 0
		.amdhsa_user_sgpr_kernarg_segment_ptr 1
		.amdhsa_user_sgpr_dispatch_id 0
		.amdhsa_user_sgpr_flat_scratch_init 0
		.amdhsa_user_sgpr_private_segment_size 0
		.amdhsa_wavefront_size32 1
		.amdhsa_uses_dynamic_stack 0
		.amdhsa_system_sgpr_private_segment_wavefront_offset 0
		.amdhsa_system_sgpr_workgroup_id_x 1
		.amdhsa_system_sgpr_workgroup_id_y 0
		.amdhsa_system_sgpr_workgroup_id_z 0
		.amdhsa_system_sgpr_workgroup_info 0
		.amdhsa_system_vgpr_workitem_id 0
		.amdhsa_next_free_vgpr 1
		.amdhsa_next_free_sgpr 1
		.amdhsa_reserve_vcc 0
		.amdhsa_reserve_flat_scratch 0
		.amdhsa_float_round_mode_32 0
		.amdhsa_float_round_mode_16_64 0
		.amdhsa_float_denorm_mode_32 3
		.amdhsa_float_denorm_mode_16_64 3
		.amdhsa_dx10_clamp 1
		.amdhsa_ieee_mode 1
		.amdhsa_fp16_overflow 0
		.amdhsa_workgroup_processor_mode 1
		.amdhsa_memory_ordered 1
		.amdhsa_forward_progress 1
		.amdhsa_shared_vgpr_count 0
		.amdhsa_exception_fp_ieee_invalid_op 0
		.amdhsa_exception_fp_denorm_src 0
		.amdhsa_exception_fp_ieee_div_zero 0
		.amdhsa_exception_fp_ieee_overflow 0
		.amdhsa_exception_fp_ieee_underflow 0
		.amdhsa_exception_fp_ieee_inexact 0
		.amdhsa_exception_int_div_zero 0
	.end_amdhsa_kernel
	.section	.text._ZN7rocprim17ROCPRIM_400000_NS6detail17trampoline_kernelINS0_14default_configENS1_29binary_search_config_selectorIiiEEZNS1_14transform_implILb0ES3_S5_N6thrust23THRUST_200600_302600_NS6detail15normal_iteratorINS8_7pointerIiNS8_11hip_rocprim12par_nosync_tENS8_11use_defaultESE_EEEESG_ZNS1_13binary_searchIS3_S5_NSA_INS8_10device_ptrIiEEEESG_SG_NS1_16binary_search_opENS9_16wrapped_functionINS8_6system6detail7generic6detail18binary_search_lessEbEEEE10hipError_tPvRmT1_T2_T3_mmT4_T5_P12ihipStream_tbEUlRKiE_EEST_SX_SY_mSZ_S12_bEUlT_E_NS1_11comp_targetILNS1_3genE10ELNS1_11target_archE1201ELNS1_3gpuE5ELNS1_3repE0EEENS1_30default_config_static_selectorELNS0_4arch9wavefront6targetE0EEEvSW_,"axG",@progbits,_ZN7rocprim17ROCPRIM_400000_NS6detail17trampoline_kernelINS0_14default_configENS1_29binary_search_config_selectorIiiEEZNS1_14transform_implILb0ES3_S5_N6thrust23THRUST_200600_302600_NS6detail15normal_iteratorINS8_7pointerIiNS8_11hip_rocprim12par_nosync_tENS8_11use_defaultESE_EEEESG_ZNS1_13binary_searchIS3_S5_NSA_INS8_10device_ptrIiEEEESG_SG_NS1_16binary_search_opENS9_16wrapped_functionINS8_6system6detail7generic6detail18binary_search_lessEbEEEE10hipError_tPvRmT1_T2_T3_mmT4_T5_P12ihipStream_tbEUlRKiE_EEST_SX_SY_mSZ_S12_bEUlT_E_NS1_11comp_targetILNS1_3genE10ELNS1_11target_archE1201ELNS1_3gpuE5ELNS1_3repE0EEENS1_30default_config_static_selectorELNS0_4arch9wavefront6targetE0EEEvSW_,comdat
.Lfunc_end703:
	.size	_ZN7rocprim17ROCPRIM_400000_NS6detail17trampoline_kernelINS0_14default_configENS1_29binary_search_config_selectorIiiEEZNS1_14transform_implILb0ES3_S5_N6thrust23THRUST_200600_302600_NS6detail15normal_iteratorINS8_7pointerIiNS8_11hip_rocprim12par_nosync_tENS8_11use_defaultESE_EEEESG_ZNS1_13binary_searchIS3_S5_NSA_INS8_10device_ptrIiEEEESG_SG_NS1_16binary_search_opENS9_16wrapped_functionINS8_6system6detail7generic6detail18binary_search_lessEbEEEE10hipError_tPvRmT1_T2_T3_mmT4_T5_P12ihipStream_tbEUlRKiE_EEST_SX_SY_mSZ_S12_bEUlT_E_NS1_11comp_targetILNS1_3genE10ELNS1_11target_archE1201ELNS1_3gpuE5ELNS1_3repE0EEENS1_30default_config_static_selectorELNS0_4arch9wavefront6targetE0EEEvSW_, .Lfunc_end703-_ZN7rocprim17ROCPRIM_400000_NS6detail17trampoline_kernelINS0_14default_configENS1_29binary_search_config_selectorIiiEEZNS1_14transform_implILb0ES3_S5_N6thrust23THRUST_200600_302600_NS6detail15normal_iteratorINS8_7pointerIiNS8_11hip_rocprim12par_nosync_tENS8_11use_defaultESE_EEEESG_ZNS1_13binary_searchIS3_S5_NSA_INS8_10device_ptrIiEEEESG_SG_NS1_16binary_search_opENS9_16wrapped_functionINS8_6system6detail7generic6detail18binary_search_lessEbEEEE10hipError_tPvRmT1_T2_T3_mmT4_T5_P12ihipStream_tbEUlRKiE_EEST_SX_SY_mSZ_S12_bEUlT_E_NS1_11comp_targetILNS1_3genE10ELNS1_11target_archE1201ELNS1_3gpuE5ELNS1_3repE0EEENS1_30default_config_static_selectorELNS0_4arch9wavefront6targetE0EEEvSW_
                                        ; -- End function
	.set _ZN7rocprim17ROCPRIM_400000_NS6detail17trampoline_kernelINS0_14default_configENS1_29binary_search_config_selectorIiiEEZNS1_14transform_implILb0ES3_S5_N6thrust23THRUST_200600_302600_NS6detail15normal_iteratorINS8_7pointerIiNS8_11hip_rocprim12par_nosync_tENS8_11use_defaultESE_EEEESG_ZNS1_13binary_searchIS3_S5_NSA_INS8_10device_ptrIiEEEESG_SG_NS1_16binary_search_opENS9_16wrapped_functionINS8_6system6detail7generic6detail18binary_search_lessEbEEEE10hipError_tPvRmT1_T2_T3_mmT4_T5_P12ihipStream_tbEUlRKiE_EEST_SX_SY_mSZ_S12_bEUlT_E_NS1_11comp_targetILNS1_3genE10ELNS1_11target_archE1201ELNS1_3gpuE5ELNS1_3repE0EEENS1_30default_config_static_selectorELNS0_4arch9wavefront6targetE0EEEvSW_.num_vgpr, 0
	.set _ZN7rocprim17ROCPRIM_400000_NS6detail17trampoline_kernelINS0_14default_configENS1_29binary_search_config_selectorIiiEEZNS1_14transform_implILb0ES3_S5_N6thrust23THRUST_200600_302600_NS6detail15normal_iteratorINS8_7pointerIiNS8_11hip_rocprim12par_nosync_tENS8_11use_defaultESE_EEEESG_ZNS1_13binary_searchIS3_S5_NSA_INS8_10device_ptrIiEEEESG_SG_NS1_16binary_search_opENS9_16wrapped_functionINS8_6system6detail7generic6detail18binary_search_lessEbEEEE10hipError_tPvRmT1_T2_T3_mmT4_T5_P12ihipStream_tbEUlRKiE_EEST_SX_SY_mSZ_S12_bEUlT_E_NS1_11comp_targetILNS1_3genE10ELNS1_11target_archE1201ELNS1_3gpuE5ELNS1_3repE0EEENS1_30default_config_static_selectorELNS0_4arch9wavefront6targetE0EEEvSW_.num_agpr, 0
	.set _ZN7rocprim17ROCPRIM_400000_NS6detail17trampoline_kernelINS0_14default_configENS1_29binary_search_config_selectorIiiEEZNS1_14transform_implILb0ES3_S5_N6thrust23THRUST_200600_302600_NS6detail15normal_iteratorINS8_7pointerIiNS8_11hip_rocprim12par_nosync_tENS8_11use_defaultESE_EEEESG_ZNS1_13binary_searchIS3_S5_NSA_INS8_10device_ptrIiEEEESG_SG_NS1_16binary_search_opENS9_16wrapped_functionINS8_6system6detail7generic6detail18binary_search_lessEbEEEE10hipError_tPvRmT1_T2_T3_mmT4_T5_P12ihipStream_tbEUlRKiE_EEST_SX_SY_mSZ_S12_bEUlT_E_NS1_11comp_targetILNS1_3genE10ELNS1_11target_archE1201ELNS1_3gpuE5ELNS1_3repE0EEENS1_30default_config_static_selectorELNS0_4arch9wavefront6targetE0EEEvSW_.numbered_sgpr, 0
	.set _ZN7rocprim17ROCPRIM_400000_NS6detail17trampoline_kernelINS0_14default_configENS1_29binary_search_config_selectorIiiEEZNS1_14transform_implILb0ES3_S5_N6thrust23THRUST_200600_302600_NS6detail15normal_iteratorINS8_7pointerIiNS8_11hip_rocprim12par_nosync_tENS8_11use_defaultESE_EEEESG_ZNS1_13binary_searchIS3_S5_NSA_INS8_10device_ptrIiEEEESG_SG_NS1_16binary_search_opENS9_16wrapped_functionINS8_6system6detail7generic6detail18binary_search_lessEbEEEE10hipError_tPvRmT1_T2_T3_mmT4_T5_P12ihipStream_tbEUlRKiE_EEST_SX_SY_mSZ_S12_bEUlT_E_NS1_11comp_targetILNS1_3genE10ELNS1_11target_archE1201ELNS1_3gpuE5ELNS1_3repE0EEENS1_30default_config_static_selectorELNS0_4arch9wavefront6targetE0EEEvSW_.num_named_barrier, 0
	.set _ZN7rocprim17ROCPRIM_400000_NS6detail17trampoline_kernelINS0_14default_configENS1_29binary_search_config_selectorIiiEEZNS1_14transform_implILb0ES3_S5_N6thrust23THRUST_200600_302600_NS6detail15normal_iteratorINS8_7pointerIiNS8_11hip_rocprim12par_nosync_tENS8_11use_defaultESE_EEEESG_ZNS1_13binary_searchIS3_S5_NSA_INS8_10device_ptrIiEEEESG_SG_NS1_16binary_search_opENS9_16wrapped_functionINS8_6system6detail7generic6detail18binary_search_lessEbEEEE10hipError_tPvRmT1_T2_T3_mmT4_T5_P12ihipStream_tbEUlRKiE_EEST_SX_SY_mSZ_S12_bEUlT_E_NS1_11comp_targetILNS1_3genE10ELNS1_11target_archE1201ELNS1_3gpuE5ELNS1_3repE0EEENS1_30default_config_static_selectorELNS0_4arch9wavefront6targetE0EEEvSW_.private_seg_size, 0
	.set _ZN7rocprim17ROCPRIM_400000_NS6detail17trampoline_kernelINS0_14default_configENS1_29binary_search_config_selectorIiiEEZNS1_14transform_implILb0ES3_S5_N6thrust23THRUST_200600_302600_NS6detail15normal_iteratorINS8_7pointerIiNS8_11hip_rocprim12par_nosync_tENS8_11use_defaultESE_EEEESG_ZNS1_13binary_searchIS3_S5_NSA_INS8_10device_ptrIiEEEESG_SG_NS1_16binary_search_opENS9_16wrapped_functionINS8_6system6detail7generic6detail18binary_search_lessEbEEEE10hipError_tPvRmT1_T2_T3_mmT4_T5_P12ihipStream_tbEUlRKiE_EEST_SX_SY_mSZ_S12_bEUlT_E_NS1_11comp_targetILNS1_3genE10ELNS1_11target_archE1201ELNS1_3gpuE5ELNS1_3repE0EEENS1_30default_config_static_selectorELNS0_4arch9wavefront6targetE0EEEvSW_.uses_vcc, 0
	.set _ZN7rocprim17ROCPRIM_400000_NS6detail17trampoline_kernelINS0_14default_configENS1_29binary_search_config_selectorIiiEEZNS1_14transform_implILb0ES3_S5_N6thrust23THRUST_200600_302600_NS6detail15normal_iteratorINS8_7pointerIiNS8_11hip_rocprim12par_nosync_tENS8_11use_defaultESE_EEEESG_ZNS1_13binary_searchIS3_S5_NSA_INS8_10device_ptrIiEEEESG_SG_NS1_16binary_search_opENS9_16wrapped_functionINS8_6system6detail7generic6detail18binary_search_lessEbEEEE10hipError_tPvRmT1_T2_T3_mmT4_T5_P12ihipStream_tbEUlRKiE_EEST_SX_SY_mSZ_S12_bEUlT_E_NS1_11comp_targetILNS1_3genE10ELNS1_11target_archE1201ELNS1_3gpuE5ELNS1_3repE0EEENS1_30default_config_static_selectorELNS0_4arch9wavefront6targetE0EEEvSW_.uses_flat_scratch, 0
	.set _ZN7rocprim17ROCPRIM_400000_NS6detail17trampoline_kernelINS0_14default_configENS1_29binary_search_config_selectorIiiEEZNS1_14transform_implILb0ES3_S5_N6thrust23THRUST_200600_302600_NS6detail15normal_iteratorINS8_7pointerIiNS8_11hip_rocprim12par_nosync_tENS8_11use_defaultESE_EEEESG_ZNS1_13binary_searchIS3_S5_NSA_INS8_10device_ptrIiEEEESG_SG_NS1_16binary_search_opENS9_16wrapped_functionINS8_6system6detail7generic6detail18binary_search_lessEbEEEE10hipError_tPvRmT1_T2_T3_mmT4_T5_P12ihipStream_tbEUlRKiE_EEST_SX_SY_mSZ_S12_bEUlT_E_NS1_11comp_targetILNS1_3genE10ELNS1_11target_archE1201ELNS1_3gpuE5ELNS1_3repE0EEENS1_30default_config_static_selectorELNS0_4arch9wavefront6targetE0EEEvSW_.has_dyn_sized_stack, 0
	.set _ZN7rocprim17ROCPRIM_400000_NS6detail17trampoline_kernelINS0_14default_configENS1_29binary_search_config_selectorIiiEEZNS1_14transform_implILb0ES3_S5_N6thrust23THRUST_200600_302600_NS6detail15normal_iteratorINS8_7pointerIiNS8_11hip_rocprim12par_nosync_tENS8_11use_defaultESE_EEEESG_ZNS1_13binary_searchIS3_S5_NSA_INS8_10device_ptrIiEEEESG_SG_NS1_16binary_search_opENS9_16wrapped_functionINS8_6system6detail7generic6detail18binary_search_lessEbEEEE10hipError_tPvRmT1_T2_T3_mmT4_T5_P12ihipStream_tbEUlRKiE_EEST_SX_SY_mSZ_S12_bEUlT_E_NS1_11comp_targetILNS1_3genE10ELNS1_11target_archE1201ELNS1_3gpuE5ELNS1_3repE0EEENS1_30default_config_static_selectorELNS0_4arch9wavefront6targetE0EEEvSW_.has_recursion, 0
	.set _ZN7rocprim17ROCPRIM_400000_NS6detail17trampoline_kernelINS0_14default_configENS1_29binary_search_config_selectorIiiEEZNS1_14transform_implILb0ES3_S5_N6thrust23THRUST_200600_302600_NS6detail15normal_iteratorINS8_7pointerIiNS8_11hip_rocprim12par_nosync_tENS8_11use_defaultESE_EEEESG_ZNS1_13binary_searchIS3_S5_NSA_INS8_10device_ptrIiEEEESG_SG_NS1_16binary_search_opENS9_16wrapped_functionINS8_6system6detail7generic6detail18binary_search_lessEbEEEE10hipError_tPvRmT1_T2_T3_mmT4_T5_P12ihipStream_tbEUlRKiE_EEST_SX_SY_mSZ_S12_bEUlT_E_NS1_11comp_targetILNS1_3genE10ELNS1_11target_archE1201ELNS1_3gpuE5ELNS1_3repE0EEENS1_30default_config_static_selectorELNS0_4arch9wavefront6targetE0EEEvSW_.has_indirect_call, 0
	.section	.AMDGPU.csdata,"",@progbits
; Kernel info:
; codeLenInByte = 0
; TotalNumSgprs: 0
; NumVgprs: 0
; ScratchSize: 0
; MemoryBound: 0
; FloatMode: 240
; IeeeMode: 1
; LDSByteSize: 0 bytes/workgroup (compile time only)
; SGPRBlocks: 0
; VGPRBlocks: 0
; NumSGPRsForWavesPerEU: 1
; NumVGPRsForWavesPerEU: 1
; Occupancy: 16
; WaveLimiterHint : 0
; COMPUTE_PGM_RSRC2:SCRATCH_EN: 0
; COMPUTE_PGM_RSRC2:USER_SGPR: 6
; COMPUTE_PGM_RSRC2:TRAP_HANDLER: 0
; COMPUTE_PGM_RSRC2:TGID_X_EN: 1
; COMPUTE_PGM_RSRC2:TGID_Y_EN: 0
; COMPUTE_PGM_RSRC2:TGID_Z_EN: 0
; COMPUTE_PGM_RSRC2:TIDIG_COMP_CNT: 0
	.section	.text._ZN7rocprim17ROCPRIM_400000_NS6detail17trampoline_kernelINS0_14default_configENS1_29binary_search_config_selectorIiiEEZNS1_14transform_implILb0ES3_S5_N6thrust23THRUST_200600_302600_NS6detail15normal_iteratorINS8_7pointerIiNS8_11hip_rocprim12par_nosync_tENS8_11use_defaultESE_EEEESG_ZNS1_13binary_searchIS3_S5_NSA_INS8_10device_ptrIiEEEESG_SG_NS1_16binary_search_opENS9_16wrapped_functionINS8_6system6detail7generic6detail18binary_search_lessEbEEEE10hipError_tPvRmT1_T2_T3_mmT4_T5_P12ihipStream_tbEUlRKiE_EEST_SX_SY_mSZ_S12_bEUlT_E_NS1_11comp_targetILNS1_3genE10ELNS1_11target_archE1200ELNS1_3gpuE4ELNS1_3repE0EEENS1_30default_config_static_selectorELNS0_4arch9wavefront6targetE0EEEvSW_,"axG",@progbits,_ZN7rocprim17ROCPRIM_400000_NS6detail17trampoline_kernelINS0_14default_configENS1_29binary_search_config_selectorIiiEEZNS1_14transform_implILb0ES3_S5_N6thrust23THRUST_200600_302600_NS6detail15normal_iteratorINS8_7pointerIiNS8_11hip_rocprim12par_nosync_tENS8_11use_defaultESE_EEEESG_ZNS1_13binary_searchIS3_S5_NSA_INS8_10device_ptrIiEEEESG_SG_NS1_16binary_search_opENS9_16wrapped_functionINS8_6system6detail7generic6detail18binary_search_lessEbEEEE10hipError_tPvRmT1_T2_T3_mmT4_T5_P12ihipStream_tbEUlRKiE_EEST_SX_SY_mSZ_S12_bEUlT_E_NS1_11comp_targetILNS1_3genE10ELNS1_11target_archE1200ELNS1_3gpuE4ELNS1_3repE0EEENS1_30default_config_static_selectorELNS0_4arch9wavefront6targetE0EEEvSW_,comdat
	.protected	_ZN7rocprim17ROCPRIM_400000_NS6detail17trampoline_kernelINS0_14default_configENS1_29binary_search_config_selectorIiiEEZNS1_14transform_implILb0ES3_S5_N6thrust23THRUST_200600_302600_NS6detail15normal_iteratorINS8_7pointerIiNS8_11hip_rocprim12par_nosync_tENS8_11use_defaultESE_EEEESG_ZNS1_13binary_searchIS3_S5_NSA_INS8_10device_ptrIiEEEESG_SG_NS1_16binary_search_opENS9_16wrapped_functionINS8_6system6detail7generic6detail18binary_search_lessEbEEEE10hipError_tPvRmT1_T2_T3_mmT4_T5_P12ihipStream_tbEUlRKiE_EEST_SX_SY_mSZ_S12_bEUlT_E_NS1_11comp_targetILNS1_3genE10ELNS1_11target_archE1200ELNS1_3gpuE4ELNS1_3repE0EEENS1_30default_config_static_selectorELNS0_4arch9wavefront6targetE0EEEvSW_ ; -- Begin function _ZN7rocprim17ROCPRIM_400000_NS6detail17trampoline_kernelINS0_14default_configENS1_29binary_search_config_selectorIiiEEZNS1_14transform_implILb0ES3_S5_N6thrust23THRUST_200600_302600_NS6detail15normal_iteratorINS8_7pointerIiNS8_11hip_rocprim12par_nosync_tENS8_11use_defaultESE_EEEESG_ZNS1_13binary_searchIS3_S5_NSA_INS8_10device_ptrIiEEEESG_SG_NS1_16binary_search_opENS9_16wrapped_functionINS8_6system6detail7generic6detail18binary_search_lessEbEEEE10hipError_tPvRmT1_T2_T3_mmT4_T5_P12ihipStream_tbEUlRKiE_EEST_SX_SY_mSZ_S12_bEUlT_E_NS1_11comp_targetILNS1_3genE10ELNS1_11target_archE1200ELNS1_3gpuE4ELNS1_3repE0EEENS1_30default_config_static_selectorELNS0_4arch9wavefront6targetE0EEEvSW_
	.globl	_ZN7rocprim17ROCPRIM_400000_NS6detail17trampoline_kernelINS0_14default_configENS1_29binary_search_config_selectorIiiEEZNS1_14transform_implILb0ES3_S5_N6thrust23THRUST_200600_302600_NS6detail15normal_iteratorINS8_7pointerIiNS8_11hip_rocprim12par_nosync_tENS8_11use_defaultESE_EEEESG_ZNS1_13binary_searchIS3_S5_NSA_INS8_10device_ptrIiEEEESG_SG_NS1_16binary_search_opENS9_16wrapped_functionINS8_6system6detail7generic6detail18binary_search_lessEbEEEE10hipError_tPvRmT1_T2_T3_mmT4_T5_P12ihipStream_tbEUlRKiE_EEST_SX_SY_mSZ_S12_bEUlT_E_NS1_11comp_targetILNS1_3genE10ELNS1_11target_archE1200ELNS1_3gpuE4ELNS1_3repE0EEENS1_30default_config_static_selectorELNS0_4arch9wavefront6targetE0EEEvSW_
	.p2align	8
	.type	_ZN7rocprim17ROCPRIM_400000_NS6detail17trampoline_kernelINS0_14default_configENS1_29binary_search_config_selectorIiiEEZNS1_14transform_implILb0ES3_S5_N6thrust23THRUST_200600_302600_NS6detail15normal_iteratorINS8_7pointerIiNS8_11hip_rocprim12par_nosync_tENS8_11use_defaultESE_EEEESG_ZNS1_13binary_searchIS3_S5_NSA_INS8_10device_ptrIiEEEESG_SG_NS1_16binary_search_opENS9_16wrapped_functionINS8_6system6detail7generic6detail18binary_search_lessEbEEEE10hipError_tPvRmT1_T2_T3_mmT4_T5_P12ihipStream_tbEUlRKiE_EEST_SX_SY_mSZ_S12_bEUlT_E_NS1_11comp_targetILNS1_3genE10ELNS1_11target_archE1200ELNS1_3gpuE4ELNS1_3repE0EEENS1_30default_config_static_selectorELNS0_4arch9wavefront6targetE0EEEvSW_,@function
_ZN7rocprim17ROCPRIM_400000_NS6detail17trampoline_kernelINS0_14default_configENS1_29binary_search_config_selectorIiiEEZNS1_14transform_implILb0ES3_S5_N6thrust23THRUST_200600_302600_NS6detail15normal_iteratorINS8_7pointerIiNS8_11hip_rocprim12par_nosync_tENS8_11use_defaultESE_EEEESG_ZNS1_13binary_searchIS3_S5_NSA_INS8_10device_ptrIiEEEESG_SG_NS1_16binary_search_opENS9_16wrapped_functionINS8_6system6detail7generic6detail18binary_search_lessEbEEEE10hipError_tPvRmT1_T2_T3_mmT4_T5_P12ihipStream_tbEUlRKiE_EEST_SX_SY_mSZ_S12_bEUlT_E_NS1_11comp_targetILNS1_3genE10ELNS1_11target_archE1200ELNS1_3gpuE4ELNS1_3repE0EEENS1_30default_config_static_selectorELNS0_4arch9wavefront6targetE0EEEvSW_: ; @_ZN7rocprim17ROCPRIM_400000_NS6detail17trampoline_kernelINS0_14default_configENS1_29binary_search_config_selectorIiiEEZNS1_14transform_implILb0ES3_S5_N6thrust23THRUST_200600_302600_NS6detail15normal_iteratorINS8_7pointerIiNS8_11hip_rocprim12par_nosync_tENS8_11use_defaultESE_EEEESG_ZNS1_13binary_searchIS3_S5_NSA_INS8_10device_ptrIiEEEESG_SG_NS1_16binary_search_opENS9_16wrapped_functionINS8_6system6detail7generic6detail18binary_search_lessEbEEEE10hipError_tPvRmT1_T2_T3_mmT4_T5_P12ihipStream_tbEUlRKiE_EEST_SX_SY_mSZ_S12_bEUlT_E_NS1_11comp_targetILNS1_3genE10ELNS1_11target_archE1200ELNS1_3gpuE4ELNS1_3repE0EEENS1_30default_config_static_selectorELNS0_4arch9wavefront6targetE0EEEvSW_
; %bb.0:
	.section	.rodata,"a",@progbits
	.p2align	6, 0x0
	.amdhsa_kernel _ZN7rocprim17ROCPRIM_400000_NS6detail17trampoline_kernelINS0_14default_configENS1_29binary_search_config_selectorIiiEEZNS1_14transform_implILb0ES3_S5_N6thrust23THRUST_200600_302600_NS6detail15normal_iteratorINS8_7pointerIiNS8_11hip_rocprim12par_nosync_tENS8_11use_defaultESE_EEEESG_ZNS1_13binary_searchIS3_S5_NSA_INS8_10device_ptrIiEEEESG_SG_NS1_16binary_search_opENS9_16wrapped_functionINS8_6system6detail7generic6detail18binary_search_lessEbEEEE10hipError_tPvRmT1_T2_T3_mmT4_T5_P12ihipStream_tbEUlRKiE_EEST_SX_SY_mSZ_S12_bEUlT_E_NS1_11comp_targetILNS1_3genE10ELNS1_11target_archE1200ELNS1_3gpuE4ELNS1_3repE0EEENS1_30default_config_static_selectorELNS0_4arch9wavefront6targetE0EEEvSW_
		.amdhsa_group_segment_fixed_size 0
		.amdhsa_private_segment_fixed_size 0
		.amdhsa_kernarg_size 56
		.amdhsa_user_sgpr_count 6
		.amdhsa_user_sgpr_private_segment_buffer 1
		.amdhsa_user_sgpr_dispatch_ptr 0
		.amdhsa_user_sgpr_queue_ptr 0
		.amdhsa_user_sgpr_kernarg_segment_ptr 1
		.amdhsa_user_sgpr_dispatch_id 0
		.amdhsa_user_sgpr_flat_scratch_init 0
		.amdhsa_user_sgpr_private_segment_size 0
		.amdhsa_wavefront_size32 1
		.amdhsa_uses_dynamic_stack 0
		.amdhsa_system_sgpr_private_segment_wavefront_offset 0
		.amdhsa_system_sgpr_workgroup_id_x 1
		.amdhsa_system_sgpr_workgroup_id_y 0
		.amdhsa_system_sgpr_workgroup_id_z 0
		.amdhsa_system_sgpr_workgroup_info 0
		.amdhsa_system_vgpr_workitem_id 0
		.amdhsa_next_free_vgpr 1
		.amdhsa_next_free_sgpr 1
		.amdhsa_reserve_vcc 0
		.amdhsa_reserve_flat_scratch 0
		.amdhsa_float_round_mode_32 0
		.amdhsa_float_round_mode_16_64 0
		.amdhsa_float_denorm_mode_32 3
		.amdhsa_float_denorm_mode_16_64 3
		.amdhsa_dx10_clamp 1
		.amdhsa_ieee_mode 1
		.amdhsa_fp16_overflow 0
		.amdhsa_workgroup_processor_mode 1
		.amdhsa_memory_ordered 1
		.amdhsa_forward_progress 1
		.amdhsa_shared_vgpr_count 0
		.amdhsa_exception_fp_ieee_invalid_op 0
		.amdhsa_exception_fp_denorm_src 0
		.amdhsa_exception_fp_ieee_div_zero 0
		.amdhsa_exception_fp_ieee_overflow 0
		.amdhsa_exception_fp_ieee_underflow 0
		.amdhsa_exception_fp_ieee_inexact 0
		.amdhsa_exception_int_div_zero 0
	.end_amdhsa_kernel
	.section	.text._ZN7rocprim17ROCPRIM_400000_NS6detail17trampoline_kernelINS0_14default_configENS1_29binary_search_config_selectorIiiEEZNS1_14transform_implILb0ES3_S5_N6thrust23THRUST_200600_302600_NS6detail15normal_iteratorINS8_7pointerIiNS8_11hip_rocprim12par_nosync_tENS8_11use_defaultESE_EEEESG_ZNS1_13binary_searchIS3_S5_NSA_INS8_10device_ptrIiEEEESG_SG_NS1_16binary_search_opENS9_16wrapped_functionINS8_6system6detail7generic6detail18binary_search_lessEbEEEE10hipError_tPvRmT1_T2_T3_mmT4_T5_P12ihipStream_tbEUlRKiE_EEST_SX_SY_mSZ_S12_bEUlT_E_NS1_11comp_targetILNS1_3genE10ELNS1_11target_archE1200ELNS1_3gpuE4ELNS1_3repE0EEENS1_30default_config_static_selectorELNS0_4arch9wavefront6targetE0EEEvSW_,"axG",@progbits,_ZN7rocprim17ROCPRIM_400000_NS6detail17trampoline_kernelINS0_14default_configENS1_29binary_search_config_selectorIiiEEZNS1_14transform_implILb0ES3_S5_N6thrust23THRUST_200600_302600_NS6detail15normal_iteratorINS8_7pointerIiNS8_11hip_rocprim12par_nosync_tENS8_11use_defaultESE_EEEESG_ZNS1_13binary_searchIS3_S5_NSA_INS8_10device_ptrIiEEEESG_SG_NS1_16binary_search_opENS9_16wrapped_functionINS8_6system6detail7generic6detail18binary_search_lessEbEEEE10hipError_tPvRmT1_T2_T3_mmT4_T5_P12ihipStream_tbEUlRKiE_EEST_SX_SY_mSZ_S12_bEUlT_E_NS1_11comp_targetILNS1_3genE10ELNS1_11target_archE1200ELNS1_3gpuE4ELNS1_3repE0EEENS1_30default_config_static_selectorELNS0_4arch9wavefront6targetE0EEEvSW_,comdat
.Lfunc_end704:
	.size	_ZN7rocprim17ROCPRIM_400000_NS6detail17trampoline_kernelINS0_14default_configENS1_29binary_search_config_selectorIiiEEZNS1_14transform_implILb0ES3_S5_N6thrust23THRUST_200600_302600_NS6detail15normal_iteratorINS8_7pointerIiNS8_11hip_rocprim12par_nosync_tENS8_11use_defaultESE_EEEESG_ZNS1_13binary_searchIS3_S5_NSA_INS8_10device_ptrIiEEEESG_SG_NS1_16binary_search_opENS9_16wrapped_functionINS8_6system6detail7generic6detail18binary_search_lessEbEEEE10hipError_tPvRmT1_T2_T3_mmT4_T5_P12ihipStream_tbEUlRKiE_EEST_SX_SY_mSZ_S12_bEUlT_E_NS1_11comp_targetILNS1_3genE10ELNS1_11target_archE1200ELNS1_3gpuE4ELNS1_3repE0EEENS1_30default_config_static_selectorELNS0_4arch9wavefront6targetE0EEEvSW_, .Lfunc_end704-_ZN7rocprim17ROCPRIM_400000_NS6detail17trampoline_kernelINS0_14default_configENS1_29binary_search_config_selectorIiiEEZNS1_14transform_implILb0ES3_S5_N6thrust23THRUST_200600_302600_NS6detail15normal_iteratorINS8_7pointerIiNS8_11hip_rocprim12par_nosync_tENS8_11use_defaultESE_EEEESG_ZNS1_13binary_searchIS3_S5_NSA_INS8_10device_ptrIiEEEESG_SG_NS1_16binary_search_opENS9_16wrapped_functionINS8_6system6detail7generic6detail18binary_search_lessEbEEEE10hipError_tPvRmT1_T2_T3_mmT4_T5_P12ihipStream_tbEUlRKiE_EEST_SX_SY_mSZ_S12_bEUlT_E_NS1_11comp_targetILNS1_3genE10ELNS1_11target_archE1200ELNS1_3gpuE4ELNS1_3repE0EEENS1_30default_config_static_selectorELNS0_4arch9wavefront6targetE0EEEvSW_
                                        ; -- End function
	.set _ZN7rocprim17ROCPRIM_400000_NS6detail17trampoline_kernelINS0_14default_configENS1_29binary_search_config_selectorIiiEEZNS1_14transform_implILb0ES3_S5_N6thrust23THRUST_200600_302600_NS6detail15normal_iteratorINS8_7pointerIiNS8_11hip_rocprim12par_nosync_tENS8_11use_defaultESE_EEEESG_ZNS1_13binary_searchIS3_S5_NSA_INS8_10device_ptrIiEEEESG_SG_NS1_16binary_search_opENS9_16wrapped_functionINS8_6system6detail7generic6detail18binary_search_lessEbEEEE10hipError_tPvRmT1_T2_T3_mmT4_T5_P12ihipStream_tbEUlRKiE_EEST_SX_SY_mSZ_S12_bEUlT_E_NS1_11comp_targetILNS1_3genE10ELNS1_11target_archE1200ELNS1_3gpuE4ELNS1_3repE0EEENS1_30default_config_static_selectorELNS0_4arch9wavefront6targetE0EEEvSW_.num_vgpr, 0
	.set _ZN7rocprim17ROCPRIM_400000_NS6detail17trampoline_kernelINS0_14default_configENS1_29binary_search_config_selectorIiiEEZNS1_14transform_implILb0ES3_S5_N6thrust23THRUST_200600_302600_NS6detail15normal_iteratorINS8_7pointerIiNS8_11hip_rocprim12par_nosync_tENS8_11use_defaultESE_EEEESG_ZNS1_13binary_searchIS3_S5_NSA_INS8_10device_ptrIiEEEESG_SG_NS1_16binary_search_opENS9_16wrapped_functionINS8_6system6detail7generic6detail18binary_search_lessEbEEEE10hipError_tPvRmT1_T2_T3_mmT4_T5_P12ihipStream_tbEUlRKiE_EEST_SX_SY_mSZ_S12_bEUlT_E_NS1_11comp_targetILNS1_3genE10ELNS1_11target_archE1200ELNS1_3gpuE4ELNS1_3repE0EEENS1_30default_config_static_selectorELNS0_4arch9wavefront6targetE0EEEvSW_.num_agpr, 0
	.set _ZN7rocprim17ROCPRIM_400000_NS6detail17trampoline_kernelINS0_14default_configENS1_29binary_search_config_selectorIiiEEZNS1_14transform_implILb0ES3_S5_N6thrust23THRUST_200600_302600_NS6detail15normal_iteratorINS8_7pointerIiNS8_11hip_rocprim12par_nosync_tENS8_11use_defaultESE_EEEESG_ZNS1_13binary_searchIS3_S5_NSA_INS8_10device_ptrIiEEEESG_SG_NS1_16binary_search_opENS9_16wrapped_functionINS8_6system6detail7generic6detail18binary_search_lessEbEEEE10hipError_tPvRmT1_T2_T3_mmT4_T5_P12ihipStream_tbEUlRKiE_EEST_SX_SY_mSZ_S12_bEUlT_E_NS1_11comp_targetILNS1_3genE10ELNS1_11target_archE1200ELNS1_3gpuE4ELNS1_3repE0EEENS1_30default_config_static_selectorELNS0_4arch9wavefront6targetE0EEEvSW_.numbered_sgpr, 0
	.set _ZN7rocprim17ROCPRIM_400000_NS6detail17trampoline_kernelINS0_14default_configENS1_29binary_search_config_selectorIiiEEZNS1_14transform_implILb0ES3_S5_N6thrust23THRUST_200600_302600_NS6detail15normal_iteratorINS8_7pointerIiNS8_11hip_rocprim12par_nosync_tENS8_11use_defaultESE_EEEESG_ZNS1_13binary_searchIS3_S5_NSA_INS8_10device_ptrIiEEEESG_SG_NS1_16binary_search_opENS9_16wrapped_functionINS8_6system6detail7generic6detail18binary_search_lessEbEEEE10hipError_tPvRmT1_T2_T3_mmT4_T5_P12ihipStream_tbEUlRKiE_EEST_SX_SY_mSZ_S12_bEUlT_E_NS1_11comp_targetILNS1_3genE10ELNS1_11target_archE1200ELNS1_3gpuE4ELNS1_3repE0EEENS1_30default_config_static_selectorELNS0_4arch9wavefront6targetE0EEEvSW_.num_named_barrier, 0
	.set _ZN7rocprim17ROCPRIM_400000_NS6detail17trampoline_kernelINS0_14default_configENS1_29binary_search_config_selectorIiiEEZNS1_14transform_implILb0ES3_S5_N6thrust23THRUST_200600_302600_NS6detail15normal_iteratorINS8_7pointerIiNS8_11hip_rocprim12par_nosync_tENS8_11use_defaultESE_EEEESG_ZNS1_13binary_searchIS3_S5_NSA_INS8_10device_ptrIiEEEESG_SG_NS1_16binary_search_opENS9_16wrapped_functionINS8_6system6detail7generic6detail18binary_search_lessEbEEEE10hipError_tPvRmT1_T2_T3_mmT4_T5_P12ihipStream_tbEUlRKiE_EEST_SX_SY_mSZ_S12_bEUlT_E_NS1_11comp_targetILNS1_3genE10ELNS1_11target_archE1200ELNS1_3gpuE4ELNS1_3repE0EEENS1_30default_config_static_selectorELNS0_4arch9wavefront6targetE0EEEvSW_.private_seg_size, 0
	.set _ZN7rocprim17ROCPRIM_400000_NS6detail17trampoline_kernelINS0_14default_configENS1_29binary_search_config_selectorIiiEEZNS1_14transform_implILb0ES3_S5_N6thrust23THRUST_200600_302600_NS6detail15normal_iteratorINS8_7pointerIiNS8_11hip_rocprim12par_nosync_tENS8_11use_defaultESE_EEEESG_ZNS1_13binary_searchIS3_S5_NSA_INS8_10device_ptrIiEEEESG_SG_NS1_16binary_search_opENS9_16wrapped_functionINS8_6system6detail7generic6detail18binary_search_lessEbEEEE10hipError_tPvRmT1_T2_T3_mmT4_T5_P12ihipStream_tbEUlRKiE_EEST_SX_SY_mSZ_S12_bEUlT_E_NS1_11comp_targetILNS1_3genE10ELNS1_11target_archE1200ELNS1_3gpuE4ELNS1_3repE0EEENS1_30default_config_static_selectorELNS0_4arch9wavefront6targetE0EEEvSW_.uses_vcc, 0
	.set _ZN7rocprim17ROCPRIM_400000_NS6detail17trampoline_kernelINS0_14default_configENS1_29binary_search_config_selectorIiiEEZNS1_14transform_implILb0ES3_S5_N6thrust23THRUST_200600_302600_NS6detail15normal_iteratorINS8_7pointerIiNS8_11hip_rocprim12par_nosync_tENS8_11use_defaultESE_EEEESG_ZNS1_13binary_searchIS3_S5_NSA_INS8_10device_ptrIiEEEESG_SG_NS1_16binary_search_opENS9_16wrapped_functionINS8_6system6detail7generic6detail18binary_search_lessEbEEEE10hipError_tPvRmT1_T2_T3_mmT4_T5_P12ihipStream_tbEUlRKiE_EEST_SX_SY_mSZ_S12_bEUlT_E_NS1_11comp_targetILNS1_3genE10ELNS1_11target_archE1200ELNS1_3gpuE4ELNS1_3repE0EEENS1_30default_config_static_selectorELNS0_4arch9wavefront6targetE0EEEvSW_.uses_flat_scratch, 0
	.set _ZN7rocprim17ROCPRIM_400000_NS6detail17trampoline_kernelINS0_14default_configENS1_29binary_search_config_selectorIiiEEZNS1_14transform_implILb0ES3_S5_N6thrust23THRUST_200600_302600_NS6detail15normal_iteratorINS8_7pointerIiNS8_11hip_rocprim12par_nosync_tENS8_11use_defaultESE_EEEESG_ZNS1_13binary_searchIS3_S5_NSA_INS8_10device_ptrIiEEEESG_SG_NS1_16binary_search_opENS9_16wrapped_functionINS8_6system6detail7generic6detail18binary_search_lessEbEEEE10hipError_tPvRmT1_T2_T3_mmT4_T5_P12ihipStream_tbEUlRKiE_EEST_SX_SY_mSZ_S12_bEUlT_E_NS1_11comp_targetILNS1_3genE10ELNS1_11target_archE1200ELNS1_3gpuE4ELNS1_3repE0EEENS1_30default_config_static_selectorELNS0_4arch9wavefront6targetE0EEEvSW_.has_dyn_sized_stack, 0
	.set _ZN7rocprim17ROCPRIM_400000_NS6detail17trampoline_kernelINS0_14default_configENS1_29binary_search_config_selectorIiiEEZNS1_14transform_implILb0ES3_S5_N6thrust23THRUST_200600_302600_NS6detail15normal_iteratorINS8_7pointerIiNS8_11hip_rocprim12par_nosync_tENS8_11use_defaultESE_EEEESG_ZNS1_13binary_searchIS3_S5_NSA_INS8_10device_ptrIiEEEESG_SG_NS1_16binary_search_opENS9_16wrapped_functionINS8_6system6detail7generic6detail18binary_search_lessEbEEEE10hipError_tPvRmT1_T2_T3_mmT4_T5_P12ihipStream_tbEUlRKiE_EEST_SX_SY_mSZ_S12_bEUlT_E_NS1_11comp_targetILNS1_3genE10ELNS1_11target_archE1200ELNS1_3gpuE4ELNS1_3repE0EEENS1_30default_config_static_selectorELNS0_4arch9wavefront6targetE0EEEvSW_.has_recursion, 0
	.set _ZN7rocprim17ROCPRIM_400000_NS6detail17trampoline_kernelINS0_14default_configENS1_29binary_search_config_selectorIiiEEZNS1_14transform_implILb0ES3_S5_N6thrust23THRUST_200600_302600_NS6detail15normal_iteratorINS8_7pointerIiNS8_11hip_rocprim12par_nosync_tENS8_11use_defaultESE_EEEESG_ZNS1_13binary_searchIS3_S5_NSA_INS8_10device_ptrIiEEEESG_SG_NS1_16binary_search_opENS9_16wrapped_functionINS8_6system6detail7generic6detail18binary_search_lessEbEEEE10hipError_tPvRmT1_T2_T3_mmT4_T5_P12ihipStream_tbEUlRKiE_EEST_SX_SY_mSZ_S12_bEUlT_E_NS1_11comp_targetILNS1_3genE10ELNS1_11target_archE1200ELNS1_3gpuE4ELNS1_3repE0EEENS1_30default_config_static_selectorELNS0_4arch9wavefront6targetE0EEEvSW_.has_indirect_call, 0
	.section	.AMDGPU.csdata,"",@progbits
; Kernel info:
; codeLenInByte = 0
; TotalNumSgprs: 0
; NumVgprs: 0
; ScratchSize: 0
; MemoryBound: 0
; FloatMode: 240
; IeeeMode: 1
; LDSByteSize: 0 bytes/workgroup (compile time only)
; SGPRBlocks: 0
; VGPRBlocks: 0
; NumSGPRsForWavesPerEU: 1
; NumVGPRsForWavesPerEU: 1
; Occupancy: 16
; WaveLimiterHint : 0
; COMPUTE_PGM_RSRC2:SCRATCH_EN: 0
; COMPUTE_PGM_RSRC2:USER_SGPR: 6
; COMPUTE_PGM_RSRC2:TRAP_HANDLER: 0
; COMPUTE_PGM_RSRC2:TGID_X_EN: 1
; COMPUTE_PGM_RSRC2:TGID_Y_EN: 0
; COMPUTE_PGM_RSRC2:TGID_Z_EN: 0
; COMPUTE_PGM_RSRC2:TIDIG_COMP_CNT: 0
	.section	.text._ZN7rocprim17ROCPRIM_400000_NS6detail17trampoline_kernelINS0_14default_configENS1_29binary_search_config_selectorIiiEEZNS1_14transform_implILb0ES3_S5_N6thrust23THRUST_200600_302600_NS6detail15normal_iteratorINS8_7pointerIiNS8_11hip_rocprim12par_nosync_tENS8_11use_defaultESE_EEEESG_ZNS1_13binary_searchIS3_S5_NSA_INS8_10device_ptrIiEEEESG_SG_NS1_16binary_search_opENS9_16wrapped_functionINS8_6system6detail7generic6detail18binary_search_lessEbEEEE10hipError_tPvRmT1_T2_T3_mmT4_T5_P12ihipStream_tbEUlRKiE_EEST_SX_SY_mSZ_S12_bEUlT_E_NS1_11comp_targetILNS1_3genE9ELNS1_11target_archE1100ELNS1_3gpuE3ELNS1_3repE0EEENS1_30default_config_static_selectorELNS0_4arch9wavefront6targetE0EEEvSW_,"axG",@progbits,_ZN7rocprim17ROCPRIM_400000_NS6detail17trampoline_kernelINS0_14default_configENS1_29binary_search_config_selectorIiiEEZNS1_14transform_implILb0ES3_S5_N6thrust23THRUST_200600_302600_NS6detail15normal_iteratorINS8_7pointerIiNS8_11hip_rocprim12par_nosync_tENS8_11use_defaultESE_EEEESG_ZNS1_13binary_searchIS3_S5_NSA_INS8_10device_ptrIiEEEESG_SG_NS1_16binary_search_opENS9_16wrapped_functionINS8_6system6detail7generic6detail18binary_search_lessEbEEEE10hipError_tPvRmT1_T2_T3_mmT4_T5_P12ihipStream_tbEUlRKiE_EEST_SX_SY_mSZ_S12_bEUlT_E_NS1_11comp_targetILNS1_3genE9ELNS1_11target_archE1100ELNS1_3gpuE3ELNS1_3repE0EEENS1_30default_config_static_selectorELNS0_4arch9wavefront6targetE0EEEvSW_,comdat
	.protected	_ZN7rocprim17ROCPRIM_400000_NS6detail17trampoline_kernelINS0_14default_configENS1_29binary_search_config_selectorIiiEEZNS1_14transform_implILb0ES3_S5_N6thrust23THRUST_200600_302600_NS6detail15normal_iteratorINS8_7pointerIiNS8_11hip_rocprim12par_nosync_tENS8_11use_defaultESE_EEEESG_ZNS1_13binary_searchIS3_S5_NSA_INS8_10device_ptrIiEEEESG_SG_NS1_16binary_search_opENS9_16wrapped_functionINS8_6system6detail7generic6detail18binary_search_lessEbEEEE10hipError_tPvRmT1_T2_T3_mmT4_T5_P12ihipStream_tbEUlRKiE_EEST_SX_SY_mSZ_S12_bEUlT_E_NS1_11comp_targetILNS1_3genE9ELNS1_11target_archE1100ELNS1_3gpuE3ELNS1_3repE0EEENS1_30default_config_static_selectorELNS0_4arch9wavefront6targetE0EEEvSW_ ; -- Begin function _ZN7rocprim17ROCPRIM_400000_NS6detail17trampoline_kernelINS0_14default_configENS1_29binary_search_config_selectorIiiEEZNS1_14transform_implILb0ES3_S5_N6thrust23THRUST_200600_302600_NS6detail15normal_iteratorINS8_7pointerIiNS8_11hip_rocprim12par_nosync_tENS8_11use_defaultESE_EEEESG_ZNS1_13binary_searchIS3_S5_NSA_INS8_10device_ptrIiEEEESG_SG_NS1_16binary_search_opENS9_16wrapped_functionINS8_6system6detail7generic6detail18binary_search_lessEbEEEE10hipError_tPvRmT1_T2_T3_mmT4_T5_P12ihipStream_tbEUlRKiE_EEST_SX_SY_mSZ_S12_bEUlT_E_NS1_11comp_targetILNS1_3genE9ELNS1_11target_archE1100ELNS1_3gpuE3ELNS1_3repE0EEENS1_30default_config_static_selectorELNS0_4arch9wavefront6targetE0EEEvSW_
	.globl	_ZN7rocprim17ROCPRIM_400000_NS6detail17trampoline_kernelINS0_14default_configENS1_29binary_search_config_selectorIiiEEZNS1_14transform_implILb0ES3_S5_N6thrust23THRUST_200600_302600_NS6detail15normal_iteratorINS8_7pointerIiNS8_11hip_rocprim12par_nosync_tENS8_11use_defaultESE_EEEESG_ZNS1_13binary_searchIS3_S5_NSA_INS8_10device_ptrIiEEEESG_SG_NS1_16binary_search_opENS9_16wrapped_functionINS8_6system6detail7generic6detail18binary_search_lessEbEEEE10hipError_tPvRmT1_T2_T3_mmT4_T5_P12ihipStream_tbEUlRKiE_EEST_SX_SY_mSZ_S12_bEUlT_E_NS1_11comp_targetILNS1_3genE9ELNS1_11target_archE1100ELNS1_3gpuE3ELNS1_3repE0EEENS1_30default_config_static_selectorELNS0_4arch9wavefront6targetE0EEEvSW_
	.p2align	8
	.type	_ZN7rocprim17ROCPRIM_400000_NS6detail17trampoline_kernelINS0_14default_configENS1_29binary_search_config_selectorIiiEEZNS1_14transform_implILb0ES3_S5_N6thrust23THRUST_200600_302600_NS6detail15normal_iteratorINS8_7pointerIiNS8_11hip_rocprim12par_nosync_tENS8_11use_defaultESE_EEEESG_ZNS1_13binary_searchIS3_S5_NSA_INS8_10device_ptrIiEEEESG_SG_NS1_16binary_search_opENS9_16wrapped_functionINS8_6system6detail7generic6detail18binary_search_lessEbEEEE10hipError_tPvRmT1_T2_T3_mmT4_T5_P12ihipStream_tbEUlRKiE_EEST_SX_SY_mSZ_S12_bEUlT_E_NS1_11comp_targetILNS1_3genE9ELNS1_11target_archE1100ELNS1_3gpuE3ELNS1_3repE0EEENS1_30default_config_static_selectorELNS0_4arch9wavefront6targetE0EEEvSW_,@function
_ZN7rocprim17ROCPRIM_400000_NS6detail17trampoline_kernelINS0_14default_configENS1_29binary_search_config_selectorIiiEEZNS1_14transform_implILb0ES3_S5_N6thrust23THRUST_200600_302600_NS6detail15normal_iteratorINS8_7pointerIiNS8_11hip_rocprim12par_nosync_tENS8_11use_defaultESE_EEEESG_ZNS1_13binary_searchIS3_S5_NSA_INS8_10device_ptrIiEEEESG_SG_NS1_16binary_search_opENS9_16wrapped_functionINS8_6system6detail7generic6detail18binary_search_lessEbEEEE10hipError_tPvRmT1_T2_T3_mmT4_T5_P12ihipStream_tbEUlRKiE_EEST_SX_SY_mSZ_S12_bEUlT_E_NS1_11comp_targetILNS1_3genE9ELNS1_11target_archE1100ELNS1_3gpuE3ELNS1_3repE0EEENS1_30default_config_static_selectorELNS0_4arch9wavefront6targetE0EEEvSW_: ; @_ZN7rocprim17ROCPRIM_400000_NS6detail17trampoline_kernelINS0_14default_configENS1_29binary_search_config_selectorIiiEEZNS1_14transform_implILb0ES3_S5_N6thrust23THRUST_200600_302600_NS6detail15normal_iteratorINS8_7pointerIiNS8_11hip_rocprim12par_nosync_tENS8_11use_defaultESE_EEEESG_ZNS1_13binary_searchIS3_S5_NSA_INS8_10device_ptrIiEEEESG_SG_NS1_16binary_search_opENS9_16wrapped_functionINS8_6system6detail7generic6detail18binary_search_lessEbEEEE10hipError_tPvRmT1_T2_T3_mmT4_T5_P12ihipStream_tbEUlRKiE_EEST_SX_SY_mSZ_S12_bEUlT_E_NS1_11comp_targetILNS1_3genE9ELNS1_11target_archE1100ELNS1_3gpuE3ELNS1_3repE0EEENS1_30default_config_static_selectorELNS0_4arch9wavefront6targetE0EEEvSW_
; %bb.0:
	.section	.rodata,"a",@progbits
	.p2align	6, 0x0
	.amdhsa_kernel _ZN7rocprim17ROCPRIM_400000_NS6detail17trampoline_kernelINS0_14default_configENS1_29binary_search_config_selectorIiiEEZNS1_14transform_implILb0ES3_S5_N6thrust23THRUST_200600_302600_NS6detail15normal_iteratorINS8_7pointerIiNS8_11hip_rocprim12par_nosync_tENS8_11use_defaultESE_EEEESG_ZNS1_13binary_searchIS3_S5_NSA_INS8_10device_ptrIiEEEESG_SG_NS1_16binary_search_opENS9_16wrapped_functionINS8_6system6detail7generic6detail18binary_search_lessEbEEEE10hipError_tPvRmT1_T2_T3_mmT4_T5_P12ihipStream_tbEUlRKiE_EEST_SX_SY_mSZ_S12_bEUlT_E_NS1_11comp_targetILNS1_3genE9ELNS1_11target_archE1100ELNS1_3gpuE3ELNS1_3repE0EEENS1_30default_config_static_selectorELNS0_4arch9wavefront6targetE0EEEvSW_
		.amdhsa_group_segment_fixed_size 0
		.amdhsa_private_segment_fixed_size 0
		.amdhsa_kernarg_size 56
		.amdhsa_user_sgpr_count 6
		.amdhsa_user_sgpr_private_segment_buffer 1
		.amdhsa_user_sgpr_dispatch_ptr 0
		.amdhsa_user_sgpr_queue_ptr 0
		.amdhsa_user_sgpr_kernarg_segment_ptr 1
		.amdhsa_user_sgpr_dispatch_id 0
		.amdhsa_user_sgpr_flat_scratch_init 0
		.amdhsa_user_sgpr_private_segment_size 0
		.amdhsa_wavefront_size32 1
		.amdhsa_uses_dynamic_stack 0
		.amdhsa_system_sgpr_private_segment_wavefront_offset 0
		.amdhsa_system_sgpr_workgroup_id_x 1
		.amdhsa_system_sgpr_workgroup_id_y 0
		.amdhsa_system_sgpr_workgroup_id_z 0
		.amdhsa_system_sgpr_workgroup_info 0
		.amdhsa_system_vgpr_workitem_id 0
		.amdhsa_next_free_vgpr 1
		.amdhsa_next_free_sgpr 1
		.amdhsa_reserve_vcc 0
		.amdhsa_reserve_flat_scratch 0
		.amdhsa_float_round_mode_32 0
		.amdhsa_float_round_mode_16_64 0
		.amdhsa_float_denorm_mode_32 3
		.amdhsa_float_denorm_mode_16_64 3
		.amdhsa_dx10_clamp 1
		.amdhsa_ieee_mode 1
		.amdhsa_fp16_overflow 0
		.amdhsa_workgroup_processor_mode 1
		.amdhsa_memory_ordered 1
		.amdhsa_forward_progress 1
		.amdhsa_shared_vgpr_count 0
		.amdhsa_exception_fp_ieee_invalid_op 0
		.amdhsa_exception_fp_denorm_src 0
		.amdhsa_exception_fp_ieee_div_zero 0
		.amdhsa_exception_fp_ieee_overflow 0
		.amdhsa_exception_fp_ieee_underflow 0
		.amdhsa_exception_fp_ieee_inexact 0
		.amdhsa_exception_int_div_zero 0
	.end_amdhsa_kernel
	.section	.text._ZN7rocprim17ROCPRIM_400000_NS6detail17trampoline_kernelINS0_14default_configENS1_29binary_search_config_selectorIiiEEZNS1_14transform_implILb0ES3_S5_N6thrust23THRUST_200600_302600_NS6detail15normal_iteratorINS8_7pointerIiNS8_11hip_rocprim12par_nosync_tENS8_11use_defaultESE_EEEESG_ZNS1_13binary_searchIS3_S5_NSA_INS8_10device_ptrIiEEEESG_SG_NS1_16binary_search_opENS9_16wrapped_functionINS8_6system6detail7generic6detail18binary_search_lessEbEEEE10hipError_tPvRmT1_T2_T3_mmT4_T5_P12ihipStream_tbEUlRKiE_EEST_SX_SY_mSZ_S12_bEUlT_E_NS1_11comp_targetILNS1_3genE9ELNS1_11target_archE1100ELNS1_3gpuE3ELNS1_3repE0EEENS1_30default_config_static_selectorELNS0_4arch9wavefront6targetE0EEEvSW_,"axG",@progbits,_ZN7rocprim17ROCPRIM_400000_NS6detail17trampoline_kernelINS0_14default_configENS1_29binary_search_config_selectorIiiEEZNS1_14transform_implILb0ES3_S5_N6thrust23THRUST_200600_302600_NS6detail15normal_iteratorINS8_7pointerIiNS8_11hip_rocprim12par_nosync_tENS8_11use_defaultESE_EEEESG_ZNS1_13binary_searchIS3_S5_NSA_INS8_10device_ptrIiEEEESG_SG_NS1_16binary_search_opENS9_16wrapped_functionINS8_6system6detail7generic6detail18binary_search_lessEbEEEE10hipError_tPvRmT1_T2_T3_mmT4_T5_P12ihipStream_tbEUlRKiE_EEST_SX_SY_mSZ_S12_bEUlT_E_NS1_11comp_targetILNS1_3genE9ELNS1_11target_archE1100ELNS1_3gpuE3ELNS1_3repE0EEENS1_30default_config_static_selectorELNS0_4arch9wavefront6targetE0EEEvSW_,comdat
.Lfunc_end705:
	.size	_ZN7rocprim17ROCPRIM_400000_NS6detail17trampoline_kernelINS0_14default_configENS1_29binary_search_config_selectorIiiEEZNS1_14transform_implILb0ES3_S5_N6thrust23THRUST_200600_302600_NS6detail15normal_iteratorINS8_7pointerIiNS8_11hip_rocprim12par_nosync_tENS8_11use_defaultESE_EEEESG_ZNS1_13binary_searchIS3_S5_NSA_INS8_10device_ptrIiEEEESG_SG_NS1_16binary_search_opENS9_16wrapped_functionINS8_6system6detail7generic6detail18binary_search_lessEbEEEE10hipError_tPvRmT1_T2_T3_mmT4_T5_P12ihipStream_tbEUlRKiE_EEST_SX_SY_mSZ_S12_bEUlT_E_NS1_11comp_targetILNS1_3genE9ELNS1_11target_archE1100ELNS1_3gpuE3ELNS1_3repE0EEENS1_30default_config_static_selectorELNS0_4arch9wavefront6targetE0EEEvSW_, .Lfunc_end705-_ZN7rocprim17ROCPRIM_400000_NS6detail17trampoline_kernelINS0_14default_configENS1_29binary_search_config_selectorIiiEEZNS1_14transform_implILb0ES3_S5_N6thrust23THRUST_200600_302600_NS6detail15normal_iteratorINS8_7pointerIiNS8_11hip_rocprim12par_nosync_tENS8_11use_defaultESE_EEEESG_ZNS1_13binary_searchIS3_S5_NSA_INS8_10device_ptrIiEEEESG_SG_NS1_16binary_search_opENS9_16wrapped_functionINS8_6system6detail7generic6detail18binary_search_lessEbEEEE10hipError_tPvRmT1_T2_T3_mmT4_T5_P12ihipStream_tbEUlRKiE_EEST_SX_SY_mSZ_S12_bEUlT_E_NS1_11comp_targetILNS1_3genE9ELNS1_11target_archE1100ELNS1_3gpuE3ELNS1_3repE0EEENS1_30default_config_static_selectorELNS0_4arch9wavefront6targetE0EEEvSW_
                                        ; -- End function
	.set _ZN7rocprim17ROCPRIM_400000_NS6detail17trampoline_kernelINS0_14default_configENS1_29binary_search_config_selectorIiiEEZNS1_14transform_implILb0ES3_S5_N6thrust23THRUST_200600_302600_NS6detail15normal_iteratorINS8_7pointerIiNS8_11hip_rocprim12par_nosync_tENS8_11use_defaultESE_EEEESG_ZNS1_13binary_searchIS3_S5_NSA_INS8_10device_ptrIiEEEESG_SG_NS1_16binary_search_opENS9_16wrapped_functionINS8_6system6detail7generic6detail18binary_search_lessEbEEEE10hipError_tPvRmT1_T2_T3_mmT4_T5_P12ihipStream_tbEUlRKiE_EEST_SX_SY_mSZ_S12_bEUlT_E_NS1_11comp_targetILNS1_3genE9ELNS1_11target_archE1100ELNS1_3gpuE3ELNS1_3repE0EEENS1_30default_config_static_selectorELNS0_4arch9wavefront6targetE0EEEvSW_.num_vgpr, 0
	.set _ZN7rocprim17ROCPRIM_400000_NS6detail17trampoline_kernelINS0_14default_configENS1_29binary_search_config_selectorIiiEEZNS1_14transform_implILb0ES3_S5_N6thrust23THRUST_200600_302600_NS6detail15normal_iteratorINS8_7pointerIiNS8_11hip_rocprim12par_nosync_tENS8_11use_defaultESE_EEEESG_ZNS1_13binary_searchIS3_S5_NSA_INS8_10device_ptrIiEEEESG_SG_NS1_16binary_search_opENS9_16wrapped_functionINS8_6system6detail7generic6detail18binary_search_lessEbEEEE10hipError_tPvRmT1_T2_T3_mmT4_T5_P12ihipStream_tbEUlRKiE_EEST_SX_SY_mSZ_S12_bEUlT_E_NS1_11comp_targetILNS1_3genE9ELNS1_11target_archE1100ELNS1_3gpuE3ELNS1_3repE0EEENS1_30default_config_static_selectorELNS0_4arch9wavefront6targetE0EEEvSW_.num_agpr, 0
	.set _ZN7rocprim17ROCPRIM_400000_NS6detail17trampoline_kernelINS0_14default_configENS1_29binary_search_config_selectorIiiEEZNS1_14transform_implILb0ES3_S5_N6thrust23THRUST_200600_302600_NS6detail15normal_iteratorINS8_7pointerIiNS8_11hip_rocprim12par_nosync_tENS8_11use_defaultESE_EEEESG_ZNS1_13binary_searchIS3_S5_NSA_INS8_10device_ptrIiEEEESG_SG_NS1_16binary_search_opENS9_16wrapped_functionINS8_6system6detail7generic6detail18binary_search_lessEbEEEE10hipError_tPvRmT1_T2_T3_mmT4_T5_P12ihipStream_tbEUlRKiE_EEST_SX_SY_mSZ_S12_bEUlT_E_NS1_11comp_targetILNS1_3genE9ELNS1_11target_archE1100ELNS1_3gpuE3ELNS1_3repE0EEENS1_30default_config_static_selectorELNS0_4arch9wavefront6targetE0EEEvSW_.numbered_sgpr, 0
	.set _ZN7rocprim17ROCPRIM_400000_NS6detail17trampoline_kernelINS0_14default_configENS1_29binary_search_config_selectorIiiEEZNS1_14transform_implILb0ES3_S5_N6thrust23THRUST_200600_302600_NS6detail15normal_iteratorINS8_7pointerIiNS8_11hip_rocprim12par_nosync_tENS8_11use_defaultESE_EEEESG_ZNS1_13binary_searchIS3_S5_NSA_INS8_10device_ptrIiEEEESG_SG_NS1_16binary_search_opENS9_16wrapped_functionINS8_6system6detail7generic6detail18binary_search_lessEbEEEE10hipError_tPvRmT1_T2_T3_mmT4_T5_P12ihipStream_tbEUlRKiE_EEST_SX_SY_mSZ_S12_bEUlT_E_NS1_11comp_targetILNS1_3genE9ELNS1_11target_archE1100ELNS1_3gpuE3ELNS1_3repE0EEENS1_30default_config_static_selectorELNS0_4arch9wavefront6targetE0EEEvSW_.num_named_barrier, 0
	.set _ZN7rocprim17ROCPRIM_400000_NS6detail17trampoline_kernelINS0_14default_configENS1_29binary_search_config_selectorIiiEEZNS1_14transform_implILb0ES3_S5_N6thrust23THRUST_200600_302600_NS6detail15normal_iteratorINS8_7pointerIiNS8_11hip_rocprim12par_nosync_tENS8_11use_defaultESE_EEEESG_ZNS1_13binary_searchIS3_S5_NSA_INS8_10device_ptrIiEEEESG_SG_NS1_16binary_search_opENS9_16wrapped_functionINS8_6system6detail7generic6detail18binary_search_lessEbEEEE10hipError_tPvRmT1_T2_T3_mmT4_T5_P12ihipStream_tbEUlRKiE_EEST_SX_SY_mSZ_S12_bEUlT_E_NS1_11comp_targetILNS1_3genE9ELNS1_11target_archE1100ELNS1_3gpuE3ELNS1_3repE0EEENS1_30default_config_static_selectorELNS0_4arch9wavefront6targetE0EEEvSW_.private_seg_size, 0
	.set _ZN7rocprim17ROCPRIM_400000_NS6detail17trampoline_kernelINS0_14default_configENS1_29binary_search_config_selectorIiiEEZNS1_14transform_implILb0ES3_S5_N6thrust23THRUST_200600_302600_NS6detail15normal_iteratorINS8_7pointerIiNS8_11hip_rocprim12par_nosync_tENS8_11use_defaultESE_EEEESG_ZNS1_13binary_searchIS3_S5_NSA_INS8_10device_ptrIiEEEESG_SG_NS1_16binary_search_opENS9_16wrapped_functionINS8_6system6detail7generic6detail18binary_search_lessEbEEEE10hipError_tPvRmT1_T2_T3_mmT4_T5_P12ihipStream_tbEUlRKiE_EEST_SX_SY_mSZ_S12_bEUlT_E_NS1_11comp_targetILNS1_3genE9ELNS1_11target_archE1100ELNS1_3gpuE3ELNS1_3repE0EEENS1_30default_config_static_selectorELNS0_4arch9wavefront6targetE0EEEvSW_.uses_vcc, 0
	.set _ZN7rocprim17ROCPRIM_400000_NS6detail17trampoline_kernelINS0_14default_configENS1_29binary_search_config_selectorIiiEEZNS1_14transform_implILb0ES3_S5_N6thrust23THRUST_200600_302600_NS6detail15normal_iteratorINS8_7pointerIiNS8_11hip_rocprim12par_nosync_tENS8_11use_defaultESE_EEEESG_ZNS1_13binary_searchIS3_S5_NSA_INS8_10device_ptrIiEEEESG_SG_NS1_16binary_search_opENS9_16wrapped_functionINS8_6system6detail7generic6detail18binary_search_lessEbEEEE10hipError_tPvRmT1_T2_T3_mmT4_T5_P12ihipStream_tbEUlRKiE_EEST_SX_SY_mSZ_S12_bEUlT_E_NS1_11comp_targetILNS1_3genE9ELNS1_11target_archE1100ELNS1_3gpuE3ELNS1_3repE0EEENS1_30default_config_static_selectorELNS0_4arch9wavefront6targetE0EEEvSW_.uses_flat_scratch, 0
	.set _ZN7rocprim17ROCPRIM_400000_NS6detail17trampoline_kernelINS0_14default_configENS1_29binary_search_config_selectorIiiEEZNS1_14transform_implILb0ES3_S5_N6thrust23THRUST_200600_302600_NS6detail15normal_iteratorINS8_7pointerIiNS8_11hip_rocprim12par_nosync_tENS8_11use_defaultESE_EEEESG_ZNS1_13binary_searchIS3_S5_NSA_INS8_10device_ptrIiEEEESG_SG_NS1_16binary_search_opENS9_16wrapped_functionINS8_6system6detail7generic6detail18binary_search_lessEbEEEE10hipError_tPvRmT1_T2_T3_mmT4_T5_P12ihipStream_tbEUlRKiE_EEST_SX_SY_mSZ_S12_bEUlT_E_NS1_11comp_targetILNS1_3genE9ELNS1_11target_archE1100ELNS1_3gpuE3ELNS1_3repE0EEENS1_30default_config_static_selectorELNS0_4arch9wavefront6targetE0EEEvSW_.has_dyn_sized_stack, 0
	.set _ZN7rocprim17ROCPRIM_400000_NS6detail17trampoline_kernelINS0_14default_configENS1_29binary_search_config_selectorIiiEEZNS1_14transform_implILb0ES3_S5_N6thrust23THRUST_200600_302600_NS6detail15normal_iteratorINS8_7pointerIiNS8_11hip_rocprim12par_nosync_tENS8_11use_defaultESE_EEEESG_ZNS1_13binary_searchIS3_S5_NSA_INS8_10device_ptrIiEEEESG_SG_NS1_16binary_search_opENS9_16wrapped_functionINS8_6system6detail7generic6detail18binary_search_lessEbEEEE10hipError_tPvRmT1_T2_T3_mmT4_T5_P12ihipStream_tbEUlRKiE_EEST_SX_SY_mSZ_S12_bEUlT_E_NS1_11comp_targetILNS1_3genE9ELNS1_11target_archE1100ELNS1_3gpuE3ELNS1_3repE0EEENS1_30default_config_static_selectorELNS0_4arch9wavefront6targetE0EEEvSW_.has_recursion, 0
	.set _ZN7rocprim17ROCPRIM_400000_NS6detail17trampoline_kernelINS0_14default_configENS1_29binary_search_config_selectorIiiEEZNS1_14transform_implILb0ES3_S5_N6thrust23THRUST_200600_302600_NS6detail15normal_iteratorINS8_7pointerIiNS8_11hip_rocprim12par_nosync_tENS8_11use_defaultESE_EEEESG_ZNS1_13binary_searchIS3_S5_NSA_INS8_10device_ptrIiEEEESG_SG_NS1_16binary_search_opENS9_16wrapped_functionINS8_6system6detail7generic6detail18binary_search_lessEbEEEE10hipError_tPvRmT1_T2_T3_mmT4_T5_P12ihipStream_tbEUlRKiE_EEST_SX_SY_mSZ_S12_bEUlT_E_NS1_11comp_targetILNS1_3genE9ELNS1_11target_archE1100ELNS1_3gpuE3ELNS1_3repE0EEENS1_30default_config_static_selectorELNS0_4arch9wavefront6targetE0EEEvSW_.has_indirect_call, 0
	.section	.AMDGPU.csdata,"",@progbits
; Kernel info:
; codeLenInByte = 0
; TotalNumSgprs: 0
; NumVgprs: 0
; ScratchSize: 0
; MemoryBound: 0
; FloatMode: 240
; IeeeMode: 1
; LDSByteSize: 0 bytes/workgroup (compile time only)
; SGPRBlocks: 0
; VGPRBlocks: 0
; NumSGPRsForWavesPerEU: 1
; NumVGPRsForWavesPerEU: 1
; Occupancy: 16
; WaveLimiterHint : 0
; COMPUTE_PGM_RSRC2:SCRATCH_EN: 0
; COMPUTE_PGM_RSRC2:USER_SGPR: 6
; COMPUTE_PGM_RSRC2:TRAP_HANDLER: 0
; COMPUTE_PGM_RSRC2:TGID_X_EN: 1
; COMPUTE_PGM_RSRC2:TGID_Y_EN: 0
; COMPUTE_PGM_RSRC2:TGID_Z_EN: 0
; COMPUTE_PGM_RSRC2:TIDIG_COMP_CNT: 0
	.section	.text._ZN7rocprim17ROCPRIM_400000_NS6detail17trampoline_kernelINS0_14default_configENS1_29binary_search_config_selectorIiiEEZNS1_14transform_implILb0ES3_S5_N6thrust23THRUST_200600_302600_NS6detail15normal_iteratorINS8_7pointerIiNS8_11hip_rocprim12par_nosync_tENS8_11use_defaultESE_EEEESG_ZNS1_13binary_searchIS3_S5_NSA_INS8_10device_ptrIiEEEESG_SG_NS1_16binary_search_opENS9_16wrapped_functionINS8_6system6detail7generic6detail18binary_search_lessEbEEEE10hipError_tPvRmT1_T2_T3_mmT4_T5_P12ihipStream_tbEUlRKiE_EEST_SX_SY_mSZ_S12_bEUlT_E_NS1_11comp_targetILNS1_3genE8ELNS1_11target_archE1030ELNS1_3gpuE2ELNS1_3repE0EEENS1_30default_config_static_selectorELNS0_4arch9wavefront6targetE0EEEvSW_,"axG",@progbits,_ZN7rocprim17ROCPRIM_400000_NS6detail17trampoline_kernelINS0_14default_configENS1_29binary_search_config_selectorIiiEEZNS1_14transform_implILb0ES3_S5_N6thrust23THRUST_200600_302600_NS6detail15normal_iteratorINS8_7pointerIiNS8_11hip_rocprim12par_nosync_tENS8_11use_defaultESE_EEEESG_ZNS1_13binary_searchIS3_S5_NSA_INS8_10device_ptrIiEEEESG_SG_NS1_16binary_search_opENS9_16wrapped_functionINS8_6system6detail7generic6detail18binary_search_lessEbEEEE10hipError_tPvRmT1_T2_T3_mmT4_T5_P12ihipStream_tbEUlRKiE_EEST_SX_SY_mSZ_S12_bEUlT_E_NS1_11comp_targetILNS1_3genE8ELNS1_11target_archE1030ELNS1_3gpuE2ELNS1_3repE0EEENS1_30default_config_static_selectorELNS0_4arch9wavefront6targetE0EEEvSW_,comdat
	.protected	_ZN7rocprim17ROCPRIM_400000_NS6detail17trampoline_kernelINS0_14default_configENS1_29binary_search_config_selectorIiiEEZNS1_14transform_implILb0ES3_S5_N6thrust23THRUST_200600_302600_NS6detail15normal_iteratorINS8_7pointerIiNS8_11hip_rocprim12par_nosync_tENS8_11use_defaultESE_EEEESG_ZNS1_13binary_searchIS3_S5_NSA_INS8_10device_ptrIiEEEESG_SG_NS1_16binary_search_opENS9_16wrapped_functionINS8_6system6detail7generic6detail18binary_search_lessEbEEEE10hipError_tPvRmT1_T2_T3_mmT4_T5_P12ihipStream_tbEUlRKiE_EEST_SX_SY_mSZ_S12_bEUlT_E_NS1_11comp_targetILNS1_3genE8ELNS1_11target_archE1030ELNS1_3gpuE2ELNS1_3repE0EEENS1_30default_config_static_selectorELNS0_4arch9wavefront6targetE0EEEvSW_ ; -- Begin function _ZN7rocprim17ROCPRIM_400000_NS6detail17trampoline_kernelINS0_14default_configENS1_29binary_search_config_selectorIiiEEZNS1_14transform_implILb0ES3_S5_N6thrust23THRUST_200600_302600_NS6detail15normal_iteratorINS8_7pointerIiNS8_11hip_rocprim12par_nosync_tENS8_11use_defaultESE_EEEESG_ZNS1_13binary_searchIS3_S5_NSA_INS8_10device_ptrIiEEEESG_SG_NS1_16binary_search_opENS9_16wrapped_functionINS8_6system6detail7generic6detail18binary_search_lessEbEEEE10hipError_tPvRmT1_T2_T3_mmT4_T5_P12ihipStream_tbEUlRKiE_EEST_SX_SY_mSZ_S12_bEUlT_E_NS1_11comp_targetILNS1_3genE8ELNS1_11target_archE1030ELNS1_3gpuE2ELNS1_3repE0EEENS1_30default_config_static_selectorELNS0_4arch9wavefront6targetE0EEEvSW_
	.globl	_ZN7rocprim17ROCPRIM_400000_NS6detail17trampoline_kernelINS0_14default_configENS1_29binary_search_config_selectorIiiEEZNS1_14transform_implILb0ES3_S5_N6thrust23THRUST_200600_302600_NS6detail15normal_iteratorINS8_7pointerIiNS8_11hip_rocprim12par_nosync_tENS8_11use_defaultESE_EEEESG_ZNS1_13binary_searchIS3_S5_NSA_INS8_10device_ptrIiEEEESG_SG_NS1_16binary_search_opENS9_16wrapped_functionINS8_6system6detail7generic6detail18binary_search_lessEbEEEE10hipError_tPvRmT1_T2_T3_mmT4_T5_P12ihipStream_tbEUlRKiE_EEST_SX_SY_mSZ_S12_bEUlT_E_NS1_11comp_targetILNS1_3genE8ELNS1_11target_archE1030ELNS1_3gpuE2ELNS1_3repE0EEENS1_30default_config_static_selectorELNS0_4arch9wavefront6targetE0EEEvSW_
	.p2align	8
	.type	_ZN7rocprim17ROCPRIM_400000_NS6detail17trampoline_kernelINS0_14default_configENS1_29binary_search_config_selectorIiiEEZNS1_14transform_implILb0ES3_S5_N6thrust23THRUST_200600_302600_NS6detail15normal_iteratorINS8_7pointerIiNS8_11hip_rocprim12par_nosync_tENS8_11use_defaultESE_EEEESG_ZNS1_13binary_searchIS3_S5_NSA_INS8_10device_ptrIiEEEESG_SG_NS1_16binary_search_opENS9_16wrapped_functionINS8_6system6detail7generic6detail18binary_search_lessEbEEEE10hipError_tPvRmT1_T2_T3_mmT4_T5_P12ihipStream_tbEUlRKiE_EEST_SX_SY_mSZ_S12_bEUlT_E_NS1_11comp_targetILNS1_3genE8ELNS1_11target_archE1030ELNS1_3gpuE2ELNS1_3repE0EEENS1_30default_config_static_selectorELNS0_4arch9wavefront6targetE0EEEvSW_,@function
_ZN7rocprim17ROCPRIM_400000_NS6detail17trampoline_kernelINS0_14default_configENS1_29binary_search_config_selectorIiiEEZNS1_14transform_implILb0ES3_S5_N6thrust23THRUST_200600_302600_NS6detail15normal_iteratorINS8_7pointerIiNS8_11hip_rocprim12par_nosync_tENS8_11use_defaultESE_EEEESG_ZNS1_13binary_searchIS3_S5_NSA_INS8_10device_ptrIiEEEESG_SG_NS1_16binary_search_opENS9_16wrapped_functionINS8_6system6detail7generic6detail18binary_search_lessEbEEEE10hipError_tPvRmT1_T2_T3_mmT4_T5_P12ihipStream_tbEUlRKiE_EEST_SX_SY_mSZ_S12_bEUlT_E_NS1_11comp_targetILNS1_3genE8ELNS1_11target_archE1030ELNS1_3gpuE2ELNS1_3repE0EEENS1_30default_config_static_selectorELNS0_4arch9wavefront6targetE0EEEvSW_: ; @_ZN7rocprim17ROCPRIM_400000_NS6detail17trampoline_kernelINS0_14default_configENS1_29binary_search_config_selectorIiiEEZNS1_14transform_implILb0ES3_S5_N6thrust23THRUST_200600_302600_NS6detail15normal_iteratorINS8_7pointerIiNS8_11hip_rocprim12par_nosync_tENS8_11use_defaultESE_EEEESG_ZNS1_13binary_searchIS3_S5_NSA_INS8_10device_ptrIiEEEESG_SG_NS1_16binary_search_opENS9_16wrapped_functionINS8_6system6detail7generic6detail18binary_search_lessEbEEEE10hipError_tPvRmT1_T2_T3_mmT4_T5_P12ihipStream_tbEUlRKiE_EEST_SX_SY_mSZ_S12_bEUlT_E_NS1_11comp_targetILNS1_3genE8ELNS1_11target_archE1030ELNS1_3gpuE2ELNS1_3repE0EEENS1_30default_config_static_selectorELNS0_4arch9wavefront6targetE0EEEvSW_
; %bb.0:
	s_clause 0x3
	s_load_dwordx4 s[16:19], s[4:5], 0x0
	s_load_dword s3, s[4:5], 0x38
	s_load_dwordx2 s[0:1], s[4:5], 0x28
	s_load_dwordx4 s[8:11], s[4:5], 0x18
	s_waitcnt lgkmcnt(0)
	s_lshl_b64 s[12:13], s[18:19], 2
	s_add_u32 s14, s16, s12
	s_addc_u32 s15, s17, s13
	s_add_i32 s7, s3, -1
	s_lshl_b32 s2, s6, 8
	s_mov_b32 s3, 0
	s_cmp_lg_u32 s6, s7
	s_mov_b32 s16, -1
	s_cbranch_scc0 .LBB706_6
; %bb.1:
	v_lshlrev_b32_e32 v1, 2, v0
	s_lshl_b64 s[6:7], s[2:3], 2
	s_add_u32 s6, s14, s6
	s_addc_u32 s7, s15, s7
	v_add_co_u32 v1, s6, s6, v1
	v_add_co_ci_u32_e64 v2, null, s7, 0, s6
	s_cmp_eq_u64 s[0:1], 0
	flat_load_dword v6, v[1:2]
	v_mov_b32_e32 v2, 0
	v_mov_b32_e32 v1, 0
	;; [unrolled: 1-line block ×3, first 2 shown]
	s_cbranch_scc1 .LBB706_5
; %bb.2:
	v_mov_b32_e32 v5, s1
	v_mov_b32_e32 v4, s0
	s_mov_b32 s6, 0
	s_inst_prefetch 0x1
	.p2align	6
.LBB706_3:                              ; =>This Inner Loop Header: Depth=1
	v_sub_co_u32 v7, vcc_lo, v4, v2
	v_sub_co_ci_u32_e64 v8, null, v5, v3, vcc_lo
	v_lshrrev_b64 v[9:10], 1, v[7:8]
	v_lshrrev_b64 v[7:8], 6, v[7:8]
	v_add_co_u32 v9, vcc_lo, v9, v2
	v_add_co_ci_u32_e64 v10, null, v10, v3, vcc_lo
	v_add_co_u32 v7, vcc_lo, v9, v7
	v_add_co_ci_u32_e64 v8, null, v10, v8, vcc_lo
	v_lshlrev_b64 v[9:10], 2, v[7:8]
	v_add_co_u32 v9, vcc_lo, s10, v9
	v_add_co_ci_u32_e64 v10, null, s11, v10, vcc_lo
	global_load_dword v9, v[9:10], off
	v_add_co_u32 v10, vcc_lo, v7, 1
	v_add_co_ci_u32_e64 v11, null, 0, v8, vcc_lo
	s_waitcnt vmcnt(0) lgkmcnt(0)
	v_cmp_lt_i32_e32 vcc_lo, v9, v6
	v_cndmask_b32_e32 v5, v8, v5, vcc_lo
	v_cndmask_b32_e32 v4, v7, v4, vcc_lo
	;; [unrolled: 1-line block ×4, first 2 shown]
	v_cmp_ge_u64_e32 vcc_lo, v[2:3], v[4:5]
	s_or_b32 s6, vcc_lo, s6
	s_andn2_b32 exec_lo, exec_lo, s6
	s_cbranch_execnz .LBB706_3
; %bb.4:
	s_inst_prefetch 0x2
	s_or_b32 exec_lo, exec_lo, s6
.LBB706_5:
	v_cmp_eq_u64_e64 s6, s[0:1], v[2:3]
	v_cmp_ne_u64_e64 s7, s[0:1], v[2:3]
	s_branch .LBB706_14
.LBB706_6:
	s_mov_b32 s7, s3
	s_mov_b32 s6, s3
                                        ; implicit-def: $vgpr6
                                        ; implicit-def: $vgpr2_vgpr3
	s_and_b32 vcc_lo, exec_lo, s16
	s_cbranch_vccz .LBB706_14
; %bb.7:
	s_load_dword s4, s[4:5], 0x10
                                        ; implicit-def: $vgpr6
                                        ; implicit-def: $vgpr2_vgpr3
	s_waitcnt lgkmcnt(0)
	s_sub_i32 s4, s4, s2
	v_cmp_gt_u32_e32 vcc_lo, s4, v0
	s_and_saveexec_b32 s4, vcc_lo
	s_cbranch_execz .LBB706_13
; %bb.8:
	v_lshlrev_b32_e32 v1, 2, v0
	s_lshl_b64 s[16:17], s[2:3], 2
	s_add_u32 s5, s14, s16
	s_addc_u32 s14, s15, s17
	v_add_co_u32 v1, s5, s5, v1
	v_add_co_ci_u32_e64 v2, null, s14, 0, s5
	s_cmp_eq_u64 s[0:1], 0
	s_waitcnt vmcnt(0)
	flat_load_dword v6, v[1:2]
	v_mov_b32_e32 v2, 0
	v_mov_b32_e32 v1, 0
	;; [unrolled: 1-line block ×3, first 2 shown]
	s_cbranch_scc1 .LBB706_12
; %bb.9:
	v_mov_b32_e32 v5, s1
	v_mov_b32_e32 v4, s0
	s_mov_b32 s5, 0
	s_inst_prefetch 0x1
	.p2align	6
.LBB706_10:                             ; =>This Inner Loop Header: Depth=1
	v_sub_co_u32 v7, vcc_lo, v4, v2
	v_sub_co_ci_u32_e64 v8, null, v5, v3, vcc_lo
	v_lshrrev_b64 v[9:10], 1, v[7:8]
	v_lshrrev_b64 v[7:8], 6, v[7:8]
	v_add_co_u32 v9, vcc_lo, v9, v2
	v_add_co_ci_u32_e64 v10, null, v10, v3, vcc_lo
	v_add_co_u32 v7, vcc_lo, v9, v7
	v_add_co_ci_u32_e64 v8, null, v10, v8, vcc_lo
	v_lshlrev_b64 v[9:10], 2, v[7:8]
	v_add_co_u32 v9, vcc_lo, s10, v9
	v_add_co_ci_u32_e64 v10, null, s11, v10, vcc_lo
	global_load_dword v9, v[9:10], off
	v_add_co_u32 v10, vcc_lo, v7, 1
	v_add_co_ci_u32_e64 v11, null, 0, v8, vcc_lo
	s_waitcnt vmcnt(0) lgkmcnt(0)
	v_cmp_lt_i32_e32 vcc_lo, v9, v6
	v_cndmask_b32_e32 v5, v8, v5, vcc_lo
	v_cndmask_b32_e32 v4, v7, v4, vcc_lo
	;; [unrolled: 1-line block ×4, first 2 shown]
	v_cmp_ge_u64_e32 vcc_lo, v[2:3], v[4:5]
	s_or_b32 s5, vcc_lo, s5
	s_andn2_b32 exec_lo, exec_lo, s5
	s_cbranch_execnz .LBB706_10
; %bb.11:
	s_inst_prefetch 0x2
	s_or_b32 exec_lo, exec_lo, s5
.LBB706_12:
	v_cmp_eq_u64_e32 vcc_lo, s[0:1], v[2:3]
	v_cmp_ne_u64_e64 s0, s[0:1], v[2:3]
	s_andn2_b32 s1, s6, exec_lo
	s_andn2_b32 s5, s7, exec_lo
	s_and_b32 s6, vcc_lo, exec_lo
	s_and_b32 s0, s0, exec_lo
	s_or_b32 s6, s1, s6
	s_or_b32 s7, s5, s0
.LBB706_13:
	s_or_b32 exec_lo, exec_lo, s4
.LBB706_14:
	v_mov_b32_e32 v4, 0
	s_and_saveexec_b32 s0, s7
	s_cbranch_execnz .LBB706_17
; %bb.15:
	s_or_b32 exec_lo, exec_lo, s0
	s_and_saveexec_b32 s0, s6
	s_cbranch_execnz .LBB706_18
.LBB706_16:
	s_endpgm
.LBB706_17:
	v_lshlrev_b64 v[2:3], 2, v[2:3]
	s_or_b32 s6, s6, exec_lo
	v_add_co_u32 v2, vcc_lo, s10, v2
	v_add_co_ci_u32_e64 v3, null, s11, v3, vcc_lo
	global_load_dword v2, v[2:3], off
	s_waitcnt vmcnt(0) lgkmcnt(0)
	v_cmp_ge_i32_e32 vcc_lo, v6, v2
	v_cndmask_b32_e64 v4, 0, 1, vcc_lo
	s_or_b32 exec_lo, exec_lo, s0
	s_and_saveexec_b32 s0, s6
	s_cbranch_execz .LBB706_16
.LBB706_18:
	v_lshlrev_b64 v[0:1], 2, v[0:1]
	s_add_u32 s4, s8, s12
	s_addc_u32 s5, s9, s13
	s_lshl_b64 s[0:1], s[2:3], 2
	s_add_u32 s0, s4, s0
	s_addc_u32 s1, s5, s1
	v_add_co_u32 v0, vcc_lo, s0, v0
	v_add_co_ci_u32_e64 v1, null, s1, v1, vcc_lo
	flat_store_dword v[0:1], v4
	s_endpgm
	.section	.rodata,"a",@progbits
	.p2align	6, 0x0
	.amdhsa_kernel _ZN7rocprim17ROCPRIM_400000_NS6detail17trampoline_kernelINS0_14default_configENS1_29binary_search_config_selectorIiiEEZNS1_14transform_implILb0ES3_S5_N6thrust23THRUST_200600_302600_NS6detail15normal_iteratorINS8_7pointerIiNS8_11hip_rocprim12par_nosync_tENS8_11use_defaultESE_EEEESG_ZNS1_13binary_searchIS3_S5_NSA_INS8_10device_ptrIiEEEESG_SG_NS1_16binary_search_opENS9_16wrapped_functionINS8_6system6detail7generic6detail18binary_search_lessEbEEEE10hipError_tPvRmT1_T2_T3_mmT4_T5_P12ihipStream_tbEUlRKiE_EEST_SX_SY_mSZ_S12_bEUlT_E_NS1_11comp_targetILNS1_3genE8ELNS1_11target_archE1030ELNS1_3gpuE2ELNS1_3repE0EEENS1_30default_config_static_selectorELNS0_4arch9wavefront6targetE0EEEvSW_
		.amdhsa_group_segment_fixed_size 0
		.amdhsa_private_segment_fixed_size 0
		.amdhsa_kernarg_size 312
		.amdhsa_user_sgpr_count 6
		.amdhsa_user_sgpr_private_segment_buffer 1
		.amdhsa_user_sgpr_dispatch_ptr 0
		.amdhsa_user_sgpr_queue_ptr 0
		.amdhsa_user_sgpr_kernarg_segment_ptr 1
		.amdhsa_user_sgpr_dispatch_id 0
		.amdhsa_user_sgpr_flat_scratch_init 0
		.amdhsa_user_sgpr_private_segment_size 0
		.amdhsa_wavefront_size32 1
		.amdhsa_uses_dynamic_stack 0
		.amdhsa_system_sgpr_private_segment_wavefront_offset 0
		.amdhsa_system_sgpr_workgroup_id_x 1
		.amdhsa_system_sgpr_workgroup_id_y 0
		.amdhsa_system_sgpr_workgroup_id_z 0
		.amdhsa_system_sgpr_workgroup_info 0
		.amdhsa_system_vgpr_workitem_id 0
		.amdhsa_next_free_vgpr 12
		.amdhsa_next_free_sgpr 20
		.amdhsa_reserve_vcc 1
		.amdhsa_reserve_flat_scratch 0
		.amdhsa_float_round_mode_32 0
		.amdhsa_float_round_mode_16_64 0
		.amdhsa_float_denorm_mode_32 3
		.amdhsa_float_denorm_mode_16_64 3
		.amdhsa_dx10_clamp 1
		.amdhsa_ieee_mode 1
		.amdhsa_fp16_overflow 0
		.amdhsa_workgroup_processor_mode 1
		.amdhsa_memory_ordered 1
		.amdhsa_forward_progress 1
		.amdhsa_shared_vgpr_count 0
		.amdhsa_exception_fp_ieee_invalid_op 0
		.amdhsa_exception_fp_denorm_src 0
		.amdhsa_exception_fp_ieee_div_zero 0
		.amdhsa_exception_fp_ieee_overflow 0
		.amdhsa_exception_fp_ieee_underflow 0
		.amdhsa_exception_fp_ieee_inexact 0
		.amdhsa_exception_int_div_zero 0
	.end_amdhsa_kernel
	.section	.text._ZN7rocprim17ROCPRIM_400000_NS6detail17trampoline_kernelINS0_14default_configENS1_29binary_search_config_selectorIiiEEZNS1_14transform_implILb0ES3_S5_N6thrust23THRUST_200600_302600_NS6detail15normal_iteratorINS8_7pointerIiNS8_11hip_rocprim12par_nosync_tENS8_11use_defaultESE_EEEESG_ZNS1_13binary_searchIS3_S5_NSA_INS8_10device_ptrIiEEEESG_SG_NS1_16binary_search_opENS9_16wrapped_functionINS8_6system6detail7generic6detail18binary_search_lessEbEEEE10hipError_tPvRmT1_T2_T3_mmT4_T5_P12ihipStream_tbEUlRKiE_EEST_SX_SY_mSZ_S12_bEUlT_E_NS1_11comp_targetILNS1_3genE8ELNS1_11target_archE1030ELNS1_3gpuE2ELNS1_3repE0EEENS1_30default_config_static_selectorELNS0_4arch9wavefront6targetE0EEEvSW_,"axG",@progbits,_ZN7rocprim17ROCPRIM_400000_NS6detail17trampoline_kernelINS0_14default_configENS1_29binary_search_config_selectorIiiEEZNS1_14transform_implILb0ES3_S5_N6thrust23THRUST_200600_302600_NS6detail15normal_iteratorINS8_7pointerIiNS8_11hip_rocprim12par_nosync_tENS8_11use_defaultESE_EEEESG_ZNS1_13binary_searchIS3_S5_NSA_INS8_10device_ptrIiEEEESG_SG_NS1_16binary_search_opENS9_16wrapped_functionINS8_6system6detail7generic6detail18binary_search_lessEbEEEE10hipError_tPvRmT1_T2_T3_mmT4_T5_P12ihipStream_tbEUlRKiE_EEST_SX_SY_mSZ_S12_bEUlT_E_NS1_11comp_targetILNS1_3genE8ELNS1_11target_archE1030ELNS1_3gpuE2ELNS1_3repE0EEENS1_30default_config_static_selectorELNS0_4arch9wavefront6targetE0EEEvSW_,comdat
.Lfunc_end706:
	.size	_ZN7rocprim17ROCPRIM_400000_NS6detail17trampoline_kernelINS0_14default_configENS1_29binary_search_config_selectorIiiEEZNS1_14transform_implILb0ES3_S5_N6thrust23THRUST_200600_302600_NS6detail15normal_iteratorINS8_7pointerIiNS8_11hip_rocprim12par_nosync_tENS8_11use_defaultESE_EEEESG_ZNS1_13binary_searchIS3_S5_NSA_INS8_10device_ptrIiEEEESG_SG_NS1_16binary_search_opENS9_16wrapped_functionINS8_6system6detail7generic6detail18binary_search_lessEbEEEE10hipError_tPvRmT1_T2_T3_mmT4_T5_P12ihipStream_tbEUlRKiE_EEST_SX_SY_mSZ_S12_bEUlT_E_NS1_11comp_targetILNS1_3genE8ELNS1_11target_archE1030ELNS1_3gpuE2ELNS1_3repE0EEENS1_30default_config_static_selectorELNS0_4arch9wavefront6targetE0EEEvSW_, .Lfunc_end706-_ZN7rocprim17ROCPRIM_400000_NS6detail17trampoline_kernelINS0_14default_configENS1_29binary_search_config_selectorIiiEEZNS1_14transform_implILb0ES3_S5_N6thrust23THRUST_200600_302600_NS6detail15normal_iteratorINS8_7pointerIiNS8_11hip_rocprim12par_nosync_tENS8_11use_defaultESE_EEEESG_ZNS1_13binary_searchIS3_S5_NSA_INS8_10device_ptrIiEEEESG_SG_NS1_16binary_search_opENS9_16wrapped_functionINS8_6system6detail7generic6detail18binary_search_lessEbEEEE10hipError_tPvRmT1_T2_T3_mmT4_T5_P12ihipStream_tbEUlRKiE_EEST_SX_SY_mSZ_S12_bEUlT_E_NS1_11comp_targetILNS1_3genE8ELNS1_11target_archE1030ELNS1_3gpuE2ELNS1_3repE0EEENS1_30default_config_static_selectorELNS0_4arch9wavefront6targetE0EEEvSW_
                                        ; -- End function
	.set _ZN7rocprim17ROCPRIM_400000_NS6detail17trampoline_kernelINS0_14default_configENS1_29binary_search_config_selectorIiiEEZNS1_14transform_implILb0ES3_S5_N6thrust23THRUST_200600_302600_NS6detail15normal_iteratorINS8_7pointerIiNS8_11hip_rocprim12par_nosync_tENS8_11use_defaultESE_EEEESG_ZNS1_13binary_searchIS3_S5_NSA_INS8_10device_ptrIiEEEESG_SG_NS1_16binary_search_opENS9_16wrapped_functionINS8_6system6detail7generic6detail18binary_search_lessEbEEEE10hipError_tPvRmT1_T2_T3_mmT4_T5_P12ihipStream_tbEUlRKiE_EEST_SX_SY_mSZ_S12_bEUlT_E_NS1_11comp_targetILNS1_3genE8ELNS1_11target_archE1030ELNS1_3gpuE2ELNS1_3repE0EEENS1_30default_config_static_selectorELNS0_4arch9wavefront6targetE0EEEvSW_.num_vgpr, 12
	.set _ZN7rocprim17ROCPRIM_400000_NS6detail17trampoline_kernelINS0_14default_configENS1_29binary_search_config_selectorIiiEEZNS1_14transform_implILb0ES3_S5_N6thrust23THRUST_200600_302600_NS6detail15normal_iteratorINS8_7pointerIiNS8_11hip_rocprim12par_nosync_tENS8_11use_defaultESE_EEEESG_ZNS1_13binary_searchIS3_S5_NSA_INS8_10device_ptrIiEEEESG_SG_NS1_16binary_search_opENS9_16wrapped_functionINS8_6system6detail7generic6detail18binary_search_lessEbEEEE10hipError_tPvRmT1_T2_T3_mmT4_T5_P12ihipStream_tbEUlRKiE_EEST_SX_SY_mSZ_S12_bEUlT_E_NS1_11comp_targetILNS1_3genE8ELNS1_11target_archE1030ELNS1_3gpuE2ELNS1_3repE0EEENS1_30default_config_static_selectorELNS0_4arch9wavefront6targetE0EEEvSW_.num_agpr, 0
	.set _ZN7rocprim17ROCPRIM_400000_NS6detail17trampoline_kernelINS0_14default_configENS1_29binary_search_config_selectorIiiEEZNS1_14transform_implILb0ES3_S5_N6thrust23THRUST_200600_302600_NS6detail15normal_iteratorINS8_7pointerIiNS8_11hip_rocprim12par_nosync_tENS8_11use_defaultESE_EEEESG_ZNS1_13binary_searchIS3_S5_NSA_INS8_10device_ptrIiEEEESG_SG_NS1_16binary_search_opENS9_16wrapped_functionINS8_6system6detail7generic6detail18binary_search_lessEbEEEE10hipError_tPvRmT1_T2_T3_mmT4_T5_P12ihipStream_tbEUlRKiE_EEST_SX_SY_mSZ_S12_bEUlT_E_NS1_11comp_targetILNS1_3genE8ELNS1_11target_archE1030ELNS1_3gpuE2ELNS1_3repE0EEENS1_30default_config_static_selectorELNS0_4arch9wavefront6targetE0EEEvSW_.numbered_sgpr, 20
	.set _ZN7rocprim17ROCPRIM_400000_NS6detail17trampoline_kernelINS0_14default_configENS1_29binary_search_config_selectorIiiEEZNS1_14transform_implILb0ES3_S5_N6thrust23THRUST_200600_302600_NS6detail15normal_iteratorINS8_7pointerIiNS8_11hip_rocprim12par_nosync_tENS8_11use_defaultESE_EEEESG_ZNS1_13binary_searchIS3_S5_NSA_INS8_10device_ptrIiEEEESG_SG_NS1_16binary_search_opENS9_16wrapped_functionINS8_6system6detail7generic6detail18binary_search_lessEbEEEE10hipError_tPvRmT1_T2_T3_mmT4_T5_P12ihipStream_tbEUlRKiE_EEST_SX_SY_mSZ_S12_bEUlT_E_NS1_11comp_targetILNS1_3genE8ELNS1_11target_archE1030ELNS1_3gpuE2ELNS1_3repE0EEENS1_30default_config_static_selectorELNS0_4arch9wavefront6targetE0EEEvSW_.num_named_barrier, 0
	.set _ZN7rocprim17ROCPRIM_400000_NS6detail17trampoline_kernelINS0_14default_configENS1_29binary_search_config_selectorIiiEEZNS1_14transform_implILb0ES3_S5_N6thrust23THRUST_200600_302600_NS6detail15normal_iteratorINS8_7pointerIiNS8_11hip_rocprim12par_nosync_tENS8_11use_defaultESE_EEEESG_ZNS1_13binary_searchIS3_S5_NSA_INS8_10device_ptrIiEEEESG_SG_NS1_16binary_search_opENS9_16wrapped_functionINS8_6system6detail7generic6detail18binary_search_lessEbEEEE10hipError_tPvRmT1_T2_T3_mmT4_T5_P12ihipStream_tbEUlRKiE_EEST_SX_SY_mSZ_S12_bEUlT_E_NS1_11comp_targetILNS1_3genE8ELNS1_11target_archE1030ELNS1_3gpuE2ELNS1_3repE0EEENS1_30default_config_static_selectorELNS0_4arch9wavefront6targetE0EEEvSW_.private_seg_size, 0
	.set _ZN7rocprim17ROCPRIM_400000_NS6detail17trampoline_kernelINS0_14default_configENS1_29binary_search_config_selectorIiiEEZNS1_14transform_implILb0ES3_S5_N6thrust23THRUST_200600_302600_NS6detail15normal_iteratorINS8_7pointerIiNS8_11hip_rocprim12par_nosync_tENS8_11use_defaultESE_EEEESG_ZNS1_13binary_searchIS3_S5_NSA_INS8_10device_ptrIiEEEESG_SG_NS1_16binary_search_opENS9_16wrapped_functionINS8_6system6detail7generic6detail18binary_search_lessEbEEEE10hipError_tPvRmT1_T2_T3_mmT4_T5_P12ihipStream_tbEUlRKiE_EEST_SX_SY_mSZ_S12_bEUlT_E_NS1_11comp_targetILNS1_3genE8ELNS1_11target_archE1030ELNS1_3gpuE2ELNS1_3repE0EEENS1_30default_config_static_selectorELNS0_4arch9wavefront6targetE0EEEvSW_.uses_vcc, 1
	.set _ZN7rocprim17ROCPRIM_400000_NS6detail17trampoline_kernelINS0_14default_configENS1_29binary_search_config_selectorIiiEEZNS1_14transform_implILb0ES3_S5_N6thrust23THRUST_200600_302600_NS6detail15normal_iteratorINS8_7pointerIiNS8_11hip_rocprim12par_nosync_tENS8_11use_defaultESE_EEEESG_ZNS1_13binary_searchIS3_S5_NSA_INS8_10device_ptrIiEEEESG_SG_NS1_16binary_search_opENS9_16wrapped_functionINS8_6system6detail7generic6detail18binary_search_lessEbEEEE10hipError_tPvRmT1_T2_T3_mmT4_T5_P12ihipStream_tbEUlRKiE_EEST_SX_SY_mSZ_S12_bEUlT_E_NS1_11comp_targetILNS1_3genE8ELNS1_11target_archE1030ELNS1_3gpuE2ELNS1_3repE0EEENS1_30default_config_static_selectorELNS0_4arch9wavefront6targetE0EEEvSW_.uses_flat_scratch, 0
	.set _ZN7rocprim17ROCPRIM_400000_NS6detail17trampoline_kernelINS0_14default_configENS1_29binary_search_config_selectorIiiEEZNS1_14transform_implILb0ES3_S5_N6thrust23THRUST_200600_302600_NS6detail15normal_iteratorINS8_7pointerIiNS8_11hip_rocprim12par_nosync_tENS8_11use_defaultESE_EEEESG_ZNS1_13binary_searchIS3_S5_NSA_INS8_10device_ptrIiEEEESG_SG_NS1_16binary_search_opENS9_16wrapped_functionINS8_6system6detail7generic6detail18binary_search_lessEbEEEE10hipError_tPvRmT1_T2_T3_mmT4_T5_P12ihipStream_tbEUlRKiE_EEST_SX_SY_mSZ_S12_bEUlT_E_NS1_11comp_targetILNS1_3genE8ELNS1_11target_archE1030ELNS1_3gpuE2ELNS1_3repE0EEENS1_30default_config_static_selectorELNS0_4arch9wavefront6targetE0EEEvSW_.has_dyn_sized_stack, 0
	.set _ZN7rocprim17ROCPRIM_400000_NS6detail17trampoline_kernelINS0_14default_configENS1_29binary_search_config_selectorIiiEEZNS1_14transform_implILb0ES3_S5_N6thrust23THRUST_200600_302600_NS6detail15normal_iteratorINS8_7pointerIiNS8_11hip_rocprim12par_nosync_tENS8_11use_defaultESE_EEEESG_ZNS1_13binary_searchIS3_S5_NSA_INS8_10device_ptrIiEEEESG_SG_NS1_16binary_search_opENS9_16wrapped_functionINS8_6system6detail7generic6detail18binary_search_lessEbEEEE10hipError_tPvRmT1_T2_T3_mmT4_T5_P12ihipStream_tbEUlRKiE_EEST_SX_SY_mSZ_S12_bEUlT_E_NS1_11comp_targetILNS1_3genE8ELNS1_11target_archE1030ELNS1_3gpuE2ELNS1_3repE0EEENS1_30default_config_static_selectorELNS0_4arch9wavefront6targetE0EEEvSW_.has_recursion, 0
	.set _ZN7rocprim17ROCPRIM_400000_NS6detail17trampoline_kernelINS0_14default_configENS1_29binary_search_config_selectorIiiEEZNS1_14transform_implILb0ES3_S5_N6thrust23THRUST_200600_302600_NS6detail15normal_iteratorINS8_7pointerIiNS8_11hip_rocprim12par_nosync_tENS8_11use_defaultESE_EEEESG_ZNS1_13binary_searchIS3_S5_NSA_INS8_10device_ptrIiEEEESG_SG_NS1_16binary_search_opENS9_16wrapped_functionINS8_6system6detail7generic6detail18binary_search_lessEbEEEE10hipError_tPvRmT1_T2_T3_mmT4_T5_P12ihipStream_tbEUlRKiE_EEST_SX_SY_mSZ_S12_bEUlT_E_NS1_11comp_targetILNS1_3genE8ELNS1_11target_archE1030ELNS1_3gpuE2ELNS1_3repE0EEENS1_30default_config_static_selectorELNS0_4arch9wavefront6targetE0EEEvSW_.has_indirect_call, 0
	.section	.AMDGPU.csdata,"",@progbits
; Kernel info:
; codeLenInByte = 860
; TotalNumSgprs: 22
; NumVgprs: 12
; ScratchSize: 0
; MemoryBound: 0
; FloatMode: 240
; IeeeMode: 1
; LDSByteSize: 0 bytes/workgroup (compile time only)
; SGPRBlocks: 0
; VGPRBlocks: 1
; NumSGPRsForWavesPerEU: 22
; NumVGPRsForWavesPerEU: 12
; Occupancy: 16
; WaveLimiterHint : 0
; COMPUTE_PGM_RSRC2:SCRATCH_EN: 0
; COMPUTE_PGM_RSRC2:USER_SGPR: 6
; COMPUTE_PGM_RSRC2:TRAP_HANDLER: 0
; COMPUTE_PGM_RSRC2:TGID_X_EN: 1
; COMPUTE_PGM_RSRC2:TGID_Y_EN: 0
; COMPUTE_PGM_RSRC2:TGID_Z_EN: 0
; COMPUTE_PGM_RSRC2:TIDIG_COMP_CNT: 0
	.section	.text._ZN7rocprim17ROCPRIM_400000_NS6detail17trampoline_kernelINS0_14default_configENS1_29binary_search_config_selectorIiiEEZNS1_14transform_implILb0ES3_S5_N6thrust23THRUST_200600_302600_NS6detail15normal_iteratorINS8_7pointerIiNS8_11hip_rocprim5par_tENS8_11use_defaultESE_EEEESG_ZNS1_13binary_searchIS3_S5_NSA_INS8_10device_ptrIiEEEESG_SG_NS1_16binary_search_opENS9_16wrapped_functionINS8_6system6detail7generic6detail18binary_search_lessEbEEEE10hipError_tPvRmT1_T2_T3_mmT4_T5_P12ihipStream_tbEUlRKiE_EEST_SX_SY_mSZ_S12_bEUlT_E_NS1_11comp_targetILNS1_3genE0ELNS1_11target_archE4294967295ELNS1_3gpuE0ELNS1_3repE0EEENS1_30default_config_static_selectorELNS0_4arch9wavefront6targetE0EEEvSW_,"axG",@progbits,_ZN7rocprim17ROCPRIM_400000_NS6detail17trampoline_kernelINS0_14default_configENS1_29binary_search_config_selectorIiiEEZNS1_14transform_implILb0ES3_S5_N6thrust23THRUST_200600_302600_NS6detail15normal_iteratorINS8_7pointerIiNS8_11hip_rocprim5par_tENS8_11use_defaultESE_EEEESG_ZNS1_13binary_searchIS3_S5_NSA_INS8_10device_ptrIiEEEESG_SG_NS1_16binary_search_opENS9_16wrapped_functionINS8_6system6detail7generic6detail18binary_search_lessEbEEEE10hipError_tPvRmT1_T2_T3_mmT4_T5_P12ihipStream_tbEUlRKiE_EEST_SX_SY_mSZ_S12_bEUlT_E_NS1_11comp_targetILNS1_3genE0ELNS1_11target_archE4294967295ELNS1_3gpuE0ELNS1_3repE0EEENS1_30default_config_static_selectorELNS0_4arch9wavefront6targetE0EEEvSW_,comdat
	.protected	_ZN7rocprim17ROCPRIM_400000_NS6detail17trampoline_kernelINS0_14default_configENS1_29binary_search_config_selectorIiiEEZNS1_14transform_implILb0ES3_S5_N6thrust23THRUST_200600_302600_NS6detail15normal_iteratorINS8_7pointerIiNS8_11hip_rocprim5par_tENS8_11use_defaultESE_EEEESG_ZNS1_13binary_searchIS3_S5_NSA_INS8_10device_ptrIiEEEESG_SG_NS1_16binary_search_opENS9_16wrapped_functionINS8_6system6detail7generic6detail18binary_search_lessEbEEEE10hipError_tPvRmT1_T2_T3_mmT4_T5_P12ihipStream_tbEUlRKiE_EEST_SX_SY_mSZ_S12_bEUlT_E_NS1_11comp_targetILNS1_3genE0ELNS1_11target_archE4294967295ELNS1_3gpuE0ELNS1_3repE0EEENS1_30default_config_static_selectorELNS0_4arch9wavefront6targetE0EEEvSW_ ; -- Begin function _ZN7rocprim17ROCPRIM_400000_NS6detail17trampoline_kernelINS0_14default_configENS1_29binary_search_config_selectorIiiEEZNS1_14transform_implILb0ES3_S5_N6thrust23THRUST_200600_302600_NS6detail15normal_iteratorINS8_7pointerIiNS8_11hip_rocprim5par_tENS8_11use_defaultESE_EEEESG_ZNS1_13binary_searchIS3_S5_NSA_INS8_10device_ptrIiEEEESG_SG_NS1_16binary_search_opENS9_16wrapped_functionINS8_6system6detail7generic6detail18binary_search_lessEbEEEE10hipError_tPvRmT1_T2_T3_mmT4_T5_P12ihipStream_tbEUlRKiE_EEST_SX_SY_mSZ_S12_bEUlT_E_NS1_11comp_targetILNS1_3genE0ELNS1_11target_archE4294967295ELNS1_3gpuE0ELNS1_3repE0EEENS1_30default_config_static_selectorELNS0_4arch9wavefront6targetE0EEEvSW_
	.globl	_ZN7rocprim17ROCPRIM_400000_NS6detail17trampoline_kernelINS0_14default_configENS1_29binary_search_config_selectorIiiEEZNS1_14transform_implILb0ES3_S5_N6thrust23THRUST_200600_302600_NS6detail15normal_iteratorINS8_7pointerIiNS8_11hip_rocprim5par_tENS8_11use_defaultESE_EEEESG_ZNS1_13binary_searchIS3_S5_NSA_INS8_10device_ptrIiEEEESG_SG_NS1_16binary_search_opENS9_16wrapped_functionINS8_6system6detail7generic6detail18binary_search_lessEbEEEE10hipError_tPvRmT1_T2_T3_mmT4_T5_P12ihipStream_tbEUlRKiE_EEST_SX_SY_mSZ_S12_bEUlT_E_NS1_11comp_targetILNS1_3genE0ELNS1_11target_archE4294967295ELNS1_3gpuE0ELNS1_3repE0EEENS1_30default_config_static_selectorELNS0_4arch9wavefront6targetE0EEEvSW_
	.p2align	8
	.type	_ZN7rocprim17ROCPRIM_400000_NS6detail17trampoline_kernelINS0_14default_configENS1_29binary_search_config_selectorIiiEEZNS1_14transform_implILb0ES3_S5_N6thrust23THRUST_200600_302600_NS6detail15normal_iteratorINS8_7pointerIiNS8_11hip_rocprim5par_tENS8_11use_defaultESE_EEEESG_ZNS1_13binary_searchIS3_S5_NSA_INS8_10device_ptrIiEEEESG_SG_NS1_16binary_search_opENS9_16wrapped_functionINS8_6system6detail7generic6detail18binary_search_lessEbEEEE10hipError_tPvRmT1_T2_T3_mmT4_T5_P12ihipStream_tbEUlRKiE_EEST_SX_SY_mSZ_S12_bEUlT_E_NS1_11comp_targetILNS1_3genE0ELNS1_11target_archE4294967295ELNS1_3gpuE0ELNS1_3repE0EEENS1_30default_config_static_selectorELNS0_4arch9wavefront6targetE0EEEvSW_,@function
_ZN7rocprim17ROCPRIM_400000_NS6detail17trampoline_kernelINS0_14default_configENS1_29binary_search_config_selectorIiiEEZNS1_14transform_implILb0ES3_S5_N6thrust23THRUST_200600_302600_NS6detail15normal_iteratorINS8_7pointerIiNS8_11hip_rocprim5par_tENS8_11use_defaultESE_EEEESG_ZNS1_13binary_searchIS3_S5_NSA_INS8_10device_ptrIiEEEESG_SG_NS1_16binary_search_opENS9_16wrapped_functionINS8_6system6detail7generic6detail18binary_search_lessEbEEEE10hipError_tPvRmT1_T2_T3_mmT4_T5_P12ihipStream_tbEUlRKiE_EEST_SX_SY_mSZ_S12_bEUlT_E_NS1_11comp_targetILNS1_3genE0ELNS1_11target_archE4294967295ELNS1_3gpuE0ELNS1_3repE0EEENS1_30default_config_static_selectorELNS0_4arch9wavefront6targetE0EEEvSW_: ; @_ZN7rocprim17ROCPRIM_400000_NS6detail17trampoline_kernelINS0_14default_configENS1_29binary_search_config_selectorIiiEEZNS1_14transform_implILb0ES3_S5_N6thrust23THRUST_200600_302600_NS6detail15normal_iteratorINS8_7pointerIiNS8_11hip_rocprim5par_tENS8_11use_defaultESE_EEEESG_ZNS1_13binary_searchIS3_S5_NSA_INS8_10device_ptrIiEEEESG_SG_NS1_16binary_search_opENS9_16wrapped_functionINS8_6system6detail7generic6detail18binary_search_lessEbEEEE10hipError_tPvRmT1_T2_T3_mmT4_T5_P12ihipStream_tbEUlRKiE_EEST_SX_SY_mSZ_S12_bEUlT_E_NS1_11comp_targetILNS1_3genE0ELNS1_11target_archE4294967295ELNS1_3gpuE0ELNS1_3repE0EEENS1_30default_config_static_selectorELNS0_4arch9wavefront6targetE0EEEvSW_
; %bb.0:
	.section	.rodata,"a",@progbits
	.p2align	6, 0x0
	.amdhsa_kernel _ZN7rocprim17ROCPRIM_400000_NS6detail17trampoline_kernelINS0_14default_configENS1_29binary_search_config_selectorIiiEEZNS1_14transform_implILb0ES3_S5_N6thrust23THRUST_200600_302600_NS6detail15normal_iteratorINS8_7pointerIiNS8_11hip_rocprim5par_tENS8_11use_defaultESE_EEEESG_ZNS1_13binary_searchIS3_S5_NSA_INS8_10device_ptrIiEEEESG_SG_NS1_16binary_search_opENS9_16wrapped_functionINS8_6system6detail7generic6detail18binary_search_lessEbEEEE10hipError_tPvRmT1_T2_T3_mmT4_T5_P12ihipStream_tbEUlRKiE_EEST_SX_SY_mSZ_S12_bEUlT_E_NS1_11comp_targetILNS1_3genE0ELNS1_11target_archE4294967295ELNS1_3gpuE0ELNS1_3repE0EEENS1_30default_config_static_selectorELNS0_4arch9wavefront6targetE0EEEvSW_
		.amdhsa_group_segment_fixed_size 0
		.amdhsa_private_segment_fixed_size 0
		.amdhsa_kernarg_size 56
		.amdhsa_user_sgpr_count 6
		.amdhsa_user_sgpr_private_segment_buffer 1
		.amdhsa_user_sgpr_dispatch_ptr 0
		.amdhsa_user_sgpr_queue_ptr 0
		.amdhsa_user_sgpr_kernarg_segment_ptr 1
		.amdhsa_user_sgpr_dispatch_id 0
		.amdhsa_user_sgpr_flat_scratch_init 0
		.amdhsa_user_sgpr_private_segment_size 0
		.amdhsa_wavefront_size32 1
		.amdhsa_uses_dynamic_stack 0
		.amdhsa_system_sgpr_private_segment_wavefront_offset 0
		.amdhsa_system_sgpr_workgroup_id_x 1
		.amdhsa_system_sgpr_workgroup_id_y 0
		.amdhsa_system_sgpr_workgroup_id_z 0
		.amdhsa_system_sgpr_workgroup_info 0
		.amdhsa_system_vgpr_workitem_id 0
		.amdhsa_next_free_vgpr 1
		.amdhsa_next_free_sgpr 1
		.amdhsa_reserve_vcc 0
		.amdhsa_reserve_flat_scratch 0
		.amdhsa_float_round_mode_32 0
		.amdhsa_float_round_mode_16_64 0
		.amdhsa_float_denorm_mode_32 3
		.amdhsa_float_denorm_mode_16_64 3
		.amdhsa_dx10_clamp 1
		.amdhsa_ieee_mode 1
		.amdhsa_fp16_overflow 0
		.amdhsa_workgroup_processor_mode 1
		.amdhsa_memory_ordered 1
		.amdhsa_forward_progress 1
		.amdhsa_shared_vgpr_count 0
		.amdhsa_exception_fp_ieee_invalid_op 0
		.amdhsa_exception_fp_denorm_src 0
		.amdhsa_exception_fp_ieee_div_zero 0
		.amdhsa_exception_fp_ieee_overflow 0
		.amdhsa_exception_fp_ieee_underflow 0
		.amdhsa_exception_fp_ieee_inexact 0
		.amdhsa_exception_int_div_zero 0
	.end_amdhsa_kernel
	.section	.text._ZN7rocprim17ROCPRIM_400000_NS6detail17trampoline_kernelINS0_14default_configENS1_29binary_search_config_selectorIiiEEZNS1_14transform_implILb0ES3_S5_N6thrust23THRUST_200600_302600_NS6detail15normal_iteratorINS8_7pointerIiNS8_11hip_rocprim5par_tENS8_11use_defaultESE_EEEESG_ZNS1_13binary_searchIS3_S5_NSA_INS8_10device_ptrIiEEEESG_SG_NS1_16binary_search_opENS9_16wrapped_functionINS8_6system6detail7generic6detail18binary_search_lessEbEEEE10hipError_tPvRmT1_T2_T3_mmT4_T5_P12ihipStream_tbEUlRKiE_EEST_SX_SY_mSZ_S12_bEUlT_E_NS1_11comp_targetILNS1_3genE0ELNS1_11target_archE4294967295ELNS1_3gpuE0ELNS1_3repE0EEENS1_30default_config_static_selectorELNS0_4arch9wavefront6targetE0EEEvSW_,"axG",@progbits,_ZN7rocprim17ROCPRIM_400000_NS6detail17trampoline_kernelINS0_14default_configENS1_29binary_search_config_selectorIiiEEZNS1_14transform_implILb0ES3_S5_N6thrust23THRUST_200600_302600_NS6detail15normal_iteratorINS8_7pointerIiNS8_11hip_rocprim5par_tENS8_11use_defaultESE_EEEESG_ZNS1_13binary_searchIS3_S5_NSA_INS8_10device_ptrIiEEEESG_SG_NS1_16binary_search_opENS9_16wrapped_functionINS8_6system6detail7generic6detail18binary_search_lessEbEEEE10hipError_tPvRmT1_T2_T3_mmT4_T5_P12ihipStream_tbEUlRKiE_EEST_SX_SY_mSZ_S12_bEUlT_E_NS1_11comp_targetILNS1_3genE0ELNS1_11target_archE4294967295ELNS1_3gpuE0ELNS1_3repE0EEENS1_30default_config_static_selectorELNS0_4arch9wavefront6targetE0EEEvSW_,comdat
.Lfunc_end707:
	.size	_ZN7rocprim17ROCPRIM_400000_NS6detail17trampoline_kernelINS0_14default_configENS1_29binary_search_config_selectorIiiEEZNS1_14transform_implILb0ES3_S5_N6thrust23THRUST_200600_302600_NS6detail15normal_iteratorINS8_7pointerIiNS8_11hip_rocprim5par_tENS8_11use_defaultESE_EEEESG_ZNS1_13binary_searchIS3_S5_NSA_INS8_10device_ptrIiEEEESG_SG_NS1_16binary_search_opENS9_16wrapped_functionINS8_6system6detail7generic6detail18binary_search_lessEbEEEE10hipError_tPvRmT1_T2_T3_mmT4_T5_P12ihipStream_tbEUlRKiE_EEST_SX_SY_mSZ_S12_bEUlT_E_NS1_11comp_targetILNS1_3genE0ELNS1_11target_archE4294967295ELNS1_3gpuE0ELNS1_3repE0EEENS1_30default_config_static_selectorELNS0_4arch9wavefront6targetE0EEEvSW_, .Lfunc_end707-_ZN7rocprim17ROCPRIM_400000_NS6detail17trampoline_kernelINS0_14default_configENS1_29binary_search_config_selectorIiiEEZNS1_14transform_implILb0ES3_S5_N6thrust23THRUST_200600_302600_NS6detail15normal_iteratorINS8_7pointerIiNS8_11hip_rocprim5par_tENS8_11use_defaultESE_EEEESG_ZNS1_13binary_searchIS3_S5_NSA_INS8_10device_ptrIiEEEESG_SG_NS1_16binary_search_opENS9_16wrapped_functionINS8_6system6detail7generic6detail18binary_search_lessEbEEEE10hipError_tPvRmT1_T2_T3_mmT4_T5_P12ihipStream_tbEUlRKiE_EEST_SX_SY_mSZ_S12_bEUlT_E_NS1_11comp_targetILNS1_3genE0ELNS1_11target_archE4294967295ELNS1_3gpuE0ELNS1_3repE0EEENS1_30default_config_static_selectorELNS0_4arch9wavefront6targetE0EEEvSW_
                                        ; -- End function
	.set _ZN7rocprim17ROCPRIM_400000_NS6detail17trampoline_kernelINS0_14default_configENS1_29binary_search_config_selectorIiiEEZNS1_14transform_implILb0ES3_S5_N6thrust23THRUST_200600_302600_NS6detail15normal_iteratorINS8_7pointerIiNS8_11hip_rocprim5par_tENS8_11use_defaultESE_EEEESG_ZNS1_13binary_searchIS3_S5_NSA_INS8_10device_ptrIiEEEESG_SG_NS1_16binary_search_opENS9_16wrapped_functionINS8_6system6detail7generic6detail18binary_search_lessEbEEEE10hipError_tPvRmT1_T2_T3_mmT4_T5_P12ihipStream_tbEUlRKiE_EEST_SX_SY_mSZ_S12_bEUlT_E_NS1_11comp_targetILNS1_3genE0ELNS1_11target_archE4294967295ELNS1_3gpuE0ELNS1_3repE0EEENS1_30default_config_static_selectorELNS0_4arch9wavefront6targetE0EEEvSW_.num_vgpr, 0
	.set _ZN7rocprim17ROCPRIM_400000_NS6detail17trampoline_kernelINS0_14default_configENS1_29binary_search_config_selectorIiiEEZNS1_14transform_implILb0ES3_S5_N6thrust23THRUST_200600_302600_NS6detail15normal_iteratorINS8_7pointerIiNS8_11hip_rocprim5par_tENS8_11use_defaultESE_EEEESG_ZNS1_13binary_searchIS3_S5_NSA_INS8_10device_ptrIiEEEESG_SG_NS1_16binary_search_opENS9_16wrapped_functionINS8_6system6detail7generic6detail18binary_search_lessEbEEEE10hipError_tPvRmT1_T2_T3_mmT4_T5_P12ihipStream_tbEUlRKiE_EEST_SX_SY_mSZ_S12_bEUlT_E_NS1_11comp_targetILNS1_3genE0ELNS1_11target_archE4294967295ELNS1_3gpuE0ELNS1_3repE0EEENS1_30default_config_static_selectorELNS0_4arch9wavefront6targetE0EEEvSW_.num_agpr, 0
	.set _ZN7rocprim17ROCPRIM_400000_NS6detail17trampoline_kernelINS0_14default_configENS1_29binary_search_config_selectorIiiEEZNS1_14transform_implILb0ES3_S5_N6thrust23THRUST_200600_302600_NS6detail15normal_iteratorINS8_7pointerIiNS8_11hip_rocprim5par_tENS8_11use_defaultESE_EEEESG_ZNS1_13binary_searchIS3_S5_NSA_INS8_10device_ptrIiEEEESG_SG_NS1_16binary_search_opENS9_16wrapped_functionINS8_6system6detail7generic6detail18binary_search_lessEbEEEE10hipError_tPvRmT1_T2_T3_mmT4_T5_P12ihipStream_tbEUlRKiE_EEST_SX_SY_mSZ_S12_bEUlT_E_NS1_11comp_targetILNS1_3genE0ELNS1_11target_archE4294967295ELNS1_3gpuE0ELNS1_3repE0EEENS1_30default_config_static_selectorELNS0_4arch9wavefront6targetE0EEEvSW_.numbered_sgpr, 0
	.set _ZN7rocprim17ROCPRIM_400000_NS6detail17trampoline_kernelINS0_14default_configENS1_29binary_search_config_selectorIiiEEZNS1_14transform_implILb0ES3_S5_N6thrust23THRUST_200600_302600_NS6detail15normal_iteratorINS8_7pointerIiNS8_11hip_rocprim5par_tENS8_11use_defaultESE_EEEESG_ZNS1_13binary_searchIS3_S5_NSA_INS8_10device_ptrIiEEEESG_SG_NS1_16binary_search_opENS9_16wrapped_functionINS8_6system6detail7generic6detail18binary_search_lessEbEEEE10hipError_tPvRmT1_T2_T3_mmT4_T5_P12ihipStream_tbEUlRKiE_EEST_SX_SY_mSZ_S12_bEUlT_E_NS1_11comp_targetILNS1_3genE0ELNS1_11target_archE4294967295ELNS1_3gpuE0ELNS1_3repE0EEENS1_30default_config_static_selectorELNS0_4arch9wavefront6targetE0EEEvSW_.num_named_barrier, 0
	.set _ZN7rocprim17ROCPRIM_400000_NS6detail17trampoline_kernelINS0_14default_configENS1_29binary_search_config_selectorIiiEEZNS1_14transform_implILb0ES3_S5_N6thrust23THRUST_200600_302600_NS6detail15normal_iteratorINS8_7pointerIiNS8_11hip_rocprim5par_tENS8_11use_defaultESE_EEEESG_ZNS1_13binary_searchIS3_S5_NSA_INS8_10device_ptrIiEEEESG_SG_NS1_16binary_search_opENS9_16wrapped_functionINS8_6system6detail7generic6detail18binary_search_lessEbEEEE10hipError_tPvRmT1_T2_T3_mmT4_T5_P12ihipStream_tbEUlRKiE_EEST_SX_SY_mSZ_S12_bEUlT_E_NS1_11comp_targetILNS1_3genE0ELNS1_11target_archE4294967295ELNS1_3gpuE0ELNS1_3repE0EEENS1_30default_config_static_selectorELNS0_4arch9wavefront6targetE0EEEvSW_.private_seg_size, 0
	.set _ZN7rocprim17ROCPRIM_400000_NS6detail17trampoline_kernelINS0_14default_configENS1_29binary_search_config_selectorIiiEEZNS1_14transform_implILb0ES3_S5_N6thrust23THRUST_200600_302600_NS6detail15normal_iteratorINS8_7pointerIiNS8_11hip_rocprim5par_tENS8_11use_defaultESE_EEEESG_ZNS1_13binary_searchIS3_S5_NSA_INS8_10device_ptrIiEEEESG_SG_NS1_16binary_search_opENS9_16wrapped_functionINS8_6system6detail7generic6detail18binary_search_lessEbEEEE10hipError_tPvRmT1_T2_T3_mmT4_T5_P12ihipStream_tbEUlRKiE_EEST_SX_SY_mSZ_S12_bEUlT_E_NS1_11comp_targetILNS1_3genE0ELNS1_11target_archE4294967295ELNS1_3gpuE0ELNS1_3repE0EEENS1_30default_config_static_selectorELNS0_4arch9wavefront6targetE0EEEvSW_.uses_vcc, 0
	.set _ZN7rocprim17ROCPRIM_400000_NS6detail17trampoline_kernelINS0_14default_configENS1_29binary_search_config_selectorIiiEEZNS1_14transform_implILb0ES3_S5_N6thrust23THRUST_200600_302600_NS6detail15normal_iteratorINS8_7pointerIiNS8_11hip_rocprim5par_tENS8_11use_defaultESE_EEEESG_ZNS1_13binary_searchIS3_S5_NSA_INS8_10device_ptrIiEEEESG_SG_NS1_16binary_search_opENS9_16wrapped_functionINS8_6system6detail7generic6detail18binary_search_lessEbEEEE10hipError_tPvRmT1_T2_T3_mmT4_T5_P12ihipStream_tbEUlRKiE_EEST_SX_SY_mSZ_S12_bEUlT_E_NS1_11comp_targetILNS1_3genE0ELNS1_11target_archE4294967295ELNS1_3gpuE0ELNS1_3repE0EEENS1_30default_config_static_selectorELNS0_4arch9wavefront6targetE0EEEvSW_.uses_flat_scratch, 0
	.set _ZN7rocprim17ROCPRIM_400000_NS6detail17trampoline_kernelINS0_14default_configENS1_29binary_search_config_selectorIiiEEZNS1_14transform_implILb0ES3_S5_N6thrust23THRUST_200600_302600_NS6detail15normal_iteratorINS8_7pointerIiNS8_11hip_rocprim5par_tENS8_11use_defaultESE_EEEESG_ZNS1_13binary_searchIS3_S5_NSA_INS8_10device_ptrIiEEEESG_SG_NS1_16binary_search_opENS9_16wrapped_functionINS8_6system6detail7generic6detail18binary_search_lessEbEEEE10hipError_tPvRmT1_T2_T3_mmT4_T5_P12ihipStream_tbEUlRKiE_EEST_SX_SY_mSZ_S12_bEUlT_E_NS1_11comp_targetILNS1_3genE0ELNS1_11target_archE4294967295ELNS1_3gpuE0ELNS1_3repE0EEENS1_30default_config_static_selectorELNS0_4arch9wavefront6targetE0EEEvSW_.has_dyn_sized_stack, 0
	.set _ZN7rocprim17ROCPRIM_400000_NS6detail17trampoline_kernelINS0_14default_configENS1_29binary_search_config_selectorIiiEEZNS1_14transform_implILb0ES3_S5_N6thrust23THRUST_200600_302600_NS6detail15normal_iteratorINS8_7pointerIiNS8_11hip_rocprim5par_tENS8_11use_defaultESE_EEEESG_ZNS1_13binary_searchIS3_S5_NSA_INS8_10device_ptrIiEEEESG_SG_NS1_16binary_search_opENS9_16wrapped_functionINS8_6system6detail7generic6detail18binary_search_lessEbEEEE10hipError_tPvRmT1_T2_T3_mmT4_T5_P12ihipStream_tbEUlRKiE_EEST_SX_SY_mSZ_S12_bEUlT_E_NS1_11comp_targetILNS1_3genE0ELNS1_11target_archE4294967295ELNS1_3gpuE0ELNS1_3repE0EEENS1_30default_config_static_selectorELNS0_4arch9wavefront6targetE0EEEvSW_.has_recursion, 0
	.set _ZN7rocprim17ROCPRIM_400000_NS6detail17trampoline_kernelINS0_14default_configENS1_29binary_search_config_selectorIiiEEZNS1_14transform_implILb0ES3_S5_N6thrust23THRUST_200600_302600_NS6detail15normal_iteratorINS8_7pointerIiNS8_11hip_rocprim5par_tENS8_11use_defaultESE_EEEESG_ZNS1_13binary_searchIS3_S5_NSA_INS8_10device_ptrIiEEEESG_SG_NS1_16binary_search_opENS9_16wrapped_functionINS8_6system6detail7generic6detail18binary_search_lessEbEEEE10hipError_tPvRmT1_T2_T3_mmT4_T5_P12ihipStream_tbEUlRKiE_EEST_SX_SY_mSZ_S12_bEUlT_E_NS1_11comp_targetILNS1_3genE0ELNS1_11target_archE4294967295ELNS1_3gpuE0ELNS1_3repE0EEENS1_30default_config_static_selectorELNS0_4arch9wavefront6targetE0EEEvSW_.has_indirect_call, 0
	.section	.AMDGPU.csdata,"",@progbits
; Kernel info:
; codeLenInByte = 0
; TotalNumSgprs: 0
; NumVgprs: 0
; ScratchSize: 0
; MemoryBound: 0
; FloatMode: 240
; IeeeMode: 1
; LDSByteSize: 0 bytes/workgroup (compile time only)
; SGPRBlocks: 0
; VGPRBlocks: 0
; NumSGPRsForWavesPerEU: 1
; NumVGPRsForWavesPerEU: 1
; Occupancy: 16
; WaveLimiterHint : 0
; COMPUTE_PGM_RSRC2:SCRATCH_EN: 0
; COMPUTE_PGM_RSRC2:USER_SGPR: 6
; COMPUTE_PGM_RSRC2:TRAP_HANDLER: 0
; COMPUTE_PGM_RSRC2:TGID_X_EN: 1
; COMPUTE_PGM_RSRC2:TGID_Y_EN: 0
; COMPUTE_PGM_RSRC2:TGID_Z_EN: 0
; COMPUTE_PGM_RSRC2:TIDIG_COMP_CNT: 0
	.section	.text._ZN7rocprim17ROCPRIM_400000_NS6detail17trampoline_kernelINS0_14default_configENS1_29binary_search_config_selectorIiiEEZNS1_14transform_implILb0ES3_S5_N6thrust23THRUST_200600_302600_NS6detail15normal_iteratorINS8_7pointerIiNS8_11hip_rocprim5par_tENS8_11use_defaultESE_EEEESG_ZNS1_13binary_searchIS3_S5_NSA_INS8_10device_ptrIiEEEESG_SG_NS1_16binary_search_opENS9_16wrapped_functionINS8_6system6detail7generic6detail18binary_search_lessEbEEEE10hipError_tPvRmT1_T2_T3_mmT4_T5_P12ihipStream_tbEUlRKiE_EEST_SX_SY_mSZ_S12_bEUlT_E_NS1_11comp_targetILNS1_3genE5ELNS1_11target_archE942ELNS1_3gpuE9ELNS1_3repE0EEENS1_30default_config_static_selectorELNS0_4arch9wavefront6targetE0EEEvSW_,"axG",@progbits,_ZN7rocprim17ROCPRIM_400000_NS6detail17trampoline_kernelINS0_14default_configENS1_29binary_search_config_selectorIiiEEZNS1_14transform_implILb0ES3_S5_N6thrust23THRUST_200600_302600_NS6detail15normal_iteratorINS8_7pointerIiNS8_11hip_rocprim5par_tENS8_11use_defaultESE_EEEESG_ZNS1_13binary_searchIS3_S5_NSA_INS8_10device_ptrIiEEEESG_SG_NS1_16binary_search_opENS9_16wrapped_functionINS8_6system6detail7generic6detail18binary_search_lessEbEEEE10hipError_tPvRmT1_T2_T3_mmT4_T5_P12ihipStream_tbEUlRKiE_EEST_SX_SY_mSZ_S12_bEUlT_E_NS1_11comp_targetILNS1_3genE5ELNS1_11target_archE942ELNS1_3gpuE9ELNS1_3repE0EEENS1_30default_config_static_selectorELNS0_4arch9wavefront6targetE0EEEvSW_,comdat
	.protected	_ZN7rocprim17ROCPRIM_400000_NS6detail17trampoline_kernelINS0_14default_configENS1_29binary_search_config_selectorIiiEEZNS1_14transform_implILb0ES3_S5_N6thrust23THRUST_200600_302600_NS6detail15normal_iteratorINS8_7pointerIiNS8_11hip_rocprim5par_tENS8_11use_defaultESE_EEEESG_ZNS1_13binary_searchIS3_S5_NSA_INS8_10device_ptrIiEEEESG_SG_NS1_16binary_search_opENS9_16wrapped_functionINS8_6system6detail7generic6detail18binary_search_lessEbEEEE10hipError_tPvRmT1_T2_T3_mmT4_T5_P12ihipStream_tbEUlRKiE_EEST_SX_SY_mSZ_S12_bEUlT_E_NS1_11comp_targetILNS1_3genE5ELNS1_11target_archE942ELNS1_3gpuE9ELNS1_3repE0EEENS1_30default_config_static_selectorELNS0_4arch9wavefront6targetE0EEEvSW_ ; -- Begin function _ZN7rocprim17ROCPRIM_400000_NS6detail17trampoline_kernelINS0_14default_configENS1_29binary_search_config_selectorIiiEEZNS1_14transform_implILb0ES3_S5_N6thrust23THRUST_200600_302600_NS6detail15normal_iteratorINS8_7pointerIiNS8_11hip_rocprim5par_tENS8_11use_defaultESE_EEEESG_ZNS1_13binary_searchIS3_S5_NSA_INS8_10device_ptrIiEEEESG_SG_NS1_16binary_search_opENS9_16wrapped_functionINS8_6system6detail7generic6detail18binary_search_lessEbEEEE10hipError_tPvRmT1_T2_T3_mmT4_T5_P12ihipStream_tbEUlRKiE_EEST_SX_SY_mSZ_S12_bEUlT_E_NS1_11comp_targetILNS1_3genE5ELNS1_11target_archE942ELNS1_3gpuE9ELNS1_3repE0EEENS1_30default_config_static_selectorELNS0_4arch9wavefront6targetE0EEEvSW_
	.globl	_ZN7rocprim17ROCPRIM_400000_NS6detail17trampoline_kernelINS0_14default_configENS1_29binary_search_config_selectorIiiEEZNS1_14transform_implILb0ES3_S5_N6thrust23THRUST_200600_302600_NS6detail15normal_iteratorINS8_7pointerIiNS8_11hip_rocprim5par_tENS8_11use_defaultESE_EEEESG_ZNS1_13binary_searchIS3_S5_NSA_INS8_10device_ptrIiEEEESG_SG_NS1_16binary_search_opENS9_16wrapped_functionINS8_6system6detail7generic6detail18binary_search_lessEbEEEE10hipError_tPvRmT1_T2_T3_mmT4_T5_P12ihipStream_tbEUlRKiE_EEST_SX_SY_mSZ_S12_bEUlT_E_NS1_11comp_targetILNS1_3genE5ELNS1_11target_archE942ELNS1_3gpuE9ELNS1_3repE0EEENS1_30default_config_static_selectorELNS0_4arch9wavefront6targetE0EEEvSW_
	.p2align	8
	.type	_ZN7rocprim17ROCPRIM_400000_NS6detail17trampoline_kernelINS0_14default_configENS1_29binary_search_config_selectorIiiEEZNS1_14transform_implILb0ES3_S5_N6thrust23THRUST_200600_302600_NS6detail15normal_iteratorINS8_7pointerIiNS8_11hip_rocprim5par_tENS8_11use_defaultESE_EEEESG_ZNS1_13binary_searchIS3_S5_NSA_INS8_10device_ptrIiEEEESG_SG_NS1_16binary_search_opENS9_16wrapped_functionINS8_6system6detail7generic6detail18binary_search_lessEbEEEE10hipError_tPvRmT1_T2_T3_mmT4_T5_P12ihipStream_tbEUlRKiE_EEST_SX_SY_mSZ_S12_bEUlT_E_NS1_11comp_targetILNS1_3genE5ELNS1_11target_archE942ELNS1_3gpuE9ELNS1_3repE0EEENS1_30default_config_static_selectorELNS0_4arch9wavefront6targetE0EEEvSW_,@function
_ZN7rocprim17ROCPRIM_400000_NS6detail17trampoline_kernelINS0_14default_configENS1_29binary_search_config_selectorIiiEEZNS1_14transform_implILb0ES3_S5_N6thrust23THRUST_200600_302600_NS6detail15normal_iteratorINS8_7pointerIiNS8_11hip_rocprim5par_tENS8_11use_defaultESE_EEEESG_ZNS1_13binary_searchIS3_S5_NSA_INS8_10device_ptrIiEEEESG_SG_NS1_16binary_search_opENS9_16wrapped_functionINS8_6system6detail7generic6detail18binary_search_lessEbEEEE10hipError_tPvRmT1_T2_T3_mmT4_T5_P12ihipStream_tbEUlRKiE_EEST_SX_SY_mSZ_S12_bEUlT_E_NS1_11comp_targetILNS1_3genE5ELNS1_11target_archE942ELNS1_3gpuE9ELNS1_3repE0EEENS1_30default_config_static_selectorELNS0_4arch9wavefront6targetE0EEEvSW_: ; @_ZN7rocprim17ROCPRIM_400000_NS6detail17trampoline_kernelINS0_14default_configENS1_29binary_search_config_selectorIiiEEZNS1_14transform_implILb0ES3_S5_N6thrust23THRUST_200600_302600_NS6detail15normal_iteratorINS8_7pointerIiNS8_11hip_rocprim5par_tENS8_11use_defaultESE_EEEESG_ZNS1_13binary_searchIS3_S5_NSA_INS8_10device_ptrIiEEEESG_SG_NS1_16binary_search_opENS9_16wrapped_functionINS8_6system6detail7generic6detail18binary_search_lessEbEEEE10hipError_tPvRmT1_T2_T3_mmT4_T5_P12ihipStream_tbEUlRKiE_EEST_SX_SY_mSZ_S12_bEUlT_E_NS1_11comp_targetILNS1_3genE5ELNS1_11target_archE942ELNS1_3gpuE9ELNS1_3repE0EEENS1_30default_config_static_selectorELNS0_4arch9wavefront6targetE0EEEvSW_
; %bb.0:
	.section	.rodata,"a",@progbits
	.p2align	6, 0x0
	.amdhsa_kernel _ZN7rocprim17ROCPRIM_400000_NS6detail17trampoline_kernelINS0_14default_configENS1_29binary_search_config_selectorIiiEEZNS1_14transform_implILb0ES3_S5_N6thrust23THRUST_200600_302600_NS6detail15normal_iteratorINS8_7pointerIiNS8_11hip_rocprim5par_tENS8_11use_defaultESE_EEEESG_ZNS1_13binary_searchIS3_S5_NSA_INS8_10device_ptrIiEEEESG_SG_NS1_16binary_search_opENS9_16wrapped_functionINS8_6system6detail7generic6detail18binary_search_lessEbEEEE10hipError_tPvRmT1_T2_T3_mmT4_T5_P12ihipStream_tbEUlRKiE_EEST_SX_SY_mSZ_S12_bEUlT_E_NS1_11comp_targetILNS1_3genE5ELNS1_11target_archE942ELNS1_3gpuE9ELNS1_3repE0EEENS1_30default_config_static_selectorELNS0_4arch9wavefront6targetE0EEEvSW_
		.amdhsa_group_segment_fixed_size 0
		.amdhsa_private_segment_fixed_size 0
		.amdhsa_kernarg_size 56
		.amdhsa_user_sgpr_count 6
		.amdhsa_user_sgpr_private_segment_buffer 1
		.amdhsa_user_sgpr_dispatch_ptr 0
		.amdhsa_user_sgpr_queue_ptr 0
		.amdhsa_user_sgpr_kernarg_segment_ptr 1
		.amdhsa_user_sgpr_dispatch_id 0
		.amdhsa_user_sgpr_flat_scratch_init 0
		.amdhsa_user_sgpr_private_segment_size 0
		.amdhsa_wavefront_size32 1
		.amdhsa_uses_dynamic_stack 0
		.amdhsa_system_sgpr_private_segment_wavefront_offset 0
		.amdhsa_system_sgpr_workgroup_id_x 1
		.amdhsa_system_sgpr_workgroup_id_y 0
		.amdhsa_system_sgpr_workgroup_id_z 0
		.amdhsa_system_sgpr_workgroup_info 0
		.amdhsa_system_vgpr_workitem_id 0
		.amdhsa_next_free_vgpr 1
		.amdhsa_next_free_sgpr 1
		.amdhsa_reserve_vcc 0
		.amdhsa_reserve_flat_scratch 0
		.amdhsa_float_round_mode_32 0
		.amdhsa_float_round_mode_16_64 0
		.amdhsa_float_denorm_mode_32 3
		.amdhsa_float_denorm_mode_16_64 3
		.amdhsa_dx10_clamp 1
		.amdhsa_ieee_mode 1
		.amdhsa_fp16_overflow 0
		.amdhsa_workgroup_processor_mode 1
		.amdhsa_memory_ordered 1
		.amdhsa_forward_progress 1
		.amdhsa_shared_vgpr_count 0
		.amdhsa_exception_fp_ieee_invalid_op 0
		.amdhsa_exception_fp_denorm_src 0
		.amdhsa_exception_fp_ieee_div_zero 0
		.amdhsa_exception_fp_ieee_overflow 0
		.amdhsa_exception_fp_ieee_underflow 0
		.amdhsa_exception_fp_ieee_inexact 0
		.amdhsa_exception_int_div_zero 0
	.end_amdhsa_kernel
	.section	.text._ZN7rocprim17ROCPRIM_400000_NS6detail17trampoline_kernelINS0_14default_configENS1_29binary_search_config_selectorIiiEEZNS1_14transform_implILb0ES3_S5_N6thrust23THRUST_200600_302600_NS6detail15normal_iteratorINS8_7pointerIiNS8_11hip_rocprim5par_tENS8_11use_defaultESE_EEEESG_ZNS1_13binary_searchIS3_S5_NSA_INS8_10device_ptrIiEEEESG_SG_NS1_16binary_search_opENS9_16wrapped_functionINS8_6system6detail7generic6detail18binary_search_lessEbEEEE10hipError_tPvRmT1_T2_T3_mmT4_T5_P12ihipStream_tbEUlRKiE_EEST_SX_SY_mSZ_S12_bEUlT_E_NS1_11comp_targetILNS1_3genE5ELNS1_11target_archE942ELNS1_3gpuE9ELNS1_3repE0EEENS1_30default_config_static_selectorELNS0_4arch9wavefront6targetE0EEEvSW_,"axG",@progbits,_ZN7rocprim17ROCPRIM_400000_NS6detail17trampoline_kernelINS0_14default_configENS1_29binary_search_config_selectorIiiEEZNS1_14transform_implILb0ES3_S5_N6thrust23THRUST_200600_302600_NS6detail15normal_iteratorINS8_7pointerIiNS8_11hip_rocprim5par_tENS8_11use_defaultESE_EEEESG_ZNS1_13binary_searchIS3_S5_NSA_INS8_10device_ptrIiEEEESG_SG_NS1_16binary_search_opENS9_16wrapped_functionINS8_6system6detail7generic6detail18binary_search_lessEbEEEE10hipError_tPvRmT1_T2_T3_mmT4_T5_P12ihipStream_tbEUlRKiE_EEST_SX_SY_mSZ_S12_bEUlT_E_NS1_11comp_targetILNS1_3genE5ELNS1_11target_archE942ELNS1_3gpuE9ELNS1_3repE0EEENS1_30default_config_static_selectorELNS0_4arch9wavefront6targetE0EEEvSW_,comdat
.Lfunc_end708:
	.size	_ZN7rocprim17ROCPRIM_400000_NS6detail17trampoline_kernelINS0_14default_configENS1_29binary_search_config_selectorIiiEEZNS1_14transform_implILb0ES3_S5_N6thrust23THRUST_200600_302600_NS6detail15normal_iteratorINS8_7pointerIiNS8_11hip_rocprim5par_tENS8_11use_defaultESE_EEEESG_ZNS1_13binary_searchIS3_S5_NSA_INS8_10device_ptrIiEEEESG_SG_NS1_16binary_search_opENS9_16wrapped_functionINS8_6system6detail7generic6detail18binary_search_lessEbEEEE10hipError_tPvRmT1_T2_T3_mmT4_T5_P12ihipStream_tbEUlRKiE_EEST_SX_SY_mSZ_S12_bEUlT_E_NS1_11comp_targetILNS1_3genE5ELNS1_11target_archE942ELNS1_3gpuE9ELNS1_3repE0EEENS1_30default_config_static_selectorELNS0_4arch9wavefront6targetE0EEEvSW_, .Lfunc_end708-_ZN7rocprim17ROCPRIM_400000_NS6detail17trampoline_kernelINS0_14default_configENS1_29binary_search_config_selectorIiiEEZNS1_14transform_implILb0ES3_S5_N6thrust23THRUST_200600_302600_NS6detail15normal_iteratorINS8_7pointerIiNS8_11hip_rocprim5par_tENS8_11use_defaultESE_EEEESG_ZNS1_13binary_searchIS3_S5_NSA_INS8_10device_ptrIiEEEESG_SG_NS1_16binary_search_opENS9_16wrapped_functionINS8_6system6detail7generic6detail18binary_search_lessEbEEEE10hipError_tPvRmT1_T2_T3_mmT4_T5_P12ihipStream_tbEUlRKiE_EEST_SX_SY_mSZ_S12_bEUlT_E_NS1_11comp_targetILNS1_3genE5ELNS1_11target_archE942ELNS1_3gpuE9ELNS1_3repE0EEENS1_30default_config_static_selectorELNS0_4arch9wavefront6targetE0EEEvSW_
                                        ; -- End function
	.set _ZN7rocprim17ROCPRIM_400000_NS6detail17trampoline_kernelINS0_14default_configENS1_29binary_search_config_selectorIiiEEZNS1_14transform_implILb0ES3_S5_N6thrust23THRUST_200600_302600_NS6detail15normal_iteratorINS8_7pointerIiNS8_11hip_rocprim5par_tENS8_11use_defaultESE_EEEESG_ZNS1_13binary_searchIS3_S5_NSA_INS8_10device_ptrIiEEEESG_SG_NS1_16binary_search_opENS9_16wrapped_functionINS8_6system6detail7generic6detail18binary_search_lessEbEEEE10hipError_tPvRmT1_T2_T3_mmT4_T5_P12ihipStream_tbEUlRKiE_EEST_SX_SY_mSZ_S12_bEUlT_E_NS1_11comp_targetILNS1_3genE5ELNS1_11target_archE942ELNS1_3gpuE9ELNS1_3repE0EEENS1_30default_config_static_selectorELNS0_4arch9wavefront6targetE0EEEvSW_.num_vgpr, 0
	.set _ZN7rocprim17ROCPRIM_400000_NS6detail17trampoline_kernelINS0_14default_configENS1_29binary_search_config_selectorIiiEEZNS1_14transform_implILb0ES3_S5_N6thrust23THRUST_200600_302600_NS6detail15normal_iteratorINS8_7pointerIiNS8_11hip_rocprim5par_tENS8_11use_defaultESE_EEEESG_ZNS1_13binary_searchIS3_S5_NSA_INS8_10device_ptrIiEEEESG_SG_NS1_16binary_search_opENS9_16wrapped_functionINS8_6system6detail7generic6detail18binary_search_lessEbEEEE10hipError_tPvRmT1_T2_T3_mmT4_T5_P12ihipStream_tbEUlRKiE_EEST_SX_SY_mSZ_S12_bEUlT_E_NS1_11comp_targetILNS1_3genE5ELNS1_11target_archE942ELNS1_3gpuE9ELNS1_3repE0EEENS1_30default_config_static_selectorELNS0_4arch9wavefront6targetE0EEEvSW_.num_agpr, 0
	.set _ZN7rocprim17ROCPRIM_400000_NS6detail17trampoline_kernelINS0_14default_configENS1_29binary_search_config_selectorIiiEEZNS1_14transform_implILb0ES3_S5_N6thrust23THRUST_200600_302600_NS6detail15normal_iteratorINS8_7pointerIiNS8_11hip_rocprim5par_tENS8_11use_defaultESE_EEEESG_ZNS1_13binary_searchIS3_S5_NSA_INS8_10device_ptrIiEEEESG_SG_NS1_16binary_search_opENS9_16wrapped_functionINS8_6system6detail7generic6detail18binary_search_lessEbEEEE10hipError_tPvRmT1_T2_T3_mmT4_T5_P12ihipStream_tbEUlRKiE_EEST_SX_SY_mSZ_S12_bEUlT_E_NS1_11comp_targetILNS1_3genE5ELNS1_11target_archE942ELNS1_3gpuE9ELNS1_3repE0EEENS1_30default_config_static_selectorELNS0_4arch9wavefront6targetE0EEEvSW_.numbered_sgpr, 0
	.set _ZN7rocprim17ROCPRIM_400000_NS6detail17trampoline_kernelINS0_14default_configENS1_29binary_search_config_selectorIiiEEZNS1_14transform_implILb0ES3_S5_N6thrust23THRUST_200600_302600_NS6detail15normal_iteratorINS8_7pointerIiNS8_11hip_rocprim5par_tENS8_11use_defaultESE_EEEESG_ZNS1_13binary_searchIS3_S5_NSA_INS8_10device_ptrIiEEEESG_SG_NS1_16binary_search_opENS9_16wrapped_functionINS8_6system6detail7generic6detail18binary_search_lessEbEEEE10hipError_tPvRmT1_T2_T3_mmT4_T5_P12ihipStream_tbEUlRKiE_EEST_SX_SY_mSZ_S12_bEUlT_E_NS1_11comp_targetILNS1_3genE5ELNS1_11target_archE942ELNS1_3gpuE9ELNS1_3repE0EEENS1_30default_config_static_selectorELNS0_4arch9wavefront6targetE0EEEvSW_.num_named_barrier, 0
	.set _ZN7rocprim17ROCPRIM_400000_NS6detail17trampoline_kernelINS0_14default_configENS1_29binary_search_config_selectorIiiEEZNS1_14transform_implILb0ES3_S5_N6thrust23THRUST_200600_302600_NS6detail15normal_iteratorINS8_7pointerIiNS8_11hip_rocprim5par_tENS8_11use_defaultESE_EEEESG_ZNS1_13binary_searchIS3_S5_NSA_INS8_10device_ptrIiEEEESG_SG_NS1_16binary_search_opENS9_16wrapped_functionINS8_6system6detail7generic6detail18binary_search_lessEbEEEE10hipError_tPvRmT1_T2_T3_mmT4_T5_P12ihipStream_tbEUlRKiE_EEST_SX_SY_mSZ_S12_bEUlT_E_NS1_11comp_targetILNS1_3genE5ELNS1_11target_archE942ELNS1_3gpuE9ELNS1_3repE0EEENS1_30default_config_static_selectorELNS0_4arch9wavefront6targetE0EEEvSW_.private_seg_size, 0
	.set _ZN7rocprim17ROCPRIM_400000_NS6detail17trampoline_kernelINS0_14default_configENS1_29binary_search_config_selectorIiiEEZNS1_14transform_implILb0ES3_S5_N6thrust23THRUST_200600_302600_NS6detail15normal_iteratorINS8_7pointerIiNS8_11hip_rocprim5par_tENS8_11use_defaultESE_EEEESG_ZNS1_13binary_searchIS3_S5_NSA_INS8_10device_ptrIiEEEESG_SG_NS1_16binary_search_opENS9_16wrapped_functionINS8_6system6detail7generic6detail18binary_search_lessEbEEEE10hipError_tPvRmT1_T2_T3_mmT4_T5_P12ihipStream_tbEUlRKiE_EEST_SX_SY_mSZ_S12_bEUlT_E_NS1_11comp_targetILNS1_3genE5ELNS1_11target_archE942ELNS1_3gpuE9ELNS1_3repE0EEENS1_30default_config_static_selectorELNS0_4arch9wavefront6targetE0EEEvSW_.uses_vcc, 0
	.set _ZN7rocprim17ROCPRIM_400000_NS6detail17trampoline_kernelINS0_14default_configENS1_29binary_search_config_selectorIiiEEZNS1_14transform_implILb0ES3_S5_N6thrust23THRUST_200600_302600_NS6detail15normal_iteratorINS8_7pointerIiNS8_11hip_rocprim5par_tENS8_11use_defaultESE_EEEESG_ZNS1_13binary_searchIS3_S5_NSA_INS8_10device_ptrIiEEEESG_SG_NS1_16binary_search_opENS9_16wrapped_functionINS8_6system6detail7generic6detail18binary_search_lessEbEEEE10hipError_tPvRmT1_T2_T3_mmT4_T5_P12ihipStream_tbEUlRKiE_EEST_SX_SY_mSZ_S12_bEUlT_E_NS1_11comp_targetILNS1_3genE5ELNS1_11target_archE942ELNS1_3gpuE9ELNS1_3repE0EEENS1_30default_config_static_selectorELNS0_4arch9wavefront6targetE0EEEvSW_.uses_flat_scratch, 0
	.set _ZN7rocprim17ROCPRIM_400000_NS6detail17trampoline_kernelINS0_14default_configENS1_29binary_search_config_selectorIiiEEZNS1_14transform_implILb0ES3_S5_N6thrust23THRUST_200600_302600_NS6detail15normal_iteratorINS8_7pointerIiNS8_11hip_rocprim5par_tENS8_11use_defaultESE_EEEESG_ZNS1_13binary_searchIS3_S5_NSA_INS8_10device_ptrIiEEEESG_SG_NS1_16binary_search_opENS9_16wrapped_functionINS8_6system6detail7generic6detail18binary_search_lessEbEEEE10hipError_tPvRmT1_T2_T3_mmT4_T5_P12ihipStream_tbEUlRKiE_EEST_SX_SY_mSZ_S12_bEUlT_E_NS1_11comp_targetILNS1_3genE5ELNS1_11target_archE942ELNS1_3gpuE9ELNS1_3repE0EEENS1_30default_config_static_selectorELNS0_4arch9wavefront6targetE0EEEvSW_.has_dyn_sized_stack, 0
	.set _ZN7rocprim17ROCPRIM_400000_NS6detail17trampoline_kernelINS0_14default_configENS1_29binary_search_config_selectorIiiEEZNS1_14transform_implILb0ES3_S5_N6thrust23THRUST_200600_302600_NS6detail15normal_iteratorINS8_7pointerIiNS8_11hip_rocprim5par_tENS8_11use_defaultESE_EEEESG_ZNS1_13binary_searchIS3_S5_NSA_INS8_10device_ptrIiEEEESG_SG_NS1_16binary_search_opENS9_16wrapped_functionINS8_6system6detail7generic6detail18binary_search_lessEbEEEE10hipError_tPvRmT1_T2_T3_mmT4_T5_P12ihipStream_tbEUlRKiE_EEST_SX_SY_mSZ_S12_bEUlT_E_NS1_11comp_targetILNS1_3genE5ELNS1_11target_archE942ELNS1_3gpuE9ELNS1_3repE0EEENS1_30default_config_static_selectorELNS0_4arch9wavefront6targetE0EEEvSW_.has_recursion, 0
	.set _ZN7rocprim17ROCPRIM_400000_NS6detail17trampoline_kernelINS0_14default_configENS1_29binary_search_config_selectorIiiEEZNS1_14transform_implILb0ES3_S5_N6thrust23THRUST_200600_302600_NS6detail15normal_iteratorINS8_7pointerIiNS8_11hip_rocprim5par_tENS8_11use_defaultESE_EEEESG_ZNS1_13binary_searchIS3_S5_NSA_INS8_10device_ptrIiEEEESG_SG_NS1_16binary_search_opENS9_16wrapped_functionINS8_6system6detail7generic6detail18binary_search_lessEbEEEE10hipError_tPvRmT1_T2_T3_mmT4_T5_P12ihipStream_tbEUlRKiE_EEST_SX_SY_mSZ_S12_bEUlT_E_NS1_11comp_targetILNS1_3genE5ELNS1_11target_archE942ELNS1_3gpuE9ELNS1_3repE0EEENS1_30default_config_static_selectorELNS0_4arch9wavefront6targetE0EEEvSW_.has_indirect_call, 0
	.section	.AMDGPU.csdata,"",@progbits
; Kernel info:
; codeLenInByte = 0
; TotalNumSgprs: 0
; NumVgprs: 0
; ScratchSize: 0
; MemoryBound: 0
; FloatMode: 240
; IeeeMode: 1
; LDSByteSize: 0 bytes/workgroup (compile time only)
; SGPRBlocks: 0
; VGPRBlocks: 0
; NumSGPRsForWavesPerEU: 1
; NumVGPRsForWavesPerEU: 1
; Occupancy: 16
; WaveLimiterHint : 0
; COMPUTE_PGM_RSRC2:SCRATCH_EN: 0
; COMPUTE_PGM_RSRC2:USER_SGPR: 6
; COMPUTE_PGM_RSRC2:TRAP_HANDLER: 0
; COMPUTE_PGM_RSRC2:TGID_X_EN: 1
; COMPUTE_PGM_RSRC2:TGID_Y_EN: 0
; COMPUTE_PGM_RSRC2:TGID_Z_EN: 0
; COMPUTE_PGM_RSRC2:TIDIG_COMP_CNT: 0
	.section	.text._ZN7rocprim17ROCPRIM_400000_NS6detail17trampoline_kernelINS0_14default_configENS1_29binary_search_config_selectorIiiEEZNS1_14transform_implILb0ES3_S5_N6thrust23THRUST_200600_302600_NS6detail15normal_iteratorINS8_7pointerIiNS8_11hip_rocprim5par_tENS8_11use_defaultESE_EEEESG_ZNS1_13binary_searchIS3_S5_NSA_INS8_10device_ptrIiEEEESG_SG_NS1_16binary_search_opENS9_16wrapped_functionINS8_6system6detail7generic6detail18binary_search_lessEbEEEE10hipError_tPvRmT1_T2_T3_mmT4_T5_P12ihipStream_tbEUlRKiE_EEST_SX_SY_mSZ_S12_bEUlT_E_NS1_11comp_targetILNS1_3genE4ELNS1_11target_archE910ELNS1_3gpuE8ELNS1_3repE0EEENS1_30default_config_static_selectorELNS0_4arch9wavefront6targetE0EEEvSW_,"axG",@progbits,_ZN7rocprim17ROCPRIM_400000_NS6detail17trampoline_kernelINS0_14default_configENS1_29binary_search_config_selectorIiiEEZNS1_14transform_implILb0ES3_S5_N6thrust23THRUST_200600_302600_NS6detail15normal_iteratorINS8_7pointerIiNS8_11hip_rocprim5par_tENS8_11use_defaultESE_EEEESG_ZNS1_13binary_searchIS3_S5_NSA_INS8_10device_ptrIiEEEESG_SG_NS1_16binary_search_opENS9_16wrapped_functionINS8_6system6detail7generic6detail18binary_search_lessEbEEEE10hipError_tPvRmT1_T2_T3_mmT4_T5_P12ihipStream_tbEUlRKiE_EEST_SX_SY_mSZ_S12_bEUlT_E_NS1_11comp_targetILNS1_3genE4ELNS1_11target_archE910ELNS1_3gpuE8ELNS1_3repE0EEENS1_30default_config_static_selectorELNS0_4arch9wavefront6targetE0EEEvSW_,comdat
	.protected	_ZN7rocprim17ROCPRIM_400000_NS6detail17trampoline_kernelINS0_14default_configENS1_29binary_search_config_selectorIiiEEZNS1_14transform_implILb0ES3_S5_N6thrust23THRUST_200600_302600_NS6detail15normal_iteratorINS8_7pointerIiNS8_11hip_rocprim5par_tENS8_11use_defaultESE_EEEESG_ZNS1_13binary_searchIS3_S5_NSA_INS8_10device_ptrIiEEEESG_SG_NS1_16binary_search_opENS9_16wrapped_functionINS8_6system6detail7generic6detail18binary_search_lessEbEEEE10hipError_tPvRmT1_T2_T3_mmT4_T5_P12ihipStream_tbEUlRKiE_EEST_SX_SY_mSZ_S12_bEUlT_E_NS1_11comp_targetILNS1_3genE4ELNS1_11target_archE910ELNS1_3gpuE8ELNS1_3repE0EEENS1_30default_config_static_selectorELNS0_4arch9wavefront6targetE0EEEvSW_ ; -- Begin function _ZN7rocprim17ROCPRIM_400000_NS6detail17trampoline_kernelINS0_14default_configENS1_29binary_search_config_selectorIiiEEZNS1_14transform_implILb0ES3_S5_N6thrust23THRUST_200600_302600_NS6detail15normal_iteratorINS8_7pointerIiNS8_11hip_rocprim5par_tENS8_11use_defaultESE_EEEESG_ZNS1_13binary_searchIS3_S5_NSA_INS8_10device_ptrIiEEEESG_SG_NS1_16binary_search_opENS9_16wrapped_functionINS8_6system6detail7generic6detail18binary_search_lessEbEEEE10hipError_tPvRmT1_T2_T3_mmT4_T5_P12ihipStream_tbEUlRKiE_EEST_SX_SY_mSZ_S12_bEUlT_E_NS1_11comp_targetILNS1_3genE4ELNS1_11target_archE910ELNS1_3gpuE8ELNS1_3repE0EEENS1_30default_config_static_selectorELNS0_4arch9wavefront6targetE0EEEvSW_
	.globl	_ZN7rocprim17ROCPRIM_400000_NS6detail17trampoline_kernelINS0_14default_configENS1_29binary_search_config_selectorIiiEEZNS1_14transform_implILb0ES3_S5_N6thrust23THRUST_200600_302600_NS6detail15normal_iteratorINS8_7pointerIiNS8_11hip_rocprim5par_tENS8_11use_defaultESE_EEEESG_ZNS1_13binary_searchIS3_S5_NSA_INS8_10device_ptrIiEEEESG_SG_NS1_16binary_search_opENS9_16wrapped_functionINS8_6system6detail7generic6detail18binary_search_lessEbEEEE10hipError_tPvRmT1_T2_T3_mmT4_T5_P12ihipStream_tbEUlRKiE_EEST_SX_SY_mSZ_S12_bEUlT_E_NS1_11comp_targetILNS1_3genE4ELNS1_11target_archE910ELNS1_3gpuE8ELNS1_3repE0EEENS1_30default_config_static_selectorELNS0_4arch9wavefront6targetE0EEEvSW_
	.p2align	8
	.type	_ZN7rocprim17ROCPRIM_400000_NS6detail17trampoline_kernelINS0_14default_configENS1_29binary_search_config_selectorIiiEEZNS1_14transform_implILb0ES3_S5_N6thrust23THRUST_200600_302600_NS6detail15normal_iteratorINS8_7pointerIiNS8_11hip_rocprim5par_tENS8_11use_defaultESE_EEEESG_ZNS1_13binary_searchIS3_S5_NSA_INS8_10device_ptrIiEEEESG_SG_NS1_16binary_search_opENS9_16wrapped_functionINS8_6system6detail7generic6detail18binary_search_lessEbEEEE10hipError_tPvRmT1_T2_T3_mmT4_T5_P12ihipStream_tbEUlRKiE_EEST_SX_SY_mSZ_S12_bEUlT_E_NS1_11comp_targetILNS1_3genE4ELNS1_11target_archE910ELNS1_3gpuE8ELNS1_3repE0EEENS1_30default_config_static_selectorELNS0_4arch9wavefront6targetE0EEEvSW_,@function
_ZN7rocprim17ROCPRIM_400000_NS6detail17trampoline_kernelINS0_14default_configENS1_29binary_search_config_selectorIiiEEZNS1_14transform_implILb0ES3_S5_N6thrust23THRUST_200600_302600_NS6detail15normal_iteratorINS8_7pointerIiNS8_11hip_rocprim5par_tENS8_11use_defaultESE_EEEESG_ZNS1_13binary_searchIS3_S5_NSA_INS8_10device_ptrIiEEEESG_SG_NS1_16binary_search_opENS9_16wrapped_functionINS8_6system6detail7generic6detail18binary_search_lessEbEEEE10hipError_tPvRmT1_T2_T3_mmT4_T5_P12ihipStream_tbEUlRKiE_EEST_SX_SY_mSZ_S12_bEUlT_E_NS1_11comp_targetILNS1_3genE4ELNS1_11target_archE910ELNS1_3gpuE8ELNS1_3repE0EEENS1_30default_config_static_selectorELNS0_4arch9wavefront6targetE0EEEvSW_: ; @_ZN7rocprim17ROCPRIM_400000_NS6detail17trampoline_kernelINS0_14default_configENS1_29binary_search_config_selectorIiiEEZNS1_14transform_implILb0ES3_S5_N6thrust23THRUST_200600_302600_NS6detail15normal_iteratorINS8_7pointerIiNS8_11hip_rocprim5par_tENS8_11use_defaultESE_EEEESG_ZNS1_13binary_searchIS3_S5_NSA_INS8_10device_ptrIiEEEESG_SG_NS1_16binary_search_opENS9_16wrapped_functionINS8_6system6detail7generic6detail18binary_search_lessEbEEEE10hipError_tPvRmT1_T2_T3_mmT4_T5_P12ihipStream_tbEUlRKiE_EEST_SX_SY_mSZ_S12_bEUlT_E_NS1_11comp_targetILNS1_3genE4ELNS1_11target_archE910ELNS1_3gpuE8ELNS1_3repE0EEENS1_30default_config_static_selectorELNS0_4arch9wavefront6targetE0EEEvSW_
; %bb.0:
	.section	.rodata,"a",@progbits
	.p2align	6, 0x0
	.amdhsa_kernel _ZN7rocprim17ROCPRIM_400000_NS6detail17trampoline_kernelINS0_14default_configENS1_29binary_search_config_selectorIiiEEZNS1_14transform_implILb0ES3_S5_N6thrust23THRUST_200600_302600_NS6detail15normal_iteratorINS8_7pointerIiNS8_11hip_rocprim5par_tENS8_11use_defaultESE_EEEESG_ZNS1_13binary_searchIS3_S5_NSA_INS8_10device_ptrIiEEEESG_SG_NS1_16binary_search_opENS9_16wrapped_functionINS8_6system6detail7generic6detail18binary_search_lessEbEEEE10hipError_tPvRmT1_T2_T3_mmT4_T5_P12ihipStream_tbEUlRKiE_EEST_SX_SY_mSZ_S12_bEUlT_E_NS1_11comp_targetILNS1_3genE4ELNS1_11target_archE910ELNS1_3gpuE8ELNS1_3repE0EEENS1_30default_config_static_selectorELNS0_4arch9wavefront6targetE0EEEvSW_
		.amdhsa_group_segment_fixed_size 0
		.amdhsa_private_segment_fixed_size 0
		.amdhsa_kernarg_size 56
		.amdhsa_user_sgpr_count 6
		.amdhsa_user_sgpr_private_segment_buffer 1
		.amdhsa_user_sgpr_dispatch_ptr 0
		.amdhsa_user_sgpr_queue_ptr 0
		.amdhsa_user_sgpr_kernarg_segment_ptr 1
		.amdhsa_user_sgpr_dispatch_id 0
		.amdhsa_user_sgpr_flat_scratch_init 0
		.amdhsa_user_sgpr_private_segment_size 0
		.amdhsa_wavefront_size32 1
		.amdhsa_uses_dynamic_stack 0
		.amdhsa_system_sgpr_private_segment_wavefront_offset 0
		.amdhsa_system_sgpr_workgroup_id_x 1
		.amdhsa_system_sgpr_workgroup_id_y 0
		.amdhsa_system_sgpr_workgroup_id_z 0
		.amdhsa_system_sgpr_workgroup_info 0
		.amdhsa_system_vgpr_workitem_id 0
		.amdhsa_next_free_vgpr 1
		.amdhsa_next_free_sgpr 1
		.amdhsa_reserve_vcc 0
		.amdhsa_reserve_flat_scratch 0
		.amdhsa_float_round_mode_32 0
		.amdhsa_float_round_mode_16_64 0
		.amdhsa_float_denorm_mode_32 3
		.amdhsa_float_denorm_mode_16_64 3
		.amdhsa_dx10_clamp 1
		.amdhsa_ieee_mode 1
		.amdhsa_fp16_overflow 0
		.amdhsa_workgroup_processor_mode 1
		.amdhsa_memory_ordered 1
		.amdhsa_forward_progress 1
		.amdhsa_shared_vgpr_count 0
		.amdhsa_exception_fp_ieee_invalid_op 0
		.amdhsa_exception_fp_denorm_src 0
		.amdhsa_exception_fp_ieee_div_zero 0
		.amdhsa_exception_fp_ieee_overflow 0
		.amdhsa_exception_fp_ieee_underflow 0
		.amdhsa_exception_fp_ieee_inexact 0
		.amdhsa_exception_int_div_zero 0
	.end_amdhsa_kernel
	.section	.text._ZN7rocprim17ROCPRIM_400000_NS6detail17trampoline_kernelINS0_14default_configENS1_29binary_search_config_selectorIiiEEZNS1_14transform_implILb0ES3_S5_N6thrust23THRUST_200600_302600_NS6detail15normal_iteratorINS8_7pointerIiNS8_11hip_rocprim5par_tENS8_11use_defaultESE_EEEESG_ZNS1_13binary_searchIS3_S5_NSA_INS8_10device_ptrIiEEEESG_SG_NS1_16binary_search_opENS9_16wrapped_functionINS8_6system6detail7generic6detail18binary_search_lessEbEEEE10hipError_tPvRmT1_T2_T3_mmT4_T5_P12ihipStream_tbEUlRKiE_EEST_SX_SY_mSZ_S12_bEUlT_E_NS1_11comp_targetILNS1_3genE4ELNS1_11target_archE910ELNS1_3gpuE8ELNS1_3repE0EEENS1_30default_config_static_selectorELNS0_4arch9wavefront6targetE0EEEvSW_,"axG",@progbits,_ZN7rocprim17ROCPRIM_400000_NS6detail17trampoline_kernelINS0_14default_configENS1_29binary_search_config_selectorIiiEEZNS1_14transform_implILb0ES3_S5_N6thrust23THRUST_200600_302600_NS6detail15normal_iteratorINS8_7pointerIiNS8_11hip_rocprim5par_tENS8_11use_defaultESE_EEEESG_ZNS1_13binary_searchIS3_S5_NSA_INS8_10device_ptrIiEEEESG_SG_NS1_16binary_search_opENS9_16wrapped_functionINS8_6system6detail7generic6detail18binary_search_lessEbEEEE10hipError_tPvRmT1_T2_T3_mmT4_T5_P12ihipStream_tbEUlRKiE_EEST_SX_SY_mSZ_S12_bEUlT_E_NS1_11comp_targetILNS1_3genE4ELNS1_11target_archE910ELNS1_3gpuE8ELNS1_3repE0EEENS1_30default_config_static_selectorELNS0_4arch9wavefront6targetE0EEEvSW_,comdat
.Lfunc_end709:
	.size	_ZN7rocprim17ROCPRIM_400000_NS6detail17trampoline_kernelINS0_14default_configENS1_29binary_search_config_selectorIiiEEZNS1_14transform_implILb0ES3_S5_N6thrust23THRUST_200600_302600_NS6detail15normal_iteratorINS8_7pointerIiNS8_11hip_rocprim5par_tENS8_11use_defaultESE_EEEESG_ZNS1_13binary_searchIS3_S5_NSA_INS8_10device_ptrIiEEEESG_SG_NS1_16binary_search_opENS9_16wrapped_functionINS8_6system6detail7generic6detail18binary_search_lessEbEEEE10hipError_tPvRmT1_T2_T3_mmT4_T5_P12ihipStream_tbEUlRKiE_EEST_SX_SY_mSZ_S12_bEUlT_E_NS1_11comp_targetILNS1_3genE4ELNS1_11target_archE910ELNS1_3gpuE8ELNS1_3repE0EEENS1_30default_config_static_selectorELNS0_4arch9wavefront6targetE0EEEvSW_, .Lfunc_end709-_ZN7rocprim17ROCPRIM_400000_NS6detail17trampoline_kernelINS0_14default_configENS1_29binary_search_config_selectorIiiEEZNS1_14transform_implILb0ES3_S5_N6thrust23THRUST_200600_302600_NS6detail15normal_iteratorINS8_7pointerIiNS8_11hip_rocprim5par_tENS8_11use_defaultESE_EEEESG_ZNS1_13binary_searchIS3_S5_NSA_INS8_10device_ptrIiEEEESG_SG_NS1_16binary_search_opENS9_16wrapped_functionINS8_6system6detail7generic6detail18binary_search_lessEbEEEE10hipError_tPvRmT1_T2_T3_mmT4_T5_P12ihipStream_tbEUlRKiE_EEST_SX_SY_mSZ_S12_bEUlT_E_NS1_11comp_targetILNS1_3genE4ELNS1_11target_archE910ELNS1_3gpuE8ELNS1_3repE0EEENS1_30default_config_static_selectorELNS0_4arch9wavefront6targetE0EEEvSW_
                                        ; -- End function
	.set _ZN7rocprim17ROCPRIM_400000_NS6detail17trampoline_kernelINS0_14default_configENS1_29binary_search_config_selectorIiiEEZNS1_14transform_implILb0ES3_S5_N6thrust23THRUST_200600_302600_NS6detail15normal_iteratorINS8_7pointerIiNS8_11hip_rocprim5par_tENS8_11use_defaultESE_EEEESG_ZNS1_13binary_searchIS3_S5_NSA_INS8_10device_ptrIiEEEESG_SG_NS1_16binary_search_opENS9_16wrapped_functionINS8_6system6detail7generic6detail18binary_search_lessEbEEEE10hipError_tPvRmT1_T2_T3_mmT4_T5_P12ihipStream_tbEUlRKiE_EEST_SX_SY_mSZ_S12_bEUlT_E_NS1_11comp_targetILNS1_3genE4ELNS1_11target_archE910ELNS1_3gpuE8ELNS1_3repE0EEENS1_30default_config_static_selectorELNS0_4arch9wavefront6targetE0EEEvSW_.num_vgpr, 0
	.set _ZN7rocprim17ROCPRIM_400000_NS6detail17trampoline_kernelINS0_14default_configENS1_29binary_search_config_selectorIiiEEZNS1_14transform_implILb0ES3_S5_N6thrust23THRUST_200600_302600_NS6detail15normal_iteratorINS8_7pointerIiNS8_11hip_rocprim5par_tENS8_11use_defaultESE_EEEESG_ZNS1_13binary_searchIS3_S5_NSA_INS8_10device_ptrIiEEEESG_SG_NS1_16binary_search_opENS9_16wrapped_functionINS8_6system6detail7generic6detail18binary_search_lessEbEEEE10hipError_tPvRmT1_T2_T3_mmT4_T5_P12ihipStream_tbEUlRKiE_EEST_SX_SY_mSZ_S12_bEUlT_E_NS1_11comp_targetILNS1_3genE4ELNS1_11target_archE910ELNS1_3gpuE8ELNS1_3repE0EEENS1_30default_config_static_selectorELNS0_4arch9wavefront6targetE0EEEvSW_.num_agpr, 0
	.set _ZN7rocprim17ROCPRIM_400000_NS6detail17trampoline_kernelINS0_14default_configENS1_29binary_search_config_selectorIiiEEZNS1_14transform_implILb0ES3_S5_N6thrust23THRUST_200600_302600_NS6detail15normal_iteratorINS8_7pointerIiNS8_11hip_rocprim5par_tENS8_11use_defaultESE_EEEESG_ZNS1_13binary_searchIS3_S5_NSA_INS8_10device_ptrIiEEEESG_SG_NS1_16binary_search_opENS9_16wrapped_functionINS8_6system6detail7generic6detail18binary_search_lessEbEEEE10hipError_tPvRmT1_T2_T3_mmT4_T5_P12ihipStream_tbEUlRKiE_EEST_SX_SY_mSZ_S12_bEUlT_E_NS1_11comp_targetILNS1_3genE4ELNS1_11target_archE910ELNS1_3gpuE8ELNS1_3repE0EEENS1_30default_config_static_selectorELNS0_4arch9wavefront6targetE0EEEvSW_.numbered_sgpr, 0
	.set _ZN7rocprim17ROCPRIM_400000_NS6detail17trampoline_kernelINS0_14default_configENS1_29binary_search_config_selectorIiiEEZNS1_14transform_implILb0ES3_S5_N6thrust23THRUST_200600_302600_NS6detail15normal_iteratorINS8_7pointerIiNS8_11hip_rocprim5par_tENS8_11use_defaultESE_EEEESG_ZNS1_13binary_searchIS3_S5_NSA_INS8_10device_ptrIiEEEESG_SG_NS1_16binary_search_opENS9_16wrapped_functionINS8_6system6detail7generic6detail18binary_search_lessEbEEEE10hipError_tPvRmT1_T2_T3_mmT4_T5_P12ihipStream_tbEUlRKiE_EEST_SX_SY_mSZ_S12_bEUlT_E_NS1_11comp_targetILNS1_3genE4ELNS1_11target_archE910ELNS1_3gpuE8ELNS1_3repE0EEENS1_30default_config_static_selectorELNS0_4arch9wavefront6targetE0EEEvSW_.num_named_barrier, 0
	.set _ZN7rocprim17ROCPRIM_400000_NS6detail17trampoline_kernelINS0_14default_configENS1_29binary_search_config_selectorIiiEEZNS1_14transform_implILb0ES3_S5_N6thrust23THRUST_200600_302600_NS6detail15normal_iteratorINS8_7pointerIiNS8_11hip_rocprim5par_tENS8_11use_defaultESE_EEEESG_ZNS1_13binary_searchIS3_S5_NSA_INS8_10device_ptrIiEEEESG_SG_NS1_16binary_search_opENS9_16wrapped_functionINS8_6system6detail7generic6detail18binary_search_lessEbEEEE10hipError_tPvRmT1_T2_T3_mmT4_T5_P12ihipStream_tbEUlRKiE_EEST_SX_SY_mSZ_S12_bEUlT_E_NS1_11comp_targetILNS1_3genE4ELNS1_11target_archE910ELNS1_3gpuE8ELNS1_3repE0EEENS1_30default_config_static_selectorELNS0_4arch9wavefront6targetE0EEEvSW_.private_seg_size, 0
	.set _ZN7rocprim17ROCPRIM_400000_NS6detail17trampoline_kernelINS0_14default_configENS1_29binary_search_config_selectorIiiEEZNS1_14transform_implILb0ES3_S5_N6thrust23THRUST_200600_302600_NS6detail15normal_iteratorINS8_7pointerIiNS8_11hip_rocprim5par_tENS8_11use_defaultESE_EEEESG_ZNS1_13binary_searchIS3_S5_NSA_INS8_10device_ptrIiEEEESG_SG_NS1_16binary_search_opENS9_16wrapped_functionINS8_6system6detail7generic6detail18binary_search_lessEbEEEE10hipError_tPvRmT1_T2_T3_mmT4_T5_P12ihipStream_tbEUlRKiE_EEST_SX_SY_mSZ_S12_bEUlT_E_NS1_11comp_targetILNS1_3genE4ELNS1_11target_archE910ELNS1_3gpuE8ELNS1_3repE0EEENS1_30default_config_static_selectorELNS0_4arch9wavefront6targetE0EEEvSW_.uses_vcc, 0
	.set _ZN7rocprim17ROCPRIM_400000_NS6detail17trampoline_kernelINS0_14default_configENS1_29binary_search_config_selectorIiiEEZNS1_14transform_implILb0ES3_S5_N6thrust23THRUST_200600_302600_NS6detail15normal_iteratorINS8_7pointerIiNS8_11hip_rocprim5par_tENS8_11use_defaultESE_EEEESG_ZNS1_13binary_searchIS3_S5_NSA_INS8_10device_ptrIiEEEESG_SG_NS1_16binary_search_opENS9_16wrapped_functionINS8_6system6detail7generic6detail18binary_search_lessEbEEEE10hipError_tPvRmT1_T2_T3_mmT4_T5_P12ihipStream_tbEUlRKiE_EEST_SX_SY_mSZ_S12_bEUlT_E_NS1_11comp_targetILNS1_3genE4ELNS1_11target_archE910ELNS1_3gpuE8ELNS1_3repE0EEENS1_30default_config_static_selectorELNS0_4arch9wavefront6targetE0EEEvSW_.uses_flat_scratch, 0
	.set _ZN7rocprim17ROCPRIM_400000_NS6detail17trampoline_kernelINS0_14default_configENS1_29binary_search_config_selectorIiiEEZNS1_14transform_implILb0ES3_S5_N6thrust23THRUST_200600_302600_NS6detail15normal_iteratorINS8_7pointerIiNS8_11hip_rocprim5par_tENS8_11use_defaultESE_EEEESG_ZNS1_13binary_searchIS3_S5_NSA_INS8_10device_ptrIiEEEESG_SG_NS1_16binary_search_opENS9_16wrapped_functionINS8_6system6detail7generic6detail18binary_search_lessEbEEEE10hipError_tPvRmT1_T2_T3_mmT4_T5_P12ihipStream_tbEUlRKiE_EEST_SX_SY_mSZ_S12_bEUlT_E_NS1_11comp_targetILNS1_3genE4ELNS1_11target_archE910ELNS1_3gpuE8ELNS1_3repE0EEENS1_30default_config_static_selectorELNS0_4arch9wavefront6targetE0EEEvSW_.has_dyn_sized_stack, 0
	.set _ZN7rocprim17ROCPRIM_400000_NS6detail17trampoline_kernelINS0_14default_configENS1_29binary_search_config_selectorIiiEEZNS1_14transform_implILb0ES3_S5_N6thrust23THRUST_200600_302600_NS6detail15normal_iteratorINS8_7pointerIiNS8_11hip_rocprim5par_tENS8_11use_defaultESE_EEEESG_ZNS1_13binary_searchIS3_S5_NSA_INS8_10device_ptrIiEEEESG_SG_NS1_16binary_search_opENS9_16wrapped_functionINS8_6system6detail7generic6detail18binary_search_lessEbEEEE10hipError_tPvRmT1_T2_T3_mmT4_T5_P12ihipStream_tbEUlRKiE_EEST_SX_SY_mSZ_S12_bEUlT_E_NS1_11comp_targetILNS1_3genE4ELNS1_11target_archE910ELNS1_3gpuE8ELNS1_3repE0EEENS1_30default_config_static_selectorELNS0_4arch9wavefront6targetE0EEEvSW_.has_recursion, 0
	.set _ZN7rocprim17ROCPRIM_400000_NS6detail17trampoline_kernelINS0_14default_configENS1_29binary_search_config_selectorIiiEEZNS1_14transform_implILb0ES3_S5_N6thrust23THRUST_200600_302600_NS6detail15normal_iteratorINS8_7pointerIiNS8_11hip_rocprim5par_tENS8_11use_defaultESE_EEEESG_ZNS1_13binary_searchIS3_S5_NSA_INS8_10device_ptrIiEEEESG_SG_NS1_16binary_search_opENS9_16wrapped_functionINS8_6system6detail7generic6detail18binary_search_lessEbEEEE10hipError_tPvRmT1_T2_T3_mmT4_T5_P12ihipStream_tbEUlRKiE_EEST_SX_SY_mSZ_S12_bEUlT_E_NS1_11comp_targetILNS1_3genE4ELNS1_11target_archE910ELNS1_3gpuE8ELNS1_3repE0EEENS1_30default_config_static_selectorELNS0_4arch9wavefront6targetE0EEEvSW_.has_indirect_call, 0
	.section	.AMDGPU.csdata,"",@progbits
; Kernel info:
; codeLenInByte = 0
; TotalNumSgprs: 0
; NumVgprs: 0
; ScratchSize: 0
; MemoryBound: 0
; FloatMode: 240
; IeeeMode: 1
; LDSByteSize: 0 bytes/workgroup (compile time only)
; SGPRBlocks: 0
; VGPRBlocks: 0
; NumSGPRsForWavesPerEU: 1
; NumVGPRsForWavesPerEU: 1
; Occupancy: 16
; WaveLimiterHint : 0
; COMPUTE_PGM_RSRC2:SCRATCH_EN: 0
; COMPUTE_PGM_RSRC2:USER_SGPR: 6
; COMPUTE_PGM_RSRC2:TRAP_HANDLER: 0
; COMPUTE_PGM_RSRC2:TGID_X_EN: 1
; COMPUTE_PGM_RSRC2:TGID_Y_EN: 0
; COMPUTE_PGM_RSRC2:TGID_Z_EN: 0
; COMPUTE_PGM_RSRC2:TIDIG_COMP_CNT: 0
	.section	.text._ZN7rocprim17ROCPRIM_400000_NS6detail17trampoline_kernelINS0_14default_configENS1_29binary_search_config_selectorIiiEEZNS1_14transform_implILb0ES3_S5_N6thrust23THRUST_200600_302600_NS6detail15normal_iteratorINS8_7pointerIiNS8_11hip_rocprim5par_tENS8_11use_defaultESE_EEEESG_ZNS1_13binary_searchIS3_S5_NSA_INS8_10device_ptrIiEEEESG_SG_NS1_16binary_search_opENS9_16wrapped_functionINS8_6system6detail7generic6detail18binary_search_lessEbEEEE10hipError_tPvRmT1_T2_T3_mmT4_T5_P12ihipStream_tbEUlRKiE_EEST_SX_SY_mSZ_S12_bEUlT_E_NS1_11comp_targetILNS1_3genE3ELNS1_11target_archE908ELNS1_3gpuE7ELNS1_3repE0EEENS1_30default_config_static_selectorELNS0_4arch9wavefront6targetE0EEEvSW_,"axG",@progbits,_ZN7rocprim17ROCPRIM_400000_NS6detail17trampoline_kernelINS0_14default_configENS1_29binary_search_config_selectorIiiEEZNS1_14transform_implILb0ES3_S5_N6thrust23THRUST_200600_302600_NS6detail15normal_iteratorINS8_7pointerIiNS8_11hip_rocprim5par_tENS8_11use_defaultESE_EEEESG_ZNS1_13binary_searchIS3_S5_NSA_INS8_10device_ptrIiEEEESG_SG_NS1_16binary_search_opENS9_16wrapped_functionINS8_6system6detail7generic6detail18binary_search_lessEbEEEE10hipError_tPvRmT1_T2_T3_mmT4_T5_P12ihipStream_tbEUlRKiE_EEST_SX_SY_mSZ_S12_bEUlT_E_NS1_11comp_targetILNS1_3genE3ELNS1_11target_archE908ELNS1_3gpuE7ELNS1_3repE0EEENS1_30default_config_static_selectorELNS0_4arch9wavefront6targetE0EEEvSW_,comdat
	.protected	_ZN7rocprim17ROCPRIM_400000_NS6detail17trampoline_kernelINS0_14default_configENS1_29binary_search_config_selectorIiiEEZNS1_14transform_implILb0ES3_S5_N6thrust23THRUST_200600_302600_NS6detail15normal_iteratorINS8_7pointerIiNS8_11hip_rocprim5par_tENS8_11use_defaultESE_EEEESG_ZNS1_13binary_searchIS3_S5_NSA_INS8_10device_ptrIiEEEESG_SG_NS1_16binary_search_opENS9_16wrapped_functionINS8_6system6detail7generic6detail18binary_search_lessEbEEEE10hipError_tPvRmT1_T2_T3_mmT4_T5_P12ihipStream_tbEUlRKiE_EEST_SX_SY_mSZ_S12_bEUlT_E_NS1_11comp_targetILNS1_3genE3ELNS1_11target_archE908ELNS1_3gpuE7ELNS1_3repE0EEENS1_30default_config_static_selectorELNS0_4arch9wavefront6targetE0EEEvSW_ ; -- Begin function _ZN7rocprim17ROCPRIM_400000_NS6detail17trampoline_kernelINS0_14default_configENS1_29binary_search_config_selectorIiiEEZNS1_14transform_implILb0ES3_S5_N6thrust23THRUST_200600_302600_NS6detail15normal_iteratorINS8_7pointerIiNS8_11hip_rocprim5par_tENS8_11use_defaultESE_EEEESG_ZNS1_13binary_searchIS3_S5_NSA_INS8_10device_ptrIiEEEESG_SG_NS1_16binary_search_opENS9_16wrapped_functionINS8_6system6detail7generic6detail18binary_search_lessEbEEEE10hipError_tPvRmT1_T2_T3_mmT4_T5_P12ihipStream_tbEUlRKiE_EEST_SX_SY_mSZ_S12_bEUlT_E_NS1_11comp_targetILNS1_3genE3ELNS1_11target_archE908ELNS1_3gpuE7ELNS1_3repE0EEENS1_30default_config_static_selectorELNS0_4arch9wavefront6targetE0EEEvSW_
	.globl	_ZN7rocprim17ROCPRIM_400000_NS6detail17trampoline_kernelINS0_14default_configENS1_29binary_search_config_selectorIiiEEZNS1_14transform_implILb0ES3_S5_N6thrust23THRUST_200600_302600_NS6detail15normal_iteratorINS8_7pointerIiNS8_11hip_rocprim5par_tENS8_11use_defaultESE_EEEESG_ZNS1_13binary_searchIS3_S5_NSA_INS8_10device_ptrIiEEEESG_SG_NS1_16binary_search_opENS9_16wrapped_functionINS8_6system6detail7generic6detail18binary_search_lessEbEEEE10hipError_tPvRmT1_T2_T3_mmT4_T5_P12ihipStream_tbEUlRKiE_EEST_SX_SY_mSZ_S12_bEUlT_E_NS1_11comp_targetILNS1_3genE3ELNS1_11target_archE908ELNS1_3gpuE7ELNS1_3repE0EEENS1_30default_config_static_selectorELNS0_4arch9wavefront6targetE0EEEvSW_
	.p2align	8
	.type	_ZN7rocprim17ROCPRIM_400000_NS6detail17trampoline_kernelINS0_14default_configENS1_29binary_search_config_selectorIiiEEZNS1_14transform_implILb0ES3_S5_N6thrust23THRUST_200600_302600_NS6detail15normal_iteratorINS8_7pointerIiNS8_11hip_rocprim5par_tENS8_11use_defaultESE_EEEESG_ZNS1_13binary_searchIS3_S5_NSA_INS8_10device_ptrIiEEEESG_SG_NS1_16binary_search_opENS9_16wrapped_functionINS8_6system6detail7generic6detail18binary_search_lessEbEEEE10hipError_tPvRmT1_T2_T3_mmT4_T5_P12ihipStream_tbEUlRKiE_EEST_SX_SY_mSZ_S12_bEUlT_E_NS1_11comp_targetILNS1_3genE3ELNS1_11target_archE908ELNS1_3gpuE7ELNS1_3repE0EEENS1_30default_config_static_selectorELNS0_4arch9wavefront6targetE0EEEvSW_,@function
_ZN7rocprim17ROCPRIM_400000_NS6detail17trampoline_kernelINS0_14default_configENS1_29binary_search_config_selectorIiiEEZNS1_14transform_implILb0ES3_S5_N6thrust23THRUST_200600_302600_NS6detail15normal_iteratorINS8_7pointerIiNS8_11hip_rocprim5par_tENS8_11use_defaultESE_EEEESG_ZNS1_13binary_searchIS3_S5_NSA_INS8_10device_ptrIiEEEESG_SG_NS1_16binary_search_opENS9_16wrapped_functionINS8_6system6detail7generic6detail18binary_search_lessEbEEEE10hipError_tPvRmT1_T2_T3_mmT4_T5_P12ihipStream_tbEUlRKiE_EEST_SX_SY_mSZ_S12_bEUlT_E_NS1_11comp_targetILNS1_3genE3ELNS1_11target_archE908ELNS1_3gpuE7ELNS1_3repE0EEENS1_30default_config_static_selectorELNS0_4arch9wavefront6targetE0EEEvSW_: ; @_ZN7rocprim17ROCPRIM_400000_NS6detail17trampoline_kernelINS0_14default_configENS1_29binary_search_config_selectorIiiEEZNS1_14transform_implILb0ES3_S5_N6thrust23THRUST_200600_302600_NS6detail15normal_iteratorINS8_7pointerIiNS8_11hip_rocprim5par_tENS8_11use_defaultESE_EEEESG_ZNS1_13binary_searchIS3_S5_NSA_INS8_10device_ptrIiEEEESG_SG_NS1_16binary_search_opENS9_16wrapped_functionINS8_6system6detail7generic6detail18binary_search_lessEbEEEE10hipError_tPvRmT1_T2_T3_mmT4_T5_P12ihipStream_tbEUlRKiE_EEST_SX_SY_mSZ_S12_bEUlT_E_NS1_11comp_targetILNS1_3genE3ELNS1_11target_archE908ELNS1_3gpuE7ELNS1_3repE0EEENS1_30default_config_static_selectorELNS0_4arch9wavefront6targetE0EEEvSW_
; %bb.0:
	.section	.rodata,"a",@progbits
	.p2align	6, 0x0
	.amdhsa_kernel _ZN7rocprim17ROCPRIM_400000_NS6detail17trampoline_kernelINS0_14default_configENS1_29binary_search_config_selectorIiiEEZNS1_14transform_implILb0ES3_S5_N6thrust23THRUST_200600_302600_NS6detail15normal_iteratorINS8_7pointerIiNS8_11hip_rocprim5par_tENS8_11use_defaultESE_EEEESG_ZNS1_13binary_searchIS3_S5_NSA_INS8_10device_ptrIiEEEESG_SG_NS1_16binary_search_opENS9_16wrapped_functionINS8_6system6detail7generic6detail18binary_search_lessEbEEEE10hipError_tPvRmT1_T2_T3_mmT4_T5_P12ihipStream_tbEUlRKiE_EEST_SX_SY_mSZ_S12_bEUlT_E_NS1_11comp_targetILNS1_3genE3ELNS1_11target_archE908ELNS1_3gpuE7ELNS1_3repE0EEENS1_30default_config_static_selectorELNS0_4arch9wavefront6targetE0EEEvSW_
		.amdhsa_group_segment_fixed_size 0
		.amdhsa_private_segment_fixed_size 0
		.amdhsa_kernarg_size 56
		.amdhsa_user_sgpr_count 6
		.amdhsa_user_sgpr_private_segment_buffer 1
		.amdhsa_user_sgpr_dispatch_ptr 0
		.amdhsa_user_sgpr_queue_ptr 0
		.amdhsa_user_sgpr_kernarg_segment_ptr 1
		.amdhsa_user_sgpr_dispatch_id 0
		.amdhsa_user_sgpr_flat_scratch_init 0
		.amdhsa_user_sgpr_private_segment_size 0
		.amdhsa_wavefront_size32 1
		.amdhsa_uses_dynamic_stack 0
		.amdhsa_system_sgpr_private_segment_wavefront_offset 0
		.amdhsa_system_sgpr_workgroup_id_x 1
		.amdhsa_system_sgpr_workgroup_id_y 0
		.amdhsa_system_sgpr_workgroup_id_z 0
		.amdhsa_system_sgpr_workgroup_info 0
		.amdhsa_system_vgpr_workitem_id 0
		.amdhsa_next_free_vgpr 1
		.amdhsa_next_free_sgpr 1
		.amdhsa_reserve_vcc 0
		.amdhsa_reserve_flat_scratch 0
		.amdhsa_float_round_mode_32 0
		.amdhsa_float_round_mode_16_64 0
		.amdhsa_float_denorm_mode_32 3
		.amdhsa_float_denorm_mode_16_64 3
		.amdhsa_dx10_clamp 1
		.amdhsa_ieee_mode 1
		.amdhsa_fp16_overflow 0
		.amdhsa_workgroup_processor_mode 1
		.amdhsa_memory_ordered 1
		.amdhsa_forward_progress 1
		.amdhsa_shared_vgpr_count 0
		.amdhsa_exception_fp_ieee_invalid_op 0
		.amdhsa_exception_fp_denorm_src 0
		.amdhsa_exception_fp_ieee_div_zero 0
		.amdhsa_exception_fp_ieee_overflow 0
		.amdhsa_exception_fp_ieee_underflow 0
		.amdhsa_exception_fp_ieee_inexact 0
		.amdhsa_exception_int_div_zero 0
	.end_amdhsa_kernel
	.section	.text._ZN7rocprim17ROCPRIM_400000_NS6detail17trampoline_kernelINS0_14default_configENS1_29binary_search_config_selectorIiiEEZNS1_14transform_implILb0ES3_S5_N6thrust23THRUST_200600_302600_NS6detail15normal_iteratorINS8_7pointerIiNS8_11hip_rocprim5par_tENS8_11use_defaultESE_EEEESG_ZNS1_13binary_searchIS3_S5_NSA_INS8_10device_ptrIiEEEESG_SG_NS1_16binary_search_opENS9_16wrapped_functionINS8_6system6detail7generic6detail18binary_search_lessEbEEEE10hipError_tPvRmT1_T2_T3_mmT4_T5_P12ihipStream_tbEUlRKiE_EEST_SX_SY_mSZ_S12_bEUlT_E_NS1_11comp_targetILNS1_3genE3ELNS1_11target_archE908ELNS1_3gpuE7ELNS1_3repE0EEENS1_30default_config_static_selectorELNS0_4arch9wavefront6targetE0EEEvSW_,"axG",@progbits,_ZN7rocprim17ROCPRIM_400000_NS6detail17trampoline_kernelINS0_14default_configENS1_29binary_search_config_selectorIiiEEZNS1_14transform_implILb0ES3_S5_N6thrust23THRUST_200600_302600_NS6detail15normal_iteratorINS8_7pointerIiNS8_11hip_rocprim5par_tENS8_11use_defaultESE_EEEESG_ZNS1_13binary_searchIS3_S5_NSA_INS8_10device_ptrIiEEEESG_SG_NS1_16binary_search_opENS9_16wrapped_functionINS8_6system6detail7generic6detail18binary_search_lessEbEEEE10hipError_tPvRmT1_T2_T3_mmT4_T5_P12ihipStream_tbEUlRKiE_EEST_SX_SY_mSZ_S12_bEUlT_E_NS1_11comp_targetILNS1_3genE3ELNS1_11target_archE908ELNS1_3gpuE7ELNS1_3repE0EEENS1_30default_config_static_selectorELNS0_4arch9wavefront6targetE0EEEvSW_,comdat
.Lfunc_end710:
	.size	_ZN7rocprim17ROCPRIM_400000_NS6detail17trampoline_kernelINS0_14default_configENS1_29binary_search_config_selectorIiiEEZNS1_14transform_implILb0ES3_S5_N6thrust23THRUST_200600_302600_NS6detail15normal_iteratorINS8_7pointerIiNS8_11hip_rocprim5par_tENS8_11use_defaultESE_EEEESG_ZNS1_13binary_searchIS3_S5_NSA_INS8_10device_ptrIiEEEESG_SG_NS1_16binary_search_opENS9_16wrapped_functionINS8_6system6detail7generic6detail18binary_search_lessEbEEEE10hipError_tPvRmT1_T2_T3_mmT4_T5_P12ihipStream_tbEUlRKiE_EEST_SX_SY_mSZ_S12_bEUlT_E_NS1_11comp_targetILNS1_3genE3ELNS1_11target_archE908ELNS1_3gpuE7ELNS1_3repE0EEENS1_30default_config_static_selectorELNS0_4arch9wavefront6targetE0EEEvSW_, .Lfunc_end710-_ZN7rocprim17ROCPRIM_400000_NS6detail17trampoline_kernelINS0_14default_configENS1_29binary_search_config_selectorIiiEEZNS1_14transform_implILb0ES3_S5_N6thrust23THRUST_200600_302600_NS6detail15normal_iteratorINS8_7pointerIiNS8_11hip_rocprim5par_tENS8_11use_defaultESE_EEEESG_ZNS1_13binary_searchIS3_S5_NSA_INS8_10device_ptrIiEEEESG_SG_NS1_16binary_search_opENS9_16wrapped_functionINS8_6system6detail7generic6detail18binary_search_lessEbEEEE10hipError_tPvRmT1_T2_T3_mmT4_T5_P12ihipStream_tbEUlRKiE_EEST_SX_SY_mSZ_S12_bEUlT_E_NS1_11comp_targetILNS1_3genE3ELNS1_11target_archE908ELNS1_3gpuE7ELNS1_3repE0EEENS1_30default_config_static_selectorELNS0_4arch9wavefront6targetE0EEEvSW_
                                        ; -- End function
	.set _ZN7rocprim17ROCPRIM_400000_NS6detail17trampoline_kernelINS0_14default_configENS1_29binary_search_config_selectorIiiEEZNS1_14transform_implILb0ES3_S5_N6thrust23THRUST_200600_302600_NS6detail15normal_iteratorINS8_7pointerIiNS8_11hip_rocprim5par_tENS8_11use_defaultESE_EEEESG_ZNS1_13binary_searchIS3_S5_NSA_INS8_10device_ptrIiEEEESG_SG_NS1_16binary_search_opENS9_16wrapped_functionINS8_6system6detail7generic6detail18binary_search_lessEbEEEE10hipError_tPvRmT1_T2_T3_mmT4_T5_P12ihipStream_tbEUlRKiE_EEST_SX_SY_mSZ_S12_bEUlT_E_NS1_11comp_targetILNS1_3genE3ELNS1_11target_archE908ELNS1_3gpuE7ELNS1_3repE0EEENS1_30default_config_static_selectorELNS0_4arch9wavefront6targetE0EEEvSW_.num_vgpr, 0
	.set _ZN7rocprim17ROCPRIM_400000_NS6detail17trampoline_kernelINS0_14default_configENS1_29binary_search_config_selectorIiiEEZNS1_14transform_implILb0ES3_S5_N6thrust23THRUST_200600_302600_NS6detail15normal_iteratorINS8_7pointerIiNS8_11hip_rocprim5par_tENS8_11use_defaultESE_EEEESG_ZNS1_13binary_searchIS3_S5_NSA_INS8_10device_ptrIiEEEESG_SG_NS1_16binary_search_opENS9_16wrapped_functionINS8_6system6detail7generic6detail18binary_search_lessEbEEEE10hipError_tPvRmT1_T2_T3_mmT4_T5_P12ihipStream_tbEUlRKiE_EEST_SX_SY_mSZ_S12_bEUlT_E_NS1_11comp_targetILNS1_3genE3ELNS1_11target_archE908ELNS1_3gpuE7ELNS1_3repE0EEENS1_30default_config_static_selectorELNS0_4arch9wavefront6targetE0EEEvSW_.num_agpr, 0
	.set _ZN7rocprim17ROCPRIM_400000_NS6detail17trampoline_kernelINS0_14default_configENS1_29binary_search_config_selectorIiiEEZNS1_14transform_implILb0ES3_S5_N6thrust23THRUST_200600_302600_NS6detail15normal_iteratorINS8_7pointerIiNS8_11hip_rocprim5par_tENS8_11use_defaultESE_EEEESG_ZNS1_13binary_searchIS3_S5_NSA_INS8_10device_ptrIiEEEESG_SG_NS1_16binary_search_opENS9_16wrapped_functionINS8_6system6detail7generic6detail18binary_search_lessEbEEEE10hipError_tPvRmT1_T2_T3_mmT4_T5_P12ihipStream_tbEUlRKiE_EEST_SX_SY_mSZ_S12_bEUlT_E_NS1_11comp_targetILNS1_3genE3ELNS1_11target_archE908ELNS1_3gpuE7ELNS1_3repE0EEENS1_30default_config_static_selectorELNS0_4arch9wavefront6targetE0EEEvSW_.numbered_sgpr, 0
	.set _ZN7rocprim17ROCPRIM_400000_NS6detail17trampoline_kernelINS0_14default_configENS1_29binary_search_config_selectorIiiEEZNS1_14transform_implILb0ES3_S5_N6thrust23THRUST_200600_302600_NS6detail15normal_iteratorINS8_7pointerIiNS8_11hip_rocprim5par_tENS8_11use_defaultESE_EEEESG_ZNS1_13binary_searchIS3_S5_NSA_INS8_10device_ptrIiEEEESG_SG_NS1_16binary_search_opENS9_16wrapped_functionINS8_6system6detail7generic6detail18binary_search_lessEbEEEE10hipError_tPvRmT1_T2_T3_mmT4_T5_P12ihipStream_tbEUlRKiE_EEST_SX_SY_mSZ_S12_bEUlT_E_NS1_11comp_targetILNS1_3genE3ELNS1_11target_archE908ELNS1_3gpuE7ELNS1_3repE0EEENS1_30default_config_static_selectorELNS0_4arch9wavefront6targetE0EEEvSW_.num_named_barrier, 0
	.set _ZN7rocprim17ROCPRIM_400000_NS6detail17trampoline_kernelINS0_14default_configENS1_29binary_search_config_selectorIiiEEZNS1_14transform_implILb0ES3_S5_N6thrust23THRUST_200600_302600_NS6detail15normal_iteratorINS8_7pointerIiNS8_11hip_rocprim5par_tENS8_11use_defaultESE_EEEESG_ZNS1_13binary_searchIS3_S5_NSA_INS8_10device_ptrIiEEEESG_SG_NS1_16binary_search_opENS9_16wrapped_functionINS8_6system6detail7generic6detail18binary_search_lessEbEEEE10hipError_tPvRmT1_T2_T3_mmT4_T5_P12ihipStream_tbEUlRKiE_EEST_SX_SY_mSZ_S12_bEUlT_E_NS1_11comp_targetILNS1_3genE3ELNS1_11target_archE908ELNS1_3gpuE7ELNS1_3repE0EEENS1_30default_config_static_selectorELNS0_4arch9wavefront6targetE0EEEvSW_.private_seg_size, 0
	.set _ZN7rocprim17ROCPRIM_400000_NS6detail17trampoline_kernelINS0_14default_configENS1_29binary_search_config_selectorIiiEEZNS1_14transform_implILb0ES3_S5_N6thrust23THRUST_200600_302600_NS6detail15normal_iteratorINS8_7pointerIiNS8_11hip_rocprim5par_tENS8_11use_defaultESE_EEEESG_ZNS1_13binary_searchIS3_S5_NSA_INS8_10device_ptrIiEEEESG_SG_NS1_16binary_search_opENS9_16wrapped_functionINS8_6system6detail7generic6detail18binary_search_lessEbEEEE10hipError_tPvRmT1_T2_T3_mmT4_T5_P12ihipStream_tbEUlRKiE_EEST_SX_SY_mSZ_S12_bEUlT_E_NS1_11comp_targetILNS1_3genE3ELNS1_11target_archE908ELNS1_3gpuE7ELNS1_3repE0EEENS1_30default_config_static_selectorELNS0_4arch9wavefront6targetE0EEEvSW_.uses_vcc, 0
	.set _ZN7rocprim17ROCPRIM_400000_NS6detail17trampoline_kernelINS0_14default_configENS1_29binary_search_config_selectorIiiEEZNS1_14transform_implILb0ES3_S5_N6thrust23THRUST_200600_302600_NS6detail15normal_iteratorINS8_7pointerIiNS8_11hip_rocprim5par_tENS8_11use_defaultESE_EEEESG_ZNS1_13binary_searchIS3_S5_NSA_INS8_10device_ptrIiEEEESG_SG_NS1_16binary_search_opENS9_16wrapped_functionINS8_6system6detail7generic6detail18binary_search_lessEbEEEE10hipError_tPvRmT1_T2_T3_mmT4_T5_P12ihipStream_tbEUlRKiE_EEST_SX_SY_mSZ_S12_bEUlT_E_NS1_11comp_targetILNS1_3genE3ELNS1_11target_archE908ELNS1_3gpuE7ELNS1_3repE0EEENS1_30default_config_static_selectorELNS0_4arch9wavefront6targetE0EEEvSW_.uses_flat_scratch, 0
	.set _ZN7rocprim17ROCPRIM_400000_NS6detail17trampoline_kernelINS0_14default_configENS1_29binary_search_config_selectorIiiEEZNS1_14transform_implILb0ES3_S5_N6thrust23THRUST_200600_302600_NS6detail15normal_iteratorINS8_7pointerIiNS8_11hip_rocprim5par_tENS8_11use_defaultESE_EEEESG_ZNS1_13binary_searchIS3_S5_NSA_INS8_10device_ptrIiEEEESG_SG_NS1_16binary_search_opENS9_16wrapped_functionINS8_6system6detail7generic6detail18binary_search_lessEbEEEE10hipError_tPvRmT1_T2_T3_mmT4_T5_P12ihipStream_tbEUlRKiE_EEST_SX_SY_mSZ_S12_bEUlT_E_NS1_11comp_targetILNS1_3genE3ELNS1_11target_archE908ELNS1_3gpuE7ELNS1_3repE0EEENS1_30default_config_static_selectorELNS0_4arch9wavefront6targetE0EEEvSW_.has_dyn_sized_stack, 0
	.set _ZN7rocprim17ROCPRIM_400000_NS6detail17trampoline_kernelINS0_14default_configENS1_29binary_search_config_selectorIiiEEZNS1_14transform_implILb0ES3_S5_N6thrust23THRUST_200600_302600_NS6detail15normal_iteratorINS8_7pointerIiNS8_11hip_rocprim5par_tENS8_11use_defaultESE_EEEESG_ZNS1_13binary_searchIS3_S5_NSA_INS8_10device_ptrIiEEEESG_SG_NS1_16binary_search_opENS9_16wrapped_functionINS8_6system6detail7generic6detail18binary_search_lessEbEEEE10hipError_tPvRmT1_T2_T3_mmT4_T5_P12ihipStream_tbEUlRKiE_EEST_SX_SY_mSZ_S12_bEUlT_E_NS1_11comp_targetILNS1_3genE3ELNS1_11target_archE908ELNS1_3gpuE7ELNS1_3repE0EEENS1_30default_config_static_selectorELNS0_4arch9wavefront6targetE0EEEvSW_.has_recursion, 0
	.set _ZN7rocprim17ROCPRIM_400000_NS6detail17trampoline_kernelINS0_14default_configENS1_29binary_search_config_selectorIiiEEZNS1_14transform_implILb0ES3_S5_N6thrust23THRUST_200600_302600_NS6detail15normal_iteratorINS8_7pointerIiNS8_11hip_rocprim5par_tENS8_11use_defaultESE_EEEESG_ZNS1_13binary_searchIS3_S5_NSA_INS8_10device_ptrIiEEEESG_SG_NS1_16binary_search_opENS9_16wrapped_functionINS8_6system6detail7generic6detail18binary_search_lessEbEEEE10hipError_tPvRmT1_T2_T3_mmT4_T5_P12ihipStream_tbEUlRKiE_EEST_SX_SY_mSZ_S12_bEUlT_E_NS1_11comp_targetILNS1_3genE3ELNS1_11target_archE908ELNS1_3gpuE7ELNS1_3repE0EEENS1_30default_config_static_selectorELNS0_4arch9wavefront6targetE0EEEvSW_.has_indirect_call, 0
	.section	.AMDGPU.csdata,"",@progbits
; Kernel info:
; codeLenInByte = 0
; TotalNumSgprs: 0
; NumVgprs: 0
; ScratchSize: 0
; MemoryBound: 0
; FloatMode: 240
; IeeeMode: 1
; LDSByteSize: 0 bytes/workgroup (compile time only)
; SGPRBlocks: 0
; VGPRBlocks: 0
; NumSGPRsForWavesPerEU: 1
; NumVGPRsForWavesPerEU: 1
; Occupancy: 16
; WaveLimiterHint : 0
; COMPUTE_PGM_RSRC2:SCRATCH_EN: 0
; COMPUTE_PGM_RSRC2:USER_SGPR: 6
; COMPUTE_PGM_RSRC2:TRAP_HANDLER: 0
; COMPUTE_PGM_RSRC2:TGID_X_EN: 1
; COMPUTE_PGM_RSRC2:TGID_Y_EN: 0
; COMPUTE_PGM_RSRC2:TGID_Z_EN: 0
; COMPUTE_PGM_RSRC2:TIDIG_COMP_CNT: 0
	.section	.text._ZN7rocprim17ROCPRIM_400000_NS6detail17trampoline_kernelINS0_14default_configENS1_29binary_search_config_selectorIiiEEZNS1_14transform_implILb0ES3_S5_N6thrust23THRUST_200600_302600_NS6detail15normal_iteratorINS8_7pointerIiNS8_11hip_rocprim5par_tENS8_11use_defaultESE_EEEESG_ZNS1_13binary_searchIS3_S5_NSA_INS8_10device_ptrIiEEEESG_SG_NS1_16binary_search_opENS9_16wrapped_functionINS8_6system6detail7generic6detail18binary_search_lessEbEEEE10hipError_tPvRmT1_T2_T3_mmT4_T5_P12ihipStream_tbEUlRKiE_EEST_SX_SY_mSZ_S12_bEUlT_E_NS1_11comp_targetILNS1_3genE2ELNS1_11target_archE906ELNS1_3gpuE6ELNS1_3repE0EEENS1_30default_config_static_selectorELNS0_4arch9wavefront6targetE0EEEvSW_,"axG",@progbits,_ZN7rocprim17ROCPRIM_400000_NS6detail17trampoline_kernelINS0_14default_configENS1_29binary_search_config_selectorIiiEEZNS1_14transform_implILb0ES3_S5_N6thrust23THRUST_200600_302600_NS6detail15normal_iteratorINS8_7pointerIiNS8_11hip_rocprim5par_tENS8_11use_defaultESE_EEEESG_ZNS1_13binary_searchIS3_S5_NSA_INS8_10device_ptrIiEEEESG_SG_NS1_16binary_search_opENS9_16wrapped_functionINS8_6system6detail7generic6detail18binary_search_lessEbEEEE10hipError_tPvRmT1_T2_T3_mmT4_T5_P12ihipStream_tbEUlRKiE_EEST_SX_SY_mSZ_S12_bEUlT_E_NS1_11comp_targetILNS1_3genE2ELNS1_11target_archE906ELNS1_3gpuE6ELNS1_3repE0EEENS1_30default_config_static_selectorELNS0_4arch9wavefront6targetE0EEEvSW_,comdat
	.protected	_ZN7rocprim17ROCPRIM_400000_NS6detail17trampoline_kernelINS0_14default_configENS1_29binary_search_config_selectorIiiEEZNS1_14transform_implILb0ES3_S5_N6thrust23THRUST_200600_302600_NS6detail15normal_iteratorINS8_7pointerIiNS8_11hip_rocprim5par_tENS8_11use_defaultESE_EEEESG_ZNS1_13binary_searchIS3_S5_NSA_INS8_10device_ptrIiEEEESG_SG_NS1_16binary_search_opENS9_16wrapped_functionINS8_6system6detail7generic6detail18binary_search_lessEbEEEE10hipError_tPvRmT1_T2_T3_mmT4_T5_P12ihipStream_tbEUlRKiE_EEST_SX_SY_mSZ_S12_bEUlT_E_NS1_11comp_targetILNS1_3genE2ELNS1_11target_archE906ELNS1_3gpuE6ELNS1_3repE0EEENS1_30default_config_static_selectorELNS0_4arch9wavefront6targetE0EEEvSW_ ; -- Begin function _ZN7rocprim17ROCPRIM_400000_NS6detail17trampoline_kernelINS0_14default_configENS1_29binary_search_config_selectorIiiEEZNS1_14transform_implILb0ES3_S5_N6thrust23THRUST_200600_302600_NS6detail15normal_iteratorINS8_7pointerIiNS8_11hip_rocprim5par_tENS8_11use_defaultESE_EEEESG_ZNS1_13binary_searchIS3_S5_NSA_INS8_10device_ptrIiEEEESG_SG_NS1_16binary_search_opENS9_16wrapped_functionINS8_6system6detail7generic6detail18binary_search_lessEbEEEE10hipError_tPvRmT1_T2_T3_mmT4_T5_P12ihipStream_tbEUlRKiE_EEST_SX_SY_mSZ_S12_bEUlT_E_NS1_11comp_targetILNS1_3genE2ELNS1_11target_archE906ELNS1_3gpuE6ELNS1_3repE0EEENS1_30default_config_static_selectorELNS0_4arch9wavefront6targetE0EEEvSW_
	.globl	_ZN7rocprim17ROCPRIM_400000_NS6detail17trampoline_kernelINS0_14default_configENS1_29binary_search_config_selectorIiiEEZNS1_14transform_implILb0ES3_S5_N6thrust23THRUST_200600_302600_NS6detail15normal_iteratorINS8_7pointerIiNS8_11hip_rocprim5par_tENS8_11use_defaultESE_EEEESG_ZNS1_13binary_searchIS3_S5_NSA_INS8_10device_ptrIiEEEESG_SG_NS1_16binary_search_opENS9_16wrapped_functionINS8_6system6detail7generic6detail18binary_search_lessEbEEEE10hipError_tPvRmT1_T2_T3_mmT4_T5_P12ihipStream_tbEUlRKiE_EEST_SX_SY_mSZ_S12_bEUlT_E_NS1_11comp_targetILNS1_3genE2ELNS1_11target_archE906ELNS1_3gpuE6ELNS1_3repE0EEENS1_30default_config_static_selectorELNS0_4arch9wavefront6targetE0EEEvSW_
	.p2align	8
	.type	_ZN7rocprim17ROCPRIM_400000_NS6detail17trampoline_kernelINS0_14default_configENS1_29binary_search_config_selectorIiiEEZNS1_14transform_implILb0ES3_S5_N6thrust23THRUST_200600_302600_NS6detail15normal_iteratorINS8_7pointerIiNS8_11hip_rocprim5par_tENS8_11use_defaultESE_EEEESG_ZNS1_13binary_searchIS3_S5_NSA_INS8_10device_ptrIiEEEESG_SG_NS1_16binary_search_opENS9_16wrapped_functionINS8_6system6detail7generic6detail18binary_search_lessEbEEEE10hipError_tPvRmT1_T2_T3_mmT4_T5_P12ihipStream_tbEUlRKiE_EEST_SX_SY_mSZ_S12_bEUlT_E_NS1_11comp_targetILNS1_3genE2ELNS1_11target_archE906ELNS1_3gpuE6ELNS1_3repE0EEENS1_30default_config_static_selectorELNS0_4arch9wavefront6targetE0EEEvSW_,@function
_ZN7rocprim17ROCPRIM_400000_NS6detail17trampoline_kernelINS0_14default_configENS1_29binary_search_config_selectorIiiEEZNS1_14transform_implILb0ES3_S5_N6thrust23THRUST_200600_302600_NS6detail15normal_iteratorINS8_7pointerIiNS8_11hip_rocprim5par_tENS8_11use_defaultESE_EEEESG_ZNS1_13binary_searchIS3_S5_NSA_INS8_10device_ptrIiEEEESG_SG_NS1_16binary_search_opENS9_16wrapped_functionINS8_6system6detail7generic6detail18binary_search_lessEbEEEE10hipError_tPvRmT1_T2_T3_mmT4_T5_P12ihipStream_tbEUlRKiE_EEST_SX_SY_mSZ_S12_bEUlT_E_NS1_11comp_targetILNS1_3genE2ELNS1_11target_archE906ELNS1_3gpuE6ELNS1_3repE0EEENS1_30default_config_static_selectorELNS0_4arch9wavefront6targetE0EEEvSW_: ; @_ZN7rocprim17ROCPRIM_400000_NS6detail17trampoline_kernelINS0_14default_configENS1_29binary_search_config_selectorIiiEEZNS1_14transform_implILb0ES3_S5_N6thrust23THRUST_200600_302600_NS6detail15normal_iteratorINS8_7pointerIiNS8_11hip_rocprim5par_tENS8_11use_defaultESE_EEEESG_ZNS1_13binary_searchIS3_S5_NSA_INS8_10device_ptrIiEEEESG_SG_NS1_16binary_search_opENS9_16wrapped_functionINS8_6system6detail7generic6detail18binary_search_lessEbEEEE10hipError_tPvRmT1_T2_T3_mmT4_T5_P12ihipStream_tbEUlRKiE_EEST_SX_SY_mSZ_S12_bEUlT_E_NS1_11comp_targetILNS1_3genE2ELNS1_11target_archE906ELNS1_3gpuE6ELNS1_3repE0EEENS1_30default_config_static_selectorELNS0_4arch9wavefront6targetE0EEEvSW_
; %bb.0:
	.section	.rodata,"a",@progbits
	.p2align	6, 0x0
	.amdhsa_kernel _ZN7rocprim17ROCPRIM_400000_NS6detail17trampoline_kernelINS0_14default_configENS1_29binary_search_config_selectorIiiEEZNS1_14transform_implILb0ES3_S5_N6thrust23THRUST_200600_302600_NS6detail15normal_iteratorINS8_7pointerIiNS8_11hip_rocprim5par_tENS8_11use_defaultESE_EEEESG_ZNS1_13binary_searchIS3_S5_NSA_INS8_10device_ptrIiEEEESG_SG_NS1_16binary_search_opENS9_16wrapped_functionINS8_6system6detail7generic6detail18binary_search_lessEbEEEE10hipError_tPvRmT1_T2_T3_mmT4_T5_P12ihipStream_tbEUlRKiE_EEST_SX_SY_mSZ_S12_bEUlT_E_NS1_11comp_targetILNS1_3genE2ELNS1_11target_archE906ELNS1_3gpuE6ELNS1_3repE0EEENS1_30default_config_static_selectorELNS0_4arch9wavefront6targetE0EEEvSW_
		.amdhsa_group_segment_fixed_size 0
		.amdhsa_private_segment_fixed_size 0
		.amdhsa_kernarg_size 56
		.amdhsa_user_sgpr_count 6
		.amdhsa_user_sgpr_private_segment_buffer 1
		.amdhsa_user_sgpr_dispatch_ptr 0
		.amdhsa_user_sgpr_queue_ptr 0
		.amdhsa_user_sgpr_kernarg_segment_ptr 1
		.amdhsa_user_sgpr_dispatch_id 0
		.amdhsa_user_sgpr_flat_scratch_init 0
		.amdhsa_user_sgpr_private_segment_size 0
		.amdhsa_wavefront_size32 1
		.amdhsa_uses_dynamic_stack 0
		.amdhsa_system_sgpr_private_segment_wavefront_offset 0
		.amdhsa_system_sgpr_workgroup_id_x 1
		.amdhsa_system_sgpr_workgroup_id_y 0
		.amdhsa_system_sgpr_workgroup_id_z 0
		.amdhsa_system_sgpr_workgroup_info 0
		.amdhsa_system_vgpr_workitem_id 0
		.amdhsa_next_free_vgpr 1
		.amdhsa_next_free_sgpr 1
		.amdhsa_reserve_vcc 0
		.amdhsa_reserve_flat_scratch 0
		.amdhsa_float_round_mode_32 0
		.amdhsa_float_round_mode_16_64 0
		.amdhsa_float_denorm_mode_32 3
		.amdhsa_float_denorm_mode_16_64 3
		.amdhsa_dx10_clamp 1
		.amdhsa_ieee_mode 1
		.amdhsa_fp16_overflow 0
		.amdhsa_workgroup_processor_mode 1
		.amdhsa_memory_ordered 1
		.amdhsa_forward_progress 1
		.amdhsa_shared_vgpr_count 0
		.amdhsa_exception_fp_ieee_invalid_op 0
		.amdhsa_exception_fp_denorm_src 0
		.amdhsa_exception_fp_ieee_div_zero 0
		.amdhsa_exception_fp_ieee_overflow 0
		.amdhsa_exception_fp_ieee_underflow 0
		.amdhsa_exception_fp_ieee_inexact 0
		.amdhsa_exception_int_div_zero 0
	.end_amdhsa_kernel
	.section	.text._ZN7rocprim17ROCPRIM_400000_NS6detail17trampoline_kernelINS0_14default_configENS1_29binary_search_config_selectorIiiEEZNS1_14transform_implILb0ES3_S5_N6thrust23THRUST_200600_302600_NS6detail15normal_iteratorINS8_7pointerIiNS8_11hip_rocprim5par_tENS8_11use_defaultESE_EEEESG_ZNS1_13binary_searchIS3_S5_NSA_INS8_10device_ptrIiEEEESG_SG_NS1_16binary_search_opENS9_16wrapped_functionINS8_6system6detail7generic6detail18binary_search_lessEbEEEE10hipError_tPvRmT1_T2_T3_mmT4_T5_P12ihipStream_tbEUlRKiE_EEST_SX_SY_mSZ_S12_bEUlT_E_NS1_11comp_targetILNS1_3genE2ELNS1_11target_archE906ELNS1_3gpuE6ELNS1_3repE0EEENS1_30default_config_static_selectorELNS0_4arch9wavefront6targetE0EEEvSW_,"axG",@progbits,_ZN7rocprim17ROCPRIM_400000_NS6detail17trampoline_kernelINS0_14default_configENS1_29binary_search_config_selectorIiiEEZNS1_14transform_implILb0ES3_S5_N6thrust23THRUST_200600_302600_NS6detail15normal_iteratorINS8_7pointerIiNS8_11hip_rocprim5par_tENS8_11use_defaultESE_EEEESG_ZNS1_13binary_searchIS3_S5_NSA_INS8_10device_ptrIiEEEESG_SG_NS1_16binary_search_opENS9_16wrapped_functionINS8_6system6detail7generic6detail18binary_search_lessEbEEEE10hipError_tPvRmT1_T2_T3_mmT4_T5_P12ihipStream_tbEUlRKiE_EEST_SX_SY_mSZ_S12_bEUlT_E_NS1_11comp_targetILNS1_3genE2ELNS1_11target_archE906ELNS1_3gpuE6ELNS1_3repE0EEENS1_30default_config_static_selectorELNS0_4arch9wavefront6targetE0EEEvSW_,comdat
.Lfunc_end711:
	.size	_ZN7rocprim17ROCPRIM_400000_NS6detail17trampoline_kernelINS0_14default_configENS1_29binary_search_config_selectorIiiEEZNS1_14transform_implILb0ES3_S5_N6thrust23THRUST_200600_302600_NS6detail15normal_iteratorINS8_7pointerIiNS8_11hip_rocprim5par_tENS8_11use_defaultESE_EEEESG_ZNS1_13binary_searchIS3_S5_NSA_INS8_10device_ptrIiEEEESG_SG_NS1_16binary_search_opENS9_16wrapped_functionINS8_6system6detail7generic6detail18binary_search_lessEbEEEE10hipError_tPvRmT1_T2_T3_mmT4_T5_P12ihipStream_tbEUlRKiE_EEST_SX_SY_mSZ_S12_bEUlT_E_NS1_11comp_targetILNS1_3genE2ELNS1_11target_archE906ELNS1_3gpuE6ELNS1_3repE0EEENS1_30default_config_static_selectorELNS0_4arch9wavefront6targetE0EEEvSW_, .Lfunc_end711-_ZN7rocprim17ROCPRIM_400000_NS6detail17trampoline_kernelINS0_14default_configENS1_29binary_search_config_selectorIiiEEZNS1_14transform_implILb0ES3_S5_N6thrust23THRUST_200600_302600_NS6detail15normal_iteratorINS8_7pointerIiNS8_11hip_rocprim5par_tENS8_11use_defaultESE_EEEESG_ZNS1_13binary_searchIS3_S5_NSA_INS8_10device_ptrIiEEEESG_SG_NS1_16binary_search_opENS9_16wrapped_functionINS8_6system6detail7generic6detail18binary_search_lessEbEEEE10hipError_tPvRmT1_T2_T3_mmT4_T5_P12ihipStream_tbEUlRKiE_EEST_SX_SY_mSZ_S12_bEUlT_E_NS1_11comp_targetILNS1_3genE2ELNS1_11target_archE906ELNS1_3gpuE6ELNS1_3repE0EEENS1_30default_config_static_selectorELNS0_4arch9wavefront6targetE0EEEvSW_
                                        ; -- End function
	.set _ZN7rocprim17ROCPRIM_400000_NS6detail17trampoline_kernelINS0_14default_configENS1_29binary_search_config_selectorIiiEEZNS1_14transform_implILb0ES3_S5_N6thrust23THRUST_200600_302600_NS6detail15normal_iteratorINS8_7pointerIiNS8_11hip_rocprim5par_tENS8_11use_defaultESE_EEEESG_ZNS1_13binary_searchIS3_S5_NSA_INS8_10device_ptrIiEEEESG_SG_NS1_16binary_search_opENS9_16wrapped_functionINS8_6system6detail7generic6detail18binary_search_lessEbEEEE10hipError_tPvRmT1_T2_T3_mmT4_T5_P12ihipStream_tbEUlRKiE_EEST_SX_SY_mSZ_S12_bEUlT_E_NS1_11comp_targetILNS1_3genE2ELNS1_11target_archE906ELNS1_3gpuE6ELNS1_3repE0EEENS1_30default_config_static_selectorELNS0_4arch9wavefront6targetE0EEEvSW_.num_vgpr, 0
	.set _ZN7rocprim17ROCPRIM_400000_NS6detail17trampoline_kernelINS0_14default_configENS1_29binary_search_config_selectorIiiEEZNS1_14transform_implILb0ES3_S5_N6thrust23THRUST_200600_302600_NS6detail15normal_iteratorINS8_7pointerIiNS8_11hip_rocprim5par_tENS8_11use_defaultESE_EEEESG_ZNS1_13binary_searchIS3_S5_NSA_INS8_10device_ptrIiEEEESG_SG_NS1_16binary_search_opENS9_16wrapped_functionINS8_6system6detail7generic6detail18binary_search_lessEbEEEE10hipError_tPvRmT1_T2_T3_mmT4_T5_P12ihipStream_tbEUlRKiE_EEST_SX_SY_mSZ_S12_bEUlT_E_NS1_11comp_targetILNS1_3genE2ELNS1_11target_archE906ELNS1_3gpuE6ELNS1_3repE0EEENS1_30default_config_static_selectorELNS0_4arch9wavefront6targetE0EEEvSW_.num_agpr, 0
	.set _ZN7rocprim17ROCPRIM_400000_NS6detail17trampoline_kernelINS0_14default_configENS1_29binary_search_config_selectorIiiEEZNS1_14transform_implILb0ES3_S5_N6thrust23THRUST_200600_302600_NS6detail15normal_iteratorINS8_7pointerIiNS8_11hip_rocprim5par_tENS8_11use_defaultESE_EEEESG_ZNS1_13binary_searchIS3_S5_NSA_INS8_10device_ptrIiEEEESG_SG_NS1_16binary_search_opENS9_16wrapped_functionINS8_6system6detail7generic6detail18binary_search_lessEbEEEE10hipError_tPvRmT1_T2_T3_mmT4_T5_P12ihipStream_tbEUlRKiE_EEST_SX_SY_mSZ_S12_bEUlT_E_NS1_11comp_targetILNS1_3genE2ELNS1_11target_archE906ELNS1_3gpuE6ELNS1_3repE0EEENS1_30default_config_static_selectorELNS0_4arch9wavefront6targetE0EEEvSW_.numbered_sgpr, 0
	.set _ZN7rocprim17ROCPRIM_400000_NS6detail17trampoline_kernelINS0_14default_configENS1_29binary_search_config_selectorIiiEEZNS1_14transform_implILb0ES3_S5_N6thrust23THRUST_200600_302600_NS6detail15normal_iteratorINS8_7pointerIiNS8_11hip_rocprim5par_tENS8_11use_defaultESE_EEEESG_ZNS1_13binary_searchIS3_S5_NSA_INS8_10device_ptrIiEEEESG_SG_NS1_16binary_search_opENS9_16wrapped_functionINS8_6system6detail7generic6detail18binary_search_lessEbEEEE10hipError_tPvRmT1_T2_T3_mmT4_T5_P12ihipStream_tbEUlRKiE_EEST_SX_SY_mSZ_S12_bEUlT_E_NS1_11comp_targetILNS1_3genE2ELNS1_11target_archE906ELNS1_3gpuE6ELNS1_3repE0EEENS1_30default_config_static_selectorELNS0_4arch9wavefront6targetE0EEEvSW_.num_named_barrier, 0
	.set _ZN7rocprim17ROCPRIM_400000_NS6detail17trampoline_kernelINS0_14default_configENS1_29binary_search_config_selectorIiiEEZNS1_14transform_implILb0ES3_S5_N6thrust23THRUST_200600_302600_NS6detail15normal_iteratorINS8_7pointerIiNS8_11hip_rocprim5par_tENS8_11use_defaultESE_EEEESG_ZNS1_13binary_searchIS3_S5_NSA_INS8_10device_ptrIiEEEESG_SG_NS1_16binary_search_opENS9_16wrapped_functionINS8_6system6detail7generic6detail18binary_search_lessEbEEEE10hipError_tPvRmT1_T2_T3_mmT4_T5_P12ihipStream_tbEUlRKiE_EEST_SX_SY_mSZ_S12_bEUlT_E_NS1_11comp_targetILNS1_3genE2ELNS1_11target_archE906ELNS1_3gpuE6ELNS1_3repE0EEENS1_30default_config_static_selectorELNS0_4arch9wavefront6targetE0EEEvSW_.private_seg_size, 0
	.set _ZN7rocprim17ROCPRIM_400000_NS6detail17trampoline_kernelINS0_14default_configENS1_29binary_search_config_selectorIiiEEZNS1_14transform_implILb0ES3_S5_N6thrust23THRUST_200600_302600_NS6detail15normal_iteratorINS8_7pointerIiNS8_11hip_rocprim5par_tENS8_11use_defaultESE_EEEESG_ZNS1_13binary_searchIS3_S5_NSA_INS8_10device_ptrIiEEEESG_SG_NS1_16binary_search_opENS9_16wrapped_functionINS8_6system6detail7generic6detail18binary_search_lessEbEEEE10hipError_tPvRmT1_T2_T3_mmT4_T5_P12ihipStream_tbEUlRKiE_EEST_SX_SY_mSZ_S12_bEUlT_E_NS1_11comp_targetILNS1_3genE2ELNS1_11target_archE906ELNS1_3gpuE6ELNS1_3repE0EEENS1_30default_config_static_selectorELNS0_4arch9wavefront6targetE0EEEvSW_.uses_vcc, 0
	.set _ZN7rocprim17ROCPRIM_400000_NS6detail17trampoline_kernelINS0_14default_configENS1_29binary_search_config_selectorIiiEEZNS1_14transform_implILb0ES3_S5_N6thrust23THRUST_200600_302600_NS6detail15normal_iteratorINS8_7pointerIiNS8_11hip_rocprim5par_tENS8_11use_defaultESE_EEEESG_ZNS1_13binary_searchIS3_S5_NSA_INS8_10device_ptrIiEEEESG_SG_NS1_16binary_search_opENS9_16wrapped_functionINS8_6system6detail7generic6detail18binary_search_lessEbEEEE10hipError_tPvRmT1_T2_T3_mmT4_T5_P12ihipStream_tbEUlRKiE_EEST_SX_SY_mSZ_S12_bEUlT_E_NS1_11comp_targetILNS1_3genE2ELNS1_11target_archE906ELNS1_3gpuE6ELNS1_3repE0EEENS1_30default_config_static_selectorELNS0_4arch9wavefront6targetE0EEEvSW_.uses_flat_scratch, 0
	.set _ZN7rocprim17ROCPRIM_400000_NS6detail17trampoline_kernelINS0_14default_configENS1_29binary_search_config_selectorIiiEEZNS1_14transform_implILb0ES3_S5_N6thrust23THRUST_200600_302600_NS6detail15normal_iteratorINS8_7pointerIiNS8_11hip_rocprim5par_tENS8_11use_defaultESE_EEEESG_ZNS1_13binary_searchIS3_S5_NSA_INS8_10device_ptrIiEEEESG_SG_NS1_16binary_search_opENS9_16wrapped_functionINS8_6system6detail7generic6detail18binary_search_lessEbEEEE10hipError_tPvRmT1_T2_T3_mmT4_T5_P12ihipStream_tbEUlRKiE_EEST_SX_SY_mSZ_S12_bEUlT_E_NS1_11comp_targetILNS1_3genE2ELNS1_11target_archE906ELNS1_3gpuE6ELNS1_3repE0EEENS1_30default_config_static_selectorELNS0_4arch9wavefront6targetE0EEEvSW_.has_dyn_sized_stack, 0
	.set _ZN7rocprim17ROCPRIM_400000_NS6detail17trampoline_kernelINS0_14default_configENS1_29binary_search_config_selectorIiiEEZNS1_14transform_implILb0ES3_S5_N6thrust23THRUST_200600_302600_NS6detail15normal_iteratorINS8_7pointerIiNS8_11hip_rocprim5par_tENS8_11use_defaultESE_EEEESG_ZNS1_13binary_searchIS3_S5_NSA_INS8_10device_ptrIiEEEESG_SG_NS1_16binary_search_opENS9_16wrapped_functionINS8_6system6detail7generic6detail18binary_search_lessEbEEEE10hipError_tPvRmT1_T2_T3_mmT4_T5_P12ihipStream_tbEUlRKiE_EEST_SX_SY_mSZ_S12_bEUlT_E_NS1_11comp_targetILNS1_3genE2ELNS1_11target_archE906ELNS1_3gpuE6ELNS1_3repE0EEENS1_30default_config_static_selectorELNS0_4arch9wavefront6targetE0EEEvSW_.has_recursion, 0
	.set _ZN7rocprim17ROCPRIM_400000_NS6detail17trampoline_kernelINS0_14default_configENS1_29binary_search_config_selectorIiiEEZNS1_14transform_implILb0ES3_S5_N6thrust23THRUST_200600_302600_NS6detail15normal_iteratorINS8_7pointerIiNS8_11hip_rocprim5par_tENS8_11use_defaultESE_EEEESG_ZNS1_13binary_searchIS3_S5_NSA_INS8_10device_ptrIiEEEESG_SG_NS1_16binary_search_opENS9_16wrapped_functionINS8_6system6detail7generic6detail18binary_search_lessEbEEEE10hipError_tPvRmT1_T2_T3_mmT4_T5_P12ihipStream_tbEUlRKiE_EEST_SX_SY_mSZ_S12_bEUlT_E_NS1_11comp_targetILNS1_3genE2ELNS1_11target_archE906ELNS1_3gpuE6ELNS1_3repE0EEENS1_30default_config_static_selectorELNS0_4arch9wavefront6targetE0EEEvSW_.has_indirect_call, 0
	.section	.AMDGPU.csdata,"",@progbits
; Kernel info:
; codeLenInByte = 0
; TotalNumSgprs: 0
; NumVgprs: 0
; ScratchSize: 0
; MemoryBound: 0
; FloatMode: 240
; IeeeMode: 1
; LDSByteSize: 0 bytes/workgroup (compile time only)
; SGPRBlocks: 0
; VGPRBlocks: 0
; NumSGPRsForWavesPerEU: 1
; NumVGPRsForWavesPerEU: 1
; Occupancy: 16
; WaveLimiterHint : 0
; COMPUTE_PGM_RSRC2:SCRATCH_EN: 0
; COMPUTE_PGM_RSRC2:USER_SGPR: 6
; COMPUTE_PGM_RSRC2:TRAP_HANDLER: 0
; COMPUTE_PGM_RSRC2:TGID_X_EN: 1
; COMPUTE_PGM_RSRC2:TGID_Y_EN: 0
; COMPUTE_PGM_RSRC2:TGID_Z_EN: 0
; COMPUTE_PGM_RSRC2:TIDIG_COMP_CNT: 0
	.section	.text._ZN7rocprim17ROCPRIM_400000_NS6detail17trampoline_kernelINS0_14default_configENS1_29binary_search_config_selectorIiiEEZNS1_14transform_implILb0ES3_S5_N6thrust23THRUST_200600_302600_NS6detail15normal_iteratorINS8_7pointerIiNS8_11hip_rocprim5par_tENS8_11use_defaultESE_EEEESG_ZNS1_13binary_searchIS3_S5_NSA_INS8_10device_ptrIiEEEESG_SG_NS1_16binary_search_opENS9_16wrapped_functionINS8_6system6detail7generic6detail18binary_search_lessEbEEEE10hipError_tPvRmT1_T2_T3_mmT4_T5_P12ihipStream_tbEUlRKiE_EEST_SX_SY_mSZ_S12_bEUlT_E_NS1_11comp_targetILNS1_3genE10ELNS1_11target_archE1201ELNS1_3gpuE5ELNS1_3repE0EEENS1_30default_config_static_selectorELNS0_4arch9wavefront6targetE0EEEvSW_,"axG",@progbits,_ZN7rocprim17ROCPRIM_400000_NS6detail17trampoline_kernelINS0_14default_configENS1_29binary_search_config_selectorIiiEEZNS1_14transform_implILb0ES3_S5_N6thrust23THRUST_200600_302600_NS6detail15normal_iteratorINS8_7pointerIiNS8_11hip_rocprim5par_tENS8_11use_defaultESE_EEEESG_ZNS1_13binary_searchIS3_S5_NSA_INS8_10device_ptrIiEEEESG_SG_NS1_16binary_search_opENS9_16wrapped_functionINS8_6system6detail7generic6detail18binary_search_lessEbEEEE10hipError_tPvRmT1_T2_T3_mmT4_T5_P12ihipStream_tbEUlRKiE_EEST_SX_SY_mSZ_S12_bEUlT_E_NS1_11comp_targetILNS1_3genE10ELNS1_11target_archE1201ELNS1_3gpuE5ELNS1_3repE0EEENS1_30default_config_static_selectorELNS0_4arch9wavefront6targetE0EEEvSW_,comdat
	.protected	_ZN7rocprim17ROCPRIM_400000_NS6detail17trampoline_kernelINS0_14default_configENS1_29binary_search_config_selectorIiiEEZNS1_14transform_implILb0ES3_S5_N6thrust23THRUST_200600_302600_NS6detail15normal_iteratorINS8_7pointerIiNS8_11hip_rocprim5par_tENS8_11use_defaultESE_EEEESG_ZNS1_13binary_searchIS3_S5_NSA_INS8_10device_ptrIiEEEESG_SG_NS1_16binary_search_opENS9_16wrapped_functionINS8_6system6detail7generic6detail18binary_search_lessEbEEEE10hipError_tPvRmT1_T2_T3_mmT4_T5_P12ihipStream_tbEUlRKiE_EEST_SX_SY_mSZ_S12_bEUlT_E_NS1_11comp_targetILNS1_3genE10ELNS1_11target_archE1201ELNS1_3gpuE5ELNS1_3repE0EEENS1_30default_config_static_selectorELNS0_4arch9wavefront6targetE0EEEvSW_ ; -- Begin function _ZN7rocprim17ROCPRIM_400000_NS6detail17trampoline_kernelINS0_14default_configENS1_29binary_search_config_selectorIiiEEZNS1_14transform_implILb0ES3_S5_N6thrust23THRUST_200600_302600_NS6detail15normal_iteratorINS8_7pointerIiNS8_11hip_rocprim5par_tENS8_11use_defaultESE_EEEESG_ZNS1_13binary_searchIS3_S5_NSA_INS8_10device_ptrIiEEEESG_SG_NS1_16binary_search_opENS9_16wrapped_functionINS8_6system6detail7generic6detail18binary_search_lessEbEEEE10hipError_tPvRmT1_T2_T3_mmT4_T5_P12ihipStream_tbEUlRKiE_EEST_SX_SY_mSZ_S12_bEUlT_E_NS1_11comp_targetILNS1_3genE10ELNS1_11target_archE1201ELNS1_3gpuE5ELNS1_3repE0EEENS1_30default_config_static_selectorELNS0_4arch9wavefront6targetE0EEEvSW_
	.globl	_ZN7rocprim17ROCPRIM_400000_NS6detail17trampoline_kernelINS0_14default_configENS1_29binary_search_config_selectorIiiEEZNS1_14transform_implILb0ES3_S5_N6thrust23THRUST_200600_302600_NS6detail15normal_iteratorINS8_7pointerIiNS8_11hip_rocprim5par_tENS8_11use_defaultESE_EEEESG_ZNS1_13binary_searchIS3_S5_NSA_INS8_10device_ptrIiEEEESG_SG_NS1_16binary_search_opENS9_16wrapped_functionINS8_6system6detail7generic6detail18binary_search_lessEbEEEE10hipError_tPvRmT1_T2_T3_mmT4_T5_P12ihipStream_tbEUlRKiE_EEST_SX_SY_mSZ_S12_bEUlT_E_NS1_11comp_targetILNS1_3genE10ELNS1_11target_archE1201ELNS1_3gpuE5ELNS1_3repE0EEENS1_30default_config_static_selectorELNS0_4arch9wavefront6targetE0EEEvSW_
	.p2align	8
	.type	_ZN7rocprim17ROCPRIM_400000_NS6detail17trampoline_kernelINS0_14default_configENS1_29binary_search_config_selectorIiiEEZNS1_14transform_implILb0ES3_S5_N6thrust23THRUST_200600_302600_NS6detail15normal_iteratorINS8_7pointerIiNS8_11hip_rocprim5par_tENS8_11use_defaultESE_EEEESG_ZNS1_13binary_searchIS3_S5_NSA_INS8_10device_ptrIiEEEESG_SG_NS1_16binary_search_opENS9_16wrapped_functionINS8_6system6detail7generic6detail18binary_search_lessEbEEEE10hipError_tPvRmT1_T2_T3_mmT4_T5_P12ihipStream_tbEUlRKiE_EEST_SX_SY_mSZ_S12_bEUlT_E_NS1_11comp_targetILNS1_3genE10ELNS1_11target_archE1201ELNS1_3gpuE5ELNS1_3repE0EEENS1_30default_config_static_selectorELNS0_4arch9wavefront6targetE0EEEvSW_,@function
_ZN7rocprim17ROCPRIM_400000_NS6detail17trampoline_kernelINS0_14default_configENS1_29binary_search_config_selectorIiiEEZNS1_14transform_implILb0ES3_S5_N6thrust23THRUST_200600_302600_NS6detail15normal_iteratorINS8_7pointerIiNS8_11hip_rocprim5par_tENS8_11use_defaultESE_EEEESG_ZNS1_13binary_searchIS3_S5_NSA_INS8_10device_ptrIiEEEESG_SG_NS1_16binary_search_opENS9_16wrapped_functionINS8_6system6detail7generic6detail18binary_search_lessEbEEEE10hipError_tPvRmT1_T2_T3_mmT4_T5_P12ihipStream_tbEUlRKiE_EEST_SX_SY_mSZ_S12_bEUlT_E_NS1_11comp_targetILNS1_3genE10ELNS1_11target_archE1201ELNS1_3gpuE5ELNS1_3repE0EEENS1_30default_config_static_selectorELNS0_4arch9wavefront6targetE0EEEvSW_: ; @_ZN7rocprim17ROCPRIM_400000_NS6detail17trampoline_kernelINS0_14default_configENS1_29binary_search_config_selectorIiiEEZNS1_14transform_implILb0ES3_S5_N6thrust23THRUST_200600_302600_NS6detail15normal_iteratorINS8_7pointerIiNS8_11hip_rocprim5par_tENS8_11use_defaultESE_EEEESG_ZNS1_13binary_searchIS3_S5_NSA_INS8_10device_ptrIiEEEESG_SG_NS1_16binary_search_opENS9_16wrapped_functionINS8_6system6detail7generic6detail18binary_search_lessEbEEEE10hipError_tPvRmT1_T2_T3_mmT4_T5_P12ihipStream_tbEUlRKiE_EEST_SX_SY_mSZ_S12_bEUlT_E_NS1_11comp_targetILNS1_3genE10ELNS1_11target_archE1201ELNS1_3gpuE5ELNS1_3repE0EEENS1_30default_config_static_selectorELNS0_4arch9wavefront6targetE0EEEvSW_
; %bb.0:
	.section	.rodata,"a",@progbits
	.p2align	6, 0x0
	.amdhsa_kernel _ZN7rocprim17ROCPRIM_400000_NS6detail17trampoline_kernelINS0_14default_configENS1_29binary_search_config_selectorIiiEEZNS1_14transform_implILb0ES3_S5_N6thrust23THRUST_200600_302600_NS6detail15normal_iteratorINS8_7pointerIiNS8_11hip_rocprim5par_tENS8_11use_defaultESE_EEEESG_ZNS1_13binary_searchIS3_S5_NSA_INS8_10device_ptrIiEEEESG_SG_NS1_16binary_search_opENS9_16wrapped_functionINS8_6system6detail7generic6detail18binary_search_lessEbEEEE10hipError_tPvRmT1_T2_T3_mmT4_T5_P12ihipStream_tbEUlRKiE_EEST_SX_SY_mSZ_S12_bEUlT_E_NS1_11comp_targetILNS1_3genE10ELNS1_11target_archE1201ELNS1_3gpuE5ELNS1_3repE0EEENS1_30default_config_static_selectorELNS0_4arch9wavefront6targetE0EEEvSW_
		.amdhsa_group_segment_fixed_size 0
		.amdhsa_private_segment_fixed_size 0
		.amdhsa_kernarg_size 56
		.amdhsa_user_sgpr_count 6
		.amdhsa_user_sgpr_private_segment_buffer 1
		.amdhsa_user_sgpr_dispatch_ptr 0
		.amdhsa_user_sgpr_queue_ptr 0
		.amdhsa_user_sgpr_kernarg_segment_ptr 1
		.amdhsa_user_sgpr_dispatch_id 0
		.amdhsa_user_sgpr_flat_scratch_init 0
		.amdhsa_user_sgpr_private_segment_size 0
		.amdhsa_wavefront_size32 1
		.amdhsa_uses_dynamic_stack 0
		.amdhsa_system_sgpr_private_segment_wavefront_offset 0
		.amdhsa_system_sgpr_workgroup_id_x 1
		.amdhsa_system_sgpr_workgroup_id_y 0
		.amdhsa_system_sgpr_workgroup_id_z 0
		.amdhsa_system_sgpr_workgroup_info 0
		.amdhsa_system_vgpr_workitem_id 0
		.amdhsa_next_free_vgpr 1
		.amdhsa_next_free_sgpr 1
		.amdhsa_reserve_vcc 0
		.amdhsa_reserve_flat_scratch 0
		.amdhsa_float_round_mode_32 0
		.amdhsa_float_round_mode_16_64 0
		.amdhsa_float_denorm_mode_32 3
		.amdhsa_float_denorm_mode_16_64 3
		.amdhsa_dx10_clamp 1
		.amdhsa_ieee_mode 1
		.amdhsa_fp16_overflow 0
		.amdhsa_workgroup_processor_mode 1
		.amdhsa_memory_ordered 1
		.amdhsa_forward_progress 1
		.amdhsa_shared_vgpr_count 0
		.amdhsa_exception_fp_ieee_invalid_op 0
		.amdhsa_exception_fp_denorm_src 0
		.amdhsa_exception_fp_ieee_div_zero 0
		.amdhsa_exception_fp_ieee_overflow 0
		.amdhsa_exception_fp_ieee_underflow 0
		.amdhsa_exception_fp_ieee_inexact 0
		.amdhsa_exception_int_div_zero 0
	.end_amdhsa_kernel
	.section	.text._ZN7rocprim17ROCPRIM_400000_NS6detail17trampoline_kernelINS0_14default_configENS1_29binary_search_config_selectorIiiEEZNS1_14transform_implILb0ES3_S5_N6thrust23THRUST_200600_302600_NS6detail15normal_iteratorINS8_7pointerIiNS8_11hip_rocprim5par_tENS8_11use_defaultESE_EEEESG_ZNS1_13binary_searchIS3_S5_NSA_INS8_10device_ptrIiEEEESG_SG_NS1_16binary_search_opENS9_16wrapped_functionINS8_6system6detail7generic6detail18binary_search_lessEbEEEE10hipError_tPvRmT1_T2_T3_mmT4_T5_P12ihipStream_tbEUlRKiE_EEST_SX_SY_mSZ_S12_bEUlT_E_NS1_11comp_targetILNS1_3genE10ELNS1_11target_archE1201ELNS1_3gpuE5ELNS1_3repE0EEENS1_30default_config_static_selectorELNS0_4arch9wavefront6targetE0EEEvSW_,"axG",@progbits,_ZN7rocprim17ROCPRIM_400000_NS6detail17trampoline_kernelINS0_14default_configENS1_29binary_search_config_selectorIiiEEZNS1_14transform_implILb0ES3_S5_N6thrust23THRUST_200600_302600_NS6detail15normal_iteratorINS8_7pointerIiNS8_11hip_rocprim5par_tENS8_11use_defaultESE_EEEESG_ZNS1_13binary_searchIS3_S5_NSA_INS8_10device_ptrIiEEEESG_SG_NS1_16binary_search_opENS9_16wrapped_functionINS8_6system6detail7generic6detail18binary_search_lessEbEEEE10hipError_tPvRmT1_T2_T3_mmT4_T5_P12ihipStream_tbEUlRKiE_EEST_SX_SY_mSZ_S12_bEUlT_E_NS1_11comp_targetILNS1_3genE10ELNS1_11target_archE1201ELNS1_3gpuE5ELNS1_3repE0EEENS1_30default_config_static_selectorELNS0_4arch9wavefront6targetE0EEEvSW_,comdat
.Lfunc_end712:
	.size	_ZN7rocprim17ROCPRIM_400000_NS6detail17trampoline_kernelINS0_14default_configENS1_29binary_search_config_selectorIiiEEZNS1_14transform_implILb0ES3_S5_N6thrust23THRUST_200600_302600_NS6detail15normal_iteratorINS8_7pointerIiNS8_11hip_rocprim5par_tENS8_11use_defaultESE_EEEESG_ZNS1_13binary_searchIS3_S5_NSA_INS8_10device_ptrIiEEEESG_SG_NS1_16binary_search_opENS9_16wrapped_functionINS8_6system6detail7generic6detail18binary_search_lessEbEEEE10hipError_tPvRmT1_T2_T3_mmT4_T5_P12ihipStream_tbEUlRKiE_EEST_SX_SY_mSZ_S12_bEUlT_E_NS1_11comp_targetILNS1_3genE10ELNS1_11target_archE1201ELNS1_3gpuE5ELNS1_3repE0EEENS1_30default_config_static_selectorELNS0_4arch9wavefront6targetE0EEEvSW_, .Lfunc_end712-_ZN7rocprim17ROCPRIM_400000_NS6detail17trampoline_kernelINS0_14default_configENS1_29binary_search_config_selectorIiiEEZNS1_14transform_implILb0ES3_S5_N6thrust23THRUST_200600_302600_NS6detail15normal_iteratorINS8_7pointerIiNS8_11hip_rocprim5par_tENS8_11use_defaultESE_EEEESG_ZNS1_13binary_searchIS3_S5_NSA_INS8_10device_ptrIiEEEESG_SG_NS1_16binary_search_opENS9_16wrapped_functionINS8_6system6detail7generic6detail18binary_search_lessEbEEEE10hipError_tPvRmT1_T2_T3_mmT4_T5_P12ihipStream_tbEUlRKiE_EEST_SX_SY_mSZ_S12_bEUlT_E_NS1_11comp_targetILNS1_3genE10ELNS1_11target_archE1201ELNS1_3gpuE5ELNS1_3repE0EEENS1_30default_config_static_selectorELNS0_4arch9wavefront6targetE0EEEvSW_
                                        ; -- End function
	.set _ZN7rocprim17ROCPRIM_400000_NS6detail17trampoline_kernelINS0_14default_configENS1_29binary_search_config_selectorIiiEEZNS1_14transform_implILb0ES3_S5_N6thrust23THRUST_200600_302600_NS6detail15normal_iteratorINS8_7pointerIiNS8_11hip_rocprim5par_tENS8_11use_defaultESE_EEEESG_ZNS1_13binary_searchIS3_S5_NSA_INS8_10device_ptrIiEEEESG_SG_NS1_16binary_search_opENS9_16wrapped_functionINS8_6system6detail7generic6detail18binary_search_lessEbEEEE10hipError_tPvRmT1_T2_T3_mmT4_T5_P12ihipStream_tbEUlRKiE_EEST_SX_SY_mSZ_S12_bEUlT_E_NS1_11comp_targetILNS1_3genE10ELNS1_11target_archE1201ELNS1_3gpuE5ELNS1_3repE0EEENS1_30default_config_static_selectorELNS0_4arch9wavefront6targetE0EEEvSW_.num_vgpr, 0
	.set _ZN7rocprim17ROCPRIM_400000_NS6detail17trampoline_kernelINS0_14default_configENS1_29binary_search_config_selectorIiiEEZNS1_14transform_implILb0ES3_S5_N6thrust23THRUST_200600_302600_NS6detail15normal_iteratorINS8_7pointerIiNS8_11hip_rocprim5par_tENS8_11use_defaultESE_EEEESG_ZNS1_13binary_searchIS3_S5_NSA_INS8_10device_ptrIiEEEESG_SG_NS1_16binary_search_opENS9_16wrapped_functionINS8_6system6detail7generic6detail18binary_search_lessEbEEEE10hipError_tPvRmT1_T2_T3_mmT4_T5_P12ihipStream_tbEUlRKiE_EEST_SX_SY_mSZ_S12_bEUlT_E_NS1_11comp_targetILNS1_3genE10ELNS1_11target_archE1201ELNS1_3gpuE5ELNS1_3repE0EEENS1_30default_config_static_selectorELNS0_4arch9wavefront6targetE0EEEvSW_.num_agpr, 0
	.set _ZN7rocprim17ROCPRIM_400000_NS6detail17trampoline_kernelINS0_14default_configENS1_29binary_search_config_selectorIiiEEZNS1_14transform_implILb0ES3_S5_N6thrust23THRUST_200600_302600_NS6detail15normal_iteratorINS8_7pointerIiNS8_11hip_rocprim5par_tENS8_11use_defaultESE_EEEESG_ZNS1_13binary_searchIS3_S5_NSA_INS8_10device_ptrIiEEEESG_SG_NS1_16binary_search_opENS9_16wrapped_functionINS8_6system6detail7generic6detail18binary_search_lessEbEEEE10hipError_tPvRmT1_T2_T3_mmT4_T5_P12ihipStream_tbEUlRKiE_EEST_SX_SY_mSZ_S12_bEUlT_E_NS1_11comp_targetILNS1_3genE10ELNS1_11target_archE1201ELNS1_3gpuE5ELNS1_3repE0EEENS1_30default_config_static_selectorELNS0_4arch9wavefront6targetE0EEEvSW_.numbered_sgpr, 0
	.set _ZN7rocprim17ROCPRIM_400000_NS6detail17trampoline_kernelINS0_14default_configENS1_29binary_search_config_selectorIiiEEZNS1_14transform_implILb0ES3_S5_N6thrust23THRUST_200600_302600_NS6detail15normal_iteratorINS8_7pointerIiNS8_11hip_rocprim5par_tENS8_11use_defaultESE_EEEESG_ZNS1_13binary_searchIS3_S5_NSA_INS8_10device_ptrIiEEEESG_SG_NS1_16binary_search_opENS9_16wrapped_functionINS8_6system6detail7generic6detail18binary_search_lessEbEEEE10hipError_tPvRmT1_T2_T3_mmT4_T5_P12ihipStream_tbEUlRKiE_EEST_SX_SY_mSZ_S12_bEUlT_E_NS1_11comp_targetILNS1_3genE10ELNS1_11target_archE1201ELNS1_3gpuE5ELNS1_3repE0EEENS1_30default_config_static_selectorELNS0_4arch9wavefront6targetE0EEEvSW_.num_named_barrier, 0
	.set _ZN7rocprim17ROCPRIM_400000_NS6detail17trampoline_kernelINS0_14default_configENS1_29binary_search_config_selectorIiiEEZNS1_14transform_implILb0ES3_S5_N6thrust23THRUST_200600_302600_NS6detail15normal_iteratorINS8_7pointerIiNS8_11hip_rocprim5par_tENS8_11use_defaultESE_EEEESG_ZNS1_13binary_searchIS3_S5_NSA_INS8_10device_ptrIiEEEESG_SG_NS1_16binary_search_opENS9_16wrapped_functionINS8_6system6detail7generic6detail18binary_search_lessEbEEEE10hipError_tPvRmT1_T2_T3_mmT4_T5_P12ihipStream_tbEUlRKiE_EEST_SX_SY_mSZ_S12_bEUlT_E_NS1_11comp_targetILNS1_3genE10ELNS1_11target_archE1201ELNS1_3gpuE5ELNS1_3repE0EEENS1_30default_config_static_selectorELNS0_4arch9wavefront6targetE0EEEvSW_.private_seg_size, 0
	.set _ZN7rocprim17ROCPRIM_400000_NS6detail17trampoline_kernelINS0_14default_configENS1_29binary_search_config_selectorIiiEEZNS1_14transform_implILb0ES3_S5_N6thrust23THRUST_200600_302600_NS6detail15normal_iteratorINS8_7pointerIiNS8_11hip_rocprim5par_tENS8_11use_defaultESE_EEEESG_ZNS1_13binary_searchIS3_S5_NSA_INS8_10device_ptrIiEEEESG_SG_NS1_16binary_search_opENS9_16wrapped_functionINS8_6system6detail7generic6detail18binary_search_lessEbEEEE10hipError_tPvRmT1_T2_T3_mmT4_T5_P12ihipStream_tbEUlRKiE_EEST_SX_SY_mSZ_S12_bEUlT_E_NS1_11comp_targetILNS1_3genE10ELNS1_11target_archE1201ELNS1_3gpuE5ELNS1_3repE0EEENS1_30default_config_static_selectorELNS0_4arch9wavefront6targetE0EEEvSW_.uses_vcc, 0
	.set _ZN7rocprim17ROCPRIM_400000_NS6detail17trampoline_kernelINS0_14default_configENS1_29binary_search_config_selectorIiiEEZNS1_14transform_implILb0ES3_S5_N6thrust23THRUST_200600_302600_NS6detail15normal_iteratorINS8_7pointerIiNS8_11hip_rocprim5par_tENS8_11use_defaultESE_EEEESG_ZNS1_13binary_searchIS3_S5_NSA_INS8_10device_ptrIiEEEESG_SG_NS1_16binary_search_opENS9_16wrapped_functionINS8_6system6detail7generic6detail18binary_search_lessEbEEEE10hipError_tPvRmT1_T2_T3_mmT4_T5_P12ihipStream_tbEUlRKiE_EEST_SX_SY_mSZ_S12_bEUlT_E_NS1_11comp_targetILNS1_3genE10ELNS1_11target_archE1201ELNS1_3gpuE5ELNS1_3repE0EEENS1_30default_config_static_selectorELNS0_4arch9wavefront6targetE0EEEvSW_.uses_flat_scratch, 0
	.set _ZN7rocprim17ROCPRIM_400000_NS6detail17trampoline_kernelINS0_14default_configENS1_29binary_search_config_selectorIiiEEZNS1_14transform_implILb0ES3_S5_N6thrust23THRUST_200600_302600_NS6detail15normal_iteratorINS8_7pointerIiNS8_11hip_rocprim5par_tENS8_11use_defaultESE_EEEESG_ZNS1_13binary_searchIS3_S5_NSA_INS8_10device_ptrIiEEEESG_SG_NS1_16binary_search_opENS9_16wrapped_functionINS8_6system6detail7generic6detail18binary_search_lessEbEEEE10hipError_tPvRmT1_T2_T3_mmT4_T5_P12ihipStream_tbEUlRKiE_EEST_SX_SY_mSZ_S12_bEUlT_E_NS1_11comp_targetILNS1_3genE10ELNS1_11target_archE1201ELNS1_3gpuE5ELNS1_3repE0EEENS1_30default_config_static_selectorELNS0_4arch9wavefront6targetE0EEEvSW_.has_dyn_sized_stack, 0
	.set _ZN7rocprim17ROCPRIM_400000_NS6detail17trampoline_kernelINS0_14default_configENS1_29binary_search_config_selectorIiiEEZNS1_14transform_implILb0ES3_S5_N6thrust23THRUST_200600_302600_NS6detail15normal_iteratorINS8_7pointerIiNS8_11hip_rocprim5par_tENS8_11use_defaultESE_EEEESG_ZNS1_13binary_searchIS3_S5_NSA_INS8_10device_ptrIiEEEESG_SG_NS1_16binary_search_opENS9_16wrapped_functionINS8_6system6detail7generic6detail18binary_search_lessEbEEEE10hipError_tPvRmT1_T2_T3_mmT4_T5_P12ihipStream_tbEUlRKiE_EEST_SX_SY_mSZ_S12_bEUlT_E_NS1_11comp_targetILNS1_3genE10ELNS1_11target_archE1201ELNS1_3gpuE5ELNS1_3repE0EEENS1_30default_config_static_selectorELNS0_4arch9wavefront6targetE0EEEvSW_.has_recursion, 0
	.set _ZN7rocprim17ROCPRIM_400000_NS6detail17trampoline_kernelINS0_14default_configENS1_29binary_search_config_selectorIiiEEZNS1_14transform_implILb0ES3_S5_N6thrust23THRUST_200600_302600_NS6detail15normal_iteratorINS8_7pointerIiNS8_11hip_rocprim5par_tENS8_11use_defaultESE_EEEESG_ZNS1_13binary_searchIS3_S5_NSA_INS8_10device_ptrIiEEEESG_SG_NS1_16binary_search_opENS9_16wrapped_functionINS8_6system6detail7generic6detail18binary_search_lessEbEEEE10hipError_tPvRmT1_T2_T3_mmT4_T5_P12ihipStream_tbEUlRKiE_EEST_SX_SY_mSZ_S12_bEUlT_E_NS1_11comp_targetILNS1_3genE10ELNS1_11target_archE1201ELNS1_3gpuE5ELNS1_3repE0EEENS1_30default_config_static_selectorELNS0_4arch9wavefront6targetE0EEEvSW_.has_indirect_call, 0
	.section	.AMDGPU.csdata,"",@progbits
; Kernel info:
; codeLenInByte = 0
; TotalNumSgprs: 0
; NumVgprs: 0
; ScratchSize: 0
; MemoryBound: 0
; FloatMode: 240
; IeeeMode: 1
; LDSByteSize: 0 bytes/workgroup (compile time only)
; SGPRBlocks: 0
; VGPRBlocks: 0
; NumSGPRsForWavesPerEU: 1
; NumVGPRsForWavesPerEU: 1
; Occupancy: 16
; WaveLimiterHint : 0
; COMPUTE_PGM_RSRC2:SCRATCH_EN: 0
; COMPUTE_PGM_RSRC2:USER_SGPR: 6
; COMPUTE_PGM_RSRC2:TRAP_HANDLER: 0
; COMPUTE_PGM_RSRC2:TGID_X_EN: 1
; COMPUTE_PGM_RSRC2:TGID_Y_EN: 0
; COMPUTE_PGM_RSRC2:TGID_Z_EN: 0
; COMPUTE_PGM_RSRC2:TIDIG_COMP_CNT: 0
	.section	.text._ZN7rocprim17ROCPRIM_400000_NS6detail17trampoline_kernelINS0_14default_configENS1_29binary_search_config_selectorIiiEEZNS1_14transform_implILb0ES3_S5_N6thrust23THRUST_200600_302600_NS6detail15normal_iteratorINS8_7pointerIiNS8_11hip_rocprim5par_tENS8_11use_defaultESE_EEEESG_ZNS1_13binary_searchIS3_S5_NSA_INS8_10device_ptrIiEEEESG_SG_NS1_16binary_search_opENS9_16wrapped_functionINS8_6system6detail7generic6detail18binary_search_lessEbEEEE10hipError_tPvRmT1_T2_T3_mmT4_T5_P12ihipStream_tbEUlRKiE_EEST_SX_SY_mSZ_S12_bEUlT_E_NS1_11comp_targetILNS1_3genE10ELNS1_11target_archE1200ELNS1_3gpuE4ELNS1_3repE0EEENS1_30default_config_static_selectorELNS0_4arch9wavefront6targetE0EEEvSW_,"axG",@progbits,_ZN7rocprim17ROCPRIM_400000_NS6detail17trampoline_kernelINS0_14default_configENS1_29binary_search_config_selectorIiiEEZNS1_14transform_implILb0ES3_S5_N6thrust23THRUST_200600_302600_NS6detail15normal_iteratorINS8_7pointerIiNS8_11hip_rocprim5par_tENS8_11use_defaultESE_EEEESG_ZNS1_13binary_searchIS3_S5_NSA_INS8_10device_ptrIiEEEESG_SG_NS1_16binary_search_opENS9_16wrapped_functionINS8_6system6detail7generic6detail18binary_search_lessEbEEEE10hipError_tPvRmT1_T2_T3_mmT4_T5_P12ihipStream_tbEUlRKiE_EEST_SX_SY_mSZ_S12_bEUlT_E_NS1_11comp_targetILNS1_3genE10ELNS1_11target_archE1200ELNS1_3gpuE4ELNS1_3repE0EEENS1_30default_config_static_selectorELNS0_4arch9wavefront6targetE0EEEvSW_,comdat
	.protected	_ZN7rocprim17ROCPRIM_400000_NS6detail17trampoline_kernelINS0_14default_configENS1_29binary_search_config_selectorIiiEEZNS1_14transform_implILb0ES3_S5_N6thrust23THRUST_200600_302600_NS6detail15normal_iteratorINS8_7pointerIiNS8_11hip_rocprim5par_tENS8_11use_defaultESE_EEEESG_ZNS1_13binary_searchIS3_S5_NSA_INS8_10device_ptrIiEEEESG_SG_NS1_16binary_search_opENS9_16wrapped_functionINS8_6system6detail7generic6detail18binary_search_lessEbEEEE10hipError_tPvRmT1_T2_T3_mmT4_T5_P12ihipStream_tbEUlRKiE_EEST_SX_SY_mSZ_S12_bEUlT_E_NS1_11comp_targetILNS1_3genE10ELNS1_11target_archE1200ELNS1_3gpuE4ELNS1_3repE0EEENS1_30default_config_static_selectorELNS0_4arch9wavefront6targetE0EEEvSW_ ; -- Begin function _ZN7rocprim17ROCPRIM_400000_NS6detail17trampoline_kernelINS0_14default_configENS1_29binary_search_config_selectorIiiEEZNS1_14transform_implILb0ES3_S5_N6thrust23THRUST_200600_302600_NS6detail15normal_iteratorINS8_7pointerIiNS8_11hip_rocprim5par_tENS8_11use_defaultESE_EEEESG_ZNS1_13binary_searchIS3_S5_NSA_INS8_10device_ptrIiEEEESG_SG_NS1_16binary_search_opENS9_16wrapped_functionINS8_6system6detail7generic6detail18binary_search_lessEbEEEE10hipError_tPvRmT1_T2_T3_mmT4_T5_P12ihipStream_tbEUlRKiE_EEST_SX_SY_mSZ_S12_bEUlT_E_NS1_11comp_targetILNS1_3genE10ELNS1_11target_archE1200ELNS1_3gpuE4ELNS1_3repE0EEENS1_30default_config_static_selectorELNS0_4arch9wavefront6targetE0EEEvSW_
	.globl	_ZN7rocprim17ROCPRIM_400000_NS6detail17trampoline_kernelINS0_14default_configENS1_29binary_search_config_selectorIiiEEZNS1_14transform_implILb0ES3_S5_N6thrust23THRUST_200600_302600_NS6detail15normal_iteratorINS8_7pointerIiNS8_11hip_rocprim5par_tENS8_11use_defaultESE_EEEESG_ZNS1_13binary_searchIS3_S5_NSA_INS8_10device_ptrIiEEEESG_SG_NS1_16binary_search_opENS9_16wrapped_functionINS8_6system6detail7generic6detail18binary_search_lessEbEEEE10hipError_tPvRmT1_T2_T3_mmT4_T5_P12ihipStream_tbEUlRKiE_EEST_SX_SY_mSZ_S12_bEUlT_E_NS1_11comp_targetILNS1_3genE10ELNS1_11target_archE1200ELNS1_3gpuE4ELNS1_3repE0EEENS1_30default_config_static_selectorELNS0_4arch9wavefront6targetE0EEEvSW_
	.p2align	8
	.type	_ZN7rocprim17ROCPRIM_400000_NS6detail17trampoline_kernelINS0_14default_configENS1_29binary_search_config_selectorIiiEEZNS1_14transform_implILb0ES3_S5_N6thrust23THRUST_200600_302600_NS6detail15normal_iteratorINS8_7pointerIiNS8_11hip_rocprim5par_tENS8_11use_defaultESE_EEEESG_ZNS1_13binary_searchIS3_S5_NSA_INS8_10device_ptrIiEEEESG_SG_NS1_16binary_search_opENS9_16wrapped_functionINS8_6system6detail7generic6detail18binary_search_lessEbEEEE10hipError_tPvRmT1_T2_T3_mmT4_T5_P12ihipStream_tbEUlRKiE_EEST_SX_SY_mSZ_S12_bEUlT_E_NS1_11comp_targetILNS1_3genE10ELNS1_11target_archE1200ELNS1_3gpuE4ELNS1_3repE0EEENS1_30default_config_static_selectorELNS0_4arch9wavefront6targetE0EEEvSW_,@function
_ZN7rocprim17ROCPRIM_400000_NS6detail17trampoline_kernelINS0_14default_configENS1_29binary_search_config_selectorIiiEEZNS1_14transform_implILb0ES3_S5_N6thrust23THRUST_200600_302600_NS6detail15normal_iteratorINS8_7pointerIiNS8_11hip_rocprim5par_tENS8_11use_defaultESE_EEEESG_ZNS1_13binary_searchIS3_S5_NSA_INS8_10device_ptrIiEEEESG_SG_NS1_16binary_search_opENS9_16wrapped_functionINS8_6system6detail7generic6detail18binary_search_lessEbEEEE10hipError_tPvRmT1_T2_T3_mmT4_T5_P12ihipStream_tbEUlRKiE_EEST_SX_SY_mSZ_S12_bEUlT_E_NS1_11comp_targetILNS1_3genE10ELNS1_11target_archE1200ELNS1_3gpuE4ELNS1_3repE0EEENS1_30default_config_static_selectorELNS0_4arch9wavefront6targetE0EEEvSW_: ; @_ZN7rocprim17ROCPRIM_400000_NS6detail17trampoline_kernelINS0_14default_configENS1_29binary_search_config_selectorIiiEEZNS1_14transform_implILb0ES3_S5_N6thrust23THRUST_200600_302600_NS6detail15normal_iteratorINS8_7pointerIiNS8_11hip_rocprim5par_tENS8_11use_defaultESE_EEEESG_ZNS1_13binary_searchIS3_S5_NSA_INS8_10device_ptrIiEEEESG_SG_NS1_16binary_search_opENS9_16wrapped_functionINS8_6system6detail7generic6detail18binary_search_lessEbEEEE10hipError_tPvRmT1_T2_T3_mmT4_T5_P12ihipStream_tbEUlRKiE_EEST_SX_SY_mSZ_S12_bEUlT_E_NS1_11comp_targetILNS1_3genE10ELNS1_11target_archE1200ELNS1_3gpuE4ELNS1_3repE0EEENS1_30default_config_static_selectorELNS0_4arch9wavefront6targetE0EEEvSW_
; %bb.0:
	.section	.rodata,"a",@progbits
	.p2align	6, 0x0
	.amdhsa_kernel _ZN7rocprim17ROCPRIM_400000_NS6detail17trampoline_kernelINS0_14default_configENS1_29binary_search_config_selectorIiiEEZNS1_14transform_implILb0ES3_S5_N6thrust23THRUST_200600_302600_NS6detail15normal_iteratorINS8_7pointerIiNS8_11hip_rocprim5par_tENS8_11use_defaultESE_EEEESG_ZNS1_13binary_searchIS3_S5_NSA_INS8_10device_ptrIiEEEESG_SG_NS1_16binary_search_opENS9_16wrapped_functionINS8_6system6detail7generic6detail18binary_search_lessEbEEEE10hipError_tPvRmT1_T2_T3_mmT4_T5_P12ihipStream_tbEUlRKiE_EEST_SX_SY_mSZ_S12_bEUlT_E_NS1_11comp_targetILNS1_3genE10ELNS1_11target_archE1200ELNS1_3gpuE4ELNS1_3repE0EEENS1_30default_config_static_selectorELNS0_4arch9wavefront6targetE0EEEvSW_
		.amdhsa_group_segment_fixed_size 0
		.amdhsa_private_segment_fixed_size 0
		.amdhsa_kernarg_size 56
		.amdhsa_user_sgpr_count 6
		.amdhsa_user_sgpr_private_segment_buffer 1
		.amdhsa_user_sgpr_dispatch_ptr 0
		.amdhsa_user_sgpr_queue_ptr 0
		.amdhsa_user_sgpr_kernarg_segment_ptr 1
		.amdhsa_user_sgpr_dispatch_id 0
		.amdhsa_user_sgpr_flat_scratch_init 0
		.amdhsa_user_sgpr_private_segment_size 0
		.amdhsa_wavefront_size32 1
		.amdhsa_uses_dynamic_stack 0
		.amdhsa_system_sgpr_private_segment_wavefront_offset 0
		.amdhsa_system_sgpr_workgroup_id_x 1
		.amdhsa_system_sgpr_workgroup_id_y 0
		.amdhsa_system_sgpr_workgroup_id_z 0
		.amdhsa_system_sgpr_workgroup_info 0
		.amdhsa_system_vgpr_workitem_id 0
		.amdhsa_next_free_vgpr 1
		.amdhsa_next_free_sgpr 1
		.amdhsa_reserve_vcc 0
		.amdhsa_reserve_flat_scratch 0
		.amdhsa_float_round_mode_32 0
		.amdhsa_float_round_mode_16_64 0
		.amdhsa_float_denorm_mode_32 3
		.amdhsa_float_denorm_mode_16_64 3
		.amdhsa_dx10_clamp 1
		.amdhsa_ieee_mode 1
		.amdhsa_fp16_overflow 0
		.amdhsa_workgroup_processor_mode 1
		.amdhsa_memory_ordered 1
		.amdhsa_forward_progress 1
		.amdhsa_shared_vgpr_count 0
		.amdhsa_exception_fp_ieee_invalid_op 0
		.amdhsa_exception_fp_denorm_src 0
		.amdhsa_exception_fp_ieee_div_zero 0
		.amdhsa_exception_fp_ieee_overflow 0
		.amdhsa_exception_fp_ieee_underflow 0
		.amdhsa_exception_fp_ieee_inexact 0
		.amdhsa_exception_int_div_zero 0
	.end_amdhsa_kernel
	.section	.text._ZN7rocprim17ROCPRIM_400000_NS6detail17trampoline_kernelINS0_14default_configENS1_29binary_search_config_selectorIiiEEZNS1_14transform_implILb0ES3_S5_N6thrust23THRUST_200600_302600_NS6detail15normal_iteratorINS8_7pointerIiNS8_11hip_rocprim5par_tENS8_11use_defaultESE_EEEESG_ZNS1_13binary_searchIS3_S5_NSA_INS8_10device_ptrIiEEEESG_SG_NS1_16binary_search_opENS9_16wrapped_functionINS8_6system6detail7generic6detail18binary_search_lessEbEEEE10hipError_tPvRmT1_T2_T3_mmT4_T5_P12ihipStream_tbEUlRKiE_EEST_SX_SY_mSZ_S12_bEUlT_E_NS1_11comp_targetILNS1_3genE10ELNS1_11target_archE1200ELNS1_3gpuE4ELNS1_3repE0EEENS1_30default_config_static_selectorELNS0_4arch9wavefront6targetE0EEEvSW_,"axG",@progbits,_ZN7rocprim17ROCPRIM_400000_NS6detail17trampoline_kernelINS0_14default_configENS1_29binary_search_config_selectorIiiEEZNS1_14transform_implILb0ES3_S5_N6thrust23THRUST_200600_302600_NS6detail15normal_iteratorINS8_7pointerIiNS8_11hip_rocprim5par_tENS8_11use_defaultESE_EEEESG_ZNS1_13binary_searchIS3_S5_NSA_INS8_10device_ptrIiEEEESG_SG_NS1_16binary_search_opENS9_16wrapped_functionINS8_6system6detail7generic6detail18binary_search_lessEbEEEE10hipError_tPvRmT1_T2_T3_mmT4_T5_P12ihipStream_tbEUlRKiE_EEST_SX_SY_mSZ_S12_bEUlT_E_NS1_11comp_targetILNS1_3genE10ELNS1_11target_archE1200ELNS1_3gpuE4ELNS1_3repE0EEENS1_30default_config_static_selectorELNS0_4arch9wavefront6targetE0EEEvSW_,comdat
.Lfunc_end713:
	.size	_ZN7rocprim17ROCPRIM_400000_NS6detail17trampoline_kernelINS0_14default_configENS1_29binary_search_config_selectorIiiEEZNS1_14transform_implILb0ES3_S5_N6thrust23THRUST_200600_302600_NS6detail15normal_iteratorINS8_7pointerIiNS8_11hip_rocprim5par_tENS8_11use_defaultESE_EEEESG_ZNS1_13binary_searchIS3_S5_NSA_INS8_10device_ptrIiEEEESG_SG_NS1_16binary_search_opENS9_16wrapped_functionINS8_6system6detail7generic6detail18binary_search_lessEbEEEE10hipError_tPvRmT1_T2_T3_mmT4_T5_P12ihipStream_tbEUlRKiE_EEST_SX_SY_mSZ_S12_bEUlT_E_NS1_11comp_targetILNS1_3genE10ELNS1_11target_archE1200ELNS1_3gpuE4ELNS1_3repE0EEENS1_30default_config_static_selectorELNS0_4arch9wavefront6targetE0EEEvSW_, .Lfunc_end713-_ZN7rocprim17ROCPRIM_400000_NS6detail17trampoline_kernelINS0_14default_configENS1_29binary_search_config_selectorIiiEEZNS1_14transform_implILb0ES3_S5_N6thrust23THRUST_200600_302600_NS6detail15normal_iteratorINS8_7pointerIiNS8_11hip_rocprim5par_tENS8_11use_defaultESE_EEEESG_ZNS1_13binary_searchIS3_S5_NSA_INS8_10device_ptrIiEEEESG_SG_NS1_16binary_search_opENS9_16wrapped_functionINS8_6system6detail7generic6detail18binary_search_lessEbEEEE10hipError_tPvRmT1_T2_T3_mmT4_T5_P12ihipStream_tbEUlRKiE_EEST_SX_SY_mSZ_S12_bEUlT_E_NS1_11comp_targetILNS1_3genE10ELNS1_11target_archE1200ELNS1_3gpuE4ELNS1_3repE0EEENS1_30default_config_static_selectorELNS0_4arch9wavefront6targetE0EEEvSW_
                                        ; -- End function
	.set _ZN7rocprim17ROCPRIM_400000_NS6detail17trampoline_kernelINS0_14default_configENS1_29binary_search_config_selectorIiiEEZNS1_14transform_implILb0ES3_S5_N6thrust23THRUST_200600_302600_NS6detail15normal_iteratorINS8_7pointerIiNS8_11hip_rocprim5par_tENS8_11use_defaultESE_EEEESG_ZNS1_13binary_searchIS3_S5_NSA_INS8_10device_ptrIiEEEESG_SG_NS1_16binary_search_opENS9_16wrapped_functionINS8_6system6detail7generic6detail18binary_search_lessEbEEEE10hipError_tPvRmT1_T2_T3_mmT4_T5_P12ihipStream_tbEUlRKiE_EEST_SX_SY_mSZ_S12_bEUlT_E_NS1_11comp_targetILNS1_3genE10ELNS1_11target_archE1200ELNS1_3gpuE4ELNS1_3repE0EEENS1_30default_config_static_selectorELNS0_4arch9wavefront6targetE0EEEvSW_.num_vgpr, 0
	.set _ZN7rocprim17ROCPRIM_400000_NS6detail17trampoline_kernelINS0_14default_configENS1_29binary_search_config_selectorIiiEEZNS1_14transform_implILb0ES3_S5_N6thrust23THRUST_200600_302600_NS6detail15normal_iteratorINS8_7pointerIiNS8_11hip_rocprim5par_tENS8_11use_defaultESE_EEEESG_ZNS1_13binary_searchIS3_S5_NSA_INS8_10device_ptrIiEEEESG_SG_NS1_16binary_search_opENS9_16wrapped_functionINS8_6system6detail7generic6detail18binary_search_lessEbEEEE10hipError_tPvRmT1_T2_T3_mmT4_T5_P12ihipStream_tbEUlRKiE_EEST_SX_SY_mSZ_S12_bEUlT_E_NS1_11comp_targetILNS1_3genE10ELNS1_11target_archE1200ELNS1_3gpuE4ELNS1_3repE0EEENS1_30default_config_static_selectorELNS0_4arch9wavefront6targetE0EEEvSW_.num_agpr, 0
	.set _ZN7rocprim17ROCPRIM_400000_NS6detail17trampoline_kernelINS0_14default_configENS1_29binary_search_config_selectorIiiEEZNS1_14transform_implILb0ES3_S5_N6thrust23THRUST_200600_302600_NS6detail15normal_iteratorINS8_7pointerIiNS8_11hip_rocprim5par_tENS8_11use_defaultESE_EEEESG_ZNS1_13binary_searchIS3_S5_NSA_INS8_10device_ptrIiEEEESG_SG_NS1_16binary_search_opENS9_16wrapped_functionINS8_6system6detail7generic6detail18binary_search_lessEbEEEE10hipError_tPvRmT1_T2_T3_mmT4_T5_P12ihipStream_tbEUlRKiE_EEST_SX_SY_mSZ_S12_bEUlT_E_NS1_11comp_targetILNS1_3genE10ELNS1_11target_archE1200ELNS1_3gpuE4ELNS1_3repE0EEENS1_30default_config_static_selectorELNS0_4arch9wavefront6targetE0EEEvSW_.numbered_sgpr, 0
	.set _ZN7rocprim17ROCPRIM_400000_NS6detail17trampoline_kernelINS0_14default_configENS1_29binary_search_config_selectorIiiEEZNS1_14transform_implILb0ES3_S5_N6thrust23THRUST_200600_302600_NS6detail15normal_iteratorINS8_7pointerIiNS8_11hip_rocprim5par_tENS8_11use_defaultESE_EEEESG_ZNS1_13binary_searchIS3_S5_NSA_INS8_10device_ptrIiEEEESG_SG_NS1_16binary_search_opENS9_16wrapped_functionINS8_6system6detail7generic6detail18binary_search_lessEbEEEE10hipError_tPvRmT1_T2_T3_mmT4_T5_P12ihipStream_tbEUlRKiE_EEST_SX_SY_mSZ_S12_bEUlT_E_NS1_11comp_targetILNS1_3genE10ELNS1_11target_archE1200ELNS1_3gpuE4ELNS1_3repE0EEENS1_30default_config_static_selectorELNS0_4arch9wavefront6targetE0EEEvSW_.num_named_barrier, 0
	.set _ZN7rocprim17ROCPRIM_400000_NS6detail17trampoline_kernelINS0_14default_configENS1_29binary_search_config_selectorIiiEEZNS1_14transform_implILb0ES3_S5_N6thrust23THRUST_200600_302600_NS6detail15normal_iteratorINS8_7pointerIiNS8_11hip_rocprim5par_tENS8_11use_defaultESE_EEEESG_ZNS1_13binary_searchIS3_S5_NSA_INS8_10device_ptrIiEEEESG_SG_NS1_16binary_search_opENS9_16wrapped_functionINS8_6system6detail7generic6detail18binary_search_lessEbEEEE10hipError_tPvRmT1_T2_T3_mmT4_T5_P12ihipStream_tbEUlRKiE_EEST_SX_SY_mSZ_S12_bEUlT_E_NS1_11comp_targetILNS1_3genE10ELNS1_11target_archE1200ELNS1_3gpuE4ELNS1_3repE0EEENS1_30default_config_static_selectorELNS0_4arch9wavefront6targetE0EEEvSW_.private_seg_size, 0
	.set _ZN7rocprim17ROCPRIM_400000_NS6detail17trampoline_kernelINS0_14default_configENS1_29binary_search_config_selectorIiiEEZNS1_14transform_implILb0ES3_S5_N6thrust23THRUST_200600_302600_NS6detail15normal_iteratorINS8_7pointerIiNS8_11hip_rocprim5par_tENS8_11use_defaultESE_EEEESG_ZNS1_13binary_searchIS3_S5_NSA_INS8_10device_ptrIiEEEESG_SG_NS1_16binary_search_opENS9_16wrapped_functionINS8_6system6detail7generic6detail18binary_search_lessEbEEEE10hipError_tPvRmT1_T2_T3_mmT4_T5_P12ihipStream_tbEUlRKiE_EEST_SX_SY_mSZ_S12_bEUlT_E_NS1_11comp_targetILNS1_3genE10ELNS1_11target_archE1200ELNS1_3gpuE4ELNS1_3repE0EEENS1_30default_config_static_selectorELNS0_4arch9wavefront6targetE0EEEvSW_.uses_vcc, 0
	.set _ZN7rocprim17ROCPRIM_400000_NS6detail17trampoline_kernelINS0_14default_configENS1_29binary_search_config_selectorIiiEEZNS1_14transform_implILb0ES3_S5_N6thrust23THRUST_200600_302600_NS6detail15normal_iteratorINS8_7pointerIiNS8_11hip_rocprim5par_tENS8_11use_defaultESE_EEEESG_ZNS1_13binary_searchIS3_S5_NSA_INS8_10device_ptrIiEEEESG_SG_NS1_16binary_search_opENS9_16wrapped_functionINS8_6system6detail7generic6detail18binary_search_lessEbEEEE10hipError_tPvRmT1_T2_T3_mmT4_T5_P12ihipStream_tbEUlRKiE_EEST_SX_SY_mSZ_S12_bEUlT_E_NS1_11comp_targetILNS1_3genE10ELNS1_11target_archE1200ELNS1_3gpuE4ELNS1_3repE0EEENS1_30default_config_static_selectorELNS0_4arch9wavefront6targetE0EEEvSW_.uses_flat_scratch, 0
	.set _ZN7rocprim17ROCPRIM_400000_NS6detail17trampoline_kernelINS0_14default_configENS1_29binary_search_config_selectorIiiEEZNS1_14transform_implILb0ES3_S5_N6thrust23THRUST_200600_302600_NS6detail15normal_iteratorINS8_7pointerIiNS8_11hip_rocprim5par_tENS8_11use_defaultESE_EEEESG_ZNS1_13binary_searchIS3_S5_NSA_INS8_10device_ptrIiEEEESG_SG_NS1_16binary_search_opENS9_16wrapped_functionINS8_6system6detail7generic6detail18binary_search_lessEbEEEE10hipError_tPvRmT1_T2_T3_mmT4_T5_P12ihipStream_tbEUlRKiE_EEST_SX_SY_mSZ_S12_bEUlT_E_NS1_11comp_targetILNS1_3genE10ELNS1_11target_archE1200ELNS1_3gpuE4ELNS1_3repE0EEENS1_30default_config_static_selectorELNS0_4arch9wavefront6targetE0EEEvSW_.has_dyn_sized_stack, 0
	.set _ZN7rocprim17ROCPRIM_400000_NS6detail17trampoline_kernelINS0_14default_configENS1_29binary_search_config_selectorIiiEEZNS1_14transform_implILb0ES3_S5_N6thrust23THRUST_200600_302600_NS6detail15normal_iteratorINS8_7pointerIiNS8_11hip_rocprim5par_tENS8_11use_defaultESE_EEEESG_ZNS1_13binary_searchIS3_S5_NSA_INS8_10device_ptrIiEEEESG_SG_NS1_16binary_search_opENS9_16wrapped_functionINS8_6system6detail7generic6detail18binary_search_lessEbEEEE10hipError_tPvRmT1_T2_T3_mmT4_T5_P12ihipStream_tbEUlRKiE_EEST_SX_SY_mSZ_S12_bEUlT_E_NS1_11comp_targetILNS1_3genE10ELNS1_11target_archE1200ELNS1_3gpuE4ELNS1_3repE0EEENS1_30default_config_static_selectorELNS0_4arch9wavefront6targetE0EEEvSW_.has_recursion, 0
	.set _ZN7rocprim17ROCPRIM_400000_NS6detail17trampoline_kernelINS0_14default_configENS1_29binary_search_config_selectorIiiEEZNS1_14transform_implILb0ES3_S5_N6thrust23THRUST_200600_302600_NS6detail15normal_iteratorINS8_7pointerIiNS8_11hip_rocprim5par_tENS8_11use_defaultESE_EEEESG_ZNS1_13binary_searchIS3_S5_NSA_INS8_10device_ptrIiEEEESG_SG_NS1_16binary_search_opENS9_16wrapped_functionINS8_6system6detail7generic6detail18binary_search_lessEbEEEE10hipError_tPvRmT1_T2_T3_mmT4_T5_P12ihipStream_tbEUlRKiE_EEST_SX_SY_mSZ_S12_bEUlT_E_NS1_11comp_targetILNS1_3genE10ELNS1_11target_archE1200ELNS1_3gpuE4ELNS1_3repE0EEENS1_30default_config_static_selectorELNS0_4arch9wavefront6targetE0EEEvSW_.has_indirect_call, 0
	.section	.AMDGPU.csdata,"",@progbits
; Kernel info:
; codeLenInByte = 0
; TotalNumSgprs: 0
; NumVgprs: 0
; ScratchSize: 0
; MemoryBound: 0
; FloatMode: 240
; IeeeMode: 1
; LDSByteSize: 0 bytes/workgroup (compile time only)
; SGPRBlocks: 0
; VGPRBlocks: 0
; NumSGPRsForWavesPerEU: 1
; NumVGPRsForWavesPerEU: 1
; Occupancy: 16
; WaveLimiterHint : 0
; COMPUTE_PGM_RSRC2:SCRATCH_EN: 0
; COMPUTE_PGM_RSRC2:USER_SGPR: 6
; COMPUTE_PGM_RSRC2:TRAP_HANDLER: 0
; COMPUTE_PGM_RSRC2:TGID_X_EN: 1
; COMPUTE_PGM_RSRC2:TGID_Y_EN: 0
; COMPUTE_PGM_RSRC2:TGID_Z_EN: 0
; COMPUTE_PGM_RSRC2:TIDIG_COMP_CNT: 0
	.section	.text._ZN7rocprim17ROCPRIM_400000_NS6detail17trampoline_kernelINS0_14default_configENS1_29binary_search_config_selectorIiiEEZNS1_14transform_implILb0ES3_S5_N6thrust23THRUST_200600_302600_NS6detail15normal_iteratorINS8_7pointerIiNS8_11hip_rocprim5par_tENS8_11use_defaultESE_EEEESG_ZNS1_13binary_searchIS3_S5_NSA_INS8_10device_ptrIiEEEESG_SG_NS1_16binary_search_opENS9_16wrapped_functionINS8_6system6detail7generic6detail18binary_search_lessEbEEEE10hipError_tPvRmT1_T2_T3_mmT4_T5_P12ihipStream_tbEUlRKiE_EEST_SX_SY_mSZ_S12_bEUlT_E_NS1_11comp_targetILNS1_3genE9ELNS1_11target_archE1100ELNS1_3gpuE3ELNS1_3repE0EEENS1_30default_config_static_selectorELNS0_4arch9wavefront6targetE0EEEvSW_,"axG",@progbits,_ZN7rocprim17ROCPRIM_400000_NS6detail17trampoline_kernelINS0_14default_configENS1_29binary_search_config_selectorIiiEEZNS1_14transform_implILb0ES3_S5_N6thrust23THRUST_200600_302600_NS6detail15normal_iteratorINS8_7pointerIiNS8_11hip_rocprim5par_tENS8_11use_defaultESE_EEEESG_ZNS1_13binary_searchIS3_S5_NSA_INS8_10device_ptrIiEEEESG_SG_NS1_16binary_search_opENS9_16wrapped_functionINS8_6system6detail7generic6detail18binary_search_lessEbEEEE10hipError_tPvRmT1_T2_T3_mmT4_T5_P12ihipStream_tbEUlRKiE_EEST_SX_SY_mSZ_S12_bEUlT_E_NS1_11comp_targetILNS1_3genE9ELNS1_11target_archE1100ELNS1_3gpuE3ELNS1_3repE0EEENS1_30default_config_static_selectorELNS0_4arch9wavefront6targetE0EEEvSW_,comdat
	.protected	_ZN7rocprim17ROCPRIM_400000_NS6detail17trampoline_kernelINS0_14default_configENS1_29binary_search_config_selectorIiiEEZNS1_14transform_implILb0ES3_S5_N6thrust23THRUST_200600_302600_NS6detail15normal_iteratorINS8_7pointerIiNS8_11hip_rocprim5par_tENS8_11use_defaultESE_EEEESG_ZNS1_13binary_searchIS3_S5_NSA_INS8_10device_ptrIiEEEESG_SG_NS1_16binary_search_opENS9_16wrapped_functionINS8_6system6detail7generic6detail18binary_search_lessEbEEEE10hipError_tPvRmT1_T2_T3_mmT4_T5_P12ihipStream_tbEUlRKiE_EEST_SX_SY_mSZ_S12_bEUlT_E_NS1_11comp_targetILNS1_3genE9ELNS1_11target_archE1100ELNS1_3gpuE3ELNS1_3repE0EEENS1_30default_config_static_selectorELNS0_4arch9wavefront6targetE0EEEvSW_ ; -- Begin function _ZN7rocprim17ROCPRIM_400000_NS6detail17trampoline_kernelINS0_14default_configENS1_29binary_search_config_selectorIiiEEZNS1_14transform_implILb0ES3_S5_N6thrust23THRUST_200600_302600_NS6detail15normal_iteratorINS8_7pointerIiNS8_11hip_rocprim5par_tENS8_11use_defaultESE_EEEESG_ZNS1_13binary_searchIS3_S5_NSA_INS8_10device_ptrIiEEEESG_SG_NS1_16binary_search_opENS9_16wrapped_functionINS8_6system6detail7generic6detail18binary_search_lessEbEEEE10hipError_tPvRmT1_T2_T3_mmT4_T5_P12ihipStream_tbEUlRKiE_EEST_SX_SY_mSZ_S12_bEUlT_E_NS1_11comp_targetILNS1_3genE9ELNS1_11target_archE1100ELNS1_3gpuE3ELNS1_3repE0EEENS1_30default_config_static_selectorELNS0_4arch9wavefront6targetE0EEEvSW_
	.globl	_ZN7rocprim17ROCPRIM_400000_NS6detail17trampoline_kernelINS0_14default_configENS1_29binary_search_config_selectorIiiEEZNS1_14transform_implILb0ES3_S5_N6thrust23THRUST_200600_302600_NS6detail15normal_iteratorINS8_7pointerIiNS8_11hip_rocprim5par_tENS8_11use_defaultESE_EEEESG_ZNS1_13binary_searchIS3_S5_NSA_INS8_10device_ptrIiEEEESG_SG_NS1_16binary_search_opENS9_16wrapped_functionINS8_6system6detail7generic6detail18binary_search_lessEbEEEE10hipError_tPvRmT1_T2_T3_mmT4_T5_P12ihipStream_tbEUlRKiE_EEST_SX_SY_mSZ_S12_bEUlT_E_NS1_11comp_targetILNS1_3genE9ELNS1_11target_archE1100ELNS1_3gpuE3ELNS1_3repE0EEENS1_30default_config_static_selectorELNS0_4arch9wavefront6targetE0EEEvSW_
	.p2align	8
	.type	_ZN7rocprim17ROCPRIM_400000_NS6detail17trampoline_kernelINS0_14default_configENS1_29binary_search_config_selectorIiiEEZNS1_14transform_implILb0ES3_S5_N6thrust23THRUST_200600_302600_NS6detail15normal_iteratorINS8_7pointerIiNS8_11hip_rocprim5par_tENS8_11use_defaultESE_EEEESG_ZNS1_13binary_searchIS3_S5_NSA_INS8_10device_ptrIiEEEESG_SG_NS1_16binary_search_opENS9_16wrapped_functionINS8_6system6detail7generic6detail18binary_search_lessEbEEEE10hipError_tPvRmT1_T2_T3_mmT4_T5_P12ihipStream_tbEUlRKiE_EEST_SX_SY_mSZ_S12_bEUlT_E_NS1_11comp_targetILNS1_3genE9ELNS1_11target_archE1100ELNS1_3gpuE3ELNS1_3repE0EEENS1_30default_config_static_selectorELNS0_4arch9wavefront6targetE0EEEvSW_,@function
_ZN7rocprim17ROCPRIM_400000_NS6detail17trampoline_kernelINS0_14default_configENS1_29binary_search_config_selectorIiiEEZNS1_14transform_implILb0ES3_S5_N6thrust23THRUST_200600_302600_NS6detail15normal_iteratorINS8_7pointerIiNS8_11hip_rocprim5par_tENS8_11use_defaultESE_EEEESG_ZNS1_13binary_searchIS3_S5_NSA_INS8_10device_ptrIiEEEESG_SG_NS1_16binary_search_opENS9_16wrapped_functionINS8_6system6detail7generic6detail18binary_search_lessEbEEEE10hipError_tPvRmT1_T2_T3_mmT4_T5_P12ihipStream_tbEUlRKiE_EEST_SX_SY_mSZ_S12_bEUlT_E_NS1_11comp_targetILNS1_3genE9ELNS1_11target_archE1100ELNS1_3gpuE3ELNS1_3repE0EEENS1_30default_config_static_selectorELNS0_4arch9wavefront6targetE0EEEvSW_: ; @_ZN7rocprim17ROCPRIM_400000_NS6detail17trampoline_kernelINS0_14default_configENS1_29binary_search_config_selectorIiiEEZNS1_14transform_implILb0ES3_S5_N6thrust23THRUST_200600_302600_NS6detail15normal_iteratorINS8_7pointerIiNS8_11hip_rocprim5par_tENS8_11use_defaultESE_EEEESG_ZNS1_13binary_searchIS3_S5_NSA_INS8_10device_ptrIiEEEESG_SG_NS1_16binary_search_opENS9_16wrapped_functionINS8_6system6detail7generic6detail18binary_search_lessEbEEEE10hipError_tPvRmT1_T2_T3_mmT4_T5_P12ihipStream_tbEUlRKiE_EEST_SX_SY_mSZ_S12_bEUlT_E_NS1_11comp_targetILNS1_3genE9ELNS1_11target_archE1100ELNS1_3gpuE3ELNS1_3repE0EEENS1_30default_config_static_selectorELNS0_4arch9wavefront6targetE0EEEvSW_
; %bb.0:
	.section	.rodata,"a",@progbits
	.p2align	6, 0x0
	.amdhsa_kernel _ZN7rocprim17ROCPRIM_400000_NS6detail17trampoline_kernelINS0_14default_configENS1_29binary_search_config_selectorIiiEEZNS1_14transform_implILb0ES3_S5_N6thrust23THRUST_200600_302600_NS6detail15normal_iteratorINS8_7pointerIiNS8_11hip_rocprim5par_tENS8_11use_defaultESE_EEEESG_ZNS1_13binary_searchIS3_S5_NSA_INS8_10device_ptrIiEEEESG_SG_NS1_16binary_search_opENS9_16wrapped_functionINS8_6system6detail7generic6detail18binary_search_lessEbEEEE10hipError_tPvRmT1_T2_T3_mmT4_T5_P12ihipStream_tbEUlRKiE_EEST_SX_SY_mSZ_S12_bEUlT_E_NS1_11comp_targetILNS1_3genE9ELNS1_11target_archE1100ELNS1_3gpuE3ELNS1_3repE0EEENS1_30default_config_static_selectorELNS0_4arch9wavefront6targetE0EEEvSW_
		.amdhsa_group_segment_fixed_size 0
		.amdhsa_private_segment_fixed_size 0
		.amdhsa_kernarg_size 56
		.amdhsa_user_sgpr_count 6
		.amdhsa_user_sgpr_private_segment_buffer 1
		.amdhsa_user_sgpr_dispatch_ptr 0
		.amdhsa_user_sgpr_queue_ptr 0
		.amdhsa_user_sgpr_kernarg_segment_ptr 1
		.amdhsa_user_sgpr_dispatch_id 0
		.amdhsa_user_sgpr_flat_scratch_init 0
		.amdhsa_user_sgpr_private_segment_size 0
		.amdhsa_wavefront_size32 1
		.amdhsa_uses_dynamic_stack 0
		.amdhsa_system_sgpr_private_segment_wavefront_offset 0
		.amdhsa_system_sgpr_workgroup_id_x 1
		.amdhsa_system_sgpr_workgroup_id_y 0
		.amdhsa_system_sgpr_workgroup_id_z 0
		.amdhsa_system_sgpr_workgroup_info 0
		.amdhsa_system_vgpr_workitem_id 0
		.amdhsa_next_free_vgpr 1
		.amdhsa_next_free_sgpr 1
		.amdhsa_reserve_vcc 0
		.amdhsa_reserve_flat_scratch 0
		.amdhsa_float_round_mode_32 0
		.amdhsa_float_round_mode_16_64 0
		.amdhsa_float_denorm_mode_32 3
		.amdhsa_float_denorm_mode_16_64 3
		.amdhsa_dx10_clamp 1
		.amdhsa_ieee_mode 1
		.amdhsa_fp16_overflow 0
		.amdhsa_workgroup_processor_mode 1
		.amdhsa_memory_ordered 1
		.amdhsa_forward_progress 1
		.amdhsa_shared_vgpr_count 0
		.amdhsa_exception_fp_ieee_invalid_op 0
		.amdhsa_exception_fp_denorm_src 0
		.amdhsa_exception_fp_ieee_div_zero 0
		.amdhsa_exception_fp_ieee_overflow 0
		.amdhsa_exception_fp_ieee_underflow 0
		.amdhsa_exception_fp_ieee_inexact 0
		.amdhsa_exception_int_div_zero 0
	.end_amdhsa_kernel
	.section	.text._ZN7rocprim17ROCPRIM_400000_NS6detail17trampoline_kernelINS0_14default_configENS1_29binary_search_config_selectorIiiEEZNS1_14transform_implILb0ES3_S5_N6thrust23THRUST_200600_302600_NS6detail15normal_iteratorINS8_7pointerIiNS8_11hip_rocprim5par_tENS8_11use_defaultESE_EEEESG_ZNS1_13binary_searchIS3_S5_NSA_INS8_10device_ptrIiEEEESG_SG_NS1_16binary_search_opENS9_16wrapped_functionINS8_6system6detail7generic6detail18binary_search_lessEbEEEE10hipError_tPvRmT1_T2_T3_mmT4_T5_P12ihipStream_tbEUlRKiE_EEST_SX_SY_mSZ_S12_bEUlT_E_NS1_11comp_targetILNS1_3genE9ELNS1_11target_archE1100ELNS1_3gpuE3ELNS1_3repE0EEENS1_30default_config_static_selectorELNS0_4arch9wavefront6targetE0EEEvSW_,"axG",@progbits,_ZN7rocprim17ROCPRIM_400000_NS6detail17trampoline_kernelINS0_14default_configENS1_29binary_search_config_selectorIiiEEZNS1_14transform_implILb0ES3_S5_N6thrust23THRUST_200600_302600_NS6detail15normal_iteratorINS8_7pointerIiNS8_11hip_rocprim5par_tENS8_11use_defaultESE_EEEESG_ZNS1_13binary_searchIS3_S5_NSA_INS8_10device_ptrIiEEEESG_SG_NS1_16binary_search_opENS9_16wrapped_functionINS8_6system6detail7generic6detail18binary_search_lessEbEEEE10hipError_tPvRmT1_T2_T3_mmT4_T5_P12ihipStream_tbEUlRKiE_EEST_SX_SY_mSZ_S12_bEUlT_E_NS1_11comp_targetILNS1_3genE9ELNS1_11target_archE1100ELNS1_3gpuE3ELNS1_3repE0EEENS1_30default_config_static_selectorELNS0_4arch9wavefront6targetE0EEEvSW_,comdat
.Lfunc_end714:
	.size	_ZN7rocprim17ROCPRIM_400000_NS6detail17trampoline_kernelINS0_14default_configENS1_29binary_search_config_selectorIiiEEZNS1_14transform_implILb0ES3_S5_N6thrust23THRUST_200600_302600_NS6detail15normal_iteratorINS8_7pointerIiNS8_11hip_rocprim5par_tENS8_11use_defaultESE_EEEESG_ZNS1_13binary_searchIS3_S5_NSA_INS8_10device_ptrIiEEEESG_SG_NS1_16binary_search_opENS9_16wrapped_functionINS8_6system6detail7generic6detail18binary_search_lessEbEEEE10hipError_tPvRmT1_T2_T3_mmT4_T5_P12ihipStream_tbEUlRKiE_EEST_SX_SY_mSZ_S12_bEUlT_E_NS1_11comp_targetILNS1_3genE9ELNS1_11target_archE1100ELNS1_3gpuE3ELNS1_3repE0EEENS1_30default_config_static_selectorELNS0_4arch9wavefront6targetE0EEEvSW_, .Lfunc_end714-_ZN7rocprim17ROCPRIM_400000_NS6detail17trampoline_kernelINS0_14default_configENS1_29binary_search_config_selectorIiiEEZNS1_14transform_implILb0ES3_S5_N6thrust23THRUST_200600_302600_NS6detail15normal_iteratorINS8_7pointerIiNS8_11hip_rocprim5par_tENS8_11use_defaultESE_EEEESG_ZNS1_13binary_searchIS3_S5_NSA_INS8_10device_ptrIiEEEESG_SG_NS1_16binary_search_opENS9_16wrapped_functionINS8_6system6detail7generic6detail18binary_search_lessEbEEEE10hipError_tPvRmT1_T2_T3_mmT4_T5_P12ihipStream_tbEUlRKiE_EEST_SX_SY_mSZ_S12_bEUlT_E_NS1_11comp_targetILNS1_3genE9ELNS1_11target_archE1100ELNS1_3gpuE3ELNS1_3repE0EEENS1_30default_config_static_selectorELNS0_4arch9wavefront6targetE0EEEvSW_
                                        ; -- End function
	.set _ZN7rocprim17ROCPRIM_400000_NS6detail17trampoline_kernelINS0_14default_configENS1_29binary_search_config_selectorIiiEEZNS1_14transform_implILb0ES3_S5_N6thrust23THRUST_200600_302600_NS6detail15normal_iteratorINS8_7pointerIiNS8_11hip_rocprim5par_tENS8_11use_defaultESE_EEEESG_ZNS1_13binary_searchIS3_S5_NSA_INS8_10device_ptrIiEEEESG_SG_NS1_16binary_search_opENS9_16wrapped_functionINS8_6system6detail7generic6detail18binary_search_lessEbEEEE10hipError_tPvRmT1_T2_T3_mmT4_T5_P12ihipStream_tbEUlRKiE_EEST_SX_SY_mSZ_S12_bEUlT_E_NS1_11comp_targetILNS1_3genE9ELNS1_11target_archE1100ELNS1_3gpuE3ELNS1_3repE0EEENS1_30default_config_static_selectorELNS0_4arch9wavefront6targetE0EEEvSW_.num_vgpr, 0
	.set _ZN7rocprim17ROCPRIM_400000_NS6detail17trampoline_kernelINS0_14default_configENS1_29binary_search_config_selectorIiiEEZNS1_14transform_implILb0ES3_S5_N6thrust23THRUST_200600_302600_NS6detail15normal_iteratorINS8_7pointerIiNS8_11hip_rocprim5par_tENS8_11use_defaultESE_EEEESG_ZNS1_13binary_searchIS3_S5_NSA_INS8_10device_ptrIiEEEESG_SG_NS1_16binary_search_opENS9_16wrapped_functionINS8_6system6detail7generic6detail18binary_search_lessEbEEEE10hipError_tPvRmT1_T2_T3_mmT4_T5_P12ihipStream_tbEUlRKiE_EEST_SX_SY_mSZ_S12_bEUlT_E_NS1_11comp_targetILNS1_3genE9ELNS1_11target_archE1100ELNS1_3gpuE3ELNS1_3repE0EEENS1_30default_config_static_selectorELNS0_4arch9wavefront6targetE0EEEvSW_.num_agpr, 0
	.set _ZN7rocprim17ROCPRIM_400000_NS6detail17trampoline_kernelINS0_14default_configENS1_29binary_search_config_selectorIiiEEZNS1_14transform_implILb0ES3_S5_N6thrust23THRUST_200600_302600_NS6detail15normal_iteratorINS8_7pointerIiNS8_11hip_rocprim5par_tENS8_11use_defaultESE_EEEESG_ZNS1_13binary_searchIS3_S5_NSA_INS8_10device_ptrIiEEEESG_SG_NS1_16binary_search_opENS9_16wrapped_functionINS8_6system6detail7generic6detail18binary_search_lessEbEEEE10hipError_tPvRmT1_T2_T3_mmT4_T5_P12ihipStream_tbEUlRKiE_EEST_SX_SY_mSZ_S12_bEUlT_E_NS1_11comp_targetILNS1_3genE9ELNS1_11target_archE1100ELNS1_3gpuE3ELNS1_3repE0EEENS1_30default_config_static_selectorELNS0_4arch9wavefront6targetE0EEEvSW_.numbered_sgpr, 0
	.set _ZN7rocprim17ROCPRIM_400000_NS6detail17trampoline_kernelINS0_14default_configENS1_29binary_search_config_selectorIiiEEZNS1_14transform_implILb0ES3_S5_N6thrust23THRUST_200600_302600_NS6detail15normal_iteratorINS8_7pointerIiNS8_11hip_rocprim5par_tENS8_11use_defaultESE_EEEESG_ZNS1_13binary_searchIS3_S5_NSA_INS8_10device_ptrIiEEEESG_SG_NS1_16binary_search_opENS9_16wrapped_functionINS8_6system6detail7generic6detail18binary_search_lessEbEEEE10hipError_tPvRmT1_T2_T3_mmT4_T5_P12ihipStream_tbEUlRKiE_EEST_SX_SY_mSZ_S12_bEUlT_E_NS1_11comp_targetILNS1_3genE9ELNS1_11target_archE1100ELNS1_3gpuE3ELNS1_3repE0EEENS1_30default_config_static_selectorELNS0_4arch9wavefront6targetE0EEEvSW_.num_named_barrier, 0
	.set _ZN7rocprim17ROCPRIM_400000_NS6detail17trampoline_kernelINS0_14default_configENS1_29binary_search_config_selectorIiiEEZNS1_14transform_implILb0ES3_S5_N6thrust23THRUST_200600_302600_NS6detail15normal_iteratorINS8_7pointerIiNS8_11hip_rocprim5par_tENS8_11use_defaultESE_EEEESG_ZNS1_13binary_searchIS3_S5_NSA_INS8_10device_ptrIiEEEESG_SG_NS1_16binary_search_opENS9_16wrapped_functionINS8_6system6detail7generic6detail18binary_search_lessEbEEEE10hipError_tPvRmT1_T2_T3_mmT4_T5_P12ihipStream_tbEUlRKiE_EEST_SX_SY_mSZ_S12_bEUlT_E_NS1_11comp_targetILNS1_3genE9ELNS1_11target_archE1100ELNS1_3gpuE3ELNS1_3repE0EEENS1_30default_config_static_selectorELNS0_4arch9wavefront6targetE0EEEvSW_.private_seg_size, 0
	.set _ZN7rocprim17ROCPRIM_400000_NS6detail17trampoline_kernelINS0_14default_configENS1_29binary_search_config_selectorIiiEEZNS1_14transform_implILb0ES3_S5_N6thrust23THRUST_200600_302600_NS6detail15normal_iteratorINS8_7pointerIiNS8_11hip_rocprim5par_tENS8_11use_defaultESE_EEEESG_ZNS1_13binary_searchIS3_S5_NSA_INS8_10device_ptrIiEEEESG_SG_NS1_16binary_search_opENS9_16wrapped_functionINS8_6system6detail7generic6detail18binary_search_lessEbEEEE10hipError_tPvRmT1_T2_T3_mmT4_T5_P12ihipStream_tbEUlRKiE_EEST_SX_SY_mSZ_S12_bEUlT_E_NS1_11comp_targetILNS1_3genE9ELNS1_11target_archE1100ELNS1_3gpuE3ELNS1_3repE0EEENS1_30default_config_static_selectorELNS0_4arch9wavefront6targetE0EEEvSW_.uses_vcc, 0
	.set _ZN7rocprim17ROCPRIM_400000_NS6detail17trampoline_kernelINS0_14default_configENS1_29binary_search_config_selectorIiiEEZNS1_14transform_implILb0ES3_S5_N6thrust23THRUST_200600_302600_NS6detail15normal_iteratorINS8_7pointerIiNS8_11hip_rocprim5par_tENS8_11use_defaultESE_EEEESG_ZNS1_13binary_searchIS3_S5_NSA_INS8_10device_ptrIiEEEESG_SG_NS1_16binary_search_opENS9_16wrapped_functionINS8_6system6detail7generic6detail18binary_search_lessEbEEEE10hipError_tPvRmT1_T2_T3_mmT4_T5_P12ihipStream_tbEUlRKiE_EEST_SX_SY_mSZ_S12_bEUlT_E_NS1_11comp_targetILNS1_3genE9ELNS1_11target_archE1100ELNS1_3gpuE3ELNS1_3repE0EEENS1_30default_config_static_selectorELNS0_4arch9wavefront6targetE0EEEvSW_.uses_flat_scratch, 0
	.set _ZN7rocprim17ROCPRIM_400000_NS6detail17trampoline_kernelINS0_14default_configENS1_29binary_search_config_selectorIiiEEZNS1_14transform_implILb0ES3_S5_N6thrust23THRUST_200600_302600_NS6detail15normal_iteratorINS8_7pointerIiNS8_11hip_rocprim5par_tENS8_11use_defaultESE_EEEESG_ZNS1_13binary_searchIS3_S5_NSA_INS8_10device_ptrIiEEEESG_SG_NS1_16binary_search_opENS9_16wrapped_functionINS8_6system6detail7generic6detail18binary_search_lessEbEEEE10hipError_tPvRmT1_T2_T3_mmT4_T5_P12ihipStream_tbEUlRKiE_EEST_SX_SY_mSZ_S12_bEUlT_E_NS1_11comp_targetILNS1_3genE9ELNS1_11target_archE1100ELNS1_3gpuE3ELNS1_3repE0EEENS1_30default_config_static_selectorELNS0_4arch9wavefront6targetE0EEEvSW_.has_dyn_sized_stack, 0
	.set _ZN7rocprim17ROCPRIM_400000_NS6detail17trampoline_kernelINS0_14default_configENS1_29binary_search_config_selectorIiiEEZNS1_14transform_implILb0ES3_S5_N6thrust23THRUST_200600_302600_NS6detail15normal_iteratorINS8_7pointerIiNS8_11hip_rocprim5par_tENS8_11use_defaultESE_EEEESG_ZNS1_13binary_searchIS3_S5_NSA_INS8_10device_ptrIiEEEESG_SG_NS1_16binary_search_opENS9_16wrapped_functionINS8_6system6detail7generic6detail18binary_search_lessEbEEEE10hipError_tPvRmT1_T2_T3_mmT4_T5_P12ihipStream_tbEUlRKiE_EEST_SX_SY_mSZ_S12_bEUlT_E_NS1_11comp_targetILNS1_3genE9ELNS1_11target_archE1100ELNS1_3gpuE3ELNS1_3repE0EEENS1_30default_config_static_selectorELNS0_4arch9wavefront6targetE0EEEvSW_.has_recursion, 0
	.set _ZN7rocprim17ROCPRIM_400000_NS6detail17trampoline_kernelINS0_14default_configENS1_29binary_search_config_selectorIiiEEZNS1_14transform_implILb0ES3_S5_N6thrust23THRUST_200600_302600_NS6detail15normal_iteratorINS8_7pointerIiNS8_11hip_rocprim5par_tENS8_11use_defaultESE_EEEESG_ZNS1_13binary_searchIS3_S5_NSA_INS8_10device_ptrIiEEEESG_SG_NS1_16binary_search_opENS9_16wrapped_functionINS8_6system6detail7generic6detail18binary_search_lessEbEEEE10hipError_tPvRmT1_T2_T3_mmT4_T5_P12ihipStream_tbEUlRKiE_EEST_SX_SY_mSZ_S12_bEUlT_E_NS1_11comp_targetILNS1_3genE9ELNS1_11target_archE1100ELNS1_3gpuE3ELNS1_3repE0EEENS1_30default_config_static_selectorELNS0_4arch9wavefront6targetE0EEEvSW_.has_indirect_call, 0
	.section	.AMDGPU.csdata,"",@progbits
; Kernel info:
; codeLenInByte = 0
; TotalNumSgprs: 0
; NumVgprs: 0
; ScratchSize: 0
; MemoryBound: 0
; FloatMode: 240
; IeeeMode: 1
; LDSByteSize: 0 bytes/workgroup (compile time only)
; SGPRBlocks: 0
; VGPRBlocks: 0
; NumSGPRsForWavesPerEU: 1
; NumVGPRsForWavesPerEU: 1
; Occupancy: 16
; WaveLimiterHint : 0
; COMPUTE_PGM_RSRC2:SCRATCH_EN: 0
; COMPUTE_PGM_RSRC2:USER_SGPR: 6
; COMPUTE_PGM_RSRC2:TRAP_HANDLER: 0
; COMPUTE_PGM_RSRC2:TGID_X_EN: 1
; COMPUTE_PGM_RSRC2:TGID_Y_EN: 0
; COMPUTE_PGM_RSRC2:TGID_Z_EN: 0
; COMPUTE_PGM_RSRC2:TIDIG_COMP_CNT: 0
	.section	.text._ZN7rocprim17ROCPRIM_400000_NS6detail17trampoline_kernelINS0_14default_configENS1_29binary_search_config_selectorIiiEEZNS1_14transform_implILb0ES3_S5_N6thrust23THRUST_200600_302600_NS6detail15normal_iteratorINS8_7pointerIiNS8_11hip_rocprim5par_tENS8_11use_defaultESE_EEEESG_ZNS1_13binary_searchIS3_S5_NSA_INS8_10device_ptrIiEEEESG_SG_NS1_16binary_search_opENS9_16wrapped_functionINS8_6system6detail7generic6detail18binary_search_lessEbEEEE10hipError_tPvRmT1_T2_T3_mmT4_T5_P12ihipStream_tbEUlRKiE_EEST_SX_SY_mSZ_S12_bEUlT_E_NS1_11comp_targetILNS1_3genE8ELNS1_11target_archE1030ELNS1_3gpuE2ELNS1_3repE0EEENS1_30default_config_static_selectorELNS0_4arch9wavefront6targetE0EEEvSW_,"axG",@progbits,_ZN7rocprim17ROCPRIM_400000_NS6detail17trampoline_kernelINS0_14default_configENS1_29binary_search_config_selectorIiiEEZNS1_14transform_implILb0ES3_S5_N6thrust23THRUST_200600_302600_NS6detail15normal_iteratorINS8_7pointerIiNS8_11hip_rocprim5par_tENS8_11use_defaultESE_EEEESG_ZNS1_13binary_searchIS3_S5_NSA_INS8_10device_ptrIiEEEESG_SG_NS1_16binary_search_opENS9_16wrapped_functionINS8_6system6detail7generic6detail18binary_search_lessEbEEEE10hipError_tPvRmT1_T2_T3_mmT4_T5_P12ihipStream_tbEUlRKiE_EEST_SX_SY_mSZ_S12_bEUlT_E_NS1_11comp_targetILNS1_3genE8ELNS1_11target_archE1030ELNS1_3gpuE2ELNS1_3repE0EEENS1_30default_config_static_selectorELNS0_4arch9wavefront6targetE0EEEvSW_,comdat
	.protected	_ZN7rocprim17ROCPRIM_400000_NS6detail17trampoline_kernelINS0_14default_configENS1_29binary_search_config_selectorIiiEEZNS1_14transform_implILb0ES3_S5_N6thrust23THRUST_200600_302600_NS6detail15normal_iteratorINS8_7pointerIiNS8_11hip_rocprim5par_tENS8_11use_defaultESE_EEEESG_ZNS1_13binary_searchIS3_S5_NSA_INS8_10device_ptrIiEEEESG_SG_NS1_16binary_search_opENS9_16wrapped_functionINS8_6system6detail7generic6detail18binary_search_lessEbEEEE10hipError_tPvRmT1_T2_T3_mmT4_T5_P12ihipStream_tbEUlRKiE_EEST_SX_SY_mSZ_S12_bEUlT_E_NS1_11comp_targetILNS1_3genE8ELNS1_11target_archE1030ELNS1_3gpuE2ELNS1_3repE0EEENS1_30default_config_static_selectorELNS0_4arch9wavefront6targetE0EEEvSW_ ; -- Begin function _ZN7rocprim17ROCPRIM_400000_NS6detail17trampoline_kernelINS0_14default_configENS1_29binary_search_config_selectorIiiEEZNS1_14transform_implILb0ES3_S5_N6thrust23THRUST_200600_302600_NS6detail15normal_iteratorINS8_7pointerIiNS8_11hip_rocprim5par_tENS8_11use_defaultESE_EEEESG_ZNS1_13binary_searchIS3_S5_NSA_INS8_10device_ptrIiEEEESG_SG_NS1_16binary_search_opENS9_16wrapped_functionINS8_6system6detail7generic6detail18binary_search_lessEbEEEE10hipError_tPvRmT1_T2_T3_mmT4_T5_P12ihipStream_tbEUlRKiE_EEST_SX_SY_mSZ_S12_bEUlT_E_NS1_11comp_targetILNS1_3genE8ELNS1_11target_archE1030ELNS1_3gpuE2ELNS1_3repE0EEENS1_30default_config_static_selectorELNS0_4arch9wavefront6targetE0EEEvSW_
	.globl	_ZN7rocprim17ROCPRIM_400000_NS6detail17trampoline_kernelINS0_14default_configENS1_29binary_search_config_selectorIiiEEZNS1_14transform_implILb0ES3_S5_N6thrust23THRUST_200600_302600_NS6detail15normal_iteratorINS8_7pointerIiNS8_11hip_rocprim5par_tENS8_11use_defaultESE_EEEESG_ZNS1_13binary_searchIS3_S5_NSA_INS8_10device_ptrIiEEEESG_SG_NS1_16binary_search_opENS9_16wrapped_functionINS8_6system6detail7generic6detail18binary_search_lessEbEEEE10hipError_tPvRmT1_T2_T3_mmT4_T5_P12ihipStream_tbEUlRKiE_EEST_SX_SY_mSZ_S12_bEUlT_E_NS1_11comp_targetILNS1_3genE8ELNS1_11target_archE1030ELNS1_3gpuE2ELNS1_3repE0EEENS1_30default_config_static_selectorELNS0_4arch9wavefront6targetE0EEEvSW_
	.p2align	8
	.type	_ZN7rocprim17ROCPRIM_400000_NS6detail17trampoline_kernelINS0_14default_configENS1_29binary_search_config_selectorIiiEEZNS1_14transform_implILb0ES3_S5_N6thrust23THRUST_200600_302600_NS6detail15normal_iteratorINS8_7pointerIiNS8_11hip_rocprim5par_tENS8_11use_defaultESE_EEEESG_ZNS1_13binary_searchIS3_S5_NSA_INS8_10device_ptrIiEEEESG_SG_NS1_16binary_search_opENS9_16wrapped_functionINS8_6system6detail7generic6detail18binary_search_lessEbEEEE10hipError_tPvRmT1_T2_T3_mmT4_T5_P12ihipStream_tbEUlRKiE_EEST_SX_SY_mSZ_S12_bEUlT_E_NS1_11comp_targetILNS1_3genE8ELNS1_11target_archE1030ELNS1_3gpuE2ELNS1_3repE0EEENS1_30default_config_static_selectorELNS0_4arch9wavefront6targetE0EEEvSW_,@function
_ZN7rocprim17ROCPRIM_400000_NS6detail17trampoline_kernelINS0_14default_configENS1_29binary_search_config_selectorIiiEEZNS1_14transform_implILb0ES3_S5_N6thrust23THRUST_200600_302600_NS6detail15normal_iteratorINS8_7pointerIiNS8_11hip_rocprim5par_tENS8_11use_defaultESE_EEEESG_ZNS1_13binary_searchIS3_S5_NSA_INS8_10device_ptrIiEEEESG_SG_NS1_16binary_search_opENS9_16wrapped_functionINS8_6system6detail7generic6detail18binary_search_lessEbEEEE10hipError_tPvRmT1_T2_T3_mmT4_T5_P12ihipStream_tbEUlRKiE_EEST_SX_SY_mSZ_S12_bEUlT_E_NS1_11comp_targetILNS1_3genE8ELNS1_11target_archE1030ELNS1_3gpuE2ELNS1_3repE0EEENS1_30default_config_static_selectorELNS0_4arch9wavefront6targetE0EEEvSW_: ; @_ZN7rocprim17ROCPRIM_400000_NS6detail17trampoline_kernelINS0_14default_configENS1_29binary_search_config_selectorIiiEEZNS1_14transform_implILb0ES3_S5_N6thrust23THRUST_200600_302600_NS6detail15normal_iteratorINS8_7pointerIiNS8_11hip_rocprim5par_tENS8_11use_defaultESE_EEEESG_ZNS1_13binary_searchIS3_S5_NSA_INS8_10device_ptrIiEEEESG_SG_NS1_16binary_search_opENS9_16wrapped_functionINS8_6system6detail7generic6detail18binary_search_lessEbEEEE10hipError_tPvRmT1_T2_T3_mmT4_T5_P12ihipStream_tbEUlRKiE_EEST_SX_SY_mSZ_S12_bEUlT_E_NS1_11comp_targetILNS1_3genE8ELNS1_11target_archE1030ELNS1_3gpuE2ELNS1_3repE0EEENS1_30default_config_static_selectorELNS0_4arch9wavefront6targetE0EEEvSW_
; %bb.0:
	s_clause 0x3
	s_load_dwordx4 s[16:19], s[4:5], 0x0
	s_load_dword s3, s[4:5], 0x38
	s_load_dwordx2 s[0:1], s[4:5], 0x28
	s_load_dwordx4 s[8:11], s[4:5], 0x18
	s_waitcnt lgkmcnt(0)
	s_lshl_b64 s[12:13], s[18:19], 2
	s_add_u32 s14, s16, s12
	s_addc_u32 s15, s17, s13
	s_add_i32 s7, s3, -1
	s_lshl_b32 s2, s6, 8
	s_mov_b32 s3, 0
	s_cmp_lg_u32 s6, s7
	s_mov_b32 s16, -1
	s_cbranch_scc0 .LBB715_6
; %bb.1:
	v_lshlrev_b32_e32 v1, 2, v0
	s_lshl_b64 s[6:7], s[2:3], 2
	s_add_u32 s6, s14, s6
	s_addc_u32 s7, s15, s7
	v_add_co_u32 v1, s6, s6, v1
	v_add_co_ci_u32_e64 v2, null, s7, 0, s6
	s_cmp_eq_u64 s[0:1], 0
	flat_load_dword v6, v[1:2]
	v_mov_b32_e32 v2, 0
	v_mov_b32_e32 v1, 0
	;; [unrolled: 1-line block ×3, first 2 shown]
	s_cbranch_scc1 .LBB715_5
; %bb.2:
	v_mov_b32_e32 v5, s1
	v_mov_b32_e32 v4, s0
	s_mov_b32 s6, 0
	s_inst_prefetch 0x1
	.p2align	6
.LBB715_3:                              ; =>This Inner Loop Header: Depth=1
	v_sub_co_u32 v7, vcc_lo, v4, v2
	v_sub_co_ci_u32_e64 v8, null, v5, v3, vcc_lo
	v_lshrrev_b64 v[9:10], 1, v[7:8]
	v_lshrrev_b64 v[7:8], 6, v[7:8]
	v_add_co_u32 v9, vcc_lo, v9, v2
	v_add_co_ci_u32_e64 v10, null, v10, v3, vcc_lo
	v_add_co_u32 v7, vcc_lo, v9, v7
	v_add_co_ci_u32_e64 v8, null, v10, v8, vcc_lo
	v_lshlrev_b64 v[9:10], 2, v[7:8]
	v_add_co_u32 v9, vcc_lo, s10, v9
	v_add_co_ci_u32_e64 v10, null, s11, v10, vcc_lo
	global_load_dword v9, v[9:10], off
	v_add_co_u32 v10, vcc_lo, v7, 1
	v_add_co_ci_u32_e64 v11, null, 0, v8, vcc_lo
	s_waitcnt vmcnt(0) lgkmcnt(0)
	v_cmp_lt_i32_e32 vcc_lo, v9, v6
	v_cndmask_b32_e32 v5, v8, v5, vcc_lo
	v_cndmask_b32_e32 v4, v7, v4, vcc_lo
	;; [unrolled: 1-line block ×4, first 2 shown]
	v_cmp_ge_u64_e32 vcc_lo, v[2:3], v[4:5]
	s_or_b32 s6, vcc_lo, s6
	s_andn2_b32 exec_lo, exec_lo, s6
	s_cbranch_execnz .LBB715_3
; %bb.4:
	s_inst_prefetch 0x2
	s_or_b32 exec_lo, exec_lo, s6
.LBB715_5:
	v_cmp_eq_u64_e64 s6, s[0:1], v[2:3]
	v_cmp_ne_u64_e64 s7, s[0:1], v[2:3]
	s_branch .LBB715_14
.LBB715_6:
	s_mov_b32 s7, s3
	s_mov_b32 s6, s3
                                        ; implicit-def: $vgpr6
                                        ; implicit-def: $vgpr2_vgpr3
	s_and_b32 vcc_lo, exec_lo, s16
	s_cbranch_vccz .LBB715_14
; %bb.7:
	s_load_dword s4, s[4:5], 0x10
                                        ; implicit-def: $vgpr6
                                        ; implicit-def: $vgpr2_vgpr3
	s_waitcnt lgkmcnt(0)
	s_sub_i32 s4, s4, s2
	v_cmp_gt_u32_e32 vcc_lo, s4, v0
	s_and_saveexec_b32 s4, vcc_lo
	s_cbranch_execz .LBB715_13
; %bb.8:
	v_lshlrev_b32_e32 v1, 2, v0
	s_lshl_b64 s[16:17], s[2:3], 2
	s_add_u32 s5, s14, s16
	s_addc_u32 s14, s15, s17
	v_add_co_u32 v1, s5, s5, v1
	v_add_co_ci_u32_e64 v2, null, s14, 0, s5
	s_cmp_eq_u64 s[0:1], 0
	s_waitcnt vmcnt(0)
	flat_load_dword v6, v[1:2]
	v_mov_b32_e32 v2, 0
	v_mov_b32_e32 v1, 0
	;; [unrolled: 1-line block ×3, first 2 shown]
	s_cbranch_scc1 .LBB715_12
; %bb.9:
	v_mov_b32_e32 v5, s1
	v_mov_b32_e32 v4, s0
	s_mov_b32 s5, 0
	s_inst_prefetch 0x1
	.p2align	6
.LBB715_10:                             ; =>This Inner Loop Header: Depth=1
	v_sub_co_u32 v7, vcc_lo, v4, v2
	v_sub_co_ci_u32_e64 v8, null, v5, v3, vcc_lo
	v_lshrrev_b64 v[9:10], 1, v[7:8]
	v_lshrrev_b64 v[7:8], 6, v[7:8]
	v_add_co_u32 v9, vcc_lo, v9, v2
	v_add_co_ci_u32_e64 v10, null, v10, v3, vcc_lo
	v_add_co_u32 v7, vcc_lo, v9, v7
	v_add_co_ci_u32_e64 v8, null, v10, v8, vcc_lo
	v_lshlrev_b64 v[9:10], 2, v[7:8]
	v_add_co_u32 v9, vcc_lo, s10, v9
	v_add_co_ci_u32_e64 v10, null, s11, v10, vcc_lo
	global_load_dword v9, v[9:10], off
	v_add_co_u32 v10, vcc_lo, v7, 1
	v_add_co_ci_u32_e64 v11, null, 0, v8, vcc_lo
	s_waitcnt vmcnt(0) lgkmcnt(0)
	v_cmp_lt_i32_e32 vcc_lo, v9, v6
	v_cndmask_b32_e32 v5, v8, v5, vcc_lo
	v_cndmask_b32_e32 v4, v7, v4, vcc_lo
	;; [unrolled: 1-line block ×4, first 2 shown]
	v_cmp_ge_u64_e32 vcc_lo, v[2:3], v[4:5]
	s_or_b32 s5, vcc_lo, s5
	s_andn2_b32 exec_lo, exec_lo, s5
	s_cbranch_execnz .LBB715_10
; %bb.11:
	s_inst_prefetch 0x2
	s_or_b32 exec_lo, exec_lo, s5
.LBB715_12:
	v_cmp_eq_u64_e32 vcc_lo, s[0:1], v[2:3]
	v_cmp_ne_u64_e64 s0, s[0:1], v[2:3]
	s_andn2_b32 s1, s6, exec_lo
	s_andn2_b32 s5, s7, exec_lo
	s_and_b32 s6, vcc_lo, exec_lo
	s_and_b32 s0, s0, exec_lo
	s_or_b32 s6, s1, s6
	s_or_b32 s7, s5, s0
.LBB715_13:
	s_or_b32 exec_lo, exec_lo, s4
.LBB715_14:
	v_mov_b32_e32 v4, 0
	s_and_saveexec_b32 s0, s7
	s_cbranch_execnz .LBB715_17
; %bb.15:
	s_or_b32 exec_lo, exec_lo, s0
	s_and_saveexec_b32 s0, s6
	s_cbranch_execnz .LBB715_18
.LBB715_16:
	s_endpgm
.LBB715_17:
	v_lshlrev_b64 v[2:3], 2, v[2:3]
	s_or_b32 s6, s6, exec_lo
	v_add_co_u32 v2, vcc_lo, s10, v2
	v_add_co_ci_u32_e64 v3, null, s11, v3, vcc_lo
	global_load_dword v2, v[2:3], off
	s_waitcnt vmcnt(0) lgkmcnt(0)
	v_cmp_ge_i32_e32 vcc_lo, v6, v2
	v_cndmask_b32_e64 v4, 0, 1, vcc_lo
	s_or_b32 exec_lo, exec_lo, s0
	s_and_saveexec_b32 s0, s6
	s_cbranch_execz .LBB715_16
.LBB715_18:
	v_lshlrev_b64 v[0:1], 2, v[0:1]
	s_add_u32 s4, s8, s12
	s_addc_u32 s5, s9, s13
	s_lshl_b64 s[0:1], s[2:3], 2
	s_add_u32 s0, s4, s0
	s_addc_u32 s1, s5, s1
	v_add_co_u32 v0, vcc_lo, s0, v0
	v_add_co_ci_u32_e64 v1, null, s1, v1, vcc_lo
	flat_store_dword v[0:1], v4
	s_endpgm
	.section	.rodata,"a",@progbits
	.p2align	6, 0x0
	.amdhsa_kernel _ZN7rocprim17ROCPRIM_400000_NS6detail17trampoline_kernelINS0_14default_configENS1_29binary_search_config_selectorIiiEEZNS1_14transform_implILb0ES3_S5_N6thrust23THRUST_200600_302600_NS6detail15normal_iteratorINS8_7pointerIiNS8_11hip_rocprim5par_tENS8_11use_defaultESE_EEEESG_ZNS1_13binary_searchIS3_S5_NSA_INS8_10device_ptrIiEEEESG_SG_NS1_16binary_search_opENS9_16wrapped_functionINS8_6system6detail7generic6detail18binary_search_lessEbEEEE10hipError_tPvRmT1_T2_T3_mmT4_T5_P12ihipStream_tbEUlRKiE_EEST_SX_SY_mSZ_S12_bEUlT_E_NS1_11comp_targetILNS1_3genE8ELNS1_11target_archE1030ELNS1_3gpuE2ELNS1_3repE0EEENS1_30default_config_static_selectorELNS0_4arch9wavefront6targetE0EEEvSW_
		.amdhsa_group_segment_fixed_size 0
		.amdhsa_private_segment_fixed_size 0
		.amdhsa_kernarg_size 312
		.amdhsa_user_sgpr_count 6
		.amdhsa_user_sgpr_private_segment_buffer 1
		.amdhsa_user_sgpr_dispatch_ptr 0
		.amdhsa_user_sgpr_queue_ptr 0
		.amdhsa_user_sgpr_kernarg_segment_ptr 1
		.amdhsa_user_sgpr_dispatch_id 0
		.amdhsa_user_sgpr_flat_scratch_init 0
		.amdhsa_user_sgpr_private_segment_size 0
		.amdhsa_wavefront_size32 1
		.amdhsa_uses_dynamic_stack 0
		.amdhsa_system_sgpr_private_segment_wavefront_offset 0
		.amdhsa_system_sgpr_workgroup_id_x 1
		.amdhsa_system_sgpr_workgroup_id_y 0
		.amdhsa_system_sgpr_workgroup_id_z 0
		.amdhsa_system_sgpr_workgroup_info 0
		.amdhsa_system_vgpr_workitem_id 0
		.amdhsa_next_free_vgpr 12
		.amdhsa_next_free_sgpr 20
		.amdhsa_reserve_vcc 1
		.amdhsa_reserve_flat_scratch 0
		.amdhsa_float_round_mode_32 0
		.amdhsa_float_round_mode_16_64 0
		.amdhsa_float_denorm_mode_32 3
		.amdhsa_float_denorm_mode_16_64 3
		.amdhsa_dx10_clamp 1
		.amdhsa_ieee_mode 1
		.amdhsa_fp16_overflow 0
		.amdhsa_workgroup_processor_mode 1
		.amdhsa_memory_ordered 1
		.amdhsa_forward_progress 1
		.amdhsa_shared_vgpr_count 0
		.amdhsa_exception_fp_ieee_invalid_op 0
		.amdhsa_exception_fp_denorm_src 0
		.amdhsa_exception_fp_ieee_div_zero 0
		.amdhsa_exception_fp_ieee_overflow 0
		.amdhsa_exception_fp_ieee_underflow 0
		.amdhsa_exception_fp_ieee_inexact 0
		.amdhsa_exception_int_div_zero 0
	.end_amdhsa_kernel
	.section	.text._ZN7rocprim17ROCPRIM_400000_NS6detail17trampoline_kernelINS0_14default_configENS1_29binary_search_config_selectorIiiEEZNS1_14transform_implILb0ES3_S5_N6thrust23THRUST_200600_302600_NS6detail15normal_iteratorINS8_7pointerIiNS8_11hip_rocprim5par_tENS8_11use_defaultESE_EEEESG_ZNS1_13binary_searchIS3_S5_NSA_INS8_10device_ptrIiEEEESG_SG_NS1_16binary_search_opENS9_16wrapped_functionINS8_6system6detail7generic6detail18binary_search_lessEbEEEE10hipError_tPvRmT1_T2_T3_mmT4_T5_P12ihipStream_tbEUlRKiE_EEST_SX_SY_mSZ_S12_bEUlT_E_NS1_11comp_targetILNS1_3genE8ELNS1_11target_archE1030ELNS1_3gpuE2ELNS1_3repE0EEENS1_30default_config_static_selectorELNS0_4arch9wavefront6targetE0EEEvSW_,"axG",@progbits,_ZN7rocprim17ROCPRIM_400000_NS6detail17trampoline_kernelINS0_14default_configENS1_29binary_search_config_selectorIiiEEZNS1_14transform_implILb0ES3_S5_N6thrust23THRUST_200600_302600_NS6detail15normal_iteratorINS8_7pointerIiNS8_11hip_rocprim5par_tENS8_11use_defaultESE_EEEESG_ZNS1_13binary_searchIS3_S5_NSA_INS8_10device_ptrIiEEEESG_SG_NS1_16binary_search_opENS9_16wrapped_functionINS8_6system6detail7generic6detail18binary_search_lessEbEEEE10hipError_tPvRmT1_T2_T3_mmT4_T5_P12ihipStream_tbEUlRKiE_EEST_SX_SY_mSZ_S12_bEUlT_E_NS1_11comp_targetILNS1_3genE8ELNS1_11target_archE1030ELNS1_3gpuE2ELNS1_3repE0EEENS1_30default_config_static_selectorELNS0_4arch9wavefront6targetE0EEEvSW_,comdat
.Lfunc_end715:
	.size	_ZN7rocprim17ROCPRIM_400000_NS6detail17trampoline_kernelINS0_14default_configENS1_29binary_search_config_selectorIiiEEZNS1_14transform_implILb0ES3_S5_N6thrust23THRUST_200600_302600_NS6detail15normal_iteratorINS8_7pointerIiNS8_11hip_rocprim5par_tENS8_11use_defaultESE_EEEESG_ZNS1_13binary_searchIS3_S5_NSA_INS8_10device_ptrIiEEEESG_SG_NS1_16binary_search_opENS9_16wrapped_functionINS8_6system6detail7generic6detail18binary_search_lessEbEEEE10hipError_tPvRmT1_T2_T3_mmT4_T5_P12ihipStream_tbEUlRKiE_EEST_SX_SY_mSZ_S12_bEUlT_E_NS1_11comp_targetILNS1_3genE8ELNS1_11target_archE1030ELNS1_3gpuE2ELNS1_3repE0EEENS1_30default_config_static_selectorELNS0_4arch9wavefront6targetE0EEEvSW_, .Lfunc_end715-_ZN7rocprim17ROCPRIM_400000_NS6detail17trampoline_kernelINS0_14default_configENS1_29binary_search_config_selectorIiiEEZNS1_14transform_implILb0ES3_S5_N6thrust23THRUST_200600_302600_NS6detail15normal_iteratorINS8_7pointerIiNS8_11hip_rocprim5par_tENS8_11use_defaultESE_EEEESG_ZNS1_13binary_searchIS3_S5_NSA_INS8_10device_ptrIiEEEESG_SG_NS1_16binary_search_opENS9_16wrapped_functionINS8_6system6detail7generic6detail18binary_search_lessEbEEEE10hipError_tPvRmT1_T2_T3_mmT4_T5_P12ihipStream_tbEUlRKiE_EEST_SX_SY_mSZ_S12_bEUlT_E_NS1_11comp_targetILNS1_3genE8ELNS1_11target_archE1030ELNS1_3gpuE2ELNS1_3repE0EEENS1_30default_config_static_selectorELNS0_4arch9wavefront6targetE0EEEvSW_
                                        ; -- End function
	.set _ZN7rocprim17ROCPRIM_400000_NS6detail17trampoline_kernelINS0_14default_configENS1_29binary_search_config_selectorIiiEEZNS1_14transform_implILb0ES3_S5_N6thrust23THRUST_200600_302600_NS6detail15normal_iteratorINS8_7pointerIiNS8_11hip_rocprim5par_tENS8_11use_defaultESE_EEEESG_ZNS1_13binary_searchIS3_S5_NSA_INS8_10device_ptrIiEEEESG_SG_NS1_16binary_search_opENS9_16wrapped_functionINS8_6system6detail7generic6detail18binary_search_lessEbEEEE10hipError_tPvRmT1_T2_T3_mmT4_T5_P12ihipStream_tbEUlRKiE_EEST_SX_SY_mSZ_S12_bEUlT_E_NS1_11comp_targetILNS1_3genE8ELNS1_11target_archE1030ELNS1_3gpuE2ELNS1_3repE0EEENS1_30default_config_static_selectorELNS0_4arch9wavefront6targetE0EEEvSW_.num_vgpr, 12
	.set _ZN7rocprim17ROCPRIM_400000_NS6detail17trampoline_kernelINS0_14default_configENS1_29binary_search_config_selectorIiiEEZNS1_14transform_implILb0ES3_S5_N6thrust23THRUST_200600_302600_NS6detail15normal_iteratorINS8_7pointerIiNS8_11hip_rocprim5par_tENS8_11use_defaultESE_EEEESG_ZNS1_13binary_searchIS3_S5_NSA_INS8_10device_ptrIiEEEESG_SG_NS1_16binary_search_opENS9_16wrapped_functionINS8_6system6detail7generic6detail18binary_search_lessEbEEEE10hipError_tPvRmT1_T2_T3_mmT4_T5_P12ihipStream_tbEUlRKiE_EEST_SX_SY_mSZ_S12_bEUlT_E_NS1_11comp_targetILNS1_3genE8ELNS1_11target_archE1030ELNS1_3gpuE2ELNS1_3repE0EEENS1_30default_config_static_selectorELNS0_4arch9wavefront6targetE0EEEvSW_.num_agpr, 0
	.set _ZN7rocprim17ROCPRIM_400000_NS6detail17trampoline_kernelINS0_14default_configENS1_29binary_search_config_selectorIiiEEZNS1_14transform_implILb0ES3_S5_N6thrust23THRUST_200600_302600_NS6detail15normal_iteratorINS8_7pointerIiNS8_11hip_rocprim5par_tENS8_11use_defaultESE_EEEESG_ZNS1_13binary_searchIS3_S5_NSA_INS8_10device_ptrIiEEEESG_SG_NS1_16binary_search_opENS9_16wrapped_functionINS8_6system6detail7generic6detail18binary_search_lessEbEEEE10hipError_tPvRmT1_T2_T3_mmT4_T5_P12ihipStream_tbEUlRKiE_EEST_SX_SY_mSZ_S12_bEUlT_E_NS1_11comp_targetILNS1_3genE8ELNS1_11target_archE1030ELNS1_3gpuE2ELNS1_3repE0EEENS1_30default_config_static_selectorELNS0_4arch9wavefront6targetE0EEEvSW_.numbered_sgpr, 20
	.set _ZN7rocprim17ROCPRIM_400000_NS6detail17trampoline_kernelINS0_14default_configENS1_29binary_search_config_selectorIiiEEZNS1_14transform_implILb0ES3_S5_N6thrust23THRUST_200600_302600_NS6detail15normal_iteratorINS8_7pointerIiNS8_11hip_rocprim5par_tENS8_11use_defaultESE_EEEESG_ZNS1_13binary_searchIS3_S5_NSA_INS8_10device_ptrIiEEEESG_SG_NS1_16binary_search_opENS9_16wrapped_functionINS8_6system6detail7generic6detail18binary_search_lessEbEEEE10hipError_tPvRmT1_T2_T3_mmT4_T5_P12ihipStream_tbEUlRKiE_EEST_SX_SY_mSZ_S12_bEUlT_E_NS1_11comp_targetILNS1_3genE8ELNS1_11target_archE1030ELNS1_3gpuE2ELNS1_3repE0EEENS1_30default_config_static_selectorELNS0_4arch9wavefront6targetE0EEEvSW_.num_named_barrier, 0
	.set _ZN7rocprim17ROCPRIM_400000_NS6detail17trampoline_kernelINS0_14default_configENS1_29binary_search_config_selectorIiiEEZNS1_14transform_implILb0ES3_S5_N6thrust23THRUST_200600_302600_NS6detail15normal_iteratorINS8_7pointerIiNS8_11hip_rocprim5par_tENS8_11use_defaultESE_EEEESG_ZNS1_13binary_searchIS3_S5_NSA_INS8_10device_ptrIiEEEESG_SG_NS1_16binary_search_opENS9_16wrapped_functionINS8_6system6detail7generic6detail18binary_search_lessEbEEEE10hipError_tPvRmT1_T2_T3_mmT4_T5_P12ihipStream_tbEUlRKiE_EEST_SX_SY_mSZ_S12_bEUlT_E_NS1_11comp_targetILNS1_3genE8ELNS1_11target_archE1030ELNS1_3gpuE2ELNS1_3repE0EEENS1_30default_config_static_selectorELNS0_4arch9wavefront6targetE0EEEvSW_.private_seg_size, 0
	.set _ZN7rocprim17ROCPRIM_400000_NS6detail17trampoline_kernelINS0_14default_configENS1_29binary_search_config_selectorIiiEEZNS1_14transform_implILb0ES3_S5_N6thrust23THRUST_200600_302600_NS6detail15normal_iteratorINS8_7pointerIiNS8_11hip_rocprim5par_tENS8_11use_defaultESE_EEEESG_ZNS1_13binary_searchIS3_S5_NSA_INS8_10device_ptrIiEEEESG_SG_NS1_16binary_search_opENS9_16wrapped_functionINS8_6system6detail7generic6detail18binary_search_lessEbEEEE10hipError_tPvRmT1_T2_T3_mmT4_T5_P12ihipStream_tbEUlRKiE_EEST_SX_SY_mSZ_S12_bEUlT_E_NS1_11comp_targetILNS1_3genE8ELNS1_11target_archE1030ELNS1_3gpuE2ELNS1_3repE0EEENS1_30default_config_static_selectorELNS0_4arch9wavefront6targetE0EEEvSW_.uses_vcc, 1
	.set _ZN7rocprim17ROCPRIM_400000_NS6detail17trampoline_kernelINS0_14default_configENS1_29binary_search_config_selectorIiiEEZNS1_14transform_implILb0ES3_S5_N6thrust23THRUST_200600_302600_NS6detail15normal_iteratorINS8_7pointerIiNS8_11hip_rocprim5par_tENS8_11use_defaultESE_EEEESG_ZNS1_13binary_searchIS3_S5_NSA_INS8_10device_ptrIiEEEESG_SG_NS1_16binary_search_opENS9_16wrapped_functionINS8_6system6detail7generic6detail18binary_search_lessEbEEEE10hipError_tPvRmT1_T2_T3_mmT4_T5_P12ihipStream_tbEUlRKiE_EEST_SX_SY_mSZ_S12_bEUlT_E_NS1_11comp_targetILNS1_3genE8ELNS1_11target_archE1030ELNS1_3gpuE2ELNS1_3repE0EEENS1_30default_config_static_selectorELNS0_4arch9wavefront6targetE0EEEvSW_.uses_flat_scratch, 0
	.set _ZN7rocprim17ROCPRIM_400000_NS6detail17trampoline_kernelINS0_14default_configENS1_29binary_search_config_selectorIiiEEZNS1_14transform_implILb0ES3_S5_N6thrust23THRUST_200600_302600_NS6detail15normal_iteratorINS8_7pointerIiNS8_11hip_rocprim5par_tENS8_11use_defaultESE_EEEESG_ZNS1_13binary_searchIS3_S5_NSA_INS8_10device_ptrIiEEEESG_SG_NS1_16binary_search_opENS9_16wrapped_functionINS8_6system6detail7generic6detail18binary_search_lessEbEEEE10hipError_tPvRmT1_T2_T3_mmT4_T5_P12ihipStream_tbEUlRKiE_EEST_SX_SY_mSZ_S12_bEUlT_E_NS1_11comp_targetILNS1_3genE8ELNS1_11target_archE1030ELNS1_3gpuE2ELNS1_3repE0EEENS1_30default_config_static_selectorELNS0_4arch9wavefront6targetE0EEEvSW_.has_dyn_sized_stack, 0
	.set _ZN7rocprim17ROCPRIM_400000_NS6detail17trampoline_kernelINS0_14default_configENS1_29binary_search_config_selectorIiiEEZNS1_14transform_implILb0ES3_S5_N6thrust23THRUST_200600_302600_NS6detail15normal_iteratorINS8_7pointerIiNS8_11hip_rocprim5par_tENS8_11use_defaultESE_EEEESG_ZNS1_13binary_searchIS3_S5_NSA_INS8_10device_ptrIiEEEESG_SG_NS1_16binary_search_opENS9_16wrapped_functionINS8_6system6detail7generic6detail18binary_search_lessEbEEEE10hipError_tPvRmT1_T2_T3_mmT4_T5_P12ihipStream_tbEUlRKiE_EEST_SX_SY_mSZ_S12_bEUlT_E_NS1_11comp_targetILNS1_3genE8ELNS1_11target_archE1030ELNS1_3gpuE2ELNS1_3repE0EEENS1_30default_config_static_selectorELNS0_4arch9wavefront6targetE0EEEvSW_.has_recursion, 0
	.set _ZN7rocprim17ROCPRIM_400000_NS6detail17trampoline_kernelINS0_14default_configENS1_29binary_search_config_selectorIiiEEZNS1_14transform_implILb0ES3_S5_N6thrust23THRUST_200600_302600_NS6detail15normal_iteratorINS8_7pointerIiNS8_11hip_rocprim5par_tENS8_11use_defaultESE_EEEESG_ZNS1_13binary_searchIS3_S5_NSA_INS8_10device_ptrIiEEEESG_SG_NS1_16binary_search_opENS9_16wrapped_functionINS8_6system6detail7generic6detail18binary_search_lessEbEEEE10hipError_tPvRmT1_T2_T3_mmT4_T5_P12ihipStream_tbEUlRKiE_EEST_SX_SY_mSZ_S12_bEUlT_E_NS1_11comp_targetILNS1_3genE8ELNS1_11target_archE1030ELNS1_3gpuE2ELNS1_3repE0EEENS1_30default_config_static_selectorELNS0_4arch9wavefront6targetE0EEEvSW_.has_indirect_call, 0
	.section	.AMDGPU.csdata,"",@progbits
; Kernel info:
; codeLenInByte = 860
; TotalNumSgprs: 22
; NumVgprs: 12
; ScratchSize: 0
; MemoryBound: 0
; FloatMode: 240
; IeeeMode: 1
; LDSByteSize: 0 bytes/workgroup (compile time only)
; SGPRBlocks: 0
; VGPRBlocks: 1
; NumSGPRsForWavesPerEU: 22
; NumVGPRsForWavesPerEU: 12
; Occupancy: 16
; WaveLimiterHint : 0
; COMPUTE_PGM_RSRC2:SCRATCH_EN: 0
; COMPUTE_PGM_RSRC2:USER_SGPR: 6
; COMPUTE_PGM_RSRC2:TRAP_HANDLER: 0
; COMPUTE_PGM_RSRC2:TGID_X_EN: 1
; COMPUTE_PGM_RSRC2:TGID_Y_EN: 0
; COMPUTE_PGM_RSRC2:TGID_Z_EN: 0
; COMPUTE_PGM_RSRC2:TIDIG_COMP_CNT: 0
	.section	.text._ZN7rocprim17ROCPRIM_400000_NS6detail17trampoline_kernelINS0_14default_configENS1_29binary_search_config_selectorIsiEEZNS1_14transform_implILb0ES3_S5_N6thrust23THRUST_200600_302600_NS6detail15normal_iteratorINS8_7pointerIsNS8_11hip_rocprim5par_tENS8_11use_defaultESE_EEEENSA_INSB_IiSD_SE_SE_EEEEZNS1_13binary_searchIS3_S5_NSA_INS8_10device_ptrIsEEEESG_SI_NS1_16binary_search_opENS9_16wrapped_functionINS8_6system6detail7generic6detail18binary_search_lessEbEEEE10hipError_tPvRmT1_T2_T3_mmT4_T5_P12ihipStream_tbEUlRKsE_EESV_SZ_S10_mS11_S14_bEUlT_E_NS1_11comp_targetILNS1_3genE0ELNS1_11target_archE4294967295ELNS1_3gpuE0ELNS1_3repE0EEENS1_30default_config_static_selectorELNS0_4arch9wavefront6targetE0EEEvSY_,"axG",@progbits,_ZN7rocprim17ROCPRIM_400000_NS6detail17trampoline_kernelINS0_14default_configENS1_29binary_search_config_selectorIsiEEZNS1_14transform_implILb0ES3_S5_N6thrust23THRUST_200600_302600_NS6detail15normal_iteratorINS8_7pointerIsNS8_11hip_rocprim5par_tENS8_11use_defaultESE_EEEENSA_INSB_IiSD_SE_SE_EEEEZNS1_13binary_searchIS3_S5_NSA_INS8_10device_ptrIsEEEESG_SI_NS1_16binary_search_opENS9_16wrapped_functionINS8_6system6detail7generic6detail18binary_search_lessEbEEEE10hipError_tPvRmT1_T2_T3_mmT4_T5_P12ihipStream_tbEUlRKsE_EESV_SZ_S10_mS11_S14_bEUlT_E_NS1_11comp_targetILNS1_3genE0ELNS1_11target_archE4294967295ELNS1_3gpuE0ELNS1_3repE0EEENS1_30default_config_static_selectorELNS0_4arch9wavefront6targetE0EEEvSY_,comdat
	.protected	_ZN7rocprim17ROCPRIM_400000_NS6detail17trampoline_kernelINS0_14default_configENS1_29binary_search_config_selectorIsiEEZNS1_14transform_implILb0ES3_S5_N6thrust23THRUST_200600_302600_NS6detail15normal_iteratorINS8_7pointerIsNS8_11hip_rocprim5par_tENS8_11use_defaultESE_EEEENSA_INSB_IiSD_SE_SE_EEEEZNS1_13binary_searchIS3_S5_NSA_INS8_10device_ptrIsEEEESG_SI_NS1_16binary_search_opENS9_16wrapped_functionINS8_6system6detail7generic6detail18binary_search_lessEbEEEE10hipError_tPvRmT1_T2_T3_mmT4_T5_P12ihipStream_tbEUlRKsE_EESV_SZ_S10_mS11_S14_bEUlT_E_NS1_11comp_targetILNS1_3genE0ELNS1_11target_archE4294967295ELNS1_3gpuE0ELNS1_3repE0EEENS1_30default_config_static_selectorELNS0_4arch9wavefront6targetE0EEEvSY_ ; -- Begin function _ZN7rocprim17ROCPRIM_400000_NS6detail17trampoline_kernelINS0_14default_configENS1_29binary_search_config_selectorIsiEEZNS1_14transform_implILb0ES3_S5_N6thrust23THRUST_200600_302600_NS6detail15normal_iteratorINS8_7pointerIsNS8_11hip_rocprim5par_tENS8_11use_defaultESE_EEEENSA_INSB_IiSD_SE_SE_EEEEZNS1_13binary_searchIS3_S5_NSA_INS8_10device_ptrIsEEEESG_SI_NS1_16binary_search_opENS9_16wrapped_functionINS8_6system6detail7generic6detail18binary_search_lessEbEEEE10hipError_tPvRmT1_T2_T3_mmT4_T5_P12ihipStream_tbEUlRKsE_EESV_SZ_S10_mS11_S14_bEUlT_E_NS1_11comp_targetILNS1_3genE0ELNS1_11target_archE4294967295ELNS1_3gpuE0ELNS1_3repE0EEENS1_30default_config_static_selectorELNS0_4arch9wavefront6targetE0EEEvSY_
	.globl	_ZN7rocprim17ROCPRIM_400000_NS6detail17trampoline_kernelINS0_14default_configENS1_29binary_search_config_selectorIsiEEZNS1_14transform_implILb0ES3_S5_N6thrust23THRUST_200600_302600_NS6detail15normal_iteratorINS8_7pointerIsNS8_11hip_rocprim5par_tENS8_11use_defaultESE_EEEENSA_INSB_IiSD_SE_SE_EEEEZNS1_13binary_searchIS3_S5_NSA_INS8_10device_ptrIsEEEESG_SI_NS1_16binary_search_opENS9_16wrapped_functionINS8_6system6detail7generic6detail18binary_search_lessEbEEEE10hipError_tPvRmT1_T2_T3_mmT4_T5_P12ihipStream_tbEUlRKsE_EESV_SZ_S10_mS11_S14_bEUlT_E_NS1_11comp_targetILNS1_3genE0ELNS1_11target_archE4294967295ELNS1_3gpuE0ELNS1_3repE0EEENS1_30default_config_static_selectorELNS0_4arch9wavefront6targetE0EEEvSY_
	.p2align	8
	.type	_ZN7rocprim17ROCPRIM_400000_NS6detail17trampoline_kernelINS0_14default_configENS1_29binary_search_config_selectorIsiEEZNS1_14transform_implILb0ES3_S5_N6thrust23THRUST_200600_302600_NS6detail15normal_iteratorINS8_7pointerIsNS8_11hip_rocprim5par_tENS8_11use_defaultESE_EEEENSA_INSB_IiSD_SE_SE_EEEEZNS1_13binary_searchIS3_S5_NSA_INS8_10device_ptrIsEEEESG_SI_NS1_16binary_search_opENS9_16wrapped_functionINS8_6system6detail7generic6detail18binary_search_lessEbEEEE10hipError_tPvRmT1_T2_T3_mmT4_T5_P12ihipStream_tbEUlRKsE_EESV_SZ_S10_mS11_S14_bEUlT_E_NS1_11comp_targetILNS1_3genE0ELNS1_11target_archE4294967295ELNS1_3gpuE0ELNS1_3repE0EEENS1_30default_config_static_selectorELNS0_4arch9wavefront6targetE0EEEvSY_,@function
_ZN7rocprim17ROCPRIM_400000_NS6detail17trampoline_kernelINS0_14default_configENS1_29binary_search_config_selectorIsiEEZNS1_14transform_implILb0ES3_S5_N6thrust23THRUST_200600_302600_NS6detail15normal_iteratorINS8_7pointerIsNS8_11hip_rocprim5par_tENS8_11use_defaultESE_EEEENSA_INSB_IiSD_SE_SE_EEEEZNS1_13binary_searchIS3_S5_NSA_INS8_10device_ptrIsEEEESG_SI_NS1_16binary_search_opENS9_16wrapped_functionINS8_6system6detail7generic6detail18binary_search_lessEbEEEE10hipError_tPvRmT1_T2_T3_mmT4_T5_P12ihipStream_tbEUlRKsE_EESV_SZ_S10_mS11_S14_bEUlT_E_NS1_11comp_targetILNS1_3genE0ELNS1_11target_archE4294967295ELNS1_3gpuE0ELNS1_3repE0EEENS1_30default_config_static_selectorELNS0_4arch9wavefront6targetE0EEEvSY_: ; @_ZN7rocprim17ROCPRIM_400000_NS6detail17trampoline_kernelINS0_14default_configENS1_29binary_search_config_selectorIsiEEZNS1_14transform_implILb0ES3_S5_N6thrust23THRUST_200600_302600_NS6detail15normal_iteratorINS8_7pointerIsNS8_11hip_rocprim5par_tENS8_11use_defaultESE_EEEENSA_INSB_IiSD_SE_SE_EEEEZNS1_13binary_searchIS3_S5_NSA_INS8_10device_ptrIsEEEESG_SI_NS1_16binary_search_opENS9_16wrapped_functionINS8_6system6detail7generic6detail18binary_search_lessEbEEEE10hipError_tPvRmT1_T2_T3_mmT4_T5_P12ihipStream_tbEUlRKsE_EESV_SZ_S10_mS11_S14_bEUlT_E_NS1_11comp_targetILNS1_3genE0ELNS1_11target_archE4294967295ELNS1_3gpuE0ELNS1_3repE0EEENS1_30default_config_static_selectorELNS0_4arch9wavefront6targetE0EEEvSY_
; %bb.0:
	.section	.rodata,"a",@progbits
	.p2align	6, 0x0
	.amdhsa_kernel _ZN7rocprim17ROCPRIM_400000_NS6detail17trampoline_kernelINS0_14default_configENS1_29binary_search_config_selectorIsiEEZNS1_14transform_implILb0ES3_S5_N6thrust23THRUST_200600_302600_NS6detail15normal_iteratorINS8_7pointerIsNS8_11hip_rocprim5par_tENS8_11use_defaultESE_EEEENSA_INSB_IiSD_SE_SE_EEEEZNS1_13binary_searchIS3_S5_NSA_INS8_10device_ptrIsEEEESG_SI_NS1_16binary_search_opENS9_16wrapped_functionINS8_6system6detail7generic6detail18binary_search_lessEbEEEE10hipError_tPvRmT1_T2_T3_mmT4_T5_P12ihipStream_tbEUlRKsE_EESV_SZ_S10_mS11_S14_bEUlT_E_NS1_11comp_targetILNS1_3genE0ELNS1_11target_archE4294967295ELNS1_3gpuE0ELNS1_3repE0EEENS1_30default_config_static_selectorELNS0_4arch9wavefront6targetE0EEEvSY_
		.amdhsa_group_segment_fixed_size 0
		.amdhsa_private_segment_fixed_size 0
		.amdhsa_kernarg_size 56
		.amdhsa_user_sgpr_count 6
		.amdhsa_user_sgpr_private_segment_buffer 1
		.amdhsa_user_sgpr_dispatch_ptr 0
		.amdhsa_user_sgpr_queue_ptr 0
		.amdhsa_user_sgpr_kernarg_segment_ptr 1
		.amdhsa_user_sgpr_dispatch_id 0
		.amdhsa_user_sgpr_flat_scratch_init 0
		.amdhsa_user_sgpr_private_segment_size 0
		.amdhsa_wavefront_size32 1
		.amdhsa_uses_dynamic_stack 0
		.amdhsa_system_sgpr_private_segment_wavefront_offset 0
		.amdhsa_system_sgpr_workgroup_id_x 1
		.amdhsa_system_sgpr_workgroup_id_y 0
		.amdhsa_system_sgpr_workgroup_id_z 0
		.amdhsa_system_sgpr_workgroup_info 0
		.amdhsa_system_vgpr_workitem_id 0
		.amdhsa_next_free_vgpr 1
		.amdhsa_next_free_sgpr 1
		.amdhsa_reserve_vcc 0
		.amdhsa_reserve_flat_scratch 0
		.amdhsa_float_round_mode_32 0
		.amdhsa_float_round_mode_16_64 0
		.amdhsa_float_denorm_mode_32 3
		.amdhsa_float_denorm_mode_16_64 3
		.amdhsa_dx10_clamp 1
		.amdhsa_ieee_mode 1
		.amdhsa_fp16_overflow 0
		.amdhsa_workgroup_processor_mode 1
		.amdhsa_memory_ordered 1
		.amdhsa_forward_progress 1
		.amdhsa_shared_vgpr_count 0
		.amdhsa_exception_fp_ieee_invalid_op 0
		.amdhsa_exception_fp_denorm_src 0
		.amdhsa_exception_fp_ieee_div_zero 0
		.amdhsa_exception_fp_ieee_overflow 0
		.amdhsa_exception_fp_ieee_underflow 0
		.amdhsa_exception_fp_ieee_inexact 0
		.amdhsa_exception_int_div_zero 0
	.end_amdhsa_kernel
	.section	.text._ZN7rocprim17ROCPRIM_400000_NS6detail17trampoline_kernelINS0_14default_configENS1_29binary_search_config_selectorIsiEEZNS1_14transform_implILb0ES3_S5_N6thrust23THRUST_200600_302600_NS6detail15normal_iteratorINS8_7pointerIsNS8_11hip_rocprim5par_tENS8_11use_defaultESE_EEEENSA_INSB_IiSD_SE_SE_EEEEZNS1_13binary_searchIS3_S5_NSA_INS8_10device_ptrIsEEEESG_SI_NS1_16binary_search_opENS9_16wrapped_functionINS8_6system6detail7generic6detail18binary_search_lessEbEEEE10hipError_tPvRmT1_T2_T3_mmT4_T5_P12ihipStream_tbEUlRKsE_EESV_SZ_S10_mS11_S14_bEUlT_E_NS1_11comp_targetILNS1_3genE0ELNS1_11target_archE4294967295ELNS1_3gpuE0ELNS1_3repE0EEENS1_30default_config_static_selectorELNS0_4arch9wavefront6targetE0EEEvSY_,"axG",@progbits,_ZN7rocprim17ROCPRIM_400000_NS6detail17trampoline_kernelINS0_14default_configENS1_29binary_search_config_selectorIsiEEZNS1_14transform_implILb0ES3_S5_N6thrust23THRUST_200600_302600_NS6detail15normal_iteratorINS8_7pointerIsNS8_11hip_rocprim5par_tENS8_11use_defaultESE_EEEENSA_INSB_IiSD_SE_SE_EEEEZNS1_13binary_searchIS3_S5_NSA_INS8_10device_ptrIsEEEESG_SI_NS1_16binary_search_opENS9_16wrapped_functionINS8_6system6detail7generic6detail18binary_search_lessEbEEEE10hipError_tPvRmT1_T2_T3_mmT4_T5_P12ihipStream_tbEUlRKsE_EESV_SZ_S10_mS11_S14_bEUlT_E_NS1_11comp_targetILNS1_3genE0ELNS1_11target_archE4294967295ELNS1_3gpuE0ELNS1_3repE0EEENS1_30default_config_static_selectorELNS0_4arch9wavefront6targetE0EEEvSY_,comdat
.Lfunc_end716:
	.size	_ZN7rocprim17ROCPRIM_400000_NS6detail17trampoline_kernelINS0_14default_configENS1_29binary_search_config_selectorIsiEEZNS1_14transform_implILb0ES3_S5_N6thrust23THRUST_200600_302600_NS6detail15normal_iteratorINS8_7pointerIsNS8_11hip_rocprim5par_tENS8_11use_defaultESE_EEEENSA_INSB_IiSD_SE_SE_EEEEZNS1_13binary_searchIS3_S5_NSA_INS8_10device_ptrIsEEEESG_SI_NS1_16binary_search_opENS9_16wrapped_functionINS8_6system6detail7generic6detail18binary_search_lessEbEEEE10hipError_tPvRmT1_T2_T3_mmT4_T5_P12ihipStream_tbEUlRKsE_EESV_SZ_S10_mS11_S14_bEUlT_E_NS1_11comp_targetILNS1_3genE0ELNS1_11target_archE4294967295ELNS1_3gpuE0ELNS1_3repE0EEENS1_30default_config_static_selectorELNS0_4arch9wavefront6targetE0EEEvSY_, .Lfunc_end716-_ZN7rocprim17ROCPRIM_400000_NS6detail17trampoline_kernelINS0_14default_configENS1_29binary_search_config_selectorIsiEEZNS1_14transform_implILb0ES3_S5_N6thrust23THRUST_200600_302600_NS6detail15normal_iteratorINS8_7pointerIsNS8_11hip_rocprim5par_tENS8_11use_defaultESE_EEEENSA_INSB_IiSD_SE_SE_EEEEZNS1_13binary_searchIS3_S5_NSA_INS8_10device_ptrIsEEEESG_SI_NS1_16binary_search_opENS9_16wrapped_functionINS8_6system6detail7generic6detail18binary_search_lessEbEEEE10hipError_tPvRmT1_T2_T3_mmT4_T5_P12ihipStream_tbEUlRKsE_EESV_SZ_S10_mS11_S14_bEUlT_E_NS1_11comp_targetILNS1_3genE0ELNS1_11target_archE4294967295ELNS1_3gpuE0ELNS1_3repE0EEENS1_30default_config_static_selectorELNS0_4arch9wavefront6targetE0EEEvSY_
                                        ; -- End function
	.set _ZN7rocprim17ROCPRIM_400000_NS6detail17trampoline_kernelINS0_14default_configENS1_29binary_search_config_selectorIsiEEZNS1_14transform_implILb0ES3_S5_N6thrust23THRUST_200600_302600_NS6detail15normal_iteratorINS8_7pointerIsNS8_11hip_rocprim5par_tENS8_11use_defaultESE_EEEENSA_INSB_IiSD_SE_SE_EEEEZNS1_13binary_searchIS3_S5_NSA_INS8_10device_ptrIsEEEESG_SI_NS1_16binary_search_opENS9_16wrapped_functionINS8_6system6detail7generic6detail18binary_search_lessEbEEEE10hipError_tPvRmT1_T2_T3_mmT4_T5_P12ihipStream_tbEUlRKsE_EESV_SZ_S10_mS11_S14_bEUlT_E_NS1_11comp_targetILNS1_3genE0ELNS1_11target_archE4294967295ELNS1_3gpuE0ELNS1_3repE0EEENS1_30default_config_static_selectorELNS0_4arch9wavefront6targetE0EEEvSY_.num_vgpr, 0
	.set _ZN7rocprim17ROCPRIM_400000_NS6detail17trampoline_kernelINS0_14default_configENS1_29binary_search_config_selectorIsiEEZNS1_14transform_implILb0ES3_S5_N6thrust23THRUST_200600_302600_NS6detail15normal_iteratorINS8_7pointerIsNS8_11hip_rocprim5par_tENS8_11use_defaultESE_EEEENSA_INSB_IiSD_SE_SE_EEEEZNS1_13binary_searchIS3_S5_NSA_INS8_10device_ptrIsEEEESG_SI_NS1_16binary_search_opENS9_16wrapped_functionINS8_6system6detail7generic6detail18binary_search_lessEbEEEE10hipError_tPvRmT1_T2_T3_mmT4_T5_P12ihipStream_tbEUlRKsE_EESV_SZ_S10_mS11_S14_bEUlT_E_NS1_11comp_targetILNS1_3genE0ELNS1_11target_archE4294967295ELNS1_3gpuE0ELNS1_3repE0EEENS1_30default_config_static_selectorELNS0_4arch9wavefront6targetE0EEEvSY_.num_agpr, 0
	.set _ZN7rocprim17ROCPRIM_400000_NS6detail17trampoline_kernelINS0_14default_configENS1_29binary_search_config_selectorIsiEEZNS1_14transform_implILb0ES3_S5_N6thrust23THRUST_200600_302600_NS6detail15normal_iteratorINS8_7pointerIsNS8_11hip_rocprim5par_tENS8_11use_defaultESE_EEEENSA_INSB_IiSD_SE_SE_EEEEZNS1_13binary_searchIS3_S5_NSA_INS8_10device_ptrIsEEEESG_SI_NS1_16binary_search_opENS9_16wrapped_functionINS8_6system6detail7generic6detail18binary_search_lessEbEEEE10hipError_tPvRmT1_T2_T3_mmT4_T5_P12ihipStream_tbEUlRKsE_EESV_SZ_S10_mS11_S14_bEUlT_E_NS1_11comp_targetILNS1_3genE0ELNS1_11target_archE4294967295ELNS1_3gpuE0ELNS1_3repE0EEENS1_30default_config_static_selectorELNS0_4arch9wavefront6targetE0EEEvSY_.numbered_sgpr, 0
	.set _ZN7rocprim17ROCPRIM_400000_NS6detail17trampoline_kernelINS0_14default_configENS1_29binary_search_config_selectorIsiEEZNS1_14transform_implILb0ES3_S5_N6thrust23THRUST_200600_302600_NS6detail15normal_iteratorINS8_7pointerIsNS8_11hip_rocprim5par_tENS8_11use_defaultESE_EEEENSA_INSB_IiSD_SE_SE_EEEEZNS1_13binary_searchIS3_S5_NSA_INS8_10device_ptrIsEEEESG_SI_NS1_16binary_search_opENS9_16wrapped_functionINS8_6system6detail7generic6detail18binary_search_lessEbEEEE10hipError_tPvRmT1_T2_T3_mmT4_T5_P12ihipStream_tbEUlRKsE_EESV_SZ_S10_mS11_S14_bEUlT_E_NS1_11comp_targetILNS1_3genE0ELNS1_11target_archE4294967295ELNS1_3gpuE0ELNS1_3repE0EEENS1_30default_config_static_selectorELNS0_4arch9wavefront6targetE0EEEvSY_.num_named_barrier, 0
	.set _ZN7rocprim17ROCPRIM_400000_NS6detail17trampoline_kernelINS0_14default_configENS1_29binary_search_config_selectorIsiEEZNS1_14transform_implILb0ES3_S5_N6thrust23THRUST_200600_302600_NS6detail15normal_iteratorINS8_7pointerIsNS8_11hip_rocprim5par_tENS8_11use_defaultESE_EEEENSA_INSB_IiSD_SE_SE_EEEEZNS1_13binary_searchIS3_S5_NSA_INS8_10device_ptrIsEEEESG_SI_NS1_16binary_search_opENS9_16wrapped_functionINS8_6system6detail7generic6detail18binary_search_lessEbEEEE10hipError_tPvRmT1_T2_T3_mmT4_T5_P12ihipStream_tbEUlRKsE_EESV_SZ_S10_mS11_S14_bEUlT_E_NS1_11comp_targetILNS1_3genE0ELNS1_11target_archE4294967295ELNS1_3gpuE0ELNS1_3repE0EEENS1_30default_config_static_selectorELNS0_4arch9wavefront6targetE0EEEvSY_.private_seg_size, 0
	.set _ZN7rocprim17ROCPRIM_400000_NS6detail17trampoline_kernelINS0_14default_configENS1_29binary_search_config_selectorIsiEEZNS1_14transform_implILb0ES3_S5_N6thrust23THRUST_200600_302600_NS6detail15normal_iteratorINS8_7pointerIsNS8_11hip_rocprim5par_tENS8_11use_defaultESE_EEEENSA_INSB_IiSD_SE_SE_EEEEZNS1_13binary_searchIS3_S5_NSA_INS8_10device_ptrIsEEEESG_SI_NS1_16binary_search_opENS9_16wrapped_functionINS8_6system6detail7generic6detail18binary_search_lessEbEEEE10hipError_tPvRmT1_T2_T3_mmT4_T5_P12ihipStream_tbEUlRKsE_EESV_SZ_S10_mS11_S14_bEUlT_E_NS1_11comp_targetILNS1_3genE0ELNS1_11target_archE4294967295ELNS1_3gpuE0ELNS1_3repE0EEENS1_30default_config_static_selectorELNS0_4arch9wavefront6targetE0EEEvSY_.uses_vcc, 0
	.set _ZN7rocprim17ROCPRIM_400000_NS6detail17trampoline_kernelINS0_14default_configENS1_29binary_search_config_selectorIsiEEZNS1_14transform_implILb0ES3_S5_N6thrust23THRUST_200600_302600_NS6detail15normal_iteratorINS8_7pointerIsNS8_11hip_rocprim5par_tENS8_11use_defaultESE_EEEENSA_INSB_IiSD_SE_SE_EEEEZNS1_13binary_searchIS3_S5_NSA_INS8_10device_ptrIsEEEESG_SI_NS1_16binary_search_opENS9_16wrapped_functionINS8_6system6detail7generic6detail18binary_search_lessEbEEEE10hipError_tPvRmT1_T2_T3_mmT4_T5_P12ihipStream_tbEUlRKsE_EESV_SZ_S10_mS11_S14_bEUlT_E_NS1_11comp_targetILNS1_3genE0ELNS1_11target_archE4294967295ELNS1_3gpuE0ELNS1_3repE0EEENS1_30default_config_static_selectorELNS0_4arch9wavefront6targetE0EEEvSY_.uses_flat_scratch, 0
	.set _ZN7rocprim17ROCPRIM_400000_NS6detail17trampoline_kernelINS0_14default_configENS1_29binary_search_config_selectorIsiEEZNS1_14transform_implILb0ES3_S5_N6thrust23THRUST_200600_302600_NS6detail15normal_iteratorINS8_7pointerIsNS8_11hip_rocprim5par_tENS8_11use_defaultESE_EEEENSA_INSB_IiSD_SE_SE_EEEEZNS1_13binary_searchIS3_S5_NSA_INS8_10device_ptrIsEEEESG_SI_NS1_16binary_search_opENS9_16wrapped_functionINS8_6system6detail7generic6detail18binary_search_lessEbEEEE10hipError_tPvRmT1_T2_T3_mmT4_T5_P12ihipStream_tbEUlRKsE_EESV_SZ_S10_mS11_S14_bEUlT_E_NS1_11comp_targetILNS1_3genE0ELNS1_11target_archE4294967295ELNS1_3gpuE0ELNS1_3repE0EEENS1_30default_config_static_selectorELNS0_4arch9wavefront6targetE0EEEvSY_.has_dyn_sized_stack, 0
	.set _ZN7rocprim17ROCPRIM_400000_NS6detail17trampoline_kernelINS0_14default_configENS1_29binary_search_config_selectorIsiEEZNS1_14transform_implILb0ES3_S5_N6thrust23THRUST_200600_302600_NS6detail15normal_iteratorINS8_7pointerIsNS8_11hip_rocprim5par_tENS8_11use_defaultESE_EEEENSA_INSB_IiSD_SE_SE_EEEEZNS1_13binary_searchIS3_S5_NSA_INS8_10device_ptrIsEEEESG_SI_NS1_16binary_search_opENS9_16wrapped_functionINS8_6system6detail7generic6detail18binary_search_lessEbEEEE10hipError_tPvRmT1_T2_T3_mmT4_T5_P12ihipStream_tbEUlRKsE_EESV_SZ_S10_mS11_S14_bEUlT_E_NS1_11comp_targetILNS1_3genE0ELNS1_11target_archE4294967295ELNS1_3gpuE0ELNS1_3repE0EEENS1_30default_config_static_selectorELNS0_4arch9wavefront6targetE0EEEvSY_.has_recursion, 0
	.set _ZN7rocprim17ROCPRIM_400000_NS6detail17trampoline_kernelINS0_14default_configENS1_29binary_search_config_selectorIsiEEZNS1_14transform_implILb0ES3_S5_N6thrust23THRUST_200600_302600_NS6detail15normal_iteratorINS8_7pointerIsNS8_11hip_rocprim5par_tENS8_11use_defaultESE_EEEENSA_INSB_IiSD_SE_SE_EEEEZNS1_13binary_searchIS3_S5_NSA_INS8_10device_ptrIsEEEESG_SI_NS1_16binary_search_opENS9_16wrapped_functionINS8_6system6detail7generic6detail18binary_search_lessEbEEEE10hipError_tPvRmT1_T2_T3_mmT4_T5_P12ihipStream_tbEUlRKsE_EESV_SZ_S10_mS11_S14_bEUlT_E_NS1_11comp_targetILNS1_3genE0ELNS1_11target_archE4294967295ELNS1_3gpuE0ELNS1_3repE0EEENS1_30default_config_static_selectorELNS0_4arch9wavefront6targetE0EEEvSY_.has_indirect_call, 0
	.section	.AMDGPU.csdata,"",@progbits
; Kernel info:
; codeLenInByte = 0
; TotalNumSgprs: 0
; NumVgprs: 0
; ScratchSize: 0
; MemoryBound: 0
; FloatMode: 240
; IeeeMode: 1
; LDSByteSize: 0 bytes/workgroup (compile time only)
; SGPRBlocks: 0
; VGPRBlocks: 0
; NumSGPRsForWavesPerEU: 1
; NumVGPRsForWavesPerEU: 1
; Occupancy: 16
; WaveLimiterHint : 0
; COMPUTE_PGM_RSRC2:SCRATCH_EN: 0
; COMPUTE_PGM_RSRC2:USER_SGPR: 6
; COMPUTE_PGM_RSRC2:TRAP_HANDLER: 0
; COMPUTE_PGM_RSRC2:TGID_X_EN: 1
; COMPUTE_PGM_RSRC2:TGID_Y_EN: 0
; COMPUTE_PGM_RSRC2:TGID_Z_EN: 0
; COMPUTE_PGM_RSRC2:TIDIG_COMP_CNT: 0
	.section	.text._ZN7rocprim17ROCPRIM_400000_NS6detail17trampoline_kernelINS0_14default_configENS1_29binary_search_config_selectorIsiEEZNS1_14transform_implILb0ES3_S5_N6thrust23THRUST_200600_302600_NS6detail15normal_iteratorINS8_7pointerIsNS8_11hip_rocprim5par_tENS8_11use_defaultESE_EEEENSA_INSB_IiSD_SE_SE_EEEEZNS1_13binary_searchIS3_S5_NSA_INS8_10device_ptrIsEEEESG_SI_NS1_16binary_search_opENS9_16wrapped_functionINS8_6system6detail7generic6detail18binary_search_lessEbEEEE10hipError_tPvRmT1_T2_T3_mmT4_T5_P12ihipStream_tbEUlRKsE_EESV_SZ_S10_mS11_S14_bEUlT_E_NS1_11comp_targetILNS1_3genE5ELNS1_11target_archE942ELNS1_3gpuE9ELNS1_3repE0EEENS1_30default_config_static_selectorELNS0_4arch9wavefront6targetE0EEEvSY_,"axG",@progbits,_ZN7rocprim17ROCPRIM_400000_NS6detail17trampoline_kernelINS0_14default_configENS1_29binary_search_config_selectorIsiEEZNS1_14transform_implILb0ES3_S5_N6thrust23THRUST_200600_302600_NS6detail15normal_iteratorINS8_7pointerIsNS8_11hip_rocprim5par_tENS8_11use_defaultESE_EEEENSA_INSB_IiSD_SE_SE_EEEEZNS1_13binary_searchIS3_S5_NSA_INS8_10device_ptrIsEEEESG_SI_NS1_16binary_search_opENS9_16wrapped_functionINS8_6system6detail7generic6detail18binary_search_lessEbEEEE10hipError_tPvRmT1_T2_T3_mmT4_T5_P12ihipStream_tbEUlRKsE_EESV_SZ_S10_mS11_S14_bEUlT_E_NS1_11comp_targetILNS1_3genE5ELNS1_11target_archE942ELNS1_3gpuE9ELNS1_3repE0EEENS1_30default_config_static_selectorELNS0_4arch9wavefront6targetE0EEEvSY_,comdat
	.protected	_ZN7rocprim17ROCPRIM_400000_NS6detail17trampoline_kernelINS0_14default_configENS1_29binary_search_config_selectorIsiEEZNS1_14transform_implILb0ES3_S5_N6thrust23THRUST_200600_302600_NS6detail15normal_iteratorINS8_7pointerIsNS8_11hip_rocprim5par_tENS8_11use_defaultESE_EEEENSA_INSB_IiSD_SE_SE_EEEEZNS1_13binary_searchIS3_S5_NSA_INS8_10device_ptrIsEEEESG_SI_NS1_16binary_search_opENS9_16wrapped_functionINS8_6system6detail7generic6detail18binary_search_lessEbEEEE10hipError_tPvRmT1_T2_T3_mmT4_T5_P12ihipStream_tbEUlRKsE_EESV_SZ_S10_mS11_S14_bEUlT_E_NS1_11comp_targetILNS1_3genE5ELNS1_11target_archE942ELNS1_3gpuE9ELNS1_3repE0EEENS1_30default_config_static_selectorELNS0_4arch9wavefront6targetE0EEEvSY_ ; -- Begin function _ZN7rocprim17ROCPRIM_400000_NS6detail17trampoline_kernelINS0_14default_configENS1_29binary_search_config_selectorIsiEEZNS1_14transform_implILb0ES3_S5_N6thrust23THRUST_200600_302600_NS6detail15normal_iteratorINS8_7pointerIsNS8_11hip_rocprim5par_tENS8_11use_defaultESE_EEEENSA_INSB_IiSD_SE_SE_EEEEZNS1_13binary_searchIS3_S5_NSA_INS8_10device_ptrIsEEEESG_SI_NS1_16binary_search_opENS9_16wrapped_functionINS8_6system6detail7generic6detail18binary_search_lessEbEEEE10hipError_tPvRmT1_T2_T3_mmT4_T5_P12ihipStream_tbEUlRKsE_EESV_SZ_S10_mS11_S14_bEUlT_E_NS1_11comp_targetILNS1_3genE5ELNS1_11target_archE942ELNS1_3gpuE9ELNS1_3repE0EEENS1_30default_config_static_selectorELNS0_4arch9wavefront6targetE0EEEvSY_
	.globl	_ZN7rocprim17ROCPRIM_400000_NS6detail17trampoline_kernelINS0_14default_configENS1_29binary_search_config_selectorIsiEEZNS1_14transform_implILb0ES3_S5_N6thrust23THRUST_200600_302600_NS6detail15normal_iteratorINS8_7pointerIsNS8_11hip_rocprim5par_tENS8_11use_defaultESE_EEEENSA_INSB_IiSD_SE_SE_EEEEZNS1_13binary_searchIS3_S5_NSA_INS8_10device_ptrIsEEEESG_SI_NS1_16binary_search_opENS9_16wrapped_functionINS8_6system6detail7generic6detail18binary_search_lessEbEEEE10hipError_tPvRmT1_T2_T3_mmT4_T5_P12ihipStream_tbEUlRKsE_EESV_SZ_S10_mS11_S14_bEUlT_E_NS1_11comp_targetILNS1_3genE5ELNS1_11target_archE942ELNS1_3gpuE9ELNS1_3repE0EEENS1_30default_config_static_selectorELNS0_4arch9wavefront6targetE0EEEvSY_
	.p2align	8
	.type	_ZN7rocprim17ROCPRIM_400000_NS6detail17trampoline_kernelINS0_14default_configENS1_29binary_search_config_selectorIsiEEZNS1_14transform_implILb0ES3_S5_N6thrust23THRUST_200600_302600_NS6detail15normal_iteratorINS8_7pointerIsNS8_11hip_rocprim5par_tENS8_11use_defaultESE_EEEENSA_INSB_IiSD_SE_SE_EEEEZNS1_13binary_searchIS3_S5_NSA_INS8_10device_ptrIsEEEESG_SI_NS1_16binary_search_opENS9_16wrapped_functionINS8_6system6detail7generic6detail18binary_search_lessEbEEEE10hipError_tPvRmT1_T2_T3_mmT4_T5_P12ihipStream_tbEUlRKsE_EESV_SZ_S10_mS11_S14_bEUlT_E_NS1_11comp_targetILNS1_3genE5ELNS1_11target_archE942ELNS1_3gpuE9ELNS1_3repE0EEENS1_30default_config_static_selectorELNS0_4arch9wavefront6targetE0EEEvSY_,@function
_ZN7rocprim17ROCPRIM_400000_NS6detail17trampoline_kernelINS0_14default_configENS1_29binary_search_config_selectorIsiEEZNS1_14transform_implILb0ES3_S5_N6thrust23THRUST_200600_302600_NS6detail15normal_iteratorINS8_7pointerIsNS8_11hip_rocprim5par_tENS8_11use_defaultESE_EEEENSA_INSB_IiSD_SE_SE_EEEEZNS1_13binary_searchIS3_S5_NSA_INS8_10device_ptrIsEEEESG_SI_NS1_16binary_search_opENS9_16wrapped_functionINS8_6system6detail7generic6detail18binary_search_lessEbEEEE10hipError_tPvRmT1_T2_T3_mmT4_T5_P12ihipStream_tbEUlRKsE_EESV_SZ_S10_mS11_S14_bEUlT_E_NS1_11comp_targetILNS1_3genE5ELNS1_11target_archE942ELNS1_3gpuE9ELNS1_3repE0EEENS1_30default_config_static_selectorELNS0_4arch9wavefront6targetE0EEEvSY_: ; @_ZN7rocprim17ROCPRIM_400000_NS6detail17trampoline_kernelINS0_14default_configENS1_29binary_search_config_selectorIsiEEZNS1_14transform_implILb0ES3_S5_N6thrust23THRUST_200600_302600_NS6detail15normal_iteratorINS8_7pointerIsNS8_11hip_rocprim5par_tENS8_11use_defaultESE_EEEENSA_INSB_IiSD_SE_SE_EEEEZNS1_13binary_searchIS3_S5_NSA_INS8_10device_ptrIsEEEESG_SI_NS1_16binary_search_opENS9_16wrapped_functionINS8_6system6detail7generic6detail18binary_search_lessEbEEEE10hipError_tPvRmT1_T2_T3_mmT4_T5_P12ihipStream_tbEUlRKsE_EESV_SZ_S10_mS11_S14_bEUlT_E_NS1_11comp_targetILNS1_3genE5ELNS1_11target_archE942ELNS1_3gpuE9ELNS1_3repE0EEENS1_30default_config_static_selectorELNS0_4arch9wavefront6targetE0EEEvSY_
; %bb.0:
	.section	.rodata,"a",@progbits
	.p2align	6, 0x0
	.amdhsa_kernel _ZN7rocprim17ROCPRIM_400000_NS6detail17trampoline_kernelINS0_14default_configENS1_29binary_search_config_selectorIsiEEZNS1_14transform_implILb0ES3_S5_N6thrust23THRUST_200600_302600_NS6detail15normal_iteratorINS8_7pointerIsNS8_11hip_rocprim5par_tENS8_11use_defaultESE_EEEENSA_INSB_IiSD_SE_SE_EEEEZNS1_13binary_searchIS3_S5_NSA_INS8_10device_ptrIsEEEESG_SI_NS1_16binary_search_opENS9_16wrapped_functionINS8_6system6detail7generic6detail18binary_search_lessEbEEEE10hipError_tPvRmT1_T2_T3_mmT4_T5_P12ihipStream_tbEUlRKsE_EESV_SZ_S10_mS11_S14_bEUlT_E_NS1_11comp_targetILNS1_3genE5ELNS1_11target_archE942ELNS1_3gpuE9ELNS1_3repE0EEENS1_30default_config_static_selectorELNS0_4arch9wavefront6targetE0EEEvSY_
		.amdhsa_group_segment_fixed_size 0
		.amdhsa_private_segment_fixed_size 0
		.amdhsa_kernarg_size 56
		.amdhsa_user_sgpr_count 6
		.amdhsa_user_sgpr_private_segment_buffer 1
		.amdhsa_user_sgpr_dispatch_ptr 0
		.amdhsa_user_sgpr_queue_ptr 0
		.amdhsa_user_sgpr_kernarg_segment_ptr 1
		.amdhsa_user_sgpr_dispatch_id 0
		.amdhsa_user_sgpr_flat_scratch_init 0
		.amdhsa_user_sgpr_private_segment_size 0
		.amdhsa_wavefront_size32 1
		.amdhsa_uses_dynamic_stack 0
		.amdhsa_system_sgpr_private_segment_wavefront_offset 0
		.amdhsa_system_sgpr_workgroup_id_x 1
		.amdhsa_system_sgpr_workgroup_id_y 0
		.amdhsa_system_sgpr_workgroup_id_z 0
		.amdhsa_system_sgpr_workgroup_info 0
		.amdhsa_system_vgpr_workitem_id 0
		.amdhsa_next_free_vgpr 1
		.amdhsa_next_free_sgpr 1
		.amdhsa_reserve_vcc 0
		.amdhsa_reserve_flat_scratch 0
		.amdhsa_float_round_mode_32 0
		.amdhsa_float_round_mode_16_64 0
		.amdhsa_float_denorm_mode_32 3
		.amdhsa_float_denorm_mode_16_64 3
		.amdhsa_dx10_clamp 1
		.amdhsa_ieee_mode 1
		.amdhsa_fp16_overflow 0
		.amdhsa_workgroup_processor_mode 1
		.amdhsa_memory_ordered 1
		.amdhsa_forward_progress 1
		.amdhsa_shared_vgpr_count 0
		.amdhsa_exception_fp_ieee_invalid_op 0
		.amdhsa_exception_fp_denorm_src 0
		.amdhsa_exception_fp_ieee_div_zero 0
		.amdhsa_exception_fp_ieee_overflow 0
		.amdhsa_exception_fp_ieee_underflow 0
		.amdhsa_exception_fp_ieee_inexact 0
		.amdhsa_exception_int_div_zero 0
	.end_amdhsa_kernel
	.section	.text._ZN7rocprim17ROCPRIM_400000_NS6detail17trampoline_kernelINS0_14default_configENS1_29binary_search_config_selectorIsiEEZNS1_14transform_implILb0ES3_S5_N6thrust23THRUST_200600_302600_NS6detail15normal_iteratorINS8_7pointerIsNS8_11hip_rocprim5par_tENS8_11use_defaultESE_EEEENSA_INSB_IiSD_SE_SE_EEEEZNS1_13binary_searchIS3_S5_NSA_INS8_10device_ptrIsEEEESG_SI_NS1_16binary_search_opENS9_16wrapped_functionINS8_6system6detail7generic6detail18binary_search_lessEbEEEE10hipError_tPvRmT1_T2_T3_mmT4_T5_P12ihipStream_tbEUlRKsE_EESV_SZ_S10_mS11_S14_bEUlT_E_NS1_11comp_targetILNS1_3genE5ELNS1_11target_archE942ELNS1_3gpuE9ELNS1_3repE0EEENS1_30default_config_static_selectorELNS0_4arch9wavefront6targetE0EEEvSY_,"axG",@progbits,_ZN7rocprim17ROCPRIM_400000_NS6detail17trampoline_kernelINS0_14default_configENS1_29binary_search_config_selectorIsiEEZNS1_14transform_implILb0ES3_S5_N6thrust23THRUST_200600_302600_NS6detail15normal_iteratorINS8_7pointerIsNS8_11hip_rocprim5par_tENS8_11use_defaultESE_EEEENSA_INSB_IiSD_SE_SE_EEEEZNS1_13binary_searchIS3_S5_NSA_INS8_10device_ptrIsEEEESG_SI_NS1_16binary_search_opENS9_16wrapped_functionINS8_6system6detail7generic6detail18binary_search_lessEbEEEE10hipError_tPvRmT1_T2_T3_mmT4_T5_P12ihipStream_tbEUlRKsE_EESV_SZ_S10_mS11_S14_bEUlT_E_NS1_11comp_targetILNS1_3genE5ELNS1_11target_archE942ELNS1_3gpuE9ELNS1_3repE0EEENS1_30default_config_static_selectorELNS0_4arch9wavefront6targetE0EEEvSY_,comdat
.Lfunc_end717:
	.size	_ZN7rocprim17ROCPRIM_400000_NS6detail17trampoline_kernelINS0_14default_configENS1_29binary_search_config_selectorIsiEEZNS1_14transform_implILb0ES3_S5_N6thrust23THRUST_200600_302600_NS6detail15normal_iteratorINS8_7pointerIsNS8_11hip_rocprim5par_tENS8_11use_defaultESE_EEEENSA_INSB_IiSD_SE_SE_EEEEZNS1_13binary_searchIS3_S5_NSA_INS8_10device_ptrIsEEEESG_SI_NS1_16binary_search_opENS9_16wrapped_functionINS8_6system6detail7generic6detail18binary_search_lessEbEEEE10hipError_tPvRmT1_T2_T3_mmT4_T5_P12ihipStream_tbEUlRKsE_EESV_SZ_S10_mS11_S14_bEUlT_E_NS1_11comp_targetILNS1_3genE5ELNS1_11target_archE942ELNS1_3gpuE9ELNS1_3repE0EEENS1_30default_config_static_selectorELNS0_4arch9wavefront6targetE0EEEvSY_, .Lfunc_end717-_ZN7rocprim17ROCPRIM_400000_NS6detail17trampoline_kernelINS0_14default_configENS1_29binary_search_config_selectorIsiEEZNS1_14transform_implILb0ES3_S5_N6thrust23THRUST_200600_302600_NS6detail15normal_iteratorINS8_7pointerIsNS8_11hip_rocprim5par_tENS8_11use_defaultESE_EEEENSA_INSB_IiSD_SE_SE_EEEEZNS1_13binary_searchIS3_S5_NSA_INS8_10device_ptrIsEEEESG_SI_NS1_16binary_search_opENS9_16wrapped_functionINS8_6system6detail7generic6detail18binary_search_lessEbEEEE10hipError_tPvRmT1_T2_T3_mmT4_T5_P12ihipStream_tbEUlRKsE_EESV_SZ_S10_mS11_S14_bEUlT_E_NS1_11comp_targetILNS1_3genE5ELNS1_11target_archE942ELNS1_3gpuE9ELNS1_3repE0EEENS1_30default_config_static_selectorELNS0_4arch9wavefront6targetE0EEEvSY_
                                        ; -- End function
	.set _ZN7rocprim17ROCPRIM_400000_NS6detail17trampoline_kernelINS0_14default_configENS1_29binary_search_config_selectorIsiEEZNS1_14transform_implILb0ES3_S5_N6thrust23THRUST_200600_302600_NS6detail15normal_iteratorINS8_7pointerIsNS8_11hip_rocprim5par_tENS8_11use_defaultESE_EEEENSA_INSB_IiSD_SE_SE_EEEEZNS1_13binary_searchIS3_S5_NSA_INS8_10device_ptrIsEEEESG_SI_NS1_16binary_search_opENS9_16wrapped_functionINS8_6system6detail7generic6detail18binary_search_lessEbEEEE10hipError_tPvRmT1_T2_T3_mmT4_T5_P12ihipStream_tbEUlRKsE_EESV_SZ_S10_mS11_S14_bEUlT_E_NS1_11comp_targetILNS1_3genE5ELNS1_11target_archE942ELNS1_3gpuE9ELNS1_3repE0EEENS1_30default_config_static_selectorELNS0_4arch9wavefront6targetE0EEEvSY_.num_vgpr, 0
	.set _ZN7rocprim17ROCPRIM_400000_NS6detail17trampoline_kernelINS0_14default_configENS1_29binary_search_config_selectorIsiEEZNS1_14transform_implILb0ES3_S5_N6thrust23THRUST_200600_302600_NS6detail15normal_iteratorINS8_7pointerIsNS8_11hip_rocprim5par_tENS8_11use_defaultESE_EEEENSA_INSB_IiSD_SE_SE_EEEEZNS1_13binary_searchIS3_S5_NSA_INS8_10device_ptrIsEEEESG_SI_NS1_16binary_search_opENS9_16wrapped_functionINS8_6system6detail7generic6detail18binary_search_lessEbEEEE10hipError_tPvRmT1_T2_T3_mmT4_T5_P12ihipStream_tbEUlRKsE_EESV_SZ_S10_mS11_S14_bEUlT_E_NS1_11comp_targetILNS1_3genE5ELNS1_11target_archE942ELNS1_3gpuE9ELNS1_3repE0EEENS1_30default_config_static_selectorELNS0_4arch9wavefront6targetE0EEEvSY_.num_agpr, 0
	.set _ZN7rocprim17ROCPRIM_400000_NS6detail17trampoline_kernelINS0_14default_configENS1_29binary_search_config_selectorIsiEEZNS1_14transform_implILb0ES3_S5_N6thrust23THRUST_200600_302600_NS6detail15normal_iteratorINS8_7pointerIsNS8_11hip_rocprim5par_tENS8_11use_defaultESE_EEEENSA_INSB_IiSD_SE_SE_EEEEZNS1_13binary_searchIS3_S5_NSA_INS8_10device_ptrIsEEEESG_SI_NS1_16binary_search_opENS9_16wrapped_functionINS8_6system6detail7generic6detail18binary_search_lessEbEEEE10hipError_tPvRmT1_T2_T3_mmT4_T5_P12ihipStream_tbEUlRKsE_EESV_SZ_S10_mS11_S14_bEUlT_E_NS1_11comp_targetILNS1_3genE5ELNS1_11target_archE942ELNS1_3gpuE9ELNS1_3repE0EEENS1_30default_config_static_selectorELNS0_4arch9wavefront6targetE0EEEvSY_.numbered_sgpr, 0
	.set _ZN7rocprim17ROCPRIM_400000_NS6detail17trampoline_kernelINS0_14default_configENS1_29binary_search_config_selectorIsiEEZNS1_14transform_implILb0ES3_S5_N6thrust23THRUST_200600_302600_NS6detail15normal_iteratorINS8_7pointerIsNS8_11hip_rocprim5par_tENS8_11use_defaultESE_EEEENSA_INSB_IiSD_SE_SE_EEEEZNS1_13binary_searchIS3_S5_NSA_INS8_10device_ptrIsEEEESG_SI_NS1_16binary_search_opENS9_16wrapped_functionINS8_6system6detail7generic6detail18binary_search_lessEbEEEE10hipError_tPvRmT1_T2_T3_mmT4_T5_P12ihipStream_tbEUlRKsE_EESV_SZ_S10_mS11_S14_bEUlT_E_NS1_11comp_targetILNS1_3genE5ELNS1_11target_archE942ELNS1_3gpuE9ELNS1_3repE0EEENS1_30default_config_static_selectorELNS0_4arch9wavefront6targetE0EEEvSY_.num_named_barrier, 0
	.set _ZN7rocprim17ROCPRIM_400000_NS6detail17trampoline_kernelINS0_14default_configENS1_29binary_search_config_selectorIsiEEZNS1_14transform_implILb0ES3_S5_N6thrust23THRUST_200600_302600_NS6detail15normal_iteratorINS8_7pointerIsNS8_11hip_rocprim5par_tENS8_11use_defaultESE_EEEENSA_INSB_IiSD_SE_SE_EEEEZNS1_13binary_searchIS3_S5_NSA_INS8_10device_ptrIsEEEESG_SI_NS1_16binary_search_opENS9_16wrapped_functionINS8_6system6detail7generic6detail18binary_search_lessEbEEEE10hipError_tPvRmT1_T2_T3_mmT4_T5_P12ihipStream_tbEUlRKsE_EESV_SZ_S10_mS11_S14_bEUlT_E_NS1_11comp_targetILNS1_3genE5ELNS1_11target_archE942ELNS1_3gpuE9ELNS1_3repE0EEENS1_30default_config_static_selectorELNS0_4arch9wavefront6targetE0EEEvSY_.private_seg_size, 0
	.set _ZN7rocprim17ROCPRIM_400000_NS6detail17trampoline_kernelINS0_14default_configENS1_29binary_search_config_selectorIsiEEZNS1_14transform_implILb0ES3_S5_N6thrust23THRUST_200600_302600_NS6detail15normal_iteratorINS8_7pointerIsNS8_11hip_rocprim5par_tENS8_11use_defaultESE_EEEENSA_INSB_IiSD_SE_SE_EEEEZNS1_13binary_searchIS3_S5_NSA_INS8_10device_ptrIsEEEESG_SI_NS1_16binary_search_opENS9_16wrapped_functionINS8_6system6detail7generic6detail18binary_search_lessEbEEEE10hipError_tPvRmT1_T2_T3_mmT4_T5_P12ihipStream_tbEUlRKsE_EESV_SZ_S10_mS11_S14_bEUlT_E_NS1_11comp_targetILNS1_3genE5ELNS1_11target_archE942ELNS1_3gpuE9ELNS1_3repE0EEENS1_30default_config_static_selectorELNS0_4arch9wavefront6targetE0EEEvSY_.uses_vcc, 0
	.set _ZN7rocprim17ROCPRIM_400000_NS6detail17trampoline_kernelINS0_14default_configENS1_29binary_search_config_selectorIsiEEZNS1_14transform_implILb0ES3_S5_N6thrust23THRUST_200600_302600_NS6detail15normal_iteratorINS8_7pointerIsNS8_11hip_rocprim5par_tENS8_11use_defaultESE_EEEENSA_INSB_IiSD_SE_SE_EEEEZNS1_13binary_searchIS3_S5_NSA_INS8_10device_ptrIsEEEESG_SI_NS1_16binary_search_opENS9_16wrapped_functionINS8_6system6detail7generic6detail18binary_search_lessEbEEEE10hipError_tPvRmT1_T2_T3_mmT4_T5_P12ihipStream_tbEUlRKsE_EESV_SZ_S10_mS11_S14_bEUlT_E_NS1_11comp_targetILNS1_3genE5ELNS1_11target_archE942ELNS1_3gpuE9ELNS1_3repE0EEENS1_30default_config_static_selectorELNS0_4arch9wavefront6targetE0EEEvSY_.uses_flat_scratch, 0
	.set _ZN7rocprim17ROCPRIM_400000_NS6detail17trampoline_kernelINS0_14default_configENS1_29binary_search_config_selectorIsiEEZNS1_14transform_implILb0ES3_S5_N6thrust23THRUST_200600_302600_NS6detail15normal_iteratorINS8_7pointerIsNS8_11hip_rocprim5par_tENS8_11use_defaultESE_EEEENSA_INSB_IiSD_SE_SE_EEEEZNS1_13binary_searchIS3_S5_NSA_INS8_10device_ptrIsEEEESG_SI_NS1_16binary_search_opENS9_16wrapped_functionINS8_6system6detail7generic6detail18binary_search_lessEbEEEE10hipError_tPvRmT1_T2_T3_mmT4_T5_P12ihipStream_tbEUlRKsE_EESV_SZ_S10_mS11_S14_bEUlT_E_NS1_11comp_targetILNS1_3genE5ELNS1_11target_archE942ELNS1_3gpuE9ELNS1_3repE0EEENS1_30default_config_static_selectorELNS0_4arch9wavefront6targetE0EEEvSY_.has_dyn_sized_stack, 0
	.set _ZN7rocprim17ROCPRIM_400000_NS6detail17trampoline_kernelINS0_14default_configENS1_29binary_search_config_selectorIsiEEZNS1_14transform_implILb0ES3_S5_N6thrust23THRUST_200600_302600_NS6detail15normal_iteratorINS8_7pointerIsNS8_11hip_rocprim5par_tENS8_11use_defaultESE_EEEENSA_INSB_IiSD_SE_SE_EEEEZNS1_13binary_searchIS3_S5_NSA_INS8_10device_ptrIsEEEESG_SI_NS1_16binary_search_opENS9_16wrapped_functionINS8_6system6detail7generic6detail18binary_search_lessEbEEEE10hipError_tPvRmT1_T2_T3_mmT4_T5_P12ihipStream_tbEUlRKsE_EESV_SZ_S10_mS11_S14_bEUlT_E_NS1_11comp_targetILNS1_3genE5ELNS1_11target_archE942ELNS1_3gpuE9ELNS1_3repE0EEENS1_30default_config_static_selectorELNS0_4arch9wavefront6targetE0EEEvSY_.has_recursion, 0
	.set _ZN7rocprim17ROCPRIM_400000_NS6detail17trampoline_kernelINS0_14default_configENS1_29binary_search_config_selectorIsiEEZNS1_14transform_implILb0ES3_S5_N6thrust23THRUST_200600_302600_NS6detail15normal_iteratorINS8_7pointerIsNS8_11hip_rocprim5par_tENS8_11use_defaultESE_EEEENSA_INSB_IiSD_SE_SE_EEEEZNS1_13binary_searchIS3_S5_NSA_INS8_10device_ptrIsEEEESG_SI_NS1_16binary_search_opENS9_16wrapped_functionINS8_6system6detail7generic6detail18binary_search_lessEbEEEE10hipError_tPvRmT1_T2_T3_mmT4_T5_P12ihipStream_tbEUlRKsE_EESV_SZ_S10_mS11_S14_bEUlT_E_NS1_11comp_targetILNS1_3genE5ELNS1_11target_archE942ELNS1_3gpuE9ELNS1_3repE0EEENS1_30default_config_static_selectorELNS0_4arch9wavefront6targetE0EEEvSY_.has_indirect_call, 0
	.section	.AMDGPU.csdata,"",@progbits
; Kernel info:
; codeLenInByte = 0
; TotalNumSgprs: 0
; NumVgprs: 0
; ScratchSize: 0
; MemoryBound: 0
; FloatMode: 240
; IeeeMode: 1
; LDSByteSize: 0 bytes/workgroup (compile time only)
; SGPRBlocks: 0
; VGPRBlocks: 0
; NumSGPRsForWavesPerEU: 1
; NumVGPRsForWavesPerEU: 1
; Occupancy: 16
; WaveLimiterHint : 0
; COMPUTE_PGM_RSRC2:SCRATCH_EN: 0
; COMPUTE_PGM_RSRC2:USER_SGPR: 6
; COMPUTE_PGM_RSRC2:TRAP_HANDLER: 0
; COMPUTE_PGM_RSRC2:TGID_X_EN: 1
; COMPUTE_PGM_RSRC2:TGID_Y_EN: 0
; COMPUTE_PGM_RSRC2:TGID_Z_EN: 0
; COMPUTE_PGM_RSRC2:TIDIG_COMP_CNT: 0
	.section	.text._ZN7rocprim17ROCPRIM_400000_NS6detail17trampoline_kernelINS0_14default_configENS1_29binary_search_config_selectorIsiEEZNS1_14transform_implILb0ES3_S5_N6thrust23THRUST_200600_302600_NS6detail15normal_iteratorINS8_7pointerIsNS8_11hip_rocprim5par_tENS8_11use_defaultESE_EEEENSA_INSB_IiSD_SE_SE_EEEEZNS1_13binary_searchIS3_S5_NSA_INS8_10device_ptrIsEEEESG_SI_NS1_16binary_search_opENS9_16wrapped_functionINS8_6system6detail7generic6detail18binary_search_lessEbEEEE10hipError_tPvRmT1_T2_T3_mmT4_T5_P12ihipStream_tbEUlRKsE_EESV_SZ_S10_mS11_S14_bEUlT_E_NS1_11comp_targetILNS1_3genE4ELNS1_11target_archE910ELNS1_3gpuE8ELNS1_3repE0EEENS1_30default_config_static_selectorELNS0_4arch9wavefront6targetE0EEEvSY_,"axG",@progbits,_ZN7rocprim17ROCPRIM_400000_NS6detail17trampoline_kernelINS0_14default_configENS1_29binary_search_config_selectorIsiEEZNS1_14transform_implILb0ES3_S5_N6thrust23THRUST_200600_302600_NS6detail15normal_iteratorINS8_7pointerIsNS8_11hip_rocprim5par_tENS8_11use_defaultESE_EEEENSA_INSB_IiSD_SE_SE_EEEEZNS1_13binary_searchIS3_S5_NSA_INS8_10device_ptrIsEEEESG_SI_NS1_16binary_search_opENS9_16wrapped_functionINS8_6system6detail7generic6detail18binary_search_lessEbEEEE10hipError_tPvRmT1_T2_T3_mmT4_T5_P12ihipStream_tbEUlRKsE_EESV_SZ_S10_mS11_S14_bEUlT_E_NS1_11comp_targetILNS1_3genE4ELNS1_11target_archE910ELNS1_3gpuE8ELNS1_3repE0EEENS1_30default_config_static_selectorELNS0_4arch9wavefront6targetE0EEEvSY_,comdat
	.protected	_ZN7rocprim17ROCPRIM_400000_NS6detail17trampoline_kernelINS0_14default_configENS1_29binary_search_config_selectorIsiEEZNS1_14transform_implILb0ES3_S5_N6thrust23THRUST_200600_302600_NS6detail15normal_iteratorINS8_7pointerIsNS8_11hip_rocprim5par_tENS8_11use_defaultESE_EEEENSA_INSB_IiSD_SE_SE_EEEEZNS1_13binary_searchIS3_S5_NSA_INS8_10device_ptrIsEEEESG_SI_NS1_16binary_search_opENS9_16wrapped_functionINS8_6system6detail7generic6detail18binary_search_lessEbEEEE10hipError_tPvRmT1_T2_T3_mmT4_T5_P12ihipStream_tbEUlRKsE_EESV_SZ_S10_mS11_S14_bEUlT_E_NS1_11comp_targetILNS1_3genE4ELNS1_11target_archE910ELNS1_3gpuE8ELNS1_3repE0EEENS1_30default_config_static_selectorELNS0_4arch9wavefront6targetE0EEEvSY_ ; -- Begin function _ZN7rocprim17ROCPRIM_400000_NS6detail17trampoline_kernelINS0_14default_configENS1_29binary_search_config_selectorIsiEEZNS1_14transform_implILb0ES3_S5_N6thrust23THRUST_200600_302600_NS6detail15normal_iteratorINS8_7pointerIsNS8_11hip_rocprim5par_tENS8_11use_defaultESE_EEEENSA_INSB_IiSD_SE_SE_EEEEZNS1_13binary_searchIS3_S5_NSA_INS8_10device_ptrIsEEEESG_SI_NS1_16binary_search_opENS9_16wrapped_functionINS8_6system6detail7generic6detail18binary_search_lessEbEEEE10hipError_tPvRmT1_T2_T3_mmT4_T5_P12ihipStream_tbEUlRKsE_EESV_SZ_S10_mS11_S14_bEUlT_E_NS1_11comp_targetILNS1_3genE4ELNS1_11target_archE910ELNS1_3gpuE8ELNS1_3repE0EEENS1_30default_config_static_selectorELNS0_4arch9wavefront6targetE0EEEvSY_
	.globl	_ZN7rocprim17ROCPRIM_400000_NS6detail17trampoline_kernelINS0_14default_configENS1_29binary_search_config_selectorIsiEEZNS1_14transform_implILb0ES3_S5_N6thrust23THRUST_200600_302600_NS6detail15normal_iteratorINS8_7pointerIsNS8_11hip_rocprim5par_tENS8_11use_defaultESE_EEEENSA_INSB_IiSD_SE_SE_EEEEZNS1_13binary_searchIS3_S5_NSA_INS8_10device_ptrIsEEEESG_SI_NS1_16binary_search_opENS9_16wrapped_functionINS8_6system6detail7generic6detail18binary_search_lessEbEEEE10hipError_tPvRmT1_T2_T3_mmT4_T5_P12ihipStream_tbEUlRKsE_EESV_SZ_S10_mS11_S14_bEUlT_E_NS1_11comp_targetILNS1_3genE4ELNS1_11target_archE910ELNS1_3gpuE8ELNS1_3repE0EEENS1_30default_config_static_selectorELNS0_4arch9wavefront6targetE0EEEvSY_
	.p2align	8
	.type	_ZN7rocprim17ROCPRIM_400000_NS6detail17trampoline_kernelINS0_14default_configENS1_29binary_search_config_selectorIsiEEZNS1_14transform_implILb0ES3_S5_N6thrust23THRUST_200600_302600_NS6detail15normal_iteratorINS8_7pointerIsNS8_11hip_rocprim5par_tENS8_11use_defaultESE_EEEENSA_INSB_IiSD_SE_SE_EEEEZNS1_13binary_searchIS3_S5_NSA_INS8_10device_ptrIsEEEESG_SI_NS1_16binary_search_opENS9_16wrapped_functionINS8_6system6detail7generic6detail18binary_search_lessEbEEEE10hipError_tPvRmT1_T2_T3_mmT4_T5_P12ihipStream_tbEUlRKsE_EESV_SZ_S10_mS11_S14_bEUlT_E_NS1_11comp_targetILNS1_3genE4ELNS1_11target_archE910ELNS1_3gpuE8ELNS1_3repE0EEENS1_30default_config_static_selectorELNS0_4arch9wavefront6targetE0EEEvSY_,@function
_ZN7rocprim17ROCPRIM_400000_NS6detail17trampoline_kernelINS0_14default_configENS1_29binary_search_config_selectorIsiEEZNS1_14transform_implILb0ES3_S5_N6thrust23THRUST_200600_302600_NS6detail15normal_iteratorINS8_7pointerIsNS8_11hip_rocprim5par_tENS8_11use_defaultESE_EEEENSA_INSB_IiSD_SE_SE_EEEEZNS1_13binary_searchIS3_S5_NSA_INS8_10device_ptrIsEEEESG_SI_NS1_16binary_search_opENS9_16wrapped_functionINS8_6system6detail7generic6detail18binary_search_lessEbEEEE10hipError_tPvRmT1_T2_T3_mmT4_T5_P12ihipStream_tbEUlRKsE_EESV_SZ_S10_mS11_S14_bEUlT_E_NS1_11comp_targetILNS1_3genE4ELNS1_11target_archE910ELNS1_3gpuE8ELNS1_3repE0EEENS1_30default_config_static_selectorELNS0_4arch9wavefront6targetE0EEEvSY_: ; @_ZN7rocprim17ROCPRIM_400000_NS6detail17trampoline_kernelINS0_14default_configENS1_29binary_search_config_selectorIsiEEZNS1_14transform_implILb0ES3_S5_N6thrust23THRUST_200600_302600_NS6detail15normal_iteratorINS8_7pointerIsNS8_11hip_rocprim5par_tENS8_11use_defaultESE_EEEENSA_INSB_IiSD_SE_SE_EEEEZNS1_13binary_searchIS3_S5_NSA_INS8_10device_ptrIsEEEESG_SI_NS1_16binary_search_opENS9_16wrapped_functionINS8_6system6detail7generic6detail18binary_search_lessEbEEEE10hipError_tPvRmT1_T2_T3_mmT4_T5_P12ihipStream_tbEUlRKsE_EESV_SZ_S10_mS11_S14_bEUlT_E_NS1_11comp_targetILNS1_3genE4ELNS1_11target_archE910ELNS1_3gpuE8ELNS1_3repE0EEENS1_30default_config_static_selectorELNS0_4arch9wavefront6targetE0EEEvSY_
; %bb.0:
	.section	.rodata,"a",@progbits
	.p2align	6, 0x0
	.amdhsa_kernel _ZN7rocprim17ROCPRIM_400000_NS6detail17trampoline_kernelINS0_14default_configENS1_29binary_search_config_selectorIsiEEZNS1_14transform_implILb0ES3_S5_N6thrust23THRUST_200600_302600_NS6detail15normal_iteratorINS8_7pointerIsNS8_11hip_rocprim5par_tENS8_11use_defaultESE_EEEENSA_INSB_IiSD_SE_SE_EEEEZNS1_13binary_searchIS3_S5_NSA_INS8_10device_ptrIsEEEESG_SI_NS1_16binary_search_opENS9_16wrapped_functionINS8_6system6detail7generic6detail18binary_search_lessEbEEEE10hipError_tPvRmT1_T2_T3_mmT4_T5_P12ihipStream_tbEUlRKsE_EESV_SZ_S10_mS11_S14_bEUlT_E_NS1_11comp_targetILNS1_3genE4ELNS1_11target_archE910ELNS1_3gpuE8ELNS1_3repE0EEENS1_30default_config_static_selectorELNS0_4arch9wavefront6targetE0EEEvSY_
		.amdhsa_group_segment_fixed_size 0
		.amdhsa_private_segment_fixed_size 0
		.amdhsa_kernarg_size 56
		.amdhsa_user_sgpr_count 6
		.amdhsa_user_sgpr_private_segment_buffer 1
		.amdhsa_user_sgpr_dispatch_ptr 0
		.amdhsa_user_sgpr_queue_ptr 0
		.amdhsa_user_sgpr_kernarg_segment_ptr 1
		.amdhsa_user_sgpr_dispatch_id 0
		.amdhsa_user_sgpr_flat_scratch_init 0
		.amdhsa_user_sgpr_private_segment_size 0
		.amdhsa_wavefront_size32 1
		.amdhsa_uses_dynamic_stack 0
		.amdhsa_system_sgpr_private_segment_wavefront_offset 0
		.amdhsa_system_sgpr_workgroup_id_x 1
		.amdhsa_system_sgpr_workgroup_id_y 0
		.amdhsa_system_sgpr_workgroup_id_z 0
		.amdhsa_system_sgpr_workgroup_info 0
		.amdhsa_system_vgpr_workitem_id 0
		.amdhsa_next_free_vgpr 1
		.amdhsa_next_free_sgpr 1
		.amdhsa_reserve_vcc 0
		.amdhsa_reserve_flat_scratch 0
		.amdhsa_float_round_mode_32 0
		.amdhsa_float_round_mode_16_64 0
		.amdhsa_float_denorm_mode_32 3
		.amdhsa_float_denorm_mode_16_64 3
		.amdhsa_dx10_clamp 1
		.amdhsa_ieee_mode 1
		.amdhsa_fp16_overflow 0
		.amdhsa_workgroup_processor_mode 1
		.amdhsa_memory_ordered 1
		.amdhsa_forward_progress 1
		.amdhsa_shared_vgpr_count 0
		.amdhsa_exception_fp_ieee_invalid_op 0
		.amdhsa_exception_fp_denorm_src 0
		.amdhsa_exception_fp_ieee_div_zero 0
		.amdhsa_exception_fp_ieee_overflow 0
		.amdhsa_exception_fp_ieee_underflow 0
		.amdhsa_exception_fp_ieee_inexact 0
		.amdhsa_exception_int_div_zero 0
	.end_amdhsa_kernel
	.section	.text._ZN7rocprim17ROCPRIM_400000_NS6detail17trampoline_kernelINS0_14default_configENS1_29binary_search_config_selectorIsiEEZNS1_14transform_implILb0ES3_S5_N6thrust23THRUST_200600_302600_NS6detail15normal_iteratorINS8_7pointerIsNS8_11hip_rocprim5par_tENS8_11use_defaultESE_EEEENSA_INSB_IiSD_SE_SE_EEEEZNS1_13binary_searchIS3_S5_NSA_INS8_10device_ptrIsEEEESG_SI_NS1_16binary_search_opENS9_16wrapped_functionINS8_6system6detail7generic6detail18binary_search_lessEbEEEE10hipError_tPvRmT1_T2_T3_mmT4_T5_P12ihipStream_tbEUlRKsE_EESV_SZ_S10_mS11_S14_bEUlT_E_NS1_11comp_targetILNS1_3genE4ELNS1_11target_archE910ELNS1_3gpuE8ELNS1_3repE0EEENS1_30default_config_static_selectorELNS0_4arch9wavefront6targetE0EEEvSY_,"axG",@progbits,_ZN7rocprim17ROCPRIM_400000_NS6detail17trampoline_kernelINS0_14default_configENS1_29binary_search_config_selectorIsiEEZNS1_14transform_implILb0ES3_S5_N6thrust23THRUST_200600_302600_NS6detail15normal_iteratorINS8_7pointerIsNS8_11hip_rocprim5par_tENS8_11use_defaultESE_EEEENSA_INSB_IiSD_SE_SE_EEEEZNS1_13binary_searchIS3_S5_NSA_INS8_10device_ptrIsEEEESG_SI_NS1_16binary_search_opENS9_16wrapped_functionINS8_6system6detail7generic6detail18binary_search_lessEbEEEE10hipError_tPvRmT1_T2_T3_mmT4_T5_P12ihipStream_tbEUlRKsE_EESV_SZ_S10_mS11_S14_bEUlT_E_NS1_11comp_targetILNS1_3genE4ELNS1_11target_archE910ELNS1_3gpuE8ELNS1_3repE0EEENS1_30default_config_static_selectorELNS0_4arch9wavefront6targetE0EEEvSY_,comdat
.Lfunc_end718:
	.size	_ZN7rocprim17ROCPRIM_400000_NS6detail17trampoline_kernelINS0_14default_configENS1_29binary_search_config_selectorIsiEEZNS1_14transform_implILb0ES3_S5_N6thrust23THRUST_200600_302600_NS6detail15normal_iteratorINS8_7pointerIsNS8_11hip_rocprim5par_tENS8_11use_defaultESE_EEEENSA_INSB_IiSD_SE_SE_EEEEZNS1_13binary_searchIS3_S5_NSA_INS8_10device_ptrIsEEEESG_SI_NS1_16binary_search_opENS9_16wrapped_functionINS8_6system6detail7generic6detail18binary_search_lessEbEEEE10hipError_tPvRmT1_T2_T3_mmT4_T5_P12ihipStream_tbEUlRKsE_EESV_SZ_S10_mS11_S14_bEUlT_E_NS1_11comp_targetILNS1_3genE4ELNS1_11target_archE910ELNS1_3gpuE8ELNS1_3repE0EEENS1_30default_config_static_selectorELNS0_4arch9wavefront6targetE0EEEvSY_, .Lfunc_end718-_ZN7rocprim17ROCPRIM_400000_NS6detail17trampoline_kernelINS0_14default_configENS1_29binary_search_config_selectorIsiEEZNS1_14transform_implILb0ES3_S5_N6thrust23THRUST_200600_302600_NS6detail15normal_iteratorINS8_7pointerIsNS8_11hip_rocprim5par_tENS8_11use_defaultESE_EEEENSA_INSB_IiSD_SE_SE_EEEEZNS1_13binary_searchIS3_S5_NSA_INS8_10device_ptrIsEEEESG_SI_NS1_16binary_search_opENS9_16wrapped_functionINS8_6system6detail7generic6detail18binary_search_lessEbEEEE10hipError_tPvRmT1_T2_T3_mmT4_T5_P12ihipStream_tbEUlRKsE_EESV_SZ_S10_mS11_S14_bEUlT_E_NS1_11comp_targetILNS1_3genE4ELNS1_11target_archE910ELNS1_3gpuE8ELNS1_3repE0EEENS1_30default_config_static_selectorELNS0_4arch9wavefront6targetE0EEEvSY_
                                        ; -- End function
	.set _ZN7rocprim17ROCPRIM_400000_NS6detail17trampoline_kernelINS0_14default_configENS1_29binary_search_config_selectorIsiEEZNS1_14transform_implILb0ES3_S5_N6thrust23THRUST_200600_302600_NS6detail15normal_iteratorINS8_7pointerIsNS8_11hip_rocprim5par_tENS8_11use_defaultESE_EEEENSA_INSB_IiSD_SE_SE_EEEEZNS1_13binary_searchIS3_S5_NSA_INS8_10device_ptrIsEEEESG_SI_NS1_16binary_search_opENS9_16wrapped_functionINS8_6system6detail7generic6detail18binary_search_lessEbEEEE10hipError_tPvRmT1_T2_T3_mmT4_T5_P12ihipStream_tbEUlRKsE_EESV_SZ_S10_mS11_S14_bEUlT_E_NS1_11comp_targetILNS1_3genE4ELNS1_11target_archE910ELNS1_3gpuE8ELNS1_3repE0EEENS1_30default_config_static_selectorELNS0_4arch9wavefront6targetE0EEEvSY_.num_vgpr, 0
	.set _ZN7rocprim17ROCPRIM_400000_NS6detail17trampoline_kernelINS0_14default_configENS1_29binary_search_config_selectorIsiEEZNS1_14transform_implILb0ES3_S5_N6thrust23THRUST_200600_302600_NS6detail15normal_iteratorINS8_7pointerIsNS8_11hip_rocprim5par_tENS8_11use_defaultESE_EEEENSA_INSB_IiSD_SE_SE_EEEEZNS1_13binary_searchIS3_S5_NSA_INS8_10device_ptrIsEEEESG_SI_NS1_16binary_search_opENS9_16wrapped_functionINS8_6system6detail7generic6detail18binary_search_lessEbEEEE10hipError_tPvRmT1_T2_T3_mmT4_T5_P12ihipStream_tbEUlRKsE_EESV_SZ_S10_mS11_S14_bEUlT_E_NS1_11comp_targetILNS1_3genE4ELNS1_11target_archE910ELNS1_3gpuE8ELNS1_3repE0EEENS1_30default_config_static_selectorELNS0_4arch9wavefront6targetE0EEEvSY_.num_agpr, 0
	.set _ZN7rocprim17ROCPRIM_400000_NS6detail17trampoline_kernelINS0_14default_configENS1_29binary_search_config_selectorIsiEEZNS1_14transform_implILb0ES3_S5_N6thrust23THRUST_200600_302600_NS6detail15normal_iteratorINS8_7pointerIsNS8_11hip_rocprim5par_tENS8_11use_defaultESE_EEEENSA_INSB_IiSD_SE_SE_EEEEZNS1_13binary_searchIS3_S5_NSA_INS8_10device_ptrIsEEEESG_SI_NS1_16binary_search_opENS9_16wrapped_functionINS8_6system6detail7generic6detail18binary_search_lessEbEEEE10hipError_tPvRmT1_T2_T3_mmT4_T5_P12ihipStream_tbEUlRKsE_EESV_SZ_S10_mS11_S14_bEUlT_E_NS1_11comp_targetILNS1_3genE4ELNS1_11target_archE910ELNS1_3gpuE8ELNS1_3repE0EEENS1_30default_config_static_selectorELNS0_4arch9wavefront6targetE0EEEvSY_.numbered_sgpr, 0
	.set _ZN7rocprim17ROCPRIM_400000_NS6detail17trampoline_kernelINS0_14default_configENS1_29binary_search_config_selectorIsiEEZNS1_14transform_implILb0ES3_S5_N6thrust23THRUST_200600_302600_NS6detail15normal_iteratorINS8_7pointerIsNS8_11hip_rocprim5par_tENS8_11use_defaultESE_EEEENSA_INSB_IiSD_SE_SE_EEEEZNS1_13binary_searchIS3_S5_NSA_INS8_10device_ptrIsEEEESG_SI_NS1_16binary_search_opENS9_16wrapped_functionINS8_6system6detail7generic6detail18binary_search_lessEbEEEE10hipError_tPvRmT1_T2_T3_mmT4_T5_P12ihipStream_tbEUlRKsE_EESV_SZ_S10_mS11_S14_bEUlT_E_NS1_11comp_targetILNS1_3genE4ELNS1_11target_archE910ELNS1_3gpuE8ELNS1_3repE0EEENS1_30default_config_static_selectorELNS0_4arch9wavefront6targetE0EEEvSY_.num_named_barrier, 0
	.set _ZN7rocprim17ROCPRIM_400000_NS6detail17trampoline_kernelINS0_14default_configENS1_29binary_search_config_selectorIsiEEZNS1_14transform_implILb0ES3_S5_N6thrust23THRUST_200600_302600_NS6detail15normal_iteratorINS8_7pointerIsNS8_11hip_rocprim5par_tENS8_11use_defaultESE_EEEENSA_INSB_IiSD_SE_SE_EEEEZNS1_13binary_searchIS3_S5_NSA_INS8_10device_ptrIsEEEESG_SI_NS1_16binary_search_opENS9_16wrapped_functionINS8_6system6detail7generic6detail18binary_search_lessEbEEEE10hipError_tPvRmT1_T2_T3_mmT4_T5_P12ihipStream_tbEUlRKsE_EESV_SZ_S10_mS11_S14_bEUlT_E_NS1_11comp_targetILNS1_3genE4ELNS1_11target_archE910ELNS1_3gpuE8ELNS1_3repE0EEENS1_30default_config_static_selectorELNS0_4arch9wavefront6targetE0EEEvSY_.private_seg_size, 0
	.set _ZN7rocprim17ROCPRIM_400000_NS6detail17trampoline_kernelINS0_14default_configENS1_29binary_search_config_selectorIsiEEZNS1_14transform_implILb0ES3_S5_N6thrust23THRUST_200600_302600_NS6detail15normal_iteratorINS8_7pointerIsNS8_11hip_rocprim5par_tENS8_11use_defaultESE_EEEENSA_INSB_IiSD_SE_SE_EEEEZNS1_13binary_searchIS3_S5_NSA_INS8_10device_ptrIsEEEESG_SI_NS1_16binary_search_opENS9_16wrapped_functionINS8_6system6detail7generic6detail18binary_search_lessEbEEEE10hipError_tPvRmT1_T2_T3_mmT4_T5_P12ihipStream_tbEUlRKsE_EESV_SZ_S10_mS11_S14_bEUlT_E_NS1_11comp_targetILNS1_3genE4ELNS1_11target_archE910ELNS1_3gpuE8ELNS1_3repE0EEENS1_30default_config_static_selectorELNS0_4arch9wavefront6targetE0EEEvSY_.uses_vcc, 0
	.set _ZN7rocprim17ROCPRIM_400000_NS6detail17trampoline_kernelINS0_14default_configENS1_29binary_search_config_selectorIsiEEZNS1_14transform_implILb0ES3_S5_N6thrust23THRUST_200600_302600_NS6detail15normal_iteratorINS8_7pointerIsNS8_11hip_rocprim5par_tENS8_11use_defaultESE_EEEENSA_INSB_IiSD_SE_SE_EEEEZNS1_13binary_searchIS3_S5_NSA_INS8_10device_ptrIsEEEESG_SI_NS1_16binary_search_opENS9_16wrapped_functionINS8_6system6detail7generic6detail18binary_search_lessEbEEEE10hipError_tPvRmT1_T2_T3_mmT4_T5_P12ihipStream_tbEUlRKsE_EESV_SZ_S10_mS11_S14_bEUlT_E_NS1_11comp_targetILNS1_3genE4ELNS1_11target_archE910ELNS1_3gpuE8ELNS1_3repE0EEENS1_30default_config_static_selectorELNS0_4arch9wavefront6targetE0EEEvSY_.uses_flat_scratch, 0
	.set _ZN7rocprim17ROCPRIM_400000_NS6detail17trampoline_kernelINS0_14default_configENS1_29binary_search_config_selectorIsiEEZNS1_14transform_implILb0ES3_S5_N6thrust23THRUST_200600_302600_NS6detail15normal_iteratorINS8_7pointerIsNS8_11hip_rocprim5par_tENS8_11use_defaultESE_EEEENSA_INSB_IiSD_SE_SE_EEEEZNS1_13binary_searchIS3_S5_NSA_INS8_10device_ptrIsEEEESG_SI_NS1_16binary_search_opENS9_16wrapped_functionINS8_6system6detail7generic6detail18binary_search_lessEbEEEE10hipError_tPvRmT1_T2_T3_mmT4_T5_P12ihipStream_tbEUlRKsE_EESV_SZ_S10_mS11_S14_bEUlT_E_NS1_11comp_targetILNS1_3genE4ELNS1_11target_archE910ELNS1_3gpuE8ELNS1_3repE0EEENS1_30default_config_static_selectorELNS0_4arch9wavefront6targetE0EEEvSY_.has_dyn_sized_stack, 0
	.set _ZN7rocprim17ROCPRIM_400000_NS6detail17trampoline_kernelINS0_14default_configENS1_29binary_search_config_selectorIsiEEZNS1_14transform_implILb0ES3_S5_N6thrust23THRUST_200600_302600_NS6detail15normal_iteratorINS8_7pointerIsNS8_11hip_rocprim5par_tENS8_11use_defaultESE_EEEENSA_INSB_IiSD_SE_SE_EEEEZNS1_13binary_searchIS3_S5_NSA_INS8_10device_ptrIsEEEESG_SI_NS1_16binary_search_opENS9_16wrapped_functionINS8_6system6detail7generic6detail18binary_search_lessEbEEEE10hipError_tPvRmT1_T2_T3_mmT4_T5_P12ihipStream_tbEUlRKsE_EESV_SZ_S10_mS11_S14_bEUlT_E_NS1_11comp_targetILNS1_3genE4ELNS1_11target_archE910ELNS1_3gpuE8ELNS1_3repE0EEENS1_30default_config_static_selectorELNS0_4arch9wavefront6targetE0EEEvSY_.has_recursion, 0
	.set _ZN7rocprim17ROCPRIM_400000_NS6detail17trampoline_kernelINS0_14default_configENS1_29binary_search_config_selectorIsiEEZNS1_14transform_implILb0ES3_S5_N6thrust23THRUST_200600_302600_NS6detail15normal_iteratorINS8_7pointerIsNS8_11hip_rocprim5par_tENS8_11use_defaultESE_EEEENSA_INSB_IiSD_SE_SE_EEEEZNS1_13binary_searchIS3_S5_NSA_INS8_10device_ptrIsEEEESG_SI_NS1_16binary_search_opENS9_16wrapped_functionINS8_6system6detail7generic6detail18binary_search_lessEbEEEE10hipError_tPvRmT1_T2_T3_mmT4_T5_P12ihipStream_tbEUlRKsE_EESV_SZ_S10_mS11_S14_bEUlT_E_NS1_11comp_targetILNS1_3genE4ELNS1_11target_archE910ELNS1_3gpuE8ELNS1_3repE0EEENS1_30default_config_static_selectorELNS0_4arch9wavefront6targetE0EEEvSY_.has_indirect_call, 0
	.section	.AMDGPU.csdata,"",@progbits
; Kernel info:
; codeLenInByte = 0
; TotalNumSgprs: 0
; NumVgprs: 0
; ScratchSize: 0
; MemoryBound: 0
; FloatMode: 240
; IeeeMode: 1
; LDSByteSize: 0 bytes/workgroup (compile time only)
; SGPRBlocks: 0
; VGPRBlocks: 0
; NumSGPRsForWavesPerEU: 1
; NumVGPRsForWavesPerEU: 1
; Occupancy: 16
; WaveLimiterHint : 0
; COMPUTE_PGM_RSRC2:SCRATCH_EN: 0
; COMPUTE_PGM_RSRC2:USER_SGPR: 6
; COMPUTE_PGM_RSRC2:TRAP_HANDLER: 0
; COMPUTE_PGM_RSRC2:TGID_X_EN: 1
; COMPUTE_PGM_RSRC2:TGID_Y_EN: 0
; COMPUTE_PGM_RSRC2:TGID_Z_EN: 0
; COMPUTE_PGM_RSRC2:TIDIG_COMP_CNT: 0
	.section	.text._ZN7rocprim17ROCPRIM_400000_NS6detail17trampoline_kernelINS0_14default_configENS1_29binary_search_config_selectorIsiEEZNS1_14transform_implILb0ES3_S5_N6thrust23THRUST_200600_302600_NS6detail15normal_iteratorINS8_7pointerIsNS8_11hip_rocprim5par_tENS8_11use_defaultESE_EEEENSA_INSB_IiSD_SE_SE_EEEEZNS1_13binary_searchIS3_S5_NSA_INS8_10device_ptrIsEEEESG_SI_NS1_16binary_search_opENS9_16wrapped_functionINS8_6system6detail7generic6detail18binary_search_lessEbEEEE10hipError_tPvRmT1_T2_T3_mmT4_T5_P12ihipStream_tbEUlRKsE_EESV_SZ_S10_mS11_S14_bEUlT_E_NS1_11comp_targetILNS1_3genE3ELNS1_11target_archE908ELNS1_3gpuE7ELNS1_3repE0EEENS1_30default_config_static_selectorELNS0_4arch9wavefront6targetE0EEEvSY_,"axG",@progbits,_ZN7rocprim17ROCPRIM_400000_NS6detail17trampoline_kernelINS0_14default_configENS1_29binary_search_config_selectorIsiEEZNS1_14transform_implILb0ES3_S5_N6thrust23THRUST_200600_302600_NS6detail15normal_iteratorINS8_7pointerIsNS8_11hip_rocprim5par_tENS8_11use_defaultESE_EEEENSA_INSB_IiSD_SE_SE_EEEEZNS1_13binary_searchIS3_S5_NSA_INS8_10device_ptrIsEEEESG_SI_NS1_16binary_search_opENS9_16wrapped_functionINS8_6system6detail7generic6detail18binary_search_lessEbEEEE10hipError_tPvRmT1_T2_T3_mmT4_T5_P12ihipStream_tbEUlRKsE_EESV_SZ_S10_mS11_S14_bEUlT_E_NS1_11comp_targetILNS1_3genE3ELNS1_11target_archE908ELNS1_3gpuE7ELNS1_3repE0EEENS1_30default_config_static_selectorELNS0_4arch9wavefront6targetE0EEEvSY_,comdat
	.protected	_ZN7rocprim17ROCPRIM_400000_NS6detail17trampoline_kernelINS0_14default_configENS1_29binary_search_config_selectorIsiEEZNS1_14transform_implILb0ES3_S5_N6thrust23THRUST_200600_302600_NS6detail15normal_iteratorINS8_7pointerIsNS8_11hip_rocprim5par_tENS8_11use_defaultESE_EEEENSA_INSB_IiSD_SE_SE_EEEEZNS1_13binary_searchIS3_S5_NSA_INS8_10device_ptrIsEEEESG_SI_NS1_16binary_search_opENS9_16wrapped_functionINS8_6system6detail7generic6detail18binary_search_lessEbEEEE10hipError_tPvRmT1_T2_T3_mmT4_T5_P12ihipStream_tbEUlRKsE_EESV_SZ_S10_mS11_S14_bEUlT_E_NS1_11comp_targetILNS1_3genE3ELNS1_11target_archE908ELNS1_3gpuE7ELNS1_3repE0EEENS1_30default_config_static_selectorELNS0_4arch9wavefront6targetE0EEEvSY_ ; -- Begin function _ZN7rocprim17ROCPRIM_400000_NS6detail17trampoline_kernelINS0_14default_configENS1_29binary_search_config_selectorIsiEEZNS1_14transform_implILb0ES3_S5_N6thrust23THRUST_200600_302600_NS6detail15normal_iteratorINS8_7pointerIsNS8_11hip_rocprim5par_tENS8_11use_defaultESE_EEEENSA_INSB_IiSD_SE_SE_EEEEZNS1_13binary_searchIS3_S5_NSA_INS8_10device_ptrIsEEEESG_SI_NS1_16binary_search_opENS9_16wrapped_functionINS8_6system6detail7generic6detail18binary_search_lessEbEEEE10hipError_tPvRmT1_T2_T3_mmT4_T5_P12ihipStream_tbEUlRKsE_EESV_SZ_S10_mS11_S14_bEUlT_E_NS1_11comp_targetILNS1_3genE3ELNS1_11target_archE908ELNS1_3gpuE7ELNS1_3repE0EEENS1_30default_config_static_selectorELNS0_4arch9wavefront6targetE0EEEvSY_
	.globl	_ZN7rocprim17ROCPRIM_400000_NS6detail17trampoline_kernelINS0_14default_configENS1_29binary_search_config_selectorIsiEEZNS1_14transform_implILb0ES3_S5_N6thrust23THRUST_200600_302600_NS6detail15normal_iteratorINS8_7pointerIsNS8_11hip_rocprim5par_tENS8_11use_defaultESE_EEEENSA_INSB_IiSD_SE_SE_EEEEZNS1_13binary_searchIS3_S5_NSA_INS8_10device_ptrIsEEEESG_SI_NS1_16binary_search_opENS9_16wrapped_functionINS8_6system6detail7generic6detail18binary_search_lessEbEEEE10hipError_tPvRmT1_T2_T3_mmT4_T5_P12ihipStream_tbEUlRKsE_EESV_SZ_S10_mS11_S14_bEUlT_E_NS1_11comp_targetILNS1_3genE3ELNS1_11target_archE908ELNS1_3gpuE7ELNS1_3repE0EEENS1_30default_config_static_selectorELNS0_4arch9wavefront6targetE0EEEvSY_
	.p2align	8
	.type	_ZN7rocprim17ROCPRIM_400000_NS6detail17trampoline_kernelINS0_14default_configENS1_29binary_search_config_selectorIsiEEZNS1_14transform_implILb0ES3_S5_N6thrust23THRUST_200600_302600_NS6detail15normal_iteratorINS8_7pointerIsNS8_11hip_rocprim5par_tENS8_11use_defaultESE_EEEENSA_INSB_IiSD_SE_SE_EEEEZNS1_13binary_searchIS3_S5_NSA_INS8_10device_ptrIsEEEESG_SI_NS1_16binary_search_opENS9_16wrapped_functionINS8_6system6detail7generic6detail18binary_search_lessEbEEEE10hipError_tPvRmT1_T2_T3_mmT4_T5_P12ihipStream_tbEUlRKsE_EESV_SZ_S10_mS11_S14_bEUlT_E_NS1_11comp_targetILNS1_3genE3ELNS1_11target_archE908ELNS1_3gpuE7ELNS1_3repE0EEENS1_30default_config_static_selectorELNS0_4arch9wavefront6targetE0EEEvSY_,@function
_ZN7rocprim17ROCPRIM_400000_NS6detail17trampoline_kernelINS0_14default_configENS1_29binary_search_config_selectorIsiEEZNS1_14transform_implILb0ES3_S5_N6thrust23THRUST_200600_302600_NS6detail15normal_iteratorINS8_7pointerIsNS8_11hip_rocprim5par_tENS8_11use_defaultESE_EEEENSA_INSB_IiSD_SE_SE_EEEEZNS1_13binary_searchIS3_S5_NSA_INS8_10device_ptrIsEEEESG_SI_NS1_16binary_search_opENS9_16wrapped_functionINS8_6system6detail7generic6detail18binary_search_lessEbEEEE10hipError_tPvRmT1_T2_T3_mmT4_T5_P12ihipStream_tbEUlRKsE_EESV_SZ_S10_mS11_S14_bEUlT_E_NS1_11comp_targetILNS1_3genE3ELNS1_11target_archE908ELNS1_3gpuE7ELNS1_3repE0EEENS1_30default_config_static_selectorELNS0_4arch9wavefront6targetE0EEEvSY_: ; @_ZN7rocprim17ROCPRIM_400000_NS6detail17trampoline_kernelINS0_14default_configENS1_29binary_search_config_selectorIsiEEZNS1_14transform_implILb0ES3_S5_N6thrust23THRUST_200600_302600_NS6detail15normal_iteratorINS8_7pointerIsNS8_11hip_rocprim5par_tENS8_11use_defaultESE_EEEENSA_INSB_IiSD_SE_SE_EEEEZNS1_13binary_searchIS3_S5_NSA_INS8_10device_ptrIsEEEESG_SI_NS1_16binary_search_opENS9_16wrapped_functionINS8_6system6detail7generic6detail18binary_search_lessEbEEEE10hipError_tPvRmT1_T2_T3_mmT4_T5_P12ihipStream_tbEUlRKsE_EESV_SZ_S10_mS11_S14_bEUlT_E_NS1_11comp_targetILNS1_3genE3ELNS1_11target_archE908ELNS1_3gpuE7ELNS1_3repE0EEENS1_30default_config_static_selectorELNS0_4arch9wavefront6targetE0EEEvSY_
; %bb.0:
	.section	.rodata,"a",@progbits
	.p2align	6, 0x0
	.amdhsa_kernel _ZN7rocprim17ROCPRIM_400000_NS6detail17trampoline_kernelINS0_14default_configENS1_29binary_search_config_selectorIsiEEZNS1_14transform_implILb0ES3_S5_N6thrust23THRUST_200600_302600_NS6detail15normal_iteratorINS8_7pointerIsNS8_11hip_rocprim5par_tENS8_11use_defaultESE_EEEENSA_INSB_IiSD_SE_SE_EEEEZNS1_13binary_searchIS3_S5_NSA_INS8_10device_ptrIsEEEESG_SI_NS1_16binary_search_opENS9_16wrapped_functionINS8_6system6detail7generic6detail18binary_search_lessEbEEEE10hipError_tPvRmT1_T2_T3_mmT4_T5_P12ihipStream_tbEUlRKsE_EESV_SZ_S10_mS11_S14_bEUlT_E_NS1_11comp_targetILNS1_3genE3ELNS1_11target_archE908ELNS1_3gpuE7ELNS1_3repE0EEENS1_30default_config_static_selectorELNS0_4arch9wavefront6targetE0EEEvSY_
		.amdhsa_group_segment_fixed_size 0
		.amdhsa_private_segment_fixed_size 0
		.amdhsa_kernarg_size 56
		.amdhsa_user_sgpr_count 6
		.amdhsa_user_sgpr_private_segment_buffer 1
		.amdhsa_user_sgpr_dispatch_ptr 0
		.amdhsa_user_sgpr_queue_ptr 0
		.amdhsa_user_sgpr_kernarg_segment_ptr 1
		.amdhsa_user_sgpr_dispatch_id 0
		.amdhsa_user_sgpr_flat_scratch_init 0
		.amdhsa_user_sgpr_private_segment_size 0
		.amdhsa_wavefront_size32 1
		.amdhsa_uses_dynamic_stack 0
		.amdhsa_system_sgpr_private_segment_wavefront_offset 0
		.amdhsa_system_sgpr_workgroup_id_x 1
		.amdhsa_system_sgpr_workgroup_id_y 0
		.amdhsa_system_sgpr_workgroup_id_z 0
		.amdhsa_system_sgpr_workgroup_info 0
		.amdhsa_system_vgpr_workitem_id 0
		.amdhsa_next_free_vgpr 1
		.amdhsa_next_free_sgpr 1
		.amdhsa_reserve_vcc 0
		.amdhsa_reserve_flat_scratch 0
		.amdhsa_float_round_mode_32 0
		.amdhsa_float_round_mode_16_64 0
		.amdhsa_float_denorm_mode_32 3
		.amdhsa_float_denorm_mode_16_64 3
		.amdhsa_dx10_clamp 1
		.amdhsa_ieee_mode 1
		.amdhsa_fp16_overflow 0
		.amdhsa_workgroup_processor_mode 1
		.amdhsa_memory_ordered 1
		.amdhsa_forward_progress 1
		.amdhsa_shared_vgpr_count 0
		.amdhsa_exception_fp_ieee_invalid_op 0
		.amdhsa_exception_fp_denorm_src 0
		.amdhsa_exception_fp_ieee_div_zero 0
		.amdhsa_exception_fp_ieee_overflow 0
		.amdhsa_exception_fp_ieee_underflow 0
		.amdhsa_exception_fp_ieee_inexact 0
		.amdhsa_exception_int_div_zero 0
	.end_amdhsa_kernel
	.section	.text._ZN7rocprim17ROCPRIM_400000_NS6detail17trampoline_kernelINS0_14default_configENS1_29binary_search_config_selectorIsiEEZNS1_14transform_implILb0ES3_S5_N6thrust23THRUST_200600_302600_NS6detail15normal_iteratorINS8_7pointerIsNS8_11hip_rocprim5par_tENS8_11use_defaultESE_EEEENSA_INSB_IiSD_SE_SE_EEEEZNS1_13binary_searchIS3_S5_NSA_INS8_10device_ptrIsEEEESG_SI_NS1_16binary_search_opENS9_16wrapped_functionINS8_6system6detail7generic6detail18binary_search_lessEbEEEE10hipError_tPvRmT1_T2_T3_mmT4_T5_P12ihipStream_tbEUlRKsE_EESV_SZ_S10_mS11_S14_bEUlT_E_NS1_11comp_targetILNS1_3genE3ELNS1_11target_archE908ELNS1_3gpuE7ELNS1_3repE0EEENS1_30default_config_static_selectorELNS0_4arch9wavefront6targetE0EEEvSY_,"axG",@progbits,_ZN7rocprim17ROCPRIM_400000_NS6detail17trampoline_kernelINS0_14default_configENS1_29binary_search_config_selectorIsiEEZNS1_14transform_implILb0ES3_S5_N6thrust23THRUST_200600_302600_NS6detail15normal_iteratorINS8_7pointerIsNS8_11hip_rocprim5par_tENS8_11use_defaultESE_EEEENSA_INSB_IiSD_SE_SE_EEEEZNS1_13binary_searchIS3_S5_NSA_INS8_10device_ptrIsEEEESG_SI_NS1_16binary_search_opENS9_16wrapped_functionINS8_6system6detail7generic6detail18binary_search_lessEbEEEE10hipError_tPvRmT1_T2_T3_mmT4_T5_P12ihipStream_tbEUlRKsE_EESV_SZ_S10_mS11_S14_bEUlT_E_NS1_11comp_targetILNS1_3genE3ELNS1_11target_archE908ELNS1_3gpuE7ELNS1_3repE0EEENS1_30default_config_static_selectorELNS0_4arch9wavefront6targetE0EEEvSY_,comdat
.Lfunc_end719:
	.size	_ZN7rocprim17ROCPRIM_400000_NS6detail17trampoline_kernelINS0_14default_configENS1_29binary_search_config_selectorIsiEEZNS1_14transform_implILb0ES3_S5_N6thrust23THRUST_200600_302600_NS6detail15normal_iteratorINS8_7pointerIsNS8_11hip_rocprim5par_tENS8_11use_defaultESE_EEEENSA_INSB_IiSD_SE_SE_EEEEZNS1_13binary_searchIS3_S5_NSA_INS8_10device_ptrIsEEEESG_SI_NS1_16binary_search_opENS9_16wrapped_functionINS8_6system6detail7generic6detail18binary_search_lessEbEEEE10hipError_tPvRmT1_T2_T3_mmT4_T5_P12ihipStream_tbEUlRKsE_EESV_SZ_S10_mS11_S14_bEUlT_E_NS1_11comp_targetILNS1_3genE3ELNS1_11target_archE908ELNS1_3gpuE7ELNS1_3repE0EEENS1_30default_config_static_selectorELNS0_4arch9wavefront6targetE0EEEvSY_, .Lfunc_end719-_ZN7rocprim17ROCPRIM_400000_NS6detail17trampoline_kernelINS0_14default_configENS1_29binary_search_config_selectorIsiEEZNS1_14transform_implILb0ES3_S5_N6thrust23THRUST_200600_302600_NS6detail15normal_iteratorINS8_7pointerIsNS8_11hip_rocprim5par_tENS8_11use_defaultESE_EEEENSA_INSB_IiSD_SE_SE_EEEEZNS1_13binary_searchIS3_S5_NSA_INS8_10device_ptrIsEEEESG_SI_NS1_16binary_search_opENS9_16wrapped_functionINS8_6system6detail7generic6detail18binary_search_lessEbEEEE10hipError_tPvRmT1_T2_T3_mmT4_T5_P12ihipStream_tbEUlRKsE_EESV_SZ_S10_mS11_S14_bEUlT_E_NS1_11comp_targetILNS1_3genE3ELNS1_11target_archE908ELNS1_3gpuE7ELNS1_3repE0EEENS1_30default_config_static_selectorELNS0_4arch9wavefront6targetE0EEEvSY_
                                        ; -- End function
	.set _ZN7rocprim17ROCPRIM_400000_NS6detail17trampoline_kernelINS0_14default_configENS1_29binary_search_config_selectorIsiEEZNS1_14transform_implILb0ES3_S5_N6thrust23THRUST_200600_302600_NS6detail15normal_iteratorINS8_7pointerIsNS8_11hip_rocprim5par_tENS8_11use_defaultESE_EEEENSA_INSB_IiSD_SE_SE_EEEEZNS1_13binary_searchIS3_S5_NSA_INS8_10device_ptrIsEEEESG_SI_NS1_16binary_search_opENS9_16wrapped_functionINS8_6system6detail7generic6detail18binary_search_lessEbEEEE10hipError_tPvRmT1_T2_T3_mmT4_T5_P12ihipStream_tbEUlRKsE_EESV_SZ_S10_mS11_S14_bEUlT_E_NS1_11comp_targetILNS1_3genE3ELNS1_11target_archE908ELNS1_3gpuE7ELNS1_3repE0EEENS1_30default_config_static_selectorELNS0_4arch9wavefront6targetE0EEEvSY_.num_vgpr, 0
	.set _ZN7rocprim17ROCPRIM_400000_NS6detail17trampoline_kernelINS0_14default_configENS1_29binary_search_config_selectorIsiEEZNS1_14transform_implILb0ES3_S5_N6thrust23THRUST_200600_302600_NS6detail15normal_iteratorINS8_7pointerIsNS8_11hip_rocprim5par_tENS8_11use_defaultESE_EEEENSA_INSB_IiSD_SE_SE_EEEEZNS1_13binary_searchIS3_S5_NSA_INS8_10device_ptrIsEEEESG_SI_NS1_16binary_search_opENS9_16wrapped_functionINS8_6system6detail7generic6detail18binary_search_lessEbEEEE10hipError_tPvRmT1_T2_T3_mmT4_T5_P12ihipStream_tbEUlRKsE_EESV_SZ_S10_mS11_S14_bEUlT_E_NS1_11comp_targetILNS1_3genE3ELNS1_11target_archE908ELNS1_3gpuE7ELNS1_3repE0EEENS1_30default_config_static_selectorELNS0_4arch9wavefront6targetE0EEEvSY_.num_agpr, 0
	.set _ZN7rocprim17ROCPRIM_400000_NS6detail17trampoline_kernelINS0_14default_configENS1_29binary_search_config_selectorIsiEEZNS1_14transform_implILb0ES3_S5_N6thrust23THRUST_200600_302600_NS6detail15normal_iteratorINS8_7pointerIsNS8_11hip_rocprim5par_tENS8_11use_defaultESE_EEEENSA_INSB_IiSD_SE_SE_EEEEZNS1_13binary_searchIS3_S5_NSA_INS8_10device_ptrIsEEEESG_SI_NS1_16binary_search_opENS9_16wrapped_functionINS8_6system6detail7generic6detail18binary_search_lessEbEEEE10hipError_tPvRmT1_T2_T3_mmT4_T5_P12ihipStream_tbEUlRKsE_EESV_SZ_S10_mS11_S14_bEUlT_E_NS1_11comp_targetILNS1_3genE3ELNS1_11target_archE908ELNS1_3gpuE7ELNS1_3repE0EEENS1_30default_config_static_selectorELNS0_4arch9wavefront6targetE0EEEvSY_.numbered_sgpr, 0
	.set _ZN7rocprim17ROCPRIM_400000_NS6detail17trampoline_kernelINS0_14default_configENS1_29binary_search_config_selectorIsiEEZNS1_14transform_implILb0ES3_S5_N6thrust23THRUST_200600_302600_NS6detail15normal_iteratorINS8_7pointerIsNS8_11hip_rocprim5par_tENS8_11use_defaultESE_EEEENSA_INSB_IiSD_SE_SE_EEEEZNS1_13binary_searchIS3_S5_NSA_INS8_10device_ptrIsEEEESG_SI_NS1_16binary_search_opENS9_16wrapped_functionINS8_6system6detail7generic6detail18binary_search_lessEbEEEE10hipError_tPvRmT1_T2_T3_mmT4_T5_P12ihipStream_tbEUlRKsE_EESV_SZ_S10_mS11_S14_bEUlT_E_NS1_11comp_targetILNS1_3genE3ELNS1_11target_archE908ELNS1_3gpuE7ELNS1_3repE0EEENS1_30default_config_static_selectorELNS0_4arch9wavefront6targetE0EEEvSY_.num_named_barrier, 0
	.set _ZN7rocprim17ROCPRIM_400000_NS6detail17trampoline_kernelINS0_14default_configENS1_29binary_search_config_selectorIsiEEZNS1_14transform_implILb0ES3_S5_N6thrust23THRUST_200600_302600_NS6detail15normal_iteratorINS8_7pointerIsNS8_11hip_rocprim5par_tENS8_11use_defaultESE_EEEENSA_INSB_IiSD_SE_SE_EEEEZNS1_13binary_searchIS3_S5_NSA_INS8_10device_ptrIsEEEESG_SI_NS1_16binary_search_opENS9_16wrapped_functionINS8_6system6detail7generic6detail18binary_search_lessEbEEEE10hipError_tPvRmT1_T2_T3_mmT4_T5_P12ihipStream_tbEUlRKsE_EESV_SZ_S10_mS11_S14_bEUlT_E_NS1_11comp_targetILNS1_3genE3ELNS1_11target_archE908ELNS1_3gpuE7ELNS1_3repE0EEENS1_30default_config_static_selectorELNS0_4arch9wavefront6targetE0EEEvSY_.private_seg_size, 0
	.set _ZN7rocprim17ROCPRIM_400000_NS6detail17trampoline_kernelINS0_14default_configENS1_29binary_search_config_selectorIsiEEZNS1_14transform_implILb0ES3_S5_N6thrust23THRUST_200600_302600_NS6detail15normal_iteratorINS8_7pointerIsNS8_11hip_rocprim5par_tENS8_11use_defaultESE_EEEENSA_INSB_IiSD_SE_SE_EEEEZNS1_13binary_searchIS3_S5_NSA_INS8_10device_ptrIsEEEESG_SI_NS1_16binary_search_opENS9_16wrapped_functionINS8_6system6detail7generic6detail18binary_search_lessEbEEEE10hipError_tPvRmT1_T2_T3_mmT4_T5_P12ihipStream_tbEUlRKsE_EESV_SZ_S10_mS11_S14_bEUlT_E_NS1_11comp_targetILNS1_3genE3ELNS1_11target_archE908ELNS1_3gpuE7ELNS1_3repE0EEENS1_30default_config_static_selectorELNS0_4arch9wavefront6targetE0EEEvSY_.uses_vcc, 0
	.set _ZN7rocprim17ROCPRIM_400000_NS6detail17trampoline_kernelINS0_14default_configENS1_29binary_search_config_selectorIsiEEZNS1_14transform_implILb0ES3_S5_N6thrust23THRUST_200600_302600_NS6detail15normal_iteratorINS8_7pointerIsNS8_11hip_rocprim5par_tENS8_11use_defaultESE_EEEENSA_INSB_IiSD_SE_SE_EEEEZNS1_13binary_searchIS3_S5_NSA_INS8_10device_ptrIsEEEESG_SI_NS1_16binary_search_opENS9_16wrapped_functionINS8_6system6detail7generic6detail18binary_search_lessEbEEEE10hipError_tPvRmT1_T2_T3_mmT4_T5_P12ihipStream_tbEUlRKsE_EESV_SZ_S10_mS11_S14_bEUlT_E_NS1_11comp_targetILNS1_3genE3ELNS1_11target_archE908ELNS1_3gpuE7ELNS1_3repE0EEENS1_30default_config_static_selectorELNS0_4arch9wavefront6targetE0EEEvSY_.uses_flat_scratch, 0
	.set _ZN7rocprim17ROCPRIM_400000_NS6detail17trampoline_kernelINS0_14default_configENS1_29binary_search_config_selectorIsiEEZNS1_14transform_implILb0ES3_S5_N6thrust23THRUST_200600_302600_NS6detail15normal_iteratorINS8_7pointerIsNS8_11hip_rocprim5par_tENS8_11use_defaultESE_EEEENSA_INSB_IiSD_SE_SE_EEEEZNS1_13binary_searchIS3_S5_NSA_INS8_10device_ptrIsEEEESG_SI_NS1_16binary_search_opENS9_16wrapped_functionINS8_6system6detail7generic6detail18binary_search_lessEbEEEE10hipError_tPvRmT1_T2_T3_mmT4_T5_P12ihipStream_tbEUlRKsE_EESV_SZ_S10_mS11_S14_bEUlT_E_NS1_11comp_targetILNS1_3genE3ELNS1_11target_archE908ELNS1_3gpuE7ELNS1_3repE0EEENS1_30default_config_static_selectorELNS0_4arch9wavefront6targetE0EEEvSY_.has_dyn_sized_stack, 0
	.set _ZN7rocprim17ROCPRIM_400000_NS6detail17trampoline_kernelINS0_14default_configENS1_29binary_search_config_selectorIsiEEZNS1_14transform_implILb0ES3_S5_N6thrust23THRUST_200600_302600_NS6detail15normal_iteratorINS8_7pointerIsNS8_11hip_rocprim5par_tENS8_11use_defaultESE_EEEENSA_INSB_IiSD_SE_SE_EEEEZNS1_13binary_searchIS3_S5_NSA_INS8_10device_ptrIsEEEESG_SI_NS1_16binary_search_opENS9_16wrapped_functionINS8_6system6detail7generic6detail18binary_search_lessEbEEEE10hipError_tPvRmT1_T2_T3_mmT4_T5_P12ihipStream_tbEUlRKsE_EESV_SZ_S10_mS11_S14_bEUlT_E_NS1_11comp_targetILNS1_3genE3ELNS1_11target_archE908ELNS1_3gpuE7ELNS1_3repE0EEENS1_30default_config_static_selectorELNS0_4arch9wavefront6targetE0EEEvSY_.has_recursion, 0
	.set _ZN7rocprim17ROCPRIM_400000_NS6detail17trampoline_kernelINS0_14default_configENS1_29binary_search_config_selectorIsiEEZNS1_14transform_implILb0ES3_S5_N6thrust23THRUST_200600_302600_NS6detail15normal_iteratorINS8_7pointerIsNS8_11hip_rocprim5par_tENS8_11use_defaultESE_EEEENSA_INSB_IiSD_SE_SE_EEEEZNS1_13binary_searchIS3_S5_NSA_INS8_10device_ptrIsEEEESG_SI_NS1_16binary_search_opENS9_16wrapped_functionINS8_6system6detail7generic6detail18binary_search_lessEbEEEE10hipError_tPvRmT1_T2_T3_mmT4_T5_P12ihipStream_tbEUlRKsE_EESV_SZ_S10_mS11_S14_bEUlT_E_NS1_11comp_targetILNS1_3genE3ELNS1_11target_archE908ELNS1_3gpuE7ELNS1_3repE0EEENS1_30default_config_static_selectorELNS0_4arch9wavefront6targetE0EEEvSY_.has_indirect_call, 0
	.section	.AMDGPU.csdata,"",@progbits
; Kernel info:
; codeLenInByte = 0
; TotalNumSgprs: 0
; NumVgprs: 0
; ScratchSize: 0
; MemoryBound: 0
; FloatMode: 240
; IeeeMode: 1
; LDSByteSize: 0 bytes/workgroup (compile time only)
; SGPRBlocks: 0
; VGPRBlocks: 0
; NumSGPRsForWavesPerEU: 1
; NumVGPRsForWavesPerEU: 1
; Occupancy: 16
; WaveLimiterHint : 0
; COMPUTE_PGM_RSRC2:SCRATCH_EN: 0
; COMPUTE_PGM_RSRC2:USER_SGPR: 6
; COMPUTE_PGM_RSRC2:TRAP_HANDLER: 0
; COMPUTE_PGM_RSRC2:TGID_X_EN: 1
; COMPUTE_PGM_RSRC2:TGID_Y_EN: 0
; COMPUTE_PGM_RSRC2:TGID_Z_EN: 0
; COMPUTE_PGM_RSRC2:TIDIG_COMP_CNT: 0
	.section	.text._ZN7rocprim17ROCPRIM_400000_NS6detail17trampoline_kernelINS0_14default_configENS1_29binary_search_config_selectorIsiEEZNS1_14transform_implILb0ES3_S5_N6thrust23THRUST_200600_302600_NS6detail15normal_iteratorINS8_7pointerIsNS8_11hip_rocprim5par_tENS8_11use_defaultESE_EEEENSA_INSB_IiSD_SE_SE_EEEEZNS1_13binary_searchIS3_S5_NSA_INS8_10device_ptrIsEEEESG_SI_NS1_16binary_search_opENS9_16wrapped_functionINS8_6system6detail7generic6detail18binary_search_lessEbEEEE10hipError_tPvRmT1_T2_T3_mmT4_T5_P12ihipStream_tbEUlRKsE_EESV_SZ_S10_mS11_S14_bEUlT_E_NS1_11comp_targetILNS1_3genE2ELNS1_11target_archE906ELNS1_3gpuE6ELNS1_3repE0EEENS1_30default_config_static_selectorELNS0_4arch9wavefront6targetE0EEEvSY_,"axG",@progbits,_ZN7rocprim17ROCPRIM_400000_NS6detail17trampoline_kernelINS0_14default_configENS1_29binary_search_config_selectorIsiEEZNS1_14transform_implILb0ES3_S5_N6thrust23THRUST_200600_302600_NS6detail15normal_iteratorINS8_7pointerIsNS8_11hip_rocprim5par_tENS8_11use_defaultESE_EEEENSA_INSB_IiSD_SE_SE_EEEEZNS1_13binary_searchIS3_S5_NSA_INS8_10device_ptrIsEEEESG_SI_NS1_16binary_search_opENS9_16wrapped_functionINS8_6system6detail7generic6detail18binary_search_lessEbEEEE10hipError_tPvRmT1_T2_T3_mmT4_T5_P12ihipStream_tbEUlRKsE_EESV_SZ_S10_mS11_S14_bEUlT_E_NS1_11comp_targetILNS1_3genE2ELNS1_11target_archE906ELNS1_3gpuE6ELNS1_3repE0EEENS1_30default_config_static_selectorELNS0_4arch9wavefront6targetE0EEEvSY_,comdat
	.protected	_ZN7rocprim17ROCPRIM_400000_NS6detail17trampoline_kernelINS0_14default_configENS1_29binary_search_config_selectorIsiEEZNS1_14transform_implILb0ES3_S5_N6thrust23THRUST_200600_302600_NS6detail15normal_iteratorINS8_7pointerIsNS8_11hip_rocprim5par_tENS8_11use_defaultESE_EEEENSA_INSB_IiSD_SE_SE_EEEEZNS1_13binary_searchIS3_S5_NSA_INS8_10device_ptrIsEEEESG_SI_NS1_16binary_search_opENS9_16wrapped_functionINS8_6system6detail7generic6detail18binary_search_lessEbEEEE10hipError_tPvRmT1_T2_T3_mmT4_T5_P12ihipStream_tbEUlRKsE_EESV_SZ_S10_mS11_S14_bEUlT_E_NS1_11comp_targetILNS1_3genE2ELNS1_11target_archE906ELNS1_3gpuE6ELNS1_3repE0EEENS1_30default_config_static_selectorELNS0_4arch9wavefront6targetE0EEEvSY_ ; -- Begin function _ZN7rocprim17ROCPRIM_400000_NS6detail17trampoline_kernelINS0_14default_configENS1_29binary_search_config_selectorIsiEEZNS1_14transform_implILb0ES3_S5_N6thrust23THRUST_200600_302600_NS6detail15normal_iteratorINS8_7pointerIsNS8_11hip_rocprim5par_tENS8_11use_defaultESE_EEEENSA_INSB_IiSD_SE_SE_EEEEZNS1_13binary_searchIS3_S5_NSA_INS8_10device_ptrIsEEEESG_SI_NS1_16binary_search_opENS9_16wrapped_functionINS8_6system6detail7generic6detail18binary_search_lessEbEEEE10hipError_tPvRmT1_T2_T3_mmT4_T5_P12ihipStream_tbEUlRKsE_EESV_SZ_S10_mS11_S14_bEUlT_E_NS1_11comp_targetILNS1_3genE2ELNS1_11target_archE906ELNS1_3gpuE6ELNS1_3repE0EEENS1_30default_config_static_selectorELNS0_4arch9wavefront6targetE0EEEvSY_
	.globl	_ZN7rocprim17ROCPRIM_400000_NS6detail17trampoline_kernelINS0_14default_configENS1_29binary_search_config_selectorIsiEEZNS1_14transform_implILb0ES3_S5_N6thrust23THRUST_200600_302600_NS6detail15normal_iteratorINS8_7pointerIsNS8_11hip_rocprim5par_tENS8_11use_defaultESE_EEEENSA_INSB_IiSD_SE_SE_EEEEZNS1_13binary_searchIS3_S5_NSA_INS8_10device_ptrIsEEEESG_SI_NS1_16binary_search_opENS9_16wrapped_functionINS8_6system6detail7generic6detail18binary_search_lessEbEEEE10hipError_tPvRmT1_T2_T3_mmT4_T5_P12ihipStream_tbEUlRKsE_EESV_SZ_S10_mS11_S14_bEUlT_E_NS1_11comp_targetILNS1_3genE2ELNS1_11target_archE906ELNS1_3gpuE6ELNS1_3repE0EEENS1_30default_config_static_selectorELNS0_4arch9wavefront6targetE0EEEvSY_
	.p2align	8
	.type	_ZN7rocprim17ROCPRIM_400000_NS6detail17trampoline_kernelINS0_14default_configENS1_29binary_search_config_selectorIsiEEZNS1_14transform_implILb0ES3_S5_N6thrust23THRUST_200600_302600_NS6detail15normal_iteratorINS8_7pointerIsNS8_11hip_rocprim5par_tENS8_11use_defaultESE_EEEENSA_INSB_IiSD_SE_SE_EEEEZNS1_13binary_searchIS3_S5_NSA_INS8_10device_ptrIsEEEESG_SI_NS1_16binary_search_opENS9_16wrapped_functionINS8_6system6detail7generic6detail18binary_search_lessEbEEEE10hipError_tPvRmT1_T2_T3_mmT4_T5_P12ihipStream_tbEUlRKsE_EESV_SZ_S10_mS11_S14_bEUlT_E_NS1_11comp_targetILNS1_3genE2ELNS1_11target_archE906ELNS1_3gpuE6ELNS1_3repE0EEENS1_30default_config_static_selectorELNS0_4arch9wavefront6targetE0EEEvSY_,@function
_ZN7rocprim17ROCPRIM_400000_NS6detail17trampoline_kernelINS0_14default_configENS1_29binary_search_config_selectorIsiEEZNS1_14transform_implILb0ES3_S5_N6thrust23THRUST_200600_302600_NS6detail15normal_iteratorINS8_7pointerIsNS8_11hip_rocprim5par_tENS8_11use_defaultESE_EEEENSA_INSB_IiSD_SE_SE_EEEEZNS1_13binary_searchIS3_S5_NSA_INS8_10device_ptrIsEEEESG_SI_NS1_16binary_search_opENS9_16wrapped_functionINS8_6system6detail7generic6detail18binary_search_lessEbEEEE10hipError_tPvRmT1_T2_T3_mmT4_T5_P12ihipStream_tbEUlRKsE_EESV_SZ_S10_mS11_S14_bEUlT_E_NS1_11comp_targetILNS1_3genE2ELNS1_11target_archE906ELNS1_3gpuE6ELNS1_3repE0EEENS1_30default_config_static_selectorELNS0_4arch9wavefront6targetE0EEEvSY_: ; @_ZN7rocprim17ROCPRIM_400000_NS6detail17trampoline_kernelINS0_14default_configENS1_29binary_search_config_selectorIsiEEZNS1_14transform_implILb0ES3_S5_N6thrust23THRUST_200600_302600_NS6detail15normal_iteratorINS8_7pointerIsNS8_11hip_rocprim5par_tENS8_11use_defaultESE_EEEENSA_INSB_IiSD_SE_SE_EEEEZNS1_13binary_searchIS3_S5_NSA_INS8_10device_ptrIsEEEESG_SI_NS1_16binary_search_opENS9_16wrapped_functionINS8_6system6detail7generic6detail18binary_search_lessEbEEEE10hipError_tPvRmT1_T2_T3_mmT4_T5_P12ihipStream_tbEUlRKsE_EESV_SZ_S10_mS11_S14_bEUlT_E_NS1_11comp_targetILNS1_3genE2ELNS1_11target_archE906ELNS1_3gpuE6ELNS1_3repE0EEENS1_30default_config_static_selectorELNS0_4arch9wavefront6targetE0EEEvSY_
; %bb.0:
	.section	.rodata,"a",@progbits
	.p2align	6, 0x0
	.amdhsa_kernel _ZN7rocprim17ROCPRIM_400000_NS6detail17trampoline_kernelINS0_14default_configENS1_29binary_search_config_selectorIsiEEZNS1_14transform_implILb0ES3_S5_N6thrust23THRUST_200600_302600_NS6detail15normal_iteratorINS8_7pointerIsNS8_11hip_rocprim5par_tENS8_11use_defaultESE_EEEENSA_INSB_IiSD_SE_SE_EEEEZNS1_13binary_searchIS3_S5_NSA_INS8_10device_ptrIsEEEESG_SI_NS1_16binary_search_opENS9_16wrapped_functionINS8_6system6detail7generic6detail18binary_search_lessEbEEEE10hipError_tPvRmT1_T2_T3_mmT4_T5_P12ihipStream_tbEUlRKsE_EESV_SZ_S10_mS11_S14_bEUlT_E_NS1_11comp_targetILNS1_3genE2ELNS1_11target_archE906ELNS1_3gpuE6ELNS1_3repE0EEENS1_30default_config_static_selectorELNS0_4arch9wavefront6targetE0EEEvSY_
		.amdhsa_group_segment_fixed_size 0
		.amdhsa_private_segment_fixed_size 0
		.amdhsa_kernarg_size 56
		.amdhsa_user_sgpr_count 6
		.amdhsa_user_sgpr_private_segment_buffer 1
		.amdhsa_user_sgpr_dispatch_ptr 0
		.amdhsa_user_sgpr_queue_ptr 0
		.amdhsa_user_sgpr_kernarg_segment_ptr 1
		.amdhsa_user_sgpr_dispatch_id 0
		.amdhsa_user_sgpr_flat_scratch_init 0
		.amdhsa_user_sgpr_private_segment_size 0
		.amdhsa_wavefront_size32 1
		.amdhsa_uses_dynamic_stack 0
		.amdhsa_system_sgpr_private_segment_wavefront_offset 0
		.amdhsa_system_sgpr_workgroup_id_x 1
		.amdhsa_system_sgpr_workgroup_id_y 0
		.amdhsa_system_sgpr_workgroup_id_z 0
		.amdhsa_system_sgpr_workgroup_info 0
		.amdhsa_system_vgpr_workitem_id 0
		.amdhsa_next_free_vgpr 1
		.amdhsa_next_free_sgpr 1
		.amdhsa_reserve_vcc 0
		.amdhsa_reserve_flat_scratch 0
		.amdhsa_float_round_mode_32 0
		.amdhsa_float_round_mode_16_64 0
		.amdhsa_float_denorm_mode_32 3
		.amdhsa_float_denorm_mode_16_64 3
		.amdhsa_dx10_clamp 1
		.amdhsa_ieee_mode 1
		.amdhsa_fp16_overflow 0
		.amdhsa_workgroup_processor_mode 1
		.amdhsa_memory_ordered 1
		.amdhsa_forward_progress 1
		.amdhsa_shared_vgpr_count 0
		.amdhsa_exception_fp_ieee_invalid_op 0
		.amdhsa_exception_fp_denorm_src 0
		.amdhsa_exception_fp_ieee_div_zero 0
		.amdhsa_exception_fp_ieee_overflow 0
		.amdhsa_exception_fp_ieee_underflow 0
		.amdhsa_exception_fp_ieee_inexact 0
		.amdhsa_exception_int_div_zero 0
	.end_amdhsa_kernel
	.section	.text._ZN7rocprim17ROCPRIM_400000_NS6detail17trampoline_kernelINS0_14default_configENS1_29binary_search_config_selectorIsiEEZNS1_14transform_implILb0ES3_S5_N6thrust23THRUST_200600_302600_NS6detail15normal_iteratorINS8_7pointerIsNS8_11hip_rocprim5par_tENS8_11use_defaultESE_EEEENSA_INSB_IiSD_SE_SE_EEEEZNS1_13binary_searchIS3_S5_NSA_INS8_10device_ptrIsEEEESG_SI_NS1_16binary_search_opENS9_16wrapped_functionINS8_6system6detail7generic6detail18binary_search_lessEbEEEE10hipError_tPvRmT1_T2_T3_mmT4_T5_P12ihipStream_tbEUlRKsE_EESV_SZ_S10_mS11_S14_bEUlT_E_NS1_11comp_targetILNS1_3genE2ELNS1_11target_archE906ELNS1_3gpuE6ELNS1_3repE0EEENS1_30default_config_static_selectorELNS0_4arch9wavefront6targetE0EEEvSY_,"axG",@progbits,_ZN7rocprim17ROCPRIM_400000_NS6detail17trampoline_kernelINS0_14default_configENS1_29binary_search_config_selectorIsiEEZNS1_14transform_implILb0ES3_S5_N6thrust23THRUST_200600_302600_NS6detail15normal_iteratorINS8_7pointerIsNS8_11hip_rocprim5par_tENS8_11use_defaultESE_EEEENSA_INSB_IiSD_SE_SE_EEEEZNS1_13binary_searchIS3_S5_NSA_INS8_10device_ptrIsEEEESG_SI_NS1_16binary_search_opENS9_16wrapped_functionINS8_6system6detail7generic6detail18binary_search_lessEbEEEE10hipError_tPvRmT1_T2_T3_mmT4_T5_P12ihipStream_tbEUlRKsE_EESV_SZ_S10_mS11_S14_bEUlT_E_NS1_11comp_targetILNS1_3genE2ELNS1_11target_archE906ELNS1_3gpuE6ELNS1_3repE0EEENS1_30default_config_static_selectorELNS0_4arch9wavefront6targetE0EEEvSY_,comdat
.Lfunc_end720:
	.size	_ZN7rocprim17ROCPRIM_400000_NS6detail17trampoline_kernelINS0_14default_configENS1_29binary_search_config_selectorIsiEEZNS1_14transform_implILb0ES3_S5_N6thrust23THRUST_200600_302600_NS6detail15normal_iteratorINS8_7pointerIsNS8_11hip_rocprim5par_tENS8_11use_defaultESE_EEEENSA_INSB_IiSD_SE_SE_EEEEZNS1_13binary_searchIS3_S5_NSA_INS8_10device_ptrIsEEEESG_SI_NS1_16binary_search_opENS9_16wrapped_functionINS8_6system6detail7generic6detail18binary_search_lessEbEEEE10hipError_tPvRmT1_T2_T3_mmT4_T5_P12ihipStream_tbEUlRKsE_EESV_SZ_S10_mS11_S14_bEUlT_E_NS1_11comp_targetILNS1_3genE2ELNS1_11target_archE906ELNS1_3gpuE6ELNS1_3repE0EEENS1_30default_config_static_selectorELNS0_4arch9wavefront6targetE0EEEvSY_, .Lfunc_end720-_ZN7rocprim17ROCPRIM_400000_NS6detail17trampoline_kernelINS0_14default_configENS1_29binary_search_config_selectorIsiEEZNS1_14transform_implILb0ES3_S5_N6thrust23THRUST_200600_302600_NS6detail15normal_iteratorINS8_7pointerIsNS8_11hip_rocprim5par_tENS8_11use_defaultESE_EEEENSA_INSB_IiSD_SE_SE_EEEEZNS1_13binary_searchIS3_S5_NSA_INS8_10device_ptrIsEEEESG_SI_NS1_16binary_search_opENS9_16wrapped_functionINS8_6system6detail7generic6detail18binary_search_lessEbEEEE10hipError_tPvRmT1_T2_T3_mmT4_T5_P12ihipStream_tbEUlRKsE_EESV_SZ_S10_mS11_S14_bEUlT_E_NS1_11comp_targetILNS1_3genE2ELNS1_11target_archE906ELNS1_3gpuE6ELNS1_3repE0EEENS1_30default_config_static_selectorELNS0_4arch9wavefront6targetE0EEEvSY_
                                        ; -- End function
	.set _ZN7rocprim17ROCPRIM_400000_NS6detail17trampoline_kernelINS0_14default_configENS1_29binary_search_config_selectorIsiEEZNS1_14transform_implILb0ES3_S5_N6thrust23THRUST_200600_302600_NS6detail15normal_iteratorINS8_7pointerIsNS8_11hip_rocprim5par_tENS8_11use_defaultESE_EEEENSA_INSB_IiSD_SE_SE_EEEEZNS1_13binary_searchIS3_S5_NSA_INS8_10device_ptrIsEEEESG_SI_NS1_16binary_search_opENS9_16wrapped_functionINS8_6system6detail7generic6detail18binary_search_lessEbEEEE10hipError_tPvRmT1_T2_T3_mmT4_T5_P12ihipStream_tbEUlRKsE_EESV_SZ_S10_mS11_S14_bEUlT_E_NS1_11comp_targetILNS1_3genE2ELNS1_11target_archE906ELNS1_3gpuE6ELNS1_3repE0EEENS1_30default_config_static_selectorELNS0_4arch9wavefront6targetE0EEEvSY_.num_vgpr, 0
	.set _ZN7rocprim17ROCPRIM_400000_NS6detail17trampoline_kernelINS0_14default_configENS1_29binary_search_config_selectorIsiEEZNS1_14transform_implILb0ES3_S5_N6thrust23THRUST_200600_302600_NS6detail15normal_iteratorINS8_7pointerIsNS8_11hip_rocprim5par_tENS8_11use_defaultESE_EEEENSA_INSB_IiSD_SE_SE_EEEEZNS1_13binary_searchIS3_S5_NSA_INS8_10device_ptrIsEEEESG_SI_NS1_16binary_search_opENS9_16wrapped_functionINS8_6system6detail7generic6detail18binary_search_lessEbEEEE10hipError_tPvRmT1_T2_T3_mmT4_T5_P12ihipStream_tbEUlRKsE_EESV_SZ_S10_mS11_S14_bEUlT_E_NS1_11comp_targetILNS1_3genE2ELNS1_11target_archE906ELNS1_3gpuE6ELNS1_3repE0EEENS1_30default_config_static_selectorELNS0_4arch9wavefront6targetE0EEEvSY_.num_agpr, 0
	.set _ZN7rocprim17ROCPRIM_400000_NS6detail17trampoline_kernelINS0_14default_configENS1_29binary_search_config_selectorIsiEEZNS1_14transform_implILb0ES3_S5_N6thrust23THRUST_200600_302600_NS6detail15normal_iteratorINS8_7pointerIsNS8_11hip_rocprim5par_tENS8_11use_defaultESE_EEEENSA_INSB_IiSD_SE_SE_EEEEZNS1_13binary_searchIS3_S5_NSA_INS8_10device_ptrIsEEEESG_SI_NS1_16binary_search_opENS9_16wrapped_functionINS8_6system6detail7generic6detail18binary_search_lessEbEEEE10hipError_tPvRmT1_T2_T3_mmT4_T5_P12ihipStream_tbEUlRKsE_EESV_SZ_S10_mS11_S14_bEUlT_E_NS1_11comp_targetILNS1_3genE2ELNS1_11target_archE906ELNS1_3gpuE6ELNS1_3repE0EEENS1_30default_config_static_selectorELNS0_4arch9wavefront6targetE0EEEvSY_.numbered_sgpr, 0
	.set _ZN7rocprim17ROCPRIM_400000_NS6detail17trampoline_kernelINS0_14default_configENS1_29binary_search_config_selectorIsiEEZNS1_14transform_implILb0ES3_S5_N6thrust23THRUST_200600_302600_NS6detail15normal_iteratorINS8_7pointerIsNS8_11hip_rocprim5par_tENS8_11use_defaultESE_EEEENSA_INSB_IiSD_SE_SE_EEEEZNS1_13binary_searchIS3_S5_NSA_INS8_10device_ptrIsEEEESG_SI_NS1_16binary_search_opENS9_16wrapped_functionINS8_6system6detail7generic6detail18binary_search_lessEbEEEE10hipError_tPvRmT1_T2_T3_mmT4_T5_P12ihipStream_tbEUlRKsE_EESV_SZ_S10_mS11_S14_bEUlT_E_NS1_11comp_targetILNS1_3genE2ELNS1_11target_archE906ELNS1_3gpuE6ELNS1_3repE0EEENS1_30default_config_static_selectorELNS0_4arch9wavefront6targetE0EEEvSY_.num_named_barrier, 0
	.set _ZN7rocprim17ROCPRIM_400000_NS6detail17trampoline_kernelINS0_14default_configENS1_29binary_search_config_selectorIsiEEZNS1_14transform_implILb0ES3_S5_N6thrust23THRUST_200600_302600_NS6detail15normal_iteratorINS8_7pointerIsNS8_11hip_rocprim5par_tENS8_11use_defaultESE_EEEENSA_INSB_IiSD_SE_SE_EEEEZNS1_13binary_searchIS3_S5_NSA_INS8_10device_ptrIsEEEESG_SI_NS1_16binary_search_opENS9_16wrapped_functionINS8_6system6detail7generic6detail18binary_search_lessEbEEEE10hipError_tPvRmT1_T2_T3_mmT4_T5_P12ihipStream_tbEUlRKsE_EESV_SZ_S10_mS11_S14_bEUlT_E_NS1_11comp_targetILNS1_3genE2ELNS1_11target_archE906ELNS1_3gpuE6ELNS1_3repE0EEENS1_30default_config_static_selectorELNS0_4arch9wavefront6targetE0EEEvSY_.private_seg_size, 0
	.set _ZN7rocprim17ROCPRIM_400000_NS6detail17trampoline_kernelINS0_14default_configENS1_29binary_search_config_selectorIsiEEZNS1_14transform_implILb0ES3_S5_N6thrust23THRUST_200600_302600_NS6detail15normal_iteratorINS8_7pointerIsNS8_11hip_rocprim5par_tENS8_11use_defaultESE_EEEENSA_INSB_IiSD_SE_SE_EEEEZNS1_13binary_searchIS3_S5_NSA_INS8_10device_ptrIsEEEESG_SI_NS1_16binary_search_opENS9_16wrapped_functionINS8_6system6detail7generic6detail18binary_search_lessEbEEEE10hipError_tPvRmT1_T2_T3_mmT4_T5_P12ihipStream_tbEUlRKsE_EESV_SZ_S10_mS11_S14_bEUlT_E_NS1_11comp_targetILNS1_3genE2ELNS1_11target_archE906ELNS1_3gpuE6ELNS1_3repE0EEENS1_30default_config_static_selectorELNS0_4arch9wavefront6targetE0EEEvSY_.uses_vcc, 0
	.set _ZN7rocprim17ROCPRIM_400000_NS6detail17trampoline_kernelINS0_14default_configENS1_29binary_search_config_selectorIsiEEZNS1_14transform_implILb0ES3_S5_N6thrust23THRUST_200600_302600_NS6detail15normal_iteratorINS8_7pointerIsNS8_11hip_rocprim5par_tENS8_11use_defaultESE_EEEENSA_INSB_IiSD_SE_SE_EEEEZNS1_13binary_searchIS3_S5_NSA_INS8_10device_ptrIsEEEESG_SI_NS1_16binary_search_opENS9_16wrapped_functionINS8_6system6detail7generic6detail18binary_search_lessEbEEEE10hipError_tPvRmT1_T2_T3_mmT4_T5_P12ihipStream_tbEUlRKsE_EESV_SZ_S10_mS11_S14_bEUlT_E_NS1_11comp_targetILNS1_3genE2ELNS1_11target_archE906ELNS1_3gpuE6ELNS1_3repE0EEENS1_30default_config_static_selectorELNS0_4arch9wavefront6targetE0EEEvSY_.uses_flat_scratch, 0
	.set _ZN7rocprim17ROCPRIM_400000_NS6detail17trampoline_kernelINS0_14default_configENS1_29binary_search_config_selectorIsiEEZNS1_14transform_implILb0ES3_S5_N6thrust23THRUST_200600_302600_NS6detail15normal_iteratorINS8_7pointerIsNS8_11hip_rocprim5par_tENS8_11use_defaultESE_EEEENSA_INSB_IiSD_SE_SE_EEEEZNS1_13binary_searchIS3_S5_NSA_INS8_10device_ptrIsEEEESG_SI_NS1_16binary_search_opENS9_16wrapped_functionINS8_6system6detail7generic6detail18binary_search_lessEbEEEE10hipError_tPvRmT1_T2_T3_mmT4_T5_P12ihipStream_tbEUlRKsE_EESV_SZ_S10_mS11_S14_bEUlT_E_NS1_11comp_targetILNS1_3genE2ELNS1_11target_archE906ELNS1_3gpuE6ELNS1_3repE0EEENS1_30default_config_static_selectorELNS0_4arch9wavefront6targetE0EEEvSY_.has_dyn_sized_stack, 0
	.set _ZN7rocprim17ROCPRIM_400000_NS6detail17trampoline_kernelINS0_14default_configENS1_29binary_search_config_selectorIsiEEZNS1_14transform_implILb0ES3_S5_N6thrust23THRUST_200600_302600_NS6detail15normal_iteratorINS8_7pointerIsNS8_11hip_rocprim5par_tENS8_11use_defaultESE_EEEENSA_INSB_IiSD_SE_SE_EEEEZNS1_13binary_searchIS3_S5_NSA_INS8_10device_ptrIsEEEESG_SI_NS1_16binary_search_opENS9_16wrapped_functionINS8_6system6detail7generic6detail18binary_search_lessEbEEEE10hipError_tPvRmT1_T2_T3_mmT4_T5_P12ihipStream_tbEUlRKsE_EESV_SZ_S10_mS11_S14_bEUlT_E_NS1_11comp_targetILNS1_3genE2ELNS1_11target_archE906ELNS1_3gpuE6ELNS1_3repE0EEENS1_30default_config_static_selectorELNS0_4arch9wavefront6targetE0EEEvSY_.has_recursion, 0
	.set _ZN7rocprim17ROCPRIM_400000_NS6detail17trampoline_kernelINS0_14default_configENS1_29binary_search_config_selectorIsiEEZNS1_14transform_implILb0ES3_S5_N6thrust23THRUST_200600_302600_NS6detail15normal_iteratorINS8_7pointerIsNS8_11hip_rocprim5par_tENS8_11use_defaultESE_EEEENSA_INSB_IiSD_SE_SE_EEEEZNS1_13binary_searchIS3_S5_NSA_INS8_10device_ptrIsEEEESG_SI_NS1_16binary_search_opENS9_16wrapped_functionINS8_6system6detail7generic6detail18binary_search_lessEbEEEE10hipError_tPvRmT1_T2_T3_mmT4_T5_P12ihipStream_tbEUlRKsE_EESV_SZ_S10_mS11_S14_bEUlT_E_NS1_11comp_targetILNS1_3genE2ELNS1_11target_archE906ELNS1_3gpuE6ELNS1_3repE0EEENS1_30default_config_static_selectorELNS0_4arch9wavefront6targetE0EEEvSY_.has_indirect_call, 0
	.section	.AMDGPU.csdata,"",@progbits
; Kernel info:
; codeLenInByte = 0
; TotalNumSgprs: 0
; NumVgprs: 0
; ScratchSize: 0
; MemoryBound: 0
; FloatMode: 240
; IeeeMode: 1
; LDSByteSize: 0 bytes/workgroup (compile time only)
; SGPRBlocks: 0
; VGPRBlocks: 0
; NumSGPRsForWavesPerEU: 1
; NumVGPRsForWavesPerEU: 1
; Occupancy: 16
; WaveLimiterHint : 0
; COMPUTE_PGM_RSRC2:SCRATCH_EN: 0
; COMPUTE_PGM_RSRC2:USER_SGPR: 6
; COMPUTE_PGM_RSRC2:TRAP_HANDLER: 0
; COMPUTE_PGM_RSRC2:TGID_X_EN: 1
; COMPUTE_PGM_RSRC2:TGID_Y_EN: 0
; COMPUTE_PGM_RSRC2:TGID_Z_EN: 0
; COMPUTE_PGM_RSRC2:TIDIG_COMP_CNT: 0
	.section	.text._ZN7rocprim17ROCPRIM_400000_NS6detail17trampoline_kernelINS0_14default_configENS1_29binary_search_config_selectorIsiEEZNS1_14transform_implILb0ES3_S5_N6thrust23THRUST_200600_302600_NS6detail15normal_iteratorINS8_7pointerIsNS8_11hip_rocprim5par_tENS8_11use_defaultESE_EEEENSA_INSB_IiSD_SE_SE_EEEEZNS1_13binary_searchIS3_S5_NSA_INS8_10device_ptrIsEEEESG_SI_NS1_16binary_search_opENS9_16wrapped_functionINS8_6system6detail7generic6detail18binary_search_lessEbEEEE10hipError_tPvRmT1_T2_T3_mmT4_T5_P12ihipStream_tbEUlRKsE_EESV_SZ_S10_mS11_S14_bEUlT_E_NS1_11comp_targetILNS1_3genE10ELNS1_11target_archE1201ELNS1_3gpuE5ELNS1_3repE0EEENS1_30default_config_static_selectorELNS0_4arch9wavefront6targetE0EEEvSY_,"axG",@progbits,_ZN7rocprim17ROCPRIM_400000_NS6detail17trampoline_kernelINS0_14default_configENS1_29binary_search_config_selectorIsiEEZNS1_14transform_implILb0ES3_S5_N6thrust23THRUST_200600_302600_NS6detail15normal_iteratorINS8_7pointerIsNS8_11hip_rocprim5par_tENS8_11use_defaultESE_EEEENSA_INSB_IiSD_SE_SE_EEEEZNS1_13binary_searchIS3_S5_NSA_INS8_10device_ptrIsEEEESG_SI_NS1_16binary_search_opENS9_16wrapped_functionINS8_6system6detail7generic6detail18binary_search_lessEbEEEE10hipError_tPvRmT1_T2_T3_mmT4_T5_P12ihipStream_tbEUlRKsE_EESV_SZ_S10_mS11_S14_bEUlT_E_NS1_11comp_targetILNS1_3genE10ELNS1_11target_archE1201ELNS1_3gpuE5ELNS1_3repE0EEENS1_30default_config_static_selectorELNS0_4arch9wavefront6targetE0EEEvSY_,comdat
	.protected	_ZN7rocprim17ROCPRIM_400000_NS6detail17trampoline_kernelINS0_14default_configENS1_29binary_search_config_selectorIsiEEZNS1_14transform_implILb0ES3_S5_N6thrust23THRUST_200600_302600_NS6detail15normal_iteratorINS8_7pointerIsNS8_11hip_rocprim5par_tENS8_11use_defaultESE_EEEENSA_INSB_IiSD_SE_SE_EEEEZNS1_13binary_searchIS3_S5_NSA_INS8_10device_ptrIsEEEESG_SI_NS1_16binary_search_opENS9_16wrapped_functionINS8_6system6detail7generic6detail18binary_search_lessEbEEEE10hipError_tPvRmT1_T2_T3_mmT4_T5_P12ihipStream_tbEUlRKsE_EESV_SZ_S10_mS11_S14_bEUlT_E_NS1_11comp_targetILNS1_3genE10ELNS1_11target_archE1201ELNS1_3gpuE5ELNS1_3repE0EEENS1_30default_config_static_selectorELNS0_4arch9wavefront6targetE0EEEvSY_ ; -- Begin function _ZN7rocprim17ROCPRIM_400000_NS6detail17trampoline_kernelINS0_14default_configENS1_29binary_search_config_selectorIsiEEZNS1_14transform_implILb0ES3_S5_N6thrust23THRUST_200600_302600_NS6detail15normal_iteratorINS8_7pointerIsNS8_11hip_rocprim5par_tENS8_11use_defaultESE_EEEENSA_INSB_IiSD_SE_SE_EEEEZNS1_13binary_searchIS3_S5_NSA_INS8_10device_ptrIsEEEESG_SI_NS1_16binary_search_opENS9_16wrapped_functionINS8_6system6detail7generic6detail18binary_search_lessEbEEEE10hipError_tPvRmT1_T2_T3_mmT4_T5_P12ihipStream_tbEUlRKsE_EESV_SZ_S10_mS11_S14_bEUlT_E_NS1_11comp_targetILNS1_3genE10ELNS1_11target_archE1201ELNS1_3gpuE5ELNS1_3repE0EEENS1_30default_config_static_selectorELNS0_4arch9wavefront6targetE0EEEvSY_
	.globl	_ZN7rocprim17ROCPRIM_400000_NS6detail17trampoline_kernelINS0_14default_configENS1_29binary_search_config_selectorIsiEEZNS1_14transform_implILb0ES3_S5_N6thrust23THRUST_200600_302600_NS6detail15normal_iteratorINS8_7pointerIsNS8_11hip_rocprim5par_tENS8_11use_defaultESE_EEEENSA_INSB_IiSD_SE_SE_EEEEZNS1_13binary_searchIS3_S5_NSA_INS8_10device_ptrIsEEEESG_SI_NS1_16binary_search_opENS9_16wrapped_functionINS8_6system6detail7generic6detail18binary_search_lessEbEEEE10hipError_tPvRmT1_T2_T3_mmT4_T5_P12ihipStream_tbEUlRKsE_EESV_SZ_S10_mS11_S14_bEUlT_E_NS1_11comp_targetILNS1_3genE10ELNS1_11target_archE1201ELNS1_3gpuE5ELNS1_3repE0EEENS1_30default_config_static_selectorELNS0_4arch9wavefront6targetE0EEEvSY_
	.p2align	8
	.type	_ZN7rocprim17ROCPRIM_400000_NS6detail17trampoline_kernelINS0_14default_configENS1_29binary_search_config_selectorIsiEEZNS1_14transform_implILb0ES3_S5_N6thrust23THRUST_200600_302600_NS6detail15normal_iteratorINS8_7pointerIsNS8_11hip_rocprim5par_tENS8_11use_defaultESE_EEEENSA_INSB_IiSD_SE_SE_EEEEZNS1_13binary_searchIS3_S5_NSA_INS8_10device_ptrIsEEEESG_SI_NS1_16binary_search_opENS9_16wrapped_functionINS8_6system6detail7generic6detail18binary_search_lessEbEEEE10hipError_tPvRmT1_T2_T3_mmT4_T5_P12ihipStream_tbEUlRKsE_EESV_SZ_S10_mS11_S14_bEUlT_E_NS1_11comp_targetILNS1_3genE10ELNS1_11target_archE1201ELNS1_3gpuE5ELNS1_3repE0EEENS1_30default_config_static_selectorELNS0_4arch9wavefront6targetE0EEEvSY_,@function
_ZN7rocprim17ROCPRIM_400000_NS6detail17trampoline_kernelINS0_14default_configENS1_29binary_search_config_selectorIsiEEZNS1_14transform_implILb0ES3_S5_N6thrust23THRUST_200600_302600_NS6detail15normal_iteratorINS8_7pointerIsNS8_11hip_rocprim5par_tENS8_11use_defaultESE_EEEENSA_INSB_IiSD_SE_SE_EEEEZNS1_13binary_searchIS3_S5_NSA_INS8_10device_ptrIsEEEESG_SI_NS1_16binary_search_opENS9_16wrapped_functionINS8_6system6detail7generic6detail18binary_search_lessEbEEEE10hipError_tPvRmT1_T2_T3_mmT4_T5_P12ihipStream_tbEUlRKsE_EESV_SZ_S10_mS11_S14_bEUlT_E_NS1_11comp_targetILNS1_3genE10ELNS1_11target_archE1201ELNS1_3gpuE5ELNS1_3repE0EEENS1_30default_config_static_selectorELNS0_4arch9wavefront6targetE0EEEvSY_: ; @_ZN7rocprim17ROCPRIM_400000_NS6detail17trampoline_kernelINS0_14default_configENS1_29binary_search_config_selectorIsiEEZNS1_14transform_implILb0ES3_S5_N6thrust23THRUST_200600_302600_NS6detail15normal_iteratorINS8_7pointerIsNS8_11hip_rocprim5par_tENS8_11use_defaultESE_EEEENSA_INSB_IiSD_SE_SE_EEEEZNS1_13binary_searchIS3_S5_NSA_INS8_10device_ptrIsEEEESG_SI_NS1_16binary_search_opENS9_16wrapped_functionINS8_6system6detail7generic6detail18binary_search_lessEbEEEE10hipError_tPvRmT1_T2_T3_mmT4_T5_P12ihipStream_tbEUlRKsE_EESV_SZ_S10_mS11_S14_bEUlT_E_NS1_11comp_targetILNS1_3genE10ELNS1_11target_archE1201ELNS1_3gpuE5ELNS1_3repE0EEENS1_30default_config_static_selectorELNS0_4arch9wavefront6targetE0EEEvSY_
; %bb.0:
	.section	.rodata,"a",@progbits
	.p2align	6, 0x0
	.amdhsa_kernel _ZN7rocprim17ROCPRIM_400000_NS6detail17trampoline_kernelINS0_14default_configENS1_29binary_search_config_selectorIsiEEZNS1_14transform_implILb0ES3_S5_N6thrust23THRUST_200600_302600_NS6detail15normal_iteratorINS8_7pointerIsNS8_11hip_rocprim5par_tENS8_11use_defaultESE_EEEENSA_INSB_IiSD_SE_SE_EEEEZNS1_13binary_searchIS3_S5_NSA_INS8_10device_ptrIsEEEESG_SI_NS1_16binary_search_opENS9_16wrapped_functionINS8_6system6detail7generic6detail18binary_search_lessEbEEEE10hipError_tPvRmT1_T2_T3_mmT4_T5_P12ihipStream_tbEUlRKsE_EESV_SZ_S10_mS11_S14_bEUlT_E_NS1_11comp_targetILNS1_3genE10ELNS1_11target_archE1201ELNS1_3gpuE5ELNS1_3repE0EEENS1_30default_config_static_selectorELNS0_4arch9wavefront6targetE0EEEvSY_
		.amdhsa_group_segment_fixed_size 0
		.amdhsa_private_segment_fixed_size 0
		.amdhsa_kernarg_size 56
		.amdhsa_user_sgpr_count 6
		.amdhsa_user_sgpr_private_segment_buffer 1
		.amdhsa_user_sgpr_dispatch_ptr 0
		.amdhsa_user_sgpr_queue_ptr 0
		.amdhsa_user_sgpr_kernarg_segment_ptr 1
		.amdhsa_user_sgpr_dispatch_id 0
		.amdhsa_user_sgpr_flat_scratch_init 0
		.amdhsa_user_sgpr_private_segment_size 0
		.amdhsa_wavefront_size32 1
		.amdhsa_uses_dynamic_stack 0
		.amdhsa_system_sgpr_private_segment_wavefront_offset 0
		.amdhsa_system_sgpr_workgroup_id_x 1
		.amdhsa_system_sgpr_workgroup_id_y 0
		.amdhsa_system_sgpr_workgroup_id_z 0
		.amdhsa_system_sgpr_workgroup_info 0
		.amdhsa_system_vgpr_workitem_id 0
		.amdhsa_next_free_vgpr 1
		.amdhsa_next_free_sgpr 1
		.amdhsa_reserve_vcc 0
		.amdhsa_reserve_flat_scratch 0
		.amdhsa_float_round_mode_32 0
		.amdhsa_float_round_mode_16_64 0
		.amdhsa_float_denorm_mode_32 3
		.amdhsa_float_denorm_mode_16_64 3
		.amdhsa_dx10_clamp 1
		.amdhsa_ieee_mode 1
		.amdhsa_fp16_overflow 0
		.amdhsa_workgroup_processor_mode 1
		.amdhsa_memory_ordered 1
		.amdhsa_forward_progress 1
		.amdhsa_shared_vgpr_count 0
		.amdhsa_exception_fp_ieee_invalid_op 0
		.amdhsa_exception_fp_denorm_src 0
		.amdhsa_exception_fp_ieee_div_zero 0
		.amdhsa_exception_fp_ieee_overflow 0
		.amdhsa_exception_fp_ieee_underflow 0
		.amdhsa_exception_fp_ieee_inexact 0
		.amdhsa_exception_int_div_zero 0
	.end_amdhsa_kernel
	.section	.text._ZN7rocprim17ROCPRIM_400000_NS6detail17trampoline_kernelINS0_14default_configENS1_29binary_search_config_selectorIsiEEZNS1_14transform_implILb0ES3_S5_N6thrust23THRUST_200600_302600_NS6detail15normal_iteratorINS8_7pointerIsNS8_11hip_rocprim5par_tENS8_11use_defaultESE_EEEENSA_INSB_IiSD_SE_SE_EEEEZNS1_13binary_searchIS3_S5_NSA_INS8_10device_ptrIsEEEESG_SI_NS1_16binary_search_opENS9_16wrapped_functionINS8_6system6detail7generic6detail18binary_search_lessEbEEEE10hipError_tPvRmT1_T2_T3_mmT4_T5_P12ihipStream_tbEUlRKsE_EESV_SZ_S10_mS11_S14_bEUlT_E_NS1_11comp_targetILNS1_3genE10ELNS1_11target_archE1201ELNS1_3gpuE5ELNS1_3repE0EEENS1_30default_config_static_selectorELNS0_4arch9wavefront6targetE0EEEvSY_,"axG",@progbits,_ZN7rocprim17ROCPRIM_400000_NS6detail17trampoline_kernelINS0_14default_configENS1_29binary_search_config_selectorIsiEEZNS1_14transform_implILb0ES3_S5_N6thrust23THRUST_200600_302600_NS6detail15normal_iteratorINS8_7pointerIsNS8_11hip_rocprim5par_tENS8_11use_defaultESE_EEEENSA_INSB_IiSD_SE_SE_EEEEZNS1_13binary_searchIS3_S5_NSA_INS8_10device_ptrIsEEEESG_SI_NS1_16binary_search_opENS9_16wrapped_functionINS8_6system6detail7generic6detail18binary_search_lessEbEEEE10hipError_tPvRmT1_T2_T3_mmT4_T5_P12ihipStream_tbEUlRKsE_EESV_SZ_S10_mS11_S14_bEUlT_E_NS1_11comp_targetILNS1_3genE10ELNS1_11target_archE1201ELNS1_3gpuE5ELNS1_3repE0EEENS1_30default_config_static_selectorELNS0_4arch9wavefront6targetE0EEEvSY_,comdat
.Lfunc_end721:
	.size	_ZN7rocprim17ROCPRIM_400000_NS6detail17trampoline_kernelINS0_14default_configENS1_29binary_search_config_selectorIsiEEZNS1_14transform_implILb0ES3_S5_N6thrust23THRUST_200600_302600_NS6detail15normal_iteratorINS8_7pointerIsNS8_11hip_rocprim5par_tENS8_11use_defaultESE_EEEENSA_INSB_IiSD_SE_SE_EEEEZNS1_13binary_searchIS3_S5_NSA_INS8_10device_ptrIsEEEESG_SI_NS1_16binary_search_opENS9_16wrapped_functionINS8_6system6detail7generic6detail18binary_search_lessEbEEEE10hipError_tPvRmT1_T2_T3_mmT4_T5_P12ihipStream_tbEUlRKsE_EESV_SZ_S10_mS11_S14_bEUlT_E_NS1_11comp_targetILNS1_3genE10ELNS1_11target_archE1201ELNS1_3gpuE5ELNS1_3repE0EEENS1_30default_config_static_selectorELNS0_4arch9wavefront6targetE0EEEvSY_, .Lfunc_end721-_ZN7rocprim17ROCPRIM_400000_NS6detail17trampoline_kernelINS0_14default_configENS1_29binary_search_config_selectorIsiEEZNS1_14transform_implILb0ES3_S5_N6thrust23THRUST_200600_302600_NS6detail15normal_iteratorINS8_7pointerIsNS8_11hip_rocprim5par_tENS8_11use_defaultESE_EEEENSA_INSB_IiSD_SE_SE_EEEEZNS1_13binary_searchIS3_S5_NSA_INS8_10device_ptrIsEEEESG_SI_NS1_16binary_search_opENS9_16wrapped_functionINS8_6system6detail7generic6detail18binary_search_lessEbEEEE10hipError_tPvRmT1_T2_T3_mmT4_T5_P12ihipStream_tbEUlRKsE_EESV_SZ_S10_mS11_S14_bEUlT_E_NS1_11comp_targetILNS1_3genE10ELNS1_11target_archE1201ELNS1_3gpuE5ELNS1_3repE0EEENS1_30default_config_static_selectorELNS0_4arch9wavefront6targetE0EEEvSY_
                                        ; -- End function
	.set _ZN7rocprim17ROCPRIM_400000_NS6detail17trampoline_kernelINS0_14default_configENS1_29binary_search_config_selectorIsiEEZNS1_14transform_implILb0ES3_S5_N6thrust23THRUST_200600_302600_NS6detail15normal_iteratorINS8_7pointerIsNS8_11hip_rocprim5par_tENS8_11use_defaultESE_EEEENSA_INSB_IiSD_SE_SE_EEEEZNS1_13binary_searchIS3_S5_NSA_INS8_10device_ptrIsEEEESG_SI_NS1_16binary_search_opENS9_16wrapped_functionINS8_6system6detail7generic6detail18binary_search_lessEbEEEE10hipError_tPvRmT1_T2_T3_mmT4_T5_P12ihipStream_tbEUlRKsE_EESV_SZ_S10_mS11_S14_bEUlT_E_NS1_11comp_targetILNS1_3genE10ELNS1_11target_archE1201ELNS1_3gpuE5ELNS1_3repE0EEENS1_30default_config_static_selectorELNS0_4arch9wavefront6targetE0EEEvSY_.num_vgpr, 0
	.set _ZN7rocprim17ROCPRIM_400000_NS6detail17trampoline_kernelINS0_14default_configENS1_29binary_search_config_selectorIsiEEZNS1_14transform_implILb0ES3_S5_N6thrust23THRUST_200600_302600_NS6detail15normal_iteratorINS8_7pointerIsNS8_11hip_rocprim5par_tENS8_11use_defaultESE_EEEENSA_INSB_IiSD_SE_SE_EEEEZNS1_13binary_searchIS3_S5_NSA_INS8_10device_ptrIsEEEESG_SI_NS1_16binary_search_opENS9_16wrapped_functionINS8_6system6detail7generic6detail18binary_search_lessEbEEEE10hipError_tPvRmT1_T2_T3_mmT4_T5_P12ihipStream_tbEUlRKsE_EESV_SZ_S10_mS11_S14_bEUlT_E_NS1_11comp_targetILNS1_3genE10ELNS1_11target_archE1201ELNS1_3gpuE5ELNS1_3repE0EEENS1_30default_config_static_selectorELNS0_4arch9wavefront6targetE0EEEvSY_.num_agpr, 0
	.set _ZN7rocprim17ROCPRIM_400000_NS6detail17trampoline_kernelINS0_14default_configENS1_29binary_search_config_selectorIsiEEZNS1_14transform_implILb0ES3_S5_N6thrust23THRUST_200600_302600_NS6detail15normal_iteratorINS8_7pointerIsNS8_11hip_rocprim5par_tENS8_11use_defaultESE_EEEENSA_INSB_IiSD_SE_SE_EEEEZNS1_13binary_searchIS3_S5_NSA_INS8_10device_ptrIsEEEESG_SI_NS1_16binary_search_opENS9_16wrapped_functionINS8_6system6detail7generic6detail18binary_search_lessEbEEEE10hipError_tPvRmT1_T2_T3_mmT4_T5_P12ihipStream_tbEUlRKsE_EESV_SZ_S10_mS11_S14_bEUlT_E_NS1_11comp_targetILNS1_3genE10ELNS1_11target_archE1201ELNS1_3gpuE5ELNS1_3repE0EEENS1_30default_config_static_selectorELNS0_4arch9wavefront6targetE0EEEvSY_.numbered_sgpr, 0
	.set _ZN7rocprim17ROCPRIM_400000_NS6detail17trampoline_kernelINS0_14default_configENS1_29binary_search_config_selectorIsiEEZNS1_14transform_implILb0ES3_S5_N6thrust23THRUST_200600_302600_NS6detail15normal_iteratorINS8_7pointerIsNS8_11hip_rocprim5par_tENS8_11use_defaultESE_EEEENSA_INSB_IiSD_SE_SE_EEEEZNS1_13binary_searchIS3_S5_NSA_INS8_10device_ptrIsEEEESG_SI_NS1_16binary_search_opENS9_16wrapped_functionINS8_6system6detail7generic6detail18binary_search_lessEbEEEE10hipError_tPvRmT1_T2_T3_mmT4_T5_P12ihipStream_tbEUlRKsE_EESV_SZ_S10_mS11_S14_bEUlT_E_NS1_11comp_targetILNS1_3genE10ELNS1_11target_archE1201ELNS1_3gpuE5ELNS1_3repE0EEENS1_30default_config_static_selectorELNS0_4arch9wavefront6targetE0EEEvSY_.num_named_barrier, 0
	.set _ZN7rocprim17ROCPRIM_400000_NS6detail17trampoline_kernelINS0_14default_configENS1_29binary_search_config_selectorIsiEEZNS1_14transform_implILb0ES3_S5_N6thrust23THRUST_200600_302600_NS6detail15normal_iteratorINS8_7pointerIsNS8_11hip_rocprim5par_tENS8_11use_defaultESE_EEEENSA_INSB_IiSD_SE_SE_EEEEZNS1_13binary_searchIS3_S5_NSA_INS8_10device_ptrIsEEEESG_SI_NS1_16binary_search_opENS9_16wrapped_functionINS8_6system6detail7generic6detail18binary_search_lessEbEEEE10hipError_tPvRmT1_T2_T3_mmT4_T5_P12ihipStream_tbEUlRKsE_EESV_SZ_S10_mS11_S14_bEUlT_E_NS1_11comp_targetILNS1_3genE10ELNS1_11target_archE1201ELNS1_3gpuE5ELNS1_3repE0EEENS1_30default_config_static_selectorELNS0_4arch9wavefront6targetE0EEEvSY_.private_seg_size, 0
	.set _ZN7rocprim17ROCPRIM_400000_NS6detail17trampoline_kernelINS0_14default_configENS1_29binary_search_config_selectorIsiEEZNS1_14transform_implILb0ES3_S5_N6thrust23THRUST_200600_302600_NS6detail15normal_iteratorINS8_7pointerIsNS8_11hip_rocprim5par_tENS8_11use_defaultESE_EEEENSA_INSB_IiSD_SE_SE_EEEEZNS1_13binary_searchIS3_S5_NSA_INS8_10device_ptrIsEEEESG_SI_NS1_16binary_search_opENS9_16wrapped_functionINS8_6system6detail7generic6detail18binary_search_lessEbEEEE10hipError_tPvRmT1_T2_T3_mmT4_T5_P12ihipStream_tbEUlRKsE_EESV_SZ_S10_mS11_S14_bEUlT_E_NS1_11comp_targetILNS1_3genE10ELNS1_11target_archE1201ELNS1_3gpuE5ELNS1_3repE0EEENS1_30default_config_static_selectorELNS0_4arch9wavefront6targetE0EEEvSY_.uses_vcc, 0
	.set _ZN7rocprim17ROCPRIM_400000_NS6detail17trampoline_kernelINS0_14default_configENS1_29binary_search_config_selectorIsiEEZNS1_14transform_implILb0ES3_S5_N6thrust23THRUST_200600_302600_NS6detail15normal_iteratorINS8_7pointerIsNS8_11hip_rocprim5par_tENS8_11use_defaultESE_EEEENSA_INSB_IiSD_SE_SE_EEEEZNS1_13binary_searchIS3_S5_NSA_INS8_10device_ptrIsEEEESG_SI_NS1_16binary_search_opENS9_16wrapped_functionINS8_6system6detail7generic6detail18binary_search_lessEbEEEE10hipError_tPvRmT1_T2_T3_mmT4_T5_P12ihipStream_tbEUlRKsE_EESV_SZ_S10_mS11_S14_bEUlT_E_NS1_11comp_targetILNS1_3genE10ELNS1_11target_archE1201ELNS1_3gpuE5ELNS1_3repE0EEENS1_30default_config_static_selectorELNS0_4arch9wavefront6targetE0EEEvSY_.uses_flat_scratch, 0
	.set _ZN7rocprim17ROCPRIM_400000_NS6detail17trampoline_kernelINS0_14default_configENS1_29binary_search_config_selectorIsiEEZNS1_14transform_implILb0ES3_S5_N6thrust23THRUST_200600_302600_NS6detail15normal_iteratorINS8_7pointerIsNS8_11hip_rocprim5par_tENS8_11use_defaultESE_EEEENSA_INSB_IiSD_SE_SE_EEEEZNS1_13binary_searchIS3_S5_NSA_INS8_10device_ptrIsEEEESG_SI_NS1_16binary_search_opENS9_16wrapped_functionINS8_6system6detail7generic6detail18binary_search_lessEbEEEE10hipError_tPvRmT1_T2_T3_mmT4_T5_P12ihipStream_tbEUlRKsE_EESV_SZ_S10_mS11_S14_bEUlT_E_NS1_11comp_targetILNS1_3genE10ELNS1_11target_archE1201ELNS1_3gpuE5ELNS1_3repE0EEENS1_30default_config_static_selectorELNS0_4arch9wavefront6targetE0EEEvSY_.has_dyn_sized_stack, 0
	.set _ZN7rocprim17ROCPRIM_400000_NS6detail17trampoline_kernelINS0_14default_configENS1_29binary_search_config_selectorIsiEEZNS1_14transform_implILb0ES3_S5_N6thrust23THRUST_200600_302600_NS6detail15normal_iteratorINS8_7pointerIsNS8_11hip_rocprim5par_tENS8_11use_defaultESE_EEEENSA_INSB_IiSD_SE_SE_EEEEZNS1_13binary_searchIS3_S5_NSA_INS8_10device_ptrIsEEEESG_SI_NS1_16binary_search_opENS9_16wrapped_functionINS8_6system6detail7generic6detail18binary_search_lessEbEEEE10hipError_tPvRmT1_T2_T3_mmT4_T5_P12ihipStream_tbEUlRKsE_EESV_SZ_S10_mS11_S14_bEUlT_E_NS1_11comp_targetILNS1_3genE10ELNS1_11target_archE1201ELNS1_3gpuE5ELNS1_3repE0EEENS1_30default_config_static_selectorELNS0_4arch9wavefront6targetE0EEEvSY_.has_recursion, 0
	.set _ZN7rocprim17ROCPRIM_400000_NS6detail17trampoline_kernelINS0_14default_configENS1_29binary_search_config_selectorIsiEEZNS1_14transform_implILb0ES3_S5_N6thrust23THRUST_200600_302600_NS6detail15normal_iteratorINS8_7pointerIsNS8_11hip_rocprim5par_tENS8_11use_defaultESE_EEEENSA_INSB_IiSD_SE_SE_EEEEZNS1_13binary_searchIS3_S5_NSA_INS8_10device_ptrIsEEEESG_SI_NS1_16binary_search_opENS9_16wrapped_functionINS8_6system6detail7generic6detail18binary_search_lessEbEEEE10hipError_tPvRmT1_T2_T3_mmT4_T5_P12ihipStream_tbEUlRKsE_EESV_SZ_S10_mS11_S14_bEUlT_E_NS1_11comp_targetILNS1_3genE10ELNS1_11target_archE1201ELNS1_3gpuE5ELNS1_3repE0EEENS1_30default_config_static_selectorELNS0_4arch9wavefront6targetE0EEEvSY_.has_indirect_call, 0
	.section	.AMDGPU.csdata,"",@progbits
; Kernel info:
; codeLenInByte = 0
; TotalNumSgprs: 0
; NumVgprs: 0
; ScratchSize: 0
; MemoryBound: 0
; FloatMode: 240
; IeeeMode: 1
; LDSByteSize: 0 bytes/workgroup (compile time only)
; SGPRBlocks: 0
; VGPRBlocks: 0
; NumSGPRsForWavesPerEU: 1
; NumVGPRsForWavesPerEU: 1
; Occupancy: 16
; WaveLimiterHint : 0
; COMPUTE_PGM_RSRC2:SCRATCH_EN: 0
; COMPUTE_PGM_RSRC2:USER_SGPR: 6
; COMPUTE_PGM_RSRC2:TRAP_HANDLER: 0
; COMPUTE_PGM_RSRC2:TGID_X_EN: 1
; COMPUTE_PGM_RSRC2:TGID_Y_EN: 0
; COMPUTE_PGM_RSRC2:TGID_Z_EN: 0
; COMPUTE_PGM_RSRC2:TIDIG_COMP_CNT: 0
	.section	.text._ZN7rocprim17ROCPRIM_400000_NS6detail17trampoline_kernelINS0_14default_configENS1_29binary_search_config_selectorIsiEEZNS1_14transform_implILb0ES3_S5_N6thrust23THRUST_200600_302600_NS6detail15normal_iteratorINS8_7pointerIsNS8_11hip_rocprim5par_tENS8_11use_defaultESE_EEEENSA_INSB_IiSD_SE_SE_EEEEZNS1_13binary_searchIS3_S5_NSA_INS8_10device_ptrIsEEEESG_SI_NS1_16binary_search_opENS9_16wrapped_functionINS8_6system6detail7generic6detail18binary_search_lessEbEEEE10hipError_tPvRmT1_T2_T3_mmT4_T5_P12ihipStream_tbEUlRKsE_EESV_SZ_S10_mS11_S14_bEUlT_E_NS1_11comp_targetILNS1_3genE10ELNS1_11target_archE1200ELNS1_3gpuE4ELNS1_3repE0EEENS1_30default_config_static_selectorELNS0_4arch9wavefront6targetE0EEEvSY_,"axG",@progbits,_ZN7rocprim17ROCPRIM_400000_NS6detail17trampoline_kernelINS0_14default_configENS1_29binary_search_config_selectorIsiEEZNS1_14transform_implILb0ES3_S5_N6thrust23THRUST_200600_302600_NS6detail15normal_iteratorINS8_7pointerIsNS8_11hip_rocprim5par_tENS8_11use_defaultESE_EEEENSA_INSB_IiSD_SE_SE_EEEEZNS1_13binary_searchIS3_S5_NSA_INS8_10device_ptrIsEEEESG_SI_NS1_16binary_search_opENS9_16wrapped_functionINS8_6system6detail7generic6detail18binary_search_lessEbEEEE10hipError_tPvRmT1_T2_T3_mmT4_T5_P12ihipStream_tbEUlRKsE_EESV_SZ_S10_mS11_S14_bEUlT_E_NS1_11comp_targetILNS1_3genE10ELNS1_11target_archE1200ELNS1_3gpuE4ELNS1_3repE0EEENS1_30default_config_static_selectorELNS0_4arch9wavefront6targetE0EEEvSY_,comdat
	.protected	_ZN7rocprim17ROCPRIM_400000_NS6detail17trampoline_kernelINS0_14default_configENS1_29binary_search_config_selectorIsiEEZNS1_14transform_implILb0ES3_S5_N6thrust23THRUST_200600_302600_NS6detail15normal_iteratorINS8_7pointerIsNS8_11hip_rocprim5par_tENS8_11use_defaultESE_EEEENSA_INSB_IiSD_SE_SE_EEEEZNS1_13binary_searchIS3_S5_NSA_INS8_10device_ptrIsEEEESG_SI_NS1_16binary_search_opENS9_16wrapped_functionINS8_6system6detail7generic6detail18binary_search_lessEbEEEE10hipError_tPvRmT1_T2_T3_mmT4_T5_P12ihipStream_tbEUlRKsE_EESV_SZ_S10_mS11_S14_bEUlT_E_NS1_11comp_targetILNS1_3genE10ELNS1_11target_archE1200ELNS1_3gpuE4ELNS1_3repE0EEENS1_30default_config_static_selectorELNS0_4arch9wavefront6targetE0EEEvSY_ ; -- Begin function _ZN7rocprim17ROCPRIM_400000_NS6detail17trampoline_kernelINS0_14default_configENS1_29binary_search_config_selectorIsiEEZNS1_14transform_implILb0ES3_S5_N6thrust23THRUST_200600_302600_NS6detail15normal_iteratorINS8_7pointerIsNS8_11hip_rocprim5par_tENS8_11use_defaultESE_EEEENSA_INSB_IiSD_SE_SE_EEEEZNS1_13binary_searchIS3_S5_NSA_INS8_10device_ptrIsEEEESG_SI_NS1_16binary_search_opENS9_16wrapped_functionINS8_6system6detail7generic6detail18binary_search_lessEbEEEE10hipError_tPvRmT1_T2_T3_mmT4_T5_P12ihipStream_tbEUlRKsE_EESV_SZ_S10_mS11_S14_bEUlT_E_NS1_11comp_targetILNS1_3genE10ELNS1_11target_archE1200ELNS1_3gpuE4ELNS1_3repE0EEENS1_30default_config_static_selectorELNS0_4arch9wavefront6targetE0EEEvSY_
	.globl	_ZN7rocprim17ROCPRIM_400000_NS6detail17trampoline_kernelINS0_14default_configENS1_29binary_search_config_selectorIsiEEZNS1_14transform_implILb0ES3_S5_N6thrust23THRUST_200600_302600_NS6detail15normal_iteratorINS8_7pointerIsNS8_11hip_rocprim5par_tENS8_11use_defaultESE_EEEENSA_INSB_IiSD_SE_SE_EEEEZNS1_13binary_searchIS3_S5_NSA_INS8_10device_ptrIsEEEESG_SI_NS1_16binary_search_opENS9_16wrapped_functionINS8_6system6detail7generic6detail18binary_search_lessEbEEEE10hipError_tPvRmT1_T2_T3_mmT4_T5_P12ihipStream_tbEUlRKsE_EESV_SZ_S10_mS11_S14_bEUlT_E_NS1_11comp_targetILNS1_3genE10ELNS1_11target_archE1200ELNS1_3gpuE4ELNS1_3repE0EEENS1_30default_config_static_selectorELNS0_4arch9wavefront6targetE0EEEvSY_
	.p2align	8
	.type	_ZN7rocprim17ROCPRIM_400000_NS6detail17trampoline_kernelINS0_14default_configENS1_29binary_search_config_selectorIsiEEZNS1_14transform_implILb0ES3_S5_N6thrust23THRUST_200600_302600_NS6detail15normal_iteratorINS8_7pointerIsNS8_11hip_rocprim5par_tENS8_11use_defaultESE_EEEENSA_INSB_IiSD_SE_SE_EEEEZNS1_13binary_searchIS3_S5_NSA_INS8_10device_ptrIsEEEESG_SI_NS1_16binary_search_opENS9_16wrapped_functionINS8_6system6detail7generic6detail18binary_search_lessEbEEEE10hipError_tPvRmT1_T2_T3_mmT4_T5_P12ihipStream_tbEUlRKsE_EESV_SZ_S10_mS11_S14_bEUlT_E_NS1_11comp_targetILNS1_3genE10ELNS1_11target_archE1200ELNS1_3gpuE4ELNS1_3repE0EEENS1_30default_config_static_selectorELNS0_4arch9wavefront6targetE0EEEvSY_,@function
_ZN7rocprim17ROCPRIM_400000_NS6detail17trampoline_kernelINS0_14default_configENS1_29binary_search_config_selectorIsiEEZNS1_14transform_implILb0ES3_S5_N6thrust23THRUST_200600_302600_NS6detail15normal_iteratorINS8_7pointerIsNS8_11hip_rocprim5par_tENS8_11use_defaultESE_EEEENSA_INSB_IiSD_SE_SE_EEEEZNS1_13binary_searchIS3_S5_NSA_INS8_10device_ptrIsEEEESG_SI_NS1_16binary_search_opENS9_16wrapped_functionINS8_6system6detail7generic6detail18binary_search_lessEbEEEE10hipError_tPvRmT1_T2_T3_mmT4_T5_P12ihipStream_tbEUlRKsE_EESV_SZ_S10_mS11_S14_bEUlT_E_NS1_11comp_targetILNS1_3genE10ELNS1_11target_archE1200ELNS1_3gpuE4ELNS1_3repE0EEENS1_30default_config_static_selectorELNS0_4arch9wavefront6targetE0EEEvSY_: ; @_ZN7rocprim17ROCPRIM_400000_NS6detail17trampoline_kernelINS0_14default_configENS1_29binary_search_config_selectorIsiEEZNS1_14transform_implILb0ES3_S5_N6thrust23THRUST_200600_302600_NS6detail15normal_iteratorINS8_7pointerIsNS8_11hip_rocprim5par_tENS8_11use_defaultESE_EEEENSA_INSB_IiSD_SE_SE_EEEEZNS1_13binary_searchIS3_S5_NSA_INS8_10device_ptrIsEEEESG_SI_NS1_16binary_search_opENS9_16wrapped_functionINS8_6system6detail7generic6detail18binary_search_lessEbEEEE10hipError_tPvRmT1_T2_T3_mmT4_T5_P12ihipStream_tbEUlRKsE_EESV_SZ_S10_mS11_S14_bEUlT_E_NS1_11comp_targetILNS1_3genE10ELNS1_11target_archE1200ELNS1_3gpuE4ELNS1_3repE0EEENS1_30default_config_static_selectorELNS0_4arch9wavefront6targetE0EEEvSY_
; %bb.0:
	.section	.rodata,"a",@progbits
	.p2align	6, 0x0
	.amdhsa_kernel _ZN7rocprim17ROCPRIM_400000_NS6detail17trampoline_kernelINS0_14default_configENS1_29binary_search_config_selectorIsiEEZNS1_14transform_implILb0ES3_S5_N6thrust23THRUST_200600_302600_NS6detail15normal_iteratorINS8_7pointerIsNS8_11hip_rocprim5par_tENS8_11use_defaultESE_EEEENSA_INSB_IiSD_SE_SE_EEEEZNS1_13binary_searchIS3_S5_NSA_INS8_10device_ptrIsEEEESG_SI_NS1_16binary_search_opENS9_16wrapped_functionINS8_6system6detail7generic6detail18binary_search_lessEbEEEE10hipError_tPvRmT1_T2_T3_mmT4_T5_P12ihipStream_tbEUlRKsE_EESV_SZ_S10_mS11_S14_bEUlT_E_NS1_11comp_targetILNS1_3genE10ELNS1_11target_archE1200ELNS1_3gpuE4ELNS1_3repE0EEENS1_30default_config_static_selectorELNS0_4arch9wavefront6targetE0EEEvSY_
		.amdhsa_group_segment_fixed_size 0
		.amdhsa_private_segment_fixed_size 0
		.amdhsa_kernarg_size 56
		.amdhsa_user_sgpr_count 6
		.amdhsa_user_sgpr_private_segment_buffer 1
		.amdhsa_user_sgpr_dispatch_ptr 0
		.amdhsa_user_sgpr_queue_ptr 0
		.amdhsa_user_sgpr_kernarg_segment_ptr 1
		.amdhsa_user_sgpr_dispatch_id 0
		.amdhsa_user_sgpr_flat_scratch_init 0
		.amdhsa_user_sgpr_private_segment_size 0
		.amdhsa_wavefront_size32 1
		.amdhsa_uses_dynamic_stack 0
		.amdhsa_system_sgpr_private_segment_wavefront_offset 0
		.amdhsa_system_sgpr_workgroup_id_x 1
		.amdhsa_system_sgpr_workgroup_id_y 0
		.amdhsa_system_sgpr_workgroup_id_z 0
		.amdhsa_system_sgpr_workgroup_info 0
		.amdhsa_system_vgpr_workitem_id 0
		.amdhsa_next_free_vgpr 1
		.amdhsa_next_free_sgpr 1
		.amdhsa_reserve_vcc 0
		.amdhsa_reserve_flat_scratch 0
		.amdhsa_float_round_mode_32 0
		.amdhsa_float_round_mode_16_64 0
		.amdhsa_float_denorm_mode_32 3
		.amdhsa_float_denorm_mode_16_64 3
		.amdhsa_dx10_clamp 1
		.amdhsa_ieee_mode 1
		.amdhsa_fp16_overflow 0
		.amdhsa_workgroup_processor_mode 1
		.amdhsa_memory_ordered 1
		.amdhsa_forward_progress 1
		.amdhsa_shared_vgpr_count 0
		.amdhsa_exception_fp_ieee_invalid_op 0
		.amdhsa_exception_fp_denorm_src 0
		.amdhsa_exception_fp_ieee_div_zero 0
		.amdhsa_exception_fp_ieee_overflow 0
		.amdhsa_exception_fp_ieee_underflow 0
		.amdhsa_exception_fp_ieee_inexact 0
		.amdhsa_exception_int_div_zero 0
	.end_amdhsa_kernel
	.section	.text._ZN7rocprim17ROCPRIM_400000_NS6detail17trampoline_kernelINS0_14default_configENS1_29binary_search_config_selectorIsiEEZNS1_14transform_implILb0ES3_S5_N6thrust23THRUST_200600_302600_NS6detail15normal_iteratorINS8_7pointerIsNS8_11hip_rocprim5par_tENS8_11use_defaultESE_EEEENSA_INSB_IiSD_SE_SE_EEEEZNS1_13binary_searchIS3_S5_NSA_INS8_10device_ptrIsEEEESG_SI_NS1_16binary_search_opENS9_16wrapped_functionINS8_6system6detail7generic6detail18binary_search_lessEbEEEE10hipError_tPvRmT1_T2_T3_mmT4_T5_P12ihipStream_tbEUlRKsE_EESV_SZ_S10_mS11_S14_bEUlT_E_NS1_11comp_targetILNS1_3genE10ELNS1_11target_archE1200ELNS1_3gpuE4ELNS1_3repE0EEENS1_30default_config_static_selectorELNS0_4arch9wavefront6targetE0EEEvSY_,"axG",@progbits,_ZN7rocprim17ROCPRIM_400000_NS6detail17trampoline_kernelINS0_14default_configENS1_29binary_search_config_selectorIsiEEZNS1_14transform_implILb0ES3_S5_N6thrust23THRUST_200600_302600_NS6detail15normal_iteratorINS8_7pointerIsNS8_11hip_rocprim5par_tENS8_11use_defaultESE_EEEENSA_INSB_IiSD_SE_SE_EEEEZNS1_13binary_searchIS3_S5_NSA_INS8_10device_ptrIsEEEESG_SI_NS1_16binary_search_opENS9_16wrapped_functionINS8_6system6detail7generic6detail18binary_search_lessEbEEEE10hipError_tPvRmT1_T2_T3_mmT4_T5_P12ihipStream_tbEUlRKsE_EESV_SZ_S10_mS11_S14_bEUlT_E_NS1_11comp_targetILNS1_3genE10ELNS1_11target_archE1200ELNS1_3gpuE4ELNS1_3repE0EEENS1_30default_config_static_selectorELNS0_4arch9wavefront6targetE0EEEvSY_,comdat
.Lfunc_end722:
	.size	_ZN7rocprim17ROCPRIM_400000_NS6detail17trampoline_kernelINS0_14default_configENS1_29binary_search_config_selectorIsiEEZNS1_14transform_implILb0ES3_S5_N6thrust23THRUST_200600_302600_NS6detail15normal_iteratorINS8_7pointerIsNS8_11hip_rocprim5par_tENS8_11use_defaultESE_EEEENSA_INSB_IiSD_SE_SE_EEEEZNS1_13binary_searchIS3_S5_NSA_INS8_10device_ptrIsEEEESG_SI_NS1_16binary_search_opENS9_16wrapped_functionINS8_6system6detail7generic6detail18binary_search_lessEbEEEE10hipError_tPvRmT1_T2_T3_mmT4_T5_P12ihipStream_tbEUlRKsE_EESV_SZ_S10_mS11_S14_bEUlT_E_NS1_11comp_targetILNS1_3genE10ELNS1_11target_archE1200ELNS1_3gpuE4ELNS1_3repE0EEENS1_30default_config_static_selectorELNS0_4arch9wavefront6targetE0EEEvSY_, .Lfunc_end722-_ZN7rocprim17ROCPRIM_400000_NS6detail17trampoline_kernelINS0_14default_configENS1_29binary_search_config_selectorIsiEEZNS1_14transform_implILb0ES3_S5_N6thrust23THRUST_200600_302600_NS6detail15normal_iteratorINS8_7pointerIsNS8_11hip_rocprim5par_tENS8_11use_defaultESE_EEEENSA_INSB_IiSD_SE_SE_EEEEZNS1_13binary_searchIS3_S5_NSA_INS8_10device_ptrIsEEEESG_SI_NS1_16binary_search_opENS9_16wrapped_functionINS8_6system6detail7generic6detail18binary_search_lessEbEEEE10hipError_tPvRmT1_T2_T3_mmT4_T5_P12ihipStream_tbEUlRKsE_EESV_SZ_S10_mS11_S14_bEUlT_E_NS1_11comp_targetILNS1_3genE10ELNS1_11target_archE1200ELNS1_3gpuE4ELNS1_3repE0EEENS1_30default_config_static_selectorELNS0_4arch9wavefront6targetE0EEEvSY_
                                        ; -- End function
	.set _ZN7rocprim17ROCPRIM_400000_NS6detail17trampoline_kernelINS0_14default_configENS1_29binary_search_config_selectorIsiEEZNS1_14transform_implILb0ES3_S5_N6thrust23THRUST_200600_302600_NS6detail15normal_iteratorINS8_7pointerIsNS8_11hip_rocprim5par_tENS8_11use_defaultESE_EEEENSA_INSB_IiSD_SE_SE_EEEEZNS1_13binary_searchIS3_S5_NSA_INS8_10device_ptrIsEEEESG_SI_NS1_16binary_search_opENS9_16wrapped_functionINS8_6system6detail7generic6detail18binary_search_lessEbEEEE10hipError_tPvRmT1_T2_T3_mmT4_T5_P12ihipStream_tbEUlRKsE_EESV_SZ_S10_mS11_S14_bEUlT_E_NS1_11comp_targetILNS1_3genE10ELNS1_11target_archE1200ELNS1_3gpuE4ELNS1_3repE0EEENS1_30default_config_static_selectorELNS0_4arch9wavefront6targetE0EEEvSY_.num_vgpr, 0
	.set _ZN7rocprim17ROCPRIM_400000_NS6detail17trampoline_kernelINS0_14default_configENS1_29binary_search_config_selectorIsiEEZNS1_14transform_implILb0ES3_S5_N6thrust23THRUST_200600_302600_NS6detail15normal_iteratorINS8_7pointerIsNS8_11hip_rocprim5par_tENS8_11use_defaultESE_EEEENSA_INSB_IiSD_SE_SE_EEEEZNS1_13binary_searchIS3_S5_NSA_INS8_10device_ptrIsEEEESG_SI_NS1_16binary_search_opENS9_16wrapped_functionINS8_6system6detail7generic6detail18binary_search_lessEbEEEE10hipError_tPvRmT1_T2_T3_mmT4_T5_P12ihipStream_tbEUlRKsE_EESV_SZ_S10_mS11_S14_bEUlT_E_NS1_11comp_targetILNS1_3genE10ELNS1_11target_archE1200ELNS1_3gpuE4ELNS1_3repE0EEENS1_30default_config_static_selectorELNS0_4arch9wavefront6targetE0EEEvSY_.num_agpr, 0
	.set _ZN7rocprim17ROCPRIM_400000_NS6detail17trampoline_kernelINS0_14default_configENS1_29binary_search_config_selectorIsiEEZNS1_14transform_implILb0ES3_S5_N6thrust23THRUST_200600_302600_NS6detail15normal_iteratorINS8_7pointerIsNS8_11hip_rocprim5par_tENS8_11use_defaultESE_EEEENSA_INSB_IiSD_SE_SE_EEEEZNS1_13binary_searchIS3_S5_NSA_INS8_10device_ptrIsEEEESG_SI_NS1_16binary_search_opENS9_16wrapped_functionINS8_6system6detail7generic6detail18binary_search_lessEbEEEE10hipError_tPvRmT1_T2_T3_mmT4_T5_P12ihipStream_tbEUlRKsE_EESV_SZ_S10_mS11_S14_bEUlT_E_NS1_11comp_targetILNS1_3genE10ELNS1_11target_archE1200ELNS1_3gpuE4ELNS1_3repE0EEENS1_30default_config_static_selectorELNS0_4arch9wavefront6targetE0EEEvSY_.numbered_sgpr, 0
	.set _ZN7rocprim17ROCPRIM_400000_NS6detail17trampoline_kernelINS0_14default_configENS1_29binary_search_config_selectorIsiEEZNS1_14transform_implILb0ES3_S5_N6thrust23THRUST_200600_302600_NS6detail15normal_iteratorINS8_7pointerIsNS8_11hip_rocprim5par_tENS8_11use_defaultESE_EEEENSA_INSB_IiSD_SE_SE_EEEEZNS1_13binary_searchIS3_S5_NSA_INS8_10device_ptrIsEEEESG_SI_NS1_16binary_search_opENS9_16wrapped_functionINS8_6system6detail7generic6detail18binary_search_lessEbEEEE10hipError_tPvRmT1_T2_T3_mmT4_T5_P12ihipStream_tbEUlRKsE_EESV_SZ_S10_mS11_S14_bEUlT_E_NS1_11comp_targetILNS1_3genE10ELNS1_11target_archE1200ELNS1_3gpuE4ELNS1_3repE0EEENS1_30default_config_static_selectorELNS0_4arch9wavefront6targetE0EEEvSY_.num_named_barrier, 0
	.set _ZN7rocprim17ROCPRIM_400000_NS6detail17trampoline_kernelINS0_14default_configENS1_29binary_search_config_selectorIsiEEZNS1_14transform_implILb0ES3_S5_N6thrust23THRUST_200600_302600_NS6detail15normal_iteratorINS8_7pointerIsNS8_11hip_rocprim5par_tENS8_11use_defaultESE_EEEENSA_INSB_IiSD_SE_SE_EEEEZNS1_13binary_searchIS3_S5_NSA_INS8_10device_ptrIsEEEESG_SI_NS1_16binary_search_opENS9_16wrapped_functionINS8_6system6detail7generic6detail18binary_search_lessEbEEEE10hipError_tPvRmT1_T2_T3_mmT4_T5_P12ihipStream_tbEUlRKsE_EESV_SZ_S10_mS11_S14_bEUlT_E_NS1_11comp_targetILNS1_3genE10ELNS1_11target_archE1200ELNS1_3gpuE4ELNS1_3repE0EEENS1_30default_config_static_selectorELNS0_4arch9wavefront6targetE0EEEvSY_.private_seg_size, 0
	.set _ZN7rocprim17ROCPRIM_400000_NS6detail17trampoline_kernelINS0_14default_configENS1_29binary_search_config_selectorIsiEEZNS1_14transform_implILb0ES3_S5_N6thrust23THRUST_200600_302600_NS6detail15normal_iteratorINS8_7pointerIsNS8_11hip_rocprim5par_tENS8_11use_defaultESE_EEEENSA_INSB_IiSD_SE_SE_EEEEZNS1_13binary_searchIS3_S5_NSA_INS8_10device_ptrIsEEEESG_SI_NS1_16binary_search_opENS9_16wrapped_functionINS8_6system6detail7generic6detail18binary_search_lessEbEEEE10hipError_tPvRmT1_T2_T3_mmT4_T5_P12ihipStream_tbEUlRKsE_EESV_SZ_S10_mS11_S14_bEUlT_E_NS1_11comp_targetILNS1_3genE10ELNS1_11target_archE1200ELNS1_3gpuE4ELNS1_3repE0EEENS1_30default_config_static_selectorELNS0_4arch9wavefront6targetE0EEEvSY_.uses_vcc, 0
	.set _ZN7rocprim17ROCPRIM_400000_NS6detail17trampoline_kernelINS0_14default_configENS1_29binary_search_config_selectorIsiEEZNS1_14transform_implILb0ES3_S5_N6thrust23THRUST_200600_302600_NS6detail15normal_iteratorINS8_7pointerIsNS8_11hip_rocprim5par_tENS8_11use_defaultESE_EEEENSA_INSB_IiSD_SE_SE_EEEEZNS1_13binary_searchIS3_S5_NSA_INS8_10device_ptrIsEEEESG_SI_NS1_16binary_search_opENS9_16wrapped_functionINS8_6system6detail7generic6detail18binary_search_lessEbEEEE10hipError_tPvRmT1_T2_T3_mmT4_T5_P12ihipStream_tbEUlRKsE_EESV_SZ_S10_mS11_S14_bEUlT_E_NS1_11comp_targetILNS1_3genE10ELNS1_11target_archE1200ELNS1_3gpuE4ELNS1_3repE0EEENS1_30default_config_static_selectorELNS0_4arch9wavefront6targetE0EEEvSY_.uses_flat_scratch, 0
	.set _ZN7rocprim17ROCPRIM_400000_NS6detail17trampoline_kernelINS0_14default_configENS1_29binary_search_config_selectorIsiEEZNS1_14transform_implILb0ES3_S5_N6thrust23THRUST_200600_302600_NS6detail15normal_iteratorINS8_7pointerIsNS8_11hip_rocprim5par_tENS8_11use_defaultESE_EEEENSA_INSB_IiSD_SE_SE_EEEEZNS1_13binary_searchIS3_S5_NSA_INS8_10device_ptrIsEEEESG_SI_NS1_16binary_search_opENS9_16wrapped_functionINS8_6system6detail7generic6detail18binary_search_lessEbEEEE10hipError_tPvRmT1_T2_T3_mmT4_T5_P12ihipStream_tbEUlRKsE_EESV_SZ_S10_mS11_S14_bEUlT_E_NS1_11comp_targetILNS1_3genE10ELNS1_11target_archE1200ELNS1_3gpuE4ELNS1_3repE0EEENS1_30default_config_static_selectorELNS0_4arch9wavefront6targetE0EEEvSY_.has_dyn_sized_stack, 0
	.set _ZN7rocprim17ROCPRIM_400000_NS6detail17trampoline_kernelINS0_14default_configENS1_29binary_search_config_selectorIsiEEZNS1_14transform_implILb0ES3_S5_N6thrust23THRUST_200600_302600_NS6detail15normal_iteratorINS8_7pointerIsNS8_11hip_rocprim5par_tENS8_11use_defaultESE_EEEENSA_INSB_IiSD_SE_SE_EEEEZNS1_13binary_searchIS3_S5_NSA_INS8_10device_ptrIsEEEESG_SI_NS1_16binary_search_opENS9_16wrapped_functionINS8_6system6detail7generic6detail18binary_search_lessEbEEEE10hipError_tPvRmT1_T2_T3_mmT4_T5_P12ihipStream_tbEUlRKsE_EESV_SZ_S10_mS11_S14_bEUlT_E_NS1_11comp_targetILNS1_3genE10ELNS1_11target_archE1200ELNS1_3gpuE4ELNS1_3repE0EEENS1_30default_config_static_selectorELNS0_4arch9wavefront6targetE0EEEvSY_.has_recursion, 0
	.set _ZN7rocprim17ROCPRIM_400000_NS6detail17trampoline_kernelINS0_14default_configENS1_29binary_search_config_selectorIsiEEZNS1_14transform_implILb0ES3_S5_N6thrust23THRUST_200600_302600_NS6detail15normal_iteratorINS8_7pointerIsNS8_11hip_rocprim5par_tENS8_11use_defaultESE_EEEENSA_INSB_IiSD_SE_SE_EEEEZNS1_13binary_searchIS3_S5_NSA_INS8_10device_ptrIsEEEESG_SI_NS1_16binary_search_opENS9_16wrapped_functionINS8_6system6detail7generic6detail18binary_search_lessEbEEEE10hipError_tPvRmT1_T2_T3_mmT4_T5_P12ihipStream_tbEUlRKsE_EESV_SZ_S10_mS11_S14_bEUlT_E_NS1_11comp_targetILNS1_3genE10ELNS1_11target_archE1200ELNS1_3gpuE4ELNS1_3repE0EEENS1_30default_config_static_selectorELNS0_4arch9wavefront6targetE0EEEvSY_.has_indirect_call, 0
	.section	.AMDGPU.csdata,"",@progbits
; Kernel info:
; codeLenInByte = 0
; TotalNumSgprs: 0
; NumVgprs: 0
; ScratchSize: 0
; MemoryBound: 0
; FloatMode: 240
; IeeeMode: 1
; LDSByteSize: 0 bytes/workgroup (compile time only)
; SGPRBlocks: 0
; VGPRBlocks: 0
; NumSGPRsForWavesPerEU: 1
; NumVGPRsForWavesPerEU: 1
; Occupancy: 16
; WaveLimiterHint : 0
; COMPUTE_PGM_RSRC2:SCRATCH_EN: 0
; COMPUTE_PGM_RSRC2:USER_SGPR: 6
; COMPUTE_PGM_RSRC2:TRAP_HANDLER: 0
; COMPUTE_PGM_RSRC2:TGID_X_EN: 1
; COMPUTE_PGM_RSRC2:TGID_Y_EN: 0
; COMPUTE_PGM_RSRC2:TGID_Z_EN: 0
; COMPUTE_PGM_RSRC2:TIDIG_COMP_CNT: 0
	.section	.text._ZN7rocprim17ROCPRIM_400000_NS6detail17trampoline_kernelINS0_14default_configENS1_29binary_search_config_selectorIsiEEZNS1_14transform_implILb0ES3_S5_N6thrust23THRUST_200600_302600_NS6detail15normal_iteratorINS8_7pointerIsNS8_11hip_rocprim5par_tENS8_11use_defaultESE_EEEENSA_INSB_IiSD_SE_SE_EEEEZNS1_13binary_searchIS3_S5_NSA_INS8_10device_ptrIsEEEESG_SI_NS1_16binary_search_opENS9_16wrapped_functionINS8_6system6detail7generic6detail18binary_search_lessEbEEEE10hipError_tPvRmT1_T2_T3_mmT4_T5_P12ihipStream_tbEUlRKsE_EESV_SZ_S10_mS11_S14_bEUlT_E_NS1_11comp_targetILNS1_3genE9ELNS1_11target_archE1100ELNS1_3gpuE3ELNS1_3repE0EEENS1_30default_config_static_selectorELNS0_4arch9wavefront6targetE0EEEvSY_,"axG",@progbits,_ZN7rocprim17ROCPRIM_400000_NS6detail17trampoline_kernelINS0_14default_configENS1_29binary_search_config_selectorIsiEEZNS1_14transform_implILb0ES3_S5_N6thrust23THRUST_200600_302600_NS6detail15normal_iteratorINS8_7pointerIsNS8_11hip_rocprim5par_tENS8_11use_defaultESE_EEEENSA_INSB_IiSD_SE_SE_EEEEZNS1_13binary_searchIS3_S5_NSA_INS8_10device_ptrIsEEEESG_SI_NS1_16binary_search_opENS9_16wrapped_functionINS8_6system6detail7generic6detail18binary_search_lessEbEEEE10hipError_tPvRmT1_T2_T3_mmT4_T5_P12ihipStream_tbEUlRKsE_EESV_SZ_S10_mS11_S14_bEUlT_E_NS1_11comp_targetILNS1_3genE9ELNS1_11target_archE1100ELNS1_3gpuE3ELNS1_3repE0EEENS1_30default_config_static_selectorELNS0_4arch9wavefront6targetE0EEEvSY_,comdat
	.protected	_ZN7rocprim17ROCPRIM_400000_NS6detail17trampoline_kernelINS0_14default_configENS1_29binary_search_config_selectorIsiEEZNS1_14transform_implILb0ES3_S5_N6thrust23THRUST_200600_302600_NS6detail15normal_iteratorINS8_7pointerIsNS8_11hip_rocprim5par_tENS8_11use_defaultESE_EEEENSA_INSB_IiSD_SE_SE_EEEEZNS1_13binary_searchIS3_S5_NSA_INS8_10device_ptrIsEEEESG_SI_NS1_16binary_search_opENS9_16wrapped_functionINS8_6system6detail7generic6detail18binary_search_lessEbEEEE10hipError_tPvRmT1_T2_T3_mmT4_T5_P12ihipStream_tbEUlRKsE_EESV_SZ_S10_mS11_S14_bEUlT_E_NS1_11comp_targetILNS1_3genE9ELNS1_11target_archE1100ELNS1_3gpuE3ELNS1_3repE0EEENS1_30default_config_static_selectorELNS0_4arch9wavefront6targetE0EEEvSY_ ; -- Begin function _ZN7rocprim17ROCPRIM_400000_NS6detail17trampoline_kernelINS0_14default_configENS1_29binary_search_config_selectorIsiEEZNS1_14transform_implILb0ES3_S5_N6thrust23THRUST_200600_302600_NS6detail15normal_iteratorINS8_7pointerIsNS8_11hip_rocprim5par_tENS8_11use_defaultESE_EEEENSA_INSB_IiSD_SE_SE_EEEEZNS1_13binary_searchIS3_S5_NSA_INS8_10device_ptrIsEEEESG_SI_NS1_16binary_search_opENS9_16wrapped_functionINS8_6system6detail7generic6detail18binary_search_lessEbEEEE10hipError_tPvRmT1_T2_T3_mmT4_T5_P12ihipStream_tbEUlRKsE_EESV_SZ_S10_mS11_S14_bEUlT_E_NS1_11comp_targetILNS1_3genE9ELNS1_11target_archE1100ELNS1_3gpuE3ELNS1_3repE0EEENS1_30default_config_static_selectorELNS0_4arch9wavefront6targetE0EEEvSY_
	.globl	_ZN7rocprim17ROCPRIM_400000_NS6detail17trampoline_kernelINS0_14default_configENS1_29binary_search_config_selectorIsiEEZNS1_14transform_implILb0ES3_S5_N6thrust23THRUST_200600_302600_NS6detail15normal_iteratorINS8_7pointerIsNS8_11hip_rocprim5par_tENS8_11use_defaultESE_EEEENSA_INSB_IiSD_SE_SE_EEEEZNS1_13binary_searchIS3_S5_NSA_INS8_10device_ptrIsEEEESG_SI_NS1_16binary_search_opENS9_16wrapped_functionINS8_6system6detail7generic6detail18binary_search_lessEbEEEE10hipError_tPvRmT1_T2_T3_mmT4_T5_P12ihipStream_tbEUlRKsE_EESV_SZ_S10_mS11_S14_bEUlT_E_NS1_11comp_targetILNS1_3genE9ELNS1_11target_archE1100ELNS1_3gpuE3ELNS1_3repE0EEENS1_30default_config_static_selectorELNS0_4arch9wavefront6targetE0EEEvSY_
	.p2align	8
	.type	_ZN7rocprim17ROCPRIM_400000_NS6detail17trampoline_kernelINS0_14default_configENS1_29binary_search_config_selectorIsiEEZNS1_14transform_implILb0ES3_S5_N6thrust23THRUST_200600_302600_NS6detail15normal_iteratorINS8_7pointerIsNS8_11hip_rocprim5par_tENS8_11use_defaultESE_EEEENSA_INSB_IiSD_SE_SE_EEEEZNS1_13binary_searchIS3_S5_NSA_INS8_10device_ptrIsEEEESG_SI_NS1_16binary_search_opENS9_16wrapped_functionINS8_6system6detail7generic6detail18binary_search_lessEbEEEE10hipError_tPvRmT1_T2_T3_mmT4_T5_P12ihipStream_tbEUlRKsE_EESV_SZ_S10_mS11_S14_bEUlT_E_NS1_11comp_targetILNS1_3genE9ELNS1_11target_archE1100ELNS1_3gpuE3ELNS1_3repE0EEENS1_30default_config_static_selectorELNS0_4arch9wavefront6targetE0EEEvSY_,@function
_ZN7rocprim17ROCPRIM_400000_NS6detail17trampoline_kernelINS0_14default_configENS1_29binary_search_config_selectorIsiEEZNS1_14transform_implILb0ES3_S5_N6thrust23THRUST_200600_302600_NS6detail15normal_iteratorINS8_7pointerIsNS8_11hip_rocprim5par_tENS8_11use_defaultESE_EEEENSA_INSB_IiSD_SE_SE_EEEEZNS1_13binary_searchIS3_S5_NSA_INS8_10device_ptrIsEEEESG_SI_NS1_16binary_search_opENS9_16wrapped_functionINS8_6system6detail7generic6detail18binary_search_lessEbEEEE10hipError_tPvRmT1_T2_T3_mmT4_T5_P12ihipStream_tbEUlRKsE_EESV_SZ_S10_mS11_S14_bEUlT_E_NS1_11comp_targetILNS1_3genE9ELNS1_11target_archE1100ELNS1_3gpuE3ELNS1_3repE0EEENS1_30default_config_static_selectorELNS0_4arch9wavefront6targetE0EEEvSY_: ; @_ZN7rocprim17ROCPRIM_400000_NS6detail17trampoline_kernelINS0_14default_configENS1_29binary_search_config_selectorIsiEEZNS1_14transform_implILb0ES3_S5_N6thrust23THRUST_200600_302600_NS6detail15normal_iteratorINS8_7pointerIsNS8_11hip_rocprim5par_tENS8_11use_defaultESE_EEEENSA_INSB_IiSD_SE_SE_EEEEZNS1_13binary_searchIS3_S5_NSA_INS8_10device_ptrIsEEEESG_SI_NS1_16binary_search_opENS9_16wrapped_functionINS8_6system6detail7generic6detail18binary_search_lessEbEEEE10hipError_tPvRmT1_T2_T3_mmT4_T5_P12ihipStream_tbEUlRKsE_EESV_SZ_S10_mS11_S14_bEUlT_E_NS1_11comp_targetILNS1_3genE9ELNS1_11target_archE1100ELNS1_3gpuE3ELNS1_3repE0EEENS1_30default_config_static_selectorELNS0_4arch9wavefront6targetE0EEEvSY_
; %bb.0:
	.section	.rodata,"a",@progbits
	.p2align	6, 0x0
	.amdhsa_kernel _ZN7rocprim17ROCPRIM_400000_NS6detail17trampoline_kernelINS0_14default_configENS1_29binary_search_config_selectorIsiEEZNS1_14transform_implILb0ES3_S5_N6thrust23THRUST_200600_302600_NS6detail15normal_iteratorINS8_7pointerIsNS8_11hip_rocprim5par_tENS8_11use_defaultESE_EEEENSA_INSB_IiSD_SE_SE_EEEEZNS1_13binary_searchIS3_S5_NSA_INS8_10device_ptrIsEEEESG_SI_NS1_16binary_search_opENS9_16wrapped_functionINS8_6system6detail7generic6detail18binary_search_lessEbEEEE10hipError_tPvRmT1_T2_T3_mmT4_T5_P12ihipStream_tbEUlRKsE_EESV_SZ_S10_mS11_S14_bEUlT_E_NS1_11comp_targetILNS1_3genE9ELNS1_11target_archE1100ELNS1_3gpuE3ELNS1_3repE0EEENS1_30default_config_static_selectorELNS0_4arch9wavefront6targetE0EEEvSY_
		.amdhsa_group_segment_fixed_size 0
		.amdhsa_private_segment_fixed_size 0
		.amdhsa_kernarg_size 56
		.amdhsa_user_sgpr_count 6
		.amdhsa_user_sgpr_private_segment_buffer 1
		.amdhsa_user_sgpr_dispatch_ptr 0
		.amdhsa_user_sgpr_queue_ptr 0
		.amdhsa_user_sgpr_kernarg_segment_ptr 1
		.amdhsa_user_sgpr_dispatch_id 0
		.amdhsa_user_sgpr_flat_scratch_init 0
		.amdhsa_user_sgpr_private_segment_size 0
		.amdhsa_wavefront_size32 1
		.amdhsa_uses_dynamic_stack 0
		.amdhsa_system_sgpr_private_segment_wavefront_offset 0
		.amdhsa_system_sgpr_workgroup_id_x 1
		.amdhsa_system_sgpr_workgroup_id_y 0
		.amdhsa_system_sgpr_workgroup_id_z 0
		.amdhsa_system_sgpr_workgroup_info 0
		.amdhsa_system_vgpr_workitem_id 0
		.amdhsa_next_free_vgpr 1
		.amdhsa_next_free_sgpr 1
		.amdhsa_reserve_vcc 0
		.amdhsa_reserve_flat_scratch 0
		.amdhsa_float_round_mode_32 0
		.amdhsa_float_round_mode_16_64 0
		.amdhsa_float_denorm_mode_32 3
		.amdhsa_float_denorm_mode_16_64 3
		.amdhsa_dx10_clamp 1
		.amdhsa_ieee_mode 1
		.amdhsa_fp16_overflow 0
		.amdhsa_workgroup_processor_mode 1
		.amdhsa_memory_ordered 1
		.amdhsa_forward_progress 1
		.amdhsa_shared_vgpr_count 0
		.amdhsa_exception_fp_ieee_invalid_op 0
		.amdhsa_exception_fp_denorm_src 0
		.amdhsa_exception_fp_ieee_div_zero 0
		.amdhsa_exception_fp_ieee_overflow 0
		.amdhsa_exception_fp_ieee_underflow 0
		.amdhsa_exception_fp_ieee_inexact 0
		.amdhsa_exception_int_div_zero 0
	.end_amdhsa_kernel
	.section	.text._ZN7rocprim17ROCPRIM_400000_NS6detail17trampoline_kernelINS0_14default_configENS1_29binary_search_config_selectorIsiEEZNS1_14transform_implILb0ES3_S5_N6thrust23THRUST_200600_302600_NS6detail15normal_iteratorINS8_7pointerIsNS8_11hip_rocprim5par_tENS8_11use_defaultESE_EEEENSA_INSB_IiSD_SE_SE_EEEEZNS1_13binary_searchIS3_S5_NSA_INS8_10device_ptrIsEEEESG_SI_NS1_16binary_search_opENS9_16wrapped_functionINS8_6system6detail7generic6detail18binary_search_lessEbEEEE10hipError_tPvRmT1_T2_T3_mmT4_T5_P12ihipStream_tbEUlRKsE_EESV_SZ_S10_mS11_S14_bEUlT_E_NS1_11comp_targetILNS1_3genE9ELNS1_11target_archE1100ELNS1_3gpuE3ELNS1_3repE0EEENS1_30default_config_static_selectorELNS0_4arch9wavefront6targetE0EEEvSY_,"axG",@progbits,_ZN7rocprim17ROCPRIM_400000_NS6detail17trampoline_kernelINS0_14default_configENS1_29binary_search_config_selectorIsiEEZNS1_14transform_implILb0ES3_S5_N6thrust23THRUST_200600_302600_NS6detail15normal_iteratorINS8_7pointerIsNS8_11hip_rocprim5par_tENS8_11use_defaultESE_EEEENSA_INSB_IiSD_SE_SE_EEEEZNS1_13binary_searchIS3_S5_NSA_INS8_10device_ptrIsEEEESG_SI_NS1_16binary_search_opENS9_16wrapped_functionINS8_6system6detail7generic6detail18binary_search_lessEbEEEE10hipError_tPvRmT1_T2_T3_mmT4_T5_P12ihipStream_tbEUlRKsE_EESV_SZ_S10_mS11_S14_bEUlT_E_NS1_11comp_targetILNS1_3genE9ELNS1_11target_archE1100ELNS1_3gpuE3ELNS1_3repE0EEENS1_30default_config_static_selectorELNS0_4arch9wavefront6targetE0EEEvSY_,comdat
.Lfunc_end723:
	.size	_ZN7rocprim17ROCPRIM_400000_NS6detail17trampoline_kernelINS0_14default_configENS1_29binary_search_config_selectorIsiEEZNS1_14transform_implILb0ES3_S5_N6thrust23THRUST_200600_302600_NS6detail15normal_iteratorINS8_7pointerIsNS8_11hip_rocprim5par_tENS8_11use_defaultESE_EEEENSA_INSB_IiSD_SE_SE_EEEEZNS1_13binary_searchIS3_S5_NSA_INS8_10device_ptrIsEEEESG_SI_NS1_16binary_search_opENS9_16wrapped_functionINS8_6system6detail7generic6detail18binary_search_lessEbEEEE10hipError_tPvRmT1_T2_T3_mmT4_T5_P12ihipStream_tbEUlRKsE_EESV_SZ_S10_mS11_S14_bEUlT_E_NS1_11comp_targetILNS1_3genE9ELNS1_11target_archE1100ELNS1_3gpuE3ELNS1_3repE0EEENS1_30default_config_static_selectorELNS0_4arch9wavefront6targetE0EEEvSY_, .Lfunc_end723-_ZN7rocprim17ROCPRIM_400000_NS6detail17trampoline_kernelINS0_14default_configENS1_29binary_search_config_selectorIsiEEZNS1_14transform_implILb0ES3_S5_N6thrust23THRUST_200600_302600_NS6detail15normal_iteratorINS8_7pointerIsNS8_11hip_rocprim5par_tENS8_11use_defaultESE_EEEENSA_INSB_IiSD_SE_SE_EEEEZNS1_13binary_searchIS3_S5_NSA_INS8_10device_ptrIsEEEESG_SI_NS1_16binary_search_opENS9_16wrapped_functionINS8_6system6detail7generic6detail18binary_search_lessEbEEEE10hipError_tPvRmT1_T2_T3_mmT4_T5_P12ihipStream_tbEUlRKsE_EESV_SZ_S10_mS11_S14_bEUlT_E_NS1_11comp_targetILNS1_3genE9ELNS1_11target_archE1100ELNS1_3gpuE3ELNS1_3repE0EEENS1_30default_config_static_selectorELNS0_4arch9wavefront6targetE0EEEvSY_
                                        ; -- End function
	.set _ZN7rocprim17ROCPRIM_400000_NS6detail17trampoline_kernelINS0_14default_configENS1_29binary_search_config_selectorIsiEEZNS1_14transform_implILb0ES3_S5_N6thrust23THRUST_200600_302600_NS6detail15normal_iteratorINS8_7pointerIsNS8_11hip_rocprim5par_tENS8_11use_defaultESE_EEEENSA_INSB_IiSD_SE_SE_EEEEZNS1_13binary_searchIS3_S5_NSA_INS8_10device_ptrIsEEEESG_SI_NS1_16binary_search_opENS9_16wrapped_functionINS8_6system6detail7generic6detail18binary_search_lessEbEEEE10hipError_tPvRmT1_T2_T3_mmT4_T5_P12ihipStream_tbEUlRKsE_EESV_SZ_S10_mS11_S14_bEUlT_E_NS1_11comp_targetILNS1_3genE9ELNS1_11target_archE1100ELNS1_3gpuE3ELNS1_3repE0EEENS1_30default_config_static_selectorELNS0_4arch9wavefront6targetE0EEEvSY_.num_vgpr, 0
	.set _ZN7rocprim17ROCPRIM_400000_NS6detail17trampoline_kernelINS0_14default_configENS1_29binary_search_config_selectorIsiEEZNS1_14transform_implILb0ES3_S5_N6thrust23THRUST_200600_302600_NS6detail15normal_iteratorINS8_7pointerIsNS8_11hip_rocprim5par_tENS8_11use_defaultESE_EEEENSA_INSB_IiSD_SE_SE_EEEEZNS1_13binary_searchIS3_S5_NSA_INS8_10device_ptrIsEEEESG_SI_NS1_16binary_search_opENS9_16wrapped_functionINS8_6system6detail7generic6detail18binary_search_lessEbEEEE10hipError_tPvRmT1_T2_T3_mmT4_T5_P12ihipStream_tbEUlRKsE_EESV_SZ_S10_mS11_S14_bEUlT_E_NS1_11comp_targetILNS1_3genE9ELNS1_11target_archE1100ELNS1_3gpuE3ELNS1_3repE0EEENS1_30default_config_static_selectorELNS0_4arch9wavefront6targetE0EEEvSY_.num_agpr, 0
	.set _ZN7rocprim17ROCPRIM_400000_NS6detail17trampoline_kernelINS0_14default_configENS1_29binary_search_config_selectorIsiEEZNS1_14transform_implILb0ES3_S5_N6thrust23THRUST_200600_302600_NS6detail15normal_iteratorINS8_7pointerIsNS8_11hip_rocprim5par_tENS8_11use_defaultESE_EEEENSA_INSB_IiSD_SE_SE_EEEEZNS1_13binary_searchIS3_S5_NSA_INS8_10device_ptrIsEEEESG_SI_NS1_16binary_search_opENS9_16wrapped_functionINS8_6system6detail7generic6detail18binary_search_lessEbEEEE10hipError_tPvRmT1_T2_T3_mmT4_T5_P12ihipStream_tbEUlRKsE_EESV_SZ_S10_mS11_S14_bEUlT_E_NS1_11comp_targetILNS1_3genE9ELNS1_11target_archE1100ELNS1_3gpuE3ELNS1_3repE0EEENS1_30default_config_static_selectorELNS0_4arch9wavefront6targetE0EEEvSY_.numbered_sgpr, 0
	.set _ZN7rocprim17ROCPRIM_400000_NS6detail17trampoline_kernelINS0_14default_configENS1_29binary_search_config_selectorIsiEEZNS1_14transform_implILb0ES3_S5_N6thrust23THRUST_200600_302600_NS6detail15normal_iteratorINS8_7pointerIsNS8_11hip_rocprim5par_tENS8_11use_defaultESE_EEEENSA_INSB_IiSD_SE_SE_EEEEZNS1_13binary_searchIS3_S5_NSA_INS8_10device_ptrIsEEEESG_SI_NS1_16binary_search_opENS9_16wrapped_functionINS8_6system6detail7generic6detail18binary_search_lessEbEEEE10hipError_tPvRmT1_T2_T3_mmT4_T5_P12ihipStream_tbEUlRKsE_EESV_SZ_S10_mS11_S14_bEUlT_E_NS1_11comp_targetILNS1_3genE9ELNS1_11target_archE1100ELNS1_3gpuE3ELNS1_3repE0EEENS1_30default_config_static_selectorELNS0_4arch9wavefront6targetE0EEEvSY_.num_named_barrier, 0
	.set _ZN7rocprim17ROCPRIM_400000_NS6detail17trampoline_kernelINS0_14default_configENS1_29binary_search_config_selectorIsiEEZNS1_14transform_implILb0ES3_S5_N6thrust23THRUST_200600_302600_NS6detail15normal_iteratorINS8_7pointerIsNS8_11hip_rocprim5par_tENS8_11use_defaultESE_EEEENSA_INSB_IiSD_SE_SE_EEEEZNS1_13binary_searchIS3_S5_NSA_INS8_10device_ptrIsEEEESG_SI_NS1_16binary_search_opENS9_16wrapped_functionINS8_6system6detail7generic6detail18binary_search_lessEbEEEE10hipError_tPvRmT1_T2_T3_mmT4_T5_P12ihipStream_tbEUlRKsE_EESV_SZ_S10_mS11_S14_bEUlT_E_NS1_11comp_targetILNS1_3genE9ELNS1_11target_archE1100ELNS1_3gpuE3ELNS1_3repE0EEENS1_30default_config_static_selectorELNS0_4arch9wavefront6targetE0EEEvSY_.private_seg_size, 0
	.set _ZN7rocprim17ROCPRIM_400000_NS6detail17trampoline_kernelINS0_14default_configENS1_29binary_search_config_selectorIsiEEZNS1_14transform_implILb0ES3_S5_N6thrust23THRUST_200600_302600_NS6detail15normal_iteratorINS8_7pointerIsNS8_11hip_rocprim5par_tENS8_11use_defaultESE_EEEENSA_INSB_IiSD_SE_SE_EEEEZNS1_13binary_searchIS3_S5_NSA_INS8_10device_ptrIsEEEESG_SI_NS1_16binary_search_opENS9_16wrapped_functionINS8_6system6detail7generic6detail18binary_search_lessEbEEEE10hipError_tPvRmT1_T2_T3_mmT4_T5_P12ihipStream_tbEUlRKsE_EESV_SZ_S10_mS11_S14_bEUlT_E_NS1_11comp_targetILNS1_3genE9ELNS1_11target_archE1100ELNS1_3gpuE3ELNS1_3repE0EEENS1_30default_config_static_selectorELNS0_4arch9wavefront6targetE0EEEvSY_.uses_vcc, 0
	.set _ZN7rocprim17ROCPRIM_400000_NS6detail17trampoline_kernelINS0_14default_configENS1_29binary_search_config_selectorIsiEEZNS1_14transform_implILb0ES3_S5_N6thrust23THRUST_200600_302600_NS6detail15normal_iteratorINS8_7pointerIsNS8_11hip_rocprim5par_tENS8_11use_defaultESE_EEEENSA_INSB_IiSD_SE_SE_EEEEZNS1_13binary_searchIS3_S5_NSA_INS8_10device_ptrIsEEEESG_SI_NS1_16binary_search_opENS9_16wrapped_functionINS8_6system6detail7generic6detail18binary_search_lessEbEEEE10hipError_tPvRmT1_T2_T3_mmT4_T5_P12ihipStream_tbEUlRKsE_EESV_SZ_S10_mS11_S14_bEUlT_E_NS1_11comp_targetILNS1_3genE9ELNS1_11target_archE1100ELNS1_3gpuE3ELNS1_3repE0EEENS1_30default_config_static_selectorELNS0_4arch9wavefront6targetE0EEEvSY_.uses_flat_scratch, 0
	.set _ZN7rocprim17ROCPRIM_400000_NS6detail17trampoline_kernelINS0_14default_configENS1_29binary_search_config_selectorIsiEEZNS1_14transform_implILb0ES3_S5_N6thrust23THRUST_200600_302600_NS6detail15normal_iteratorINS8_7pointerIsNS8_11hip_rocprim5par_tENS8_11use_defaultESE_EEEENSA_INSB_IiSD_SE_SE_EEEEZNS1_13binary_searchIS3_S5_NSA_INS8_10device_ptrIsEEEESG_SI_NS1_16binary_search_opENS9_16wrapped_functionINS8_6system6detail7generic6detail18binary_search_lessEbEEEE10hipError_tPvRmT1_T2_T3_mmT4_T5_P12ihipStream_tbEUlRKsE_EESV_SZ_S10_mS11_S14_bEUlT_E_NS1_11comp_targetILNS1_3genE9ELNS1_11target_archE1100ELNS1_3gpuE3ELNS1_3repE0EEENS1_30default_config_static_selectorELNS0_4arch9wavefront6targetE0EEEvSY_.has_dyn_sized_stack, 0
	.set _ZN7rocprim17ROCPRIM_400000_NS6detail17trampoline_kernelINS0_14default_configENS1_29binary_search_config_selectorIsiEEZNS1_14transform_implILb0ES3_S5_N6thrust23THRUST_200600_302600_NS6detail15normal_iteratorINS8_7pointerIsNS8_11hip_rocprim5par_tENS8_11use_defaultESE_EEEENSA_INSB_IiSD_SE_SE_EEEEZNS1_13binary_searchIS3_S5_NSA_INS8_10device_ptrIsEEEESG_SI_NS1_16binary_search_opENS9_16wrapped_functionINS8_6system6detail7generic6detail18binary_search_lessEbEEEE10hipError_tPvRmT1_T2_T3_mmT4_T5_P12ihipStream_tbEUlRKsE_EESV_SZ_S10_mS11_S14_bEUlT_E_NS1_11comp_targetILNS1_3genE9ELNS1_11target_archE1100ELNS1_3gpuE3ELNS1_3repE0EEENS1_30default_config_static_selectorELNS0_4arch9wavefront6targetE0EEEvSY_.has_recursion, 0
	.set _ZN7rocprim17ROCPRIM_400000_NS6detail17trampoline_kernelINS0_14default_configENS1_29binary_search_config_selectorIsiEEZNS1_14transform_implILb0ES3_S5_N6thrust23THRUST_200600_302600_NS6detail15normal_iteratorINS8_7pointerIsNS8_11hip_rocprim5par_tENS8_11use_defaultESE_EEEENSA_INSB_IiSD_SE_SE_EEEEZNS1_13binary_searchIS3_S5_NSA_INS8_10device_ptrIsEEEESG_SI_NS1_16binary_search_opENS9_16wrapped_functionINS8_6system6detail7generic6detail18binary_search_lessEbEEEE10hipError_tPvRmT1_T2_T3_mmT4_T5_P12ihipStream_tbEUlRKsE_EESV_SZ_S10_mS11_S14_bEUlT_E_NS1_11comp_targetILNS1_3genE9ELNS1_11target_archE1100ELNS1_3gpuE3ELNS1_3repE0EEENS1_30default_config_static_selectorELNS0_4arch9wavefront6targetE0EEEvSY_.has_indirect_call, 0
	.section	.AMDGPU.csdata,"",@progbits
; Kernel info:
; codeLenInByte = 0
; TotalNumSgprs: 0
; NumVgprs: 0
; ScratchSize: 0
; MemoryBound: 0
; FloatMode: 240
; IeeeMode: 1
; LDSByteSize: 0 bytes/workgroup (compile time only)
; SGPRBlocks: 0
; VGPRBlocks: 0
; NumSGPRsForWavesPerEU: 1
; NumVGPRsForWavesPerEU: 1
; Occupancy: 16
; WaveLimiterHint : 0
; COMPUTE_PGM_RSRC2:SCRATCH_EN: 0
; COMPUTE_PGM_RSRC2:USER_SGPR: 6
; COMPUTE_PGM_RSRC2:TRAP_HANDLER: 0
; COMPUTE_PGM_RSRC2:TGID_X_EN: 1
; COMPUTE_PGM_RSRC2:TGID_Y_EN: 0
; COMPUTE_PGM_RSRC2:TGID_Z_EN: 0
; COMPUTE_PGM_RSRC2:TIDIG_COMP_CNT: 0
	.section	.text._ZN7rocprim17ROCPRIM_400000_NS6detail17trampoline_kernelINS0_14default_configENS1_29binary_search_config_selectorIsiEEZNS1_14transform_implILb0ES3_S5_N6thrust23THRUST_200600_302600_NS6detail15normal_iteratorINS8_7pointerIsNS8_11hip_rocprim5par_tENS8_11use_defaultESE_EEEENSA_INSB_IiSD_SE_SE_EEEEZNS1_13binary_searchIS3_S5_NSA_INS8_10device_ptrIsEEEESG_SI_NS1_16binary_search_opENS9_16wrapped_functionINS8_6system6detail7generic6detail18binary_search_lessEbEEEE10hipError_tPvRmT1_T2_T3_mmT4_T5_P12ihipStream_tbEUlRKsE_EESV_SZ_S10_mS11_S14_bEUlT_E_NS1_11comp_targetILNS1_3genE8ELNS1_11target_archE1030ELNS1_3gpuE2ELNS1_3repE0EEENS1_30default_config_static_selectorELNS0_4arch9wavefront6targetE0EEEvSY_,"axG",@progbits,_ZN7rocprim17ROCPRIM_400000_NS6detail17trampoline_kernelINS0_14default_configENS1_29binary_search_config_selectorIsiEEZNS1_14transform_implILb0ES3_S5_N6thrust23THRUST_200600_302600_NS6detail15normal_iteratorINS8_7pointerIsNS8_11hip_rocprim5par_tENS8_11use_defaultESE_EEEENSA_INSB_IiSD_SE_SE_EEEEZNS1_13binary_searchIS3_S5_NSA_INS8_10device_ptrIsEEEESG_SI_NS1_16binary_search_opENS9_16wrapped_functionINS8_6system6detail7generic6detail18binary_search_lessEbEEEE10hipError_tPvRmT1_T2_T3_mmT4_T5_P12ihipStream_tbEUlRKsE_EESV_SZ_S10_mS11_S14_bEUlT_E_NS1_11comp_targetILNS1_3genE8ELNS1_11target_archE1030ELNS1_3gpuE2ELNS1_3repE0EEENS1_30default_config_static_selectorELNS0_4arch9wavefront6targetE0EEEvSY_,comdat
	.protected	_ZN7rocprim17ROCPRIM_400000_NS6detail17trampoline_kernelINS0_14default_configENS1_29binary_search_config_selectorIsiEEZNS1_14transform_implILb0ES3_S5_N6thrust23THRUST_200600_302600_NS6detail15normal_iteratorINS8_7pointerIsNS8_11hip_rocprim5par_tENS8_11use_defaultESE_EEEENSA_INSB_IiSD_SE_SE_EEEEZNS1_13binary_searchIS3_S5_NSA_INS8_10device_ptrIsEEEESG_SI_NS1_16binary_search_opENS9_16wrapped_functionINS8_6system6detail7generic6detail18binary_search_lessEbEEEE10hipError_tPvRmT1_T2_T3_mmT4_T5_P12ihipStream_tbEUlRKsE_EESV_SZ_S10_mS11_S14_bEUlT_E_NS1_11comp_targetILNS1_3genE8ELNS1_11target_archE1030ELNS1_3gpuE2ELNS1_3repE0EEENS1_30default_config_static_selectorELNS0_4arch9wavefront6targetE0EEEvSY_ ; -- Begin function _ZN7rocprim17ROCPRIM_400000_NS6detail17trampoline_kernelINS0_14default_configENS1_29binary_search_config_selectorIsiEEZNS1_14transform_implILb0ES3_S5_N6thrust23THRUST_200600_302600_NS6detail15normal_iteratorINS8_7pointerIsNS8_11hip_rocprim5par_tENS8_11use_defaultESE_EEEENSA_INSB_IiSD_SE_SE_EEEEZNS1_13binary_searchIS3_S5_NSA_INS8_10device_ptrIsEEEESG_SI_NS1_16binary_search_opENS9_16wrapped_functionINS8_6system6detail7generic6detail18binary_search_lessEbEEEE10hipError_tPvRmT1_T2_T3_mmT4_T5_P12ihipStream_tbEUlRKsE_EESV_SZ_S10_mS11_S14_bEUlT_E_NS1_11comp_targetILNS1_3genE8ELNS1_11target_archE1030ELNS1_3gpuE2ELNS1_3repE0EEENS1_30default_config_static_selectorELNS0_4arch9wavefront6targetE0EEEvSY_
	.globl	_ZN7rocprim17ROCPRIM_400000_NS6detail17trampoline_kernelINS0_14default_configENS1_29binary_search_config_selectorIsiEEZNS1_14transform_implILb0ES3_S5_N6thrust23THRUST_200600_302600_NS6detail15normal_iteratorINS8_7pointerIsNS8_11hip_rocprim5par_tENS8_11use_defaultESE_EEEENSA_INSB_IiSD_SE_SE_EEEEZNS1_13binary_searchIS3_S5_NSA_INS8_10device_ptrIsEEEESG_SI_NS1_16binary_search_opENS9_16wrapped_functionINS8_6system6detail7generic6detail18binary_search_lessEbEEEE10hipError_tPvRmT1_T2_T3_mmT4_T5_P12ihipStream_tbEUlRKsE_EESV_SZ_S10_mS11_S14_bEUlT_E_NS1_11comp_targetILNS1_3genE8ELNS1_11target_archE1030ELNS1_3gpuE2ELNS1_3repE0EEENS1_30default_config_static_selectorELNS0_4arch9wavefront6targetE0EEEvSY_
	.p2align	8
	.type	_ZN7rocprim17ROCPRIM_400000_NS6detail17trampoline_kernelINS0_14default_configENS1_29binary_search_config_selectorIsiEEZNS1_14transform_implILb0ES3_S5_N6thrust23THRUST_200600_302600_NS6detail15normal_iteratorINS8_7pointerIsNS8_11hip_rocprim5par_tENS8_11use_defaultESE_EEEENSA_INSB_IiSD_SE_SE_EEEEZNS1_13binary_searchIS3_S5_NSA_INS8_10device_ptrIsEEEESG_SI_NS1_16binary_search_opENS9_16wrapped_functionINS8_6system6detail7generic6detail18binary_search_lessEbEEEE10hipError_tPvRmT1_T2_T3_mmT4_T5_P12ihipStream_tbEUlRKsE_EESV_SZ_S10_mS11_S14_bEUlT_E_NS1_11comp_targetILNS1_3genE8ELNS1_11target_archE1030ELNS1_3gpuE2ELNS1_3repE0EEENS1_30default_config_static_selectorELNS0_4arch9wavefront6targetE0EEEvSY_,@function
_ZN7rocprim17ROCPRIM_400000_NS6detail17trampoline_kernelINS0_14default_configENS1_29binary_search_config_selectorIsiEEZNS1_14transform_implILb0ES3_S5_N6thrust23THRUST_200600_302600_NS6detail15normal_iteratorINS8_7pointerIsNS8_11hip_rocprim5par_tENS8_11use_defaultESE_EEEENSA_INSB_IiSD_SE_SE_EEEEZNS1_13binary_searchIS3_S5_NSA_INS8_10device_ptrIsEEEESG_SI_NS1_16binary_search_opENS9_16wrapped_functionINS8_6system6detail7generic6detail18binary_search_lessEbEEEE10hipError_tPvRmT1_T2_T3_mmT4_T5_P12ihipStream_tbEUlRKsE_EESV_SZ_S10_mS11_S14_bEUlT_E_NS1_11comp_targetILNS1_3genE8ELNS1_11target_archE1030ELNS1_3gpuE2ELNS1_3repE0EEENS1_30default_config_static_selectorELNS0_4arch9wavefront6targetE0EEEvSY_: ; @_ZN7rocprim17ROCPRIM_400000_NS6detail17trampoline_kernelINS0_14default_configENS1_29binary_search_config_selectorIsiEEZNS1_14transform_implILb0ES3_S5_N6thrust23THRUST_200600_302600_NS6detail15normal_iteratorINS8_7pointerIsNS8_11hip_rocprim5par_tENS8_11use_defaultESE_EEEENSA_INSB_IiSD_SE_SE_EEEEZNS1_13binary_searchIS3_S5_NSA_INS8_10device_ptrIsEEEESG_SI_NS1_16binary_search_opENS9_16wrapped_functionINS8_6system6detail7generic6detail18binary_search_lessEbEEEE10hipError_tPvRmT1_T2_T3_mmT4_T5_P12ihipStream_tbEUlRKsE_EESV_SZ_S10_mS11_S14_bEUlT_E_NS1_11comp_targetILNS1_3genE8ELNS1_11target_archE1030ELNS1_3gpuE2ELNS1_3repE0EEENS1_30default_config_static_selectorELNS0_4arch9wavefront6targetE0EEEvSY_
; %bb.0:
	s_clause 0x2
	s_load_dwordx8 s[8:15], s[4:5], 0x0
	s_load_dword s2, s[4:5], 0x38
	s_load_dwordx4 s[16:19], s[4:5], 0x20
	s_mov_b32 s5, 0
	s_waitcnt lgkmcnt(0)
	s_lshl_b64 s[0:1], s[10:11], 1
	s_add_u32 s3, s8, s0
	s_addc_u32 s13, s9, s1
	s_lshl_b64 s[0:1], s[10:11], 2
	s_add_u32 s7, s14, s0
	s_addc_u32 s8, s15, s1
	s_lshl_b32 s4, s6, 9
	s_add_i32 s2, s2, -1
	s_lshl_b64 s[0:1], s[4:5], 1
	s_add_u32 s9, s3, s0
	s_addc_u32 s10, s13, s1
	s_cmp_lg_u32 s6, s2
	s_mov_b32 s0, -1
	s_cbranch_scc0 .LBB724_26
; %bb.1:
	v_lshlrev_b32_e32 v1, 1, v0
	s_cmp_lg_u64 s[18:19], 0
	v_add_co_u32 v1, s0, s9, v1
	v_add_co_ci_u32_e64 v2, null, s10, 0, s0
	s_cselect_b32 s0, -1, 0
	s_cmp_eq_u64 s[18:19], 0
	s_clause 0x3
	flat_load_ushort v8, v[1:2]
	flat_load_ushort v10, v[1:2] offset:256
	flat_load_ushort v7, v[1:2] offset:512
	flat_load_ushort v5, v[1:2] offset:768
	v_mov_b32_e32 v1, 0
	v_mov_b32_e32 v2, 0
	s_cbranch_scc1 .LBB724_5
; %bb.2:
	v_mov_b32_e32 v3, s18
	v_mov_b32_e32 v4, s19
	s_mov_b32 s1, 0
	s_inst_prefetch 0x1
	.p2align	6
.LBB724_3:                              ; =>This Inner Loop Header: Depth=1
	v_sub_co_u32 v11, vcc_lo, v3, v1
	v_sub_co_ci_u32_e64 v12, null, v4, v2, vcc_lo
	v_lshrrev_b64 v[13:14], 1, v[11:12]
	v_lshrrev_b64 v[11:12], 6, v[11:12]
	v_add_co_u32 v6, vcc_lo, v13, v1
	v_add_co_ci_u32_e64 v9, null, v14, v2, vcc_lo
	v_add_co_u32 v11, vcc_lo, v6, v11
	v_add_co_ci_u32_e64 v12, null, v9, v12, vcc_lo
	v_lshlrev_b64 v[13:14], 1, v[11:12]
	v_add_co_u32 v13, vcc_lo, s16, v13
	v_add_co_ci_u32_e64 v14, null, s17, v14, vcc_lo
	v_add_co_u32 v9, vcc_lo, v11, 1
	global_load_ushort v6, v[13:14], off
	v_add_co_ci_u32_e64 v13, null, 0, v12, vcc_lo
	s_waitcnt vmcnt(0) lgkmcnt(3)
	v_cmp_lt_i16_e32 vcc_lo, v6, v8
	v_cndmask_b32_e32 v4, v12, v4, vcc_lo
	v_cndmask_b32_e32 v3, v11, v3, vcc_lo
	;; [unrolled: 1-line block ×4, first 2 shown]
	v_cmp_ge_u64_e32 vcc_lo, v[1:2], v[3:4]
	s_or_b32 s1, vcc_lo, s1
	s_andn2_b32 exec_lo, exec_lo, s1
	s_cbranch_execnz .LBB724_3
; %bb.4:
	s_inst_prefetch 0x2
	s_or_b32 exec_lo, exec_lo, s1
.LBB724_5:
	v_mov_b32_e32 v6, 0
	s_mov_b32 s1, exec_lo
	v_cmpx_ne_u64_e64 s[18:19], v[1:2]
	s_cbranch_execz .LBB724_7
; %bb.6:
	v_lshlrev_b64 v[1:2], 1, v[1:2]
	v_add_co_u32 v1, vcc_lo, s16, v1
	v_add_co_ci_u32_e64 v2, null, s17, v2, vcc_lo
	global_load_ushort v1, v[1:2], off
	s_waitcnt vmcnt(0) lgkmcnt(3)
	v_cmp_ge_i16_e32 vcc_lo, v8, v1
	v_cndmask_b32_e64 v6, 0, 1, vcc_lo
.LBB724_7:
	s_or_b32 exec_lo, exec_lo, s1
	v_mov_b32_e32 v1, 0
	v_cndmask_b32_e64 v9, 0, 1, s0
	v_mov_b32_e32 v2, 0
	s_andn2_b32 vcc_lo, exec_lo, s0
	s_cbranch_vccnz .LBB724_11
; %bb.8:
	v_mov_b32_e32 v3, s18
	v_mov_b32_e32 v4, s19
	s_mov_b32 s0, 0
	s_inst_prefetch 0x1
	.p2align	6
.LBB724_9:                              ; =>This Inner Loop Header: Depth=1
	v_sub_co_u32 v11, vcc_lo, v3, v1
	v_sub_co_ci_u32_e64 v12, null, v4, v2, vcc_lo
	v_lshrrev_b64 v[13:14], 1, v[11:12]
	v_lshrrev_b64 v[11:12], 6, v[11:12]
	s_waitcnt vmcnt(3) lgkmcnt(3)
	v_add_co_u32 v8, vcc_lo, v13, v1
	v_add_co_ci_u32_e64 v13, null, v14, v2, vcc_lo
	v_add_co_u32 v11, vcc_lo, v8, v11
	v_add_co_ci_u32_e64 v12, null, v13, v12, vcc_lo
	v_lshlrev_b64 v[13:14], 1, v[11:12]
	v_add_co_u32 v13, vcc_lo, s16, v13
	v_add_co_ci_u32_e64 v14, null, s17, v14, vcc_lo
	global_load_ushort v8, v[13:14], off
	v_add_co_u32 v13, vcc_lo, v11, 1
	v_add_co_ci_u32_e64 v14, null, 0, v12, vcc_lo
	s_waitcnt vmcnt(0) lgkmcnt(2)
	v_cmp_lt_i16_e32 vcc_lo, v8, v10
	v_cndmask_b32_e32 v4, v12, v4, vcc_lo
	v_cndmask_b32_e32 v3, v11, v3, vcc_lo
	;; [unrolled: 1-line block ×4, first 2 shown]
	v_cmp_ge_u64_e32 vcc_lo, v[1:2], v[3:4]
	s_or_b32 s0, vcc_lo, s0
	s_andn2_b32 exec_lo, exec_lo, s0
	s_cbranch_execnz .LBB724_9
; %bb.10:
	s_inst_prefetch 0x2
	s_or_b32 exec_lo, exec_lo, s0
.LBB724_11:
	s_waitcnt vmcnt(3) lgkmcnt(3)
	v_mov_b32_e32 v8, 0
	s_mov_b32 s0, exec_lo
	v_cmpx_ne_u64_e64 s[18:19], v[1:2]
	s_cbranch_execz .LBB724_13
; %bb.12:
	v_lshlrev_b64 v[1:2], 1, v[1:2]
	v_add_co_u32 v1, vcc_lo, s16, v1
	v_add_co_ci_u32_e64 v2, null, s17, v2, vcc_lo
	global_load_ushort v1, v[1:2], off
	s_waitcnt vmcnt(0) lgkmcnt(2)
	v_cmp_ge_i16_e32 vcc_lo, v10, v1
	v_cndmask_b32_e64 v8, 0, 1, vcc_lo
.LBB724_13:
	s_or_b32 exec_lo, exec_lo, s0
	v_cmp_ne_u32_e32 vcc_lo, 1, v9
	v_mov_b32_e32 v1, 0
	v_mov_b32_e32 v2, 0
	s_cbranch_vccnz .LBB724_17
; %bb.14:
	v_mov_b32_e32 v3, s18
	v_mov_b32_e32 v4, s19
	s_mov_b32 s0, 0
	s_inst_prefetch 0x1
	.p2align	6
.LBB724_15:                             ; =>This Inner Loop Header: Depth=1
	s_waitcnt vmcnt(2) lgkmcnt(2)
	v_sub_co_u32 v10, vcc_lo, v3, v1
	v_sub_co_ci_u32_e64 v11, null, v4, v2, vcc_lo
	v_lshrrev_b64 v[12:13], 1, v[10:11]
	v_lshrrev_b64 v[10:11], 6, v[10:11]
	v_add_co_u32 v12, vcc_lo, v12, v1
	v_add_co_ci_u32_e64 v13, null, v13, v2, vcc_lo
	v_add_co_u32 v10, vcc_lo, v12, v10
	v_add_co_ci_u32_e64 v11, null, v13, v11, vcc_lo
	v_lshlrev_b64 v[12:13], 1, v[10:11]
	v_add_co_u32 v12, vcc_lo, s16, v12
	v_add_co_ci_u32_e64 v13, null, s17, v13, vcc_lo
	global_load_ushort v12, v[12:13], off
	v_add_co_u32 v13, vcc_lo, v10, 1
	v_add_co_ci_u32_e64 v14, null, 0, v11, vcc_lo
	s_waitcnt vmcnt(0) lgkmcnt(1)
	v_cmp_lt_i16_e32 vcc_lo, v12, v7
	v_cndmask_b32_e32 v4, v11, v4, vcc_lo
	v_cndmask_b32_e32 v3, v10, v3, vcc_lo
	;; [unrolled: 1-line block ×4, first 2 shown]
	v_cmp_ge_u64_e32 vcc_lo, v[1:2], v[3:4]
	s_or_b32 s0, vcc_lo, s0
	s_andn2_b32 exec_lo, exec_lo, s0
	s_cbranch_execnz .LBB724_15
; %bb.16:
	s_inst_prefetch 0x2
	s_or_b32 exec_lo, exec_lo, s0
.LBB724_17:
	s_waitcnt vmcnt(2) lgkmcnt(2)
	v_mov_b32_e32 v10, 0
	s_mov_b32 s0, exec_lo
	v_cmpx_ne_u64_e64 s[18:19], v[1:2]
	s_cbranch_execz .LBB724_19
; %bb.18:
	v_lshlrev_b64 v[1:2], 1, v[1:2]
	v_add_co_u32 v1, vcc_lo, s16, v1
	v_add_co_ci_u32_e64 v2, null, s17, v2, vcc_lo
	global_load_ushort v1, v[1:2], off
	s_waitcnt vmcnt(0) lgkmcnt(1)
	v_cmp_ge_i16_e32 vcc_lo, v7, v1
	v_cndmask_b32_e64 v10, 0, 1, vcc_lo
.LBB724_19:
	s_or_b32 exec_lo, exec_lo, s0
	v_cmp_ne_u32_e32 vcc_lo, 1, v9
	v_mov_b32_e32 v1, 0
	v_mov_b32_e32 v2, 0
	s_cbranch_vccnz .LBB724_23
; %bb.20:
	v_mov_b32_e32 v3, s18
	v_mov_b32_e32 v4, s19
	s_mov_b32 s0, 0
	s_inst_prefetch 0x1
	.p2align	6
.LBB724_21:                             ; =>This Inner Loop Header: Depth=1
	v_sub_co_u32 v11, vcc_lo, v3, v1
	v_sub_co_ci_u32_e64 v12, null, v4, v2, vcc_lo
	v_lshrrev_b64 v[13:14], 1, v[11:12]
	v_lshrrev_b64 v[11:12], 6, v[11:12]
	s_waitcnt vmcnt(1) lgkmcnt(1)
	v_add_co_u32 v7, vcc_lo, v13, v1
	v_add_co_ci_u32_e64 v9, null, v14, v2, vcc_lo
	v_add_co_u32 v11, vcc_lo, v7, v11
	v_add_co_ci_u32_e64 v12, null, v9, v12, vcc_lo
	v_lshlrev_b64 v[13:14], 1, v[11:12]
	v_add_co_u32 v13, vcc_lo, s16, v13
	v_add_co_ci_u32_e64 v14, null, s17, v14, vcc_lo
	v_add_co_u32 v9, vcc_lo, v11, 1
	global_load_ushort v7, v[13:14], off
	v_add_co_ci_u32_e64 v13, null, 0, v12, vcc_lo
	s_waitcnt vmcnt(0) lgkmcnt(0)
	v_cmp_lt_i16_e32 vcc_lo, v7, v5
	v_cndmask_b32_e32 v4, v12, v4, vcc_lo
	v_cndmask_b32_e32 v3, v11, v3, vcc_lo
	;; [unrolled: 1-line block ×4, first 2 shown]
	v_cmp_ge_u64_e32 vcc_lo, v[1:2], v[3:4]
	s_or_b32 s0, vcc_lo, s0
	s_andn2_b32 exec_lo, exec_lo, s0
	s_cbranch_execnz .LBB724_21
; %bb.22:
	s_inst_prefetch 0x2
	s_or_b32 exec_lo, exec_lo, s0
.LBB724_23:
	s_waitcnt vmcnt(1) lgkmcnt(1)
	v_mov_b32_e32 v7, 0
	s_mov_b32 s0, exec_lo
	v_cmpx_ne_u64_e64 s[18:19], v[1:2]
	s_cbranch_execz .LBB724_25
; %bb.24:
	v_lshlrev_b64 v[1:2], 1, v[1:2]
	v_add_co_u32 v1, vcc_lo, s16, v1
	v_add_co_ci_u32_e64 v2, null, s17, v2, vcc_lo
	global_load_ushort v1, v[1:2], off
	s_waitcnt vmcnt(0) lgkmcnt(0)
	v_cmp_ge_i16_e32 vcc_lo, v5, v1
	v_cndmask_b32_e64 v7, 0, 1, vcc_lo
.LBB724_25:
	s_or_b32 exec_lo, exec_lo, s0
	v_lshlrev_b32_e32 v1, 2, v0
	s_lshl_b64 s[0:1], s[4:5], 2
	s_mov_b32 s6, -1
	s_add_u32 s0, s7, s0
	s_addc_u32 s1, s8, s1
	v_add_co_u32 v1, s0, s0, v1
	v_add_co_ci_u32_e64 v2, null, s1, 0, s0
	flat_store_dword v[1:2], v6
	flat_store_dword v[1:2], v8 offset:512
	flat_store_dword v[1:2], v10 offset:1024
	s_branch .LBB724_73
.LBB724_26:
	s_mov_b32 s6, s5
                                        ; implicit-def: $vgpr7
                                        ; implicit-def: $vgpr1_vgpr2
	s_and_b32 vcc_lo, exec_lo, s0
	s_cbranch_vccz .LBB724_73
; %bb.27:
	v_mov_b32_e32 v1, 0
	s_sub_i32 s3, s12, s4
	v_cmp_gt_u32_e64 s0, s3, v0
	v_mov_b32_e32 v2, v1
	s_and_saveexec_b32 s1, s0
	s_cbranch_execz .LBB724_29
; %bb.28:
	v_lshlrev_b32_e32 v2, 1, v0
	v_mov_b32_e32 v4, v1
	s_waitcnt vmcnt(0) lgkmcnt(3)
	v_mov_b32_e32 v5, v1
	v_add_co_u32 v2, s2, s9, v2
	v_add_co_ci_u32_e64 v3, null, s10, 0, s2
	flat_load_short_d16 v4, v[2:3]
	s_waitcnt vmcnt(0) lgkmcnt(0)
	v_mov_b32_e32 v1, v4
	v_mov_b32_e32 v2, v5
.LBB724_29:
	s_or_b32 exec_lo, exec_lo, s1
	v_or_b32_e32 v3, 0x80, v0
	v_cmp_gt_u32_e64 s1, s3, v3
	s_and_saveexec_b32 s2, s1
	s_cbranch_execz .LBB724_31
; %bb.30:
	v_lshlrev_b32_e32 v3, 1, v0
	v_add_co_u32 v3, s11, s9, v3
	v_add_co_ci_u32_e64 v4, null, s10, 0, s11
	flat_load_short_d16_hi v1, v[3:4] offset:256
.LBB724_31:
	s_or_b32 exec_lo, exec_lo, s2
	v_or_b32_e32 v3, 0x100, v0
	v_cmp_gt_u32_e64 s2, s3, v3
	s_and_saveexec_b32 s11, s2
	s_cbranch_execz .LBB724_33
; %bb.32:
	v_lshlrev_b32_e32 v3, 1, v0
	v_add_co_u32 v3, s12, s9, v3
	v_add_co_ci_u32_e64 v4, null, s10, 0, s12
	flat_load_short_d16 v2, v[3:4] offset:512
.LBB724_33:
	s_or_b32 exec_lo, exec_lo, s11
	v_or_b32_e32 v3, 0x180, v0
	v_cmp_gt_u32_e64 s3, s3, v3
	s_and_saveexec_b32 s11, s3
	s_cbranch_execz .LBB724_35
; %bb.34:
	v_lshlrev_b32_e32 v3, 1, v0
	v_add_co_u32 v3, s9, s9, v3
	v_add_co_ci_u32_e64 v4, null, s10, 0, s9
	s_waitcnt vmcnt(0) lgkmcnt(0)
	flat_load_short_d16_hi v2, v[3:4] offset:768
.LBB724_35:
	s_or_b32 exec_lo, exec_lo, s11
	v_mov_b32_e32 v8, 0
	s_cmp_lg_u64 s[18:19], 0
	s_cselect_b32 s9, -1, 0
	v_mov_b32_e32 v9, v8
	v_mov_b32_e32 v10, v8
	;; [unrolled: 1-line block ×3, first 2 shown]
	s_and_saveexec_b32 s10, s0
	s_cbranch_execnz .LBB724_39
; %bb.36:
	s_or_b32 exec_lo, exec_lo, s10
	s_and_saveexec_b32 s10, s1
	s_cbranch_execnz .LBB724_46
.LBB724_37:
	s_or_b32 exec_lo, exec_lo, s10
	s_and_saveexec_b32 s10, s2
	s_cbranch_execnz .LBB724_53
.LBB724_38:
	s_or_b32 exec_lo, exec_lo, s10
	s_and_saveexec_b32 s10, s3
	s_cbranch_execnz .LBB724_60
	s_branch .LBB724_67
.LBB724_39:
	v_mov_b32_e32 v3, 0
	v_mov_b32_e32 v4, 0
	s_andn2_b32 vcc_lo, exec_lo, s9
	s_cbranch_vccnz .LBB724_43
; %bb.40:
	s_waitcnt vmcnt(0) lgkmcnt(3)
	v_mov_b32_e32 v5, s18
	v_mov_b32_e32 v6, s19
	s_mov_b32 s11, 0
	s_inst_prefetch 0x1
	.p2align	6
.LBB724_41:                             ; =>This Inner Loop Header: Depth=1
	v_sub_co_u32 v7, vcc_lo, v5, v3
	v_sub_co_ci_u32_e64 v8, null, v6, v4, vcc_lo
	v_lshrrev_b64 v[9:10], 1, v[7:8]
	v_lshrrev_b64 v[7:8], 6, v[7:8]
	v_add_co_u32 v9, vcc_lo, v9, v3
	v_add_co_ci_u32_e64 v10, null, v10, v4, vcc_lo
	v_add_co_u32 v7, vcc_lo, v9, v7
	v_add_co_ci_u32_e64 v8, null, v10, v8, vcc_lo
	v_lshlrev_b64 v[9:10], 1, v[7:8]
	v_add_co_u32 v9, vcc_lo, s16, v9
	v_add_co_ci_u32_e64 v10, null, s17, v10, vcc_lo
	global_load_ushort v9, v[9:10], off
	v_add_co_u32 v10, vcc_lo, v7, 1
	v_add_co_ci_u32_e64 v11, null, 0, v8, vcc_lo
	s_waitcnt vmcnt(0) lgkmcnt(0)
	v_cmp_lt_i16_e32 vcc_lo, v9, v1
	v_cndmask_b32_e32 v6, v8, v6, vcc_lo
	v_cndmask_b32_e32 v5, v7, v5, vcc_lo
	;; [unrolled: 1-line block ×4, first 2 shown]
	v_cmp_ge_u64_e32 vcc_lo, v[3:4], v[5:6]
	s_or_b32 s11, vcc_lo, s11
	s_andn2_b32 exec_lo, exec_lo, s11
	s_cbranch_execnz .LBB724_41
; %bb.42:
	s_inst_prefetch 0x2
	s_or_b32 exec_lo, exec_lo, s11
.LBB724_43:
	v_mov_b32_e32 v9, 0
	v_mov_b32_e32 v8, 0
	s_mov_b32 s11, exec_lo
	v_cmpx_ne_u64_e64 s[18:19], v[3:4]
	s_cbranch_execz .LBB724_45
; %bb.44:
	v_lshlrev_b64 v[3:4], 1, v[3:4]
	v_add_co_u32 v3, vcc_lo, s16, v3
	v_add_co_ci_u32_e64 v4, null, s17, v4, vcc_lo
	global_load_ushort v3, v[3:4], off
	s_waitcnt vmcnt(0) lgkmcnt(0)
	v_cmp_ge_i16_e32 vcc_lo, v1, v3
	v_cndmask_b32_e64 v8, 0, 1, vcc_lo
.LBB724_45:
	s_or_b32 exec_lo, exec_lo, s11
	v_mov_b32_e32 v10, v9
	v_mov_b32_e32 v7, v9
	s_or_b32 exec_lo, exec_lo, s10
	s_and_saveexec_b32 s10, s1
	s_cbranch_execz .LBB724_37
.LBB724_46:
	v_mov_b32_e32 v3, 0
	v_mov_b32_e32 v4, 0
	s_andn2_b32 vcc_lo, exec_lo, s9
	s_cbranch_vccnz .LBB724_50
; %bb.47:
	s_waitcnt vmcnt(0) lgkmcnt(3)
	v_mov_b32_e32 v5, s18
	v_mov_b32_e32 v6, s19
	s_mov_b32 s11, 0
	s_inst_prefetch 0x1
	.p2align	6
.LBB724_48:                             ; =>This Inner Loop Header: Depth=1
	v_sub_co_u32 v11, vcc_lo, v5, v3
	v_sub_co_ci_u32_e64 v12, null, v6, v4, vcc_lo
	v_lshrrev_b64 v[13:14], 1, v[11:12]
	v_lshrrev_b64 v[11:12], 6, v[11:12]
	v_add_co_u32 v9, vcc_lo, v13, v3
	v_add_co_ci_u32_e64 v13, null, v14, v4, vcc_lo
	v_add_co_u32 v11, vcc_lo, v9, v11
	v_add_co_ci_u32_e64 v12, null, v13, v12, vcc_lo
	v_lshlrev_b64 v[13:14], 1, v[11:12]
	v_add_co_u32 v13, vcc_lo, s16, v13
	v_add_co_ci_u32_e64 v14, null, s17, v14, vcc_lo
	global_load_ushort v9, v[13:14], off
	v_add_co_u32 v13, vcc_lo, v11, 1
	v_add_co_ci_u32_e64 v14, null, 0, v12, vcc_lo
	s_waitcnt vmcnt(0) lgkmcnt(0)
	v_cmp_lt_i16_sdwa vcc_lo, v9, v1 src0_sel:DWORD src1_sel:WORD_1
	v_cndmask_b32_e32 v6, v12, v6, vcc_lo
	v_cndmask_b32_e32 v5, v11, v5, vcc_lo
	;; [unrolled: 1-line block ×4, first 2 shown]
	v_cmp_ge_u64_e32 vcc_lo, v[3:4], v[5:6]
	s_or_b32 s11, vcc_lo, s11
	s_andn2_b32 exec_lo, exec_lo, s11
	s_cbranch_execnz .LBB724_48
; %bb.49:
	s_inst_prefetch 0x2
	s_or_b32 exec_lo, exec_lo, s11
.LBB724_50:
	v_mov_b32_e32 v9, 0
	s_mov_b32 s11, exec_lo
	v_cmpx_ne_u64_e64 s[18:19], v[3:4]
	s_cbranch_execz .LBB724_52
; %bb.51:
	v_lshlrev_b64 v[3:4], 1, v[3:4]
	v_add_co_u32 v3, vcc_lo, s16, v3
	v_add_co_ci_u32_e64 v4, null, s17, v4, vcc_lo
	global_load_ushort v3, v[3:4], off
	s_waitcnt vmcnt(0) lgkmcnt(0)
	v_cmp_ge_i16_sdwa s12, v1, v3 src0_sel:WORD_1 src1_sel:DWORD
	v_cndmask_b32_e64 v9, 0, 1, s12
.LBB724_52:
	s_or_b32 exec_lo, exec_lo, s11
	s_or_b32 exec_lo, exec_lo, s10
	s_and_saveexec_b32 s10, s2
	s_cbranch_execz .LBB724_38
.LBB724_53:
	v_mov_b32_e32 v3, 0
	v_mov_b32_e32 v4, 0
	s_andn2_b32 vcc_lo, exec_lo, s9
	s_cbranch_vccnz .LBB724_57
; %bb.54:
	s_waitcnt vmcnt(0) lgkmcnt(3)
	v_mov_b32_e32 v5, s18
	v_mov_b32_e32 v6, s19
	s_mov_b32 s11, 0
	s_inst_prefetch 0x1
	.p2align	6
.LBB724_55:                             ; =>This Inner Loop Header: Depth=1
	v_sub_co_u32 v10, vcc_lo, v5, v3
	v_sub_co_ci_u32_e64 v11, null, v6, v4, vcc_lo
	v_lshrrev_b64 v[12:13], 1, v[10:11]
	v_lshrrev_b64 v[10:11], 6, v[10:11]
	s_waitcnt lgkmcnt(0)
	v_add_co_u32 v1, vcc_lo, v12, v3
	v_add_co_ci_u32_e64 v12, null, v13, v4, vcc_lo
	v_add_co_u32 v10, vcc_lo, v1, v10
	v_add_co_ci_u32_e64 v11, null, v12, v11, vcc_lo
	v_lshlrev_b64 v[12:13], 1, v[10:11]
	v_add_co_u32 v12, vcc_lo, s16, v12
	v_add_co_ci_u32_e64 v13, null, s17, v13, vcc_lo
	global_load_ushort v1, v[12:13], off
	v_add_co_u32 v12, vcc_lo, v10, 1
	v_add_co_ci_u32_e64 v13, null, 0, v11, vcc_lo
	s_waitcnt vmcnt(0)
	v_cmp_lt_i16_e32 vcc_lo, v1, v2
	v_cndmask_b32_e32 v6, v11, v6, vcc_lo
	v_cndmask_b32_e32 v5, v10, v5, vcc_lo
	;; [unrolled: 1-line block ×4, first 2 shown]
	v_cmp_ge_u64_e32 vcc_lo, v[3:4], v[5:6]
	s_or_b32 s11, vcc_lo, s11
	s_andn2_b32 exec_lo, exec_lo, s11
	s_cbranch_execnz .LBB724_55
; %bb.56:
	s_inst_prefetch 0x2
	s_or_b32 exec_lo, exec_lo, s11
.LBB724_57:
	v_mov_b32_e32 v10, 0
	s_mov_b32 s11, exec_lo
	v_cmpx_ne_u64_e64 s[18:19], v[3:4]
	s_cbranch_execz .LBB724_59
; %bb.58:
	v_lshlrev_b64 v[3:4], 1, v[3:4]
	v_add_co_u32 v3, vcc_lo, s16, v3
	v_add_co_ci_u32_e64 v4, null, s17, v4, vcc_lo
	s_waitcnt lgkmcnt(0)
	global_load_ushort v1, v[3:4], off
	s_waitcnt vmcnt(0)
	v_cmp_ge_i16_e32 vcc_lo, v2, v1
	v_cndmask_b32_e64 v10, 0, 1, vcc_lo
.LBB724_59:
	s_or_b32 exec_lo, exec_lo, s11
	s_or_b32 exec_lo, exec_lo, s10
	s_and_saveexec_b32 s10, s3
	s_cbranch_execz .LBB724_67
.LBB724_60:
	v_mov_b32_e32 v3, 0
	v_mov_b32_e32 v4, 0
	s_andn2_b32 vcc_lo, exec_lo, s9
	s_cbranch_vccnz .LBB724_64
; %bb.61:
	s_waitcnt vmcnt(0) lgkmcnt(3)
	v_mov_b32_e32 v5, s18
	v_mov_b32_e32 v6, s19
	s_mov_b32 s9, 0
	s_inst_prefetch 0x1
	.p2align	6
.LBB724_62:                             ; =>This Inner Loop Header: Depth=1
	v_sub_co_u32 v11, vcc_lo, v5, v3
	v_sub_co_ci_u32_e64 v12, null, v6, v4, vcc_lo
	v_lshrrev_b64 v[13:14], 1, v[11:12]
	v_lshrrev_b64 v[11:12], 6, v[11:12]
	s_waitcnt lgkmcnt(0)
	v_add_co_u32 v1, vcc_lo, v13, v3
	v_add_co_ci_u32_e64 v7, null, v14, v4, vcc_lo
	v_add_co_u32 v11, vcc_lo, v1, v11
	v_add_co_ci_u32_e64 v12, null, v7, v12, vcc_lo
	v_lshlrev_b64 v[13:14], 1, v[11:12]
	v_add_co_u32 v13, vcc_lo, s16, v13
	v_add_co_ci_u32_e64 v14, null, s17, v14, vcc_lo
	v_add_co_u32 v7, vcc_lo, v11, 1
	global_load_ushort v1, v[13:14], off
	v_add_co_ci_u32_e64 v13, null, 0, v12, vcc_lo
	s_waitcnt vmcnt(0)
	v_cmp_lt_i16_sdwa vcc_lo, v1, v2 src0_sel:DWORD src1_sel:WORD_1
	v_cndmask_b32_e32 v6, v12, v6, vcc_lo
	v_cndmask_b32_e32 v5, v11, v5, vcc_lo
	;; [unrolled: 1-line block ×4, first 2 shown]
	v_cmp_ge_u64_e32 vcc_lo, v[3:4], v[5:6]
	s_or_b32 s9, vcc_lo, s9
	s_andn2_b32 exec_lo, exec_lo, s9
	s_cbranch_execnz .LBB724_62
; %bb.63:
	s_inst_prefetch 0x2
	s_or_b32 exec_lo, exec_lo, s9
.LBB724_64:
	v_mov_b32_e32 v7, 0
	s_mov_b32 s9, exec_lo
	v_cmpx_ne_u64_e64 s[18:19], v[3:4]
	s_cbranch_execz .LBB724_66
; %bb.65:
	v_lshlrev_b64 v[3:4], 1, v[3:4]
	v_add_co_u32 v3, vcc_lo, s16, v3
	v_add_co_ci_u32_e64 v4, null, s17, v4, vcc_lo
	s_waitcnt lgkmcnt(0)
	global_load_ushort v1, v[3:4], off
	s_waitcnt vmcnt(0)
	v_cmp_ge_i16_sdwa s11, v2, v1 src0_sel:WORD_1 src1_sel:DWORD
	v_cndmask_b32_e64 v7, 0, 1, s11
.LBB724_66:
	s_or_b32 exec_lo, exec_lo, s9
.LBB724_67:
	s_or_b32 exec_lo, exec_lo, s10
	v_lshlrev_b32_e32 v0, 2, v0
	s_lshl_b64 s[4:5], s[4:5], 2
	s_add_u32 s4, s7, s4
	s_addc_u32 s5, s8, s5
	s_waitcnt vmcnt(0) lgkmcnt(0)
	v_add_co_u32 v1, s4, s4, v0
	v_add_co_ci_u32_e64 v2, null, s5, 0, s4
	s_and_saveexec_b32 s4, s0
	s_xor_b32 s0, exec_lo, s4
	s_cbranch_execnz .LBB724_76
; %bb.68:
	s_or_b32 exec_lo, exec_lo, s0
	s_and_saveexec_b32 s0, s1
	s_cbranch_execnz .LBB724_77
.LBB724_69:
	s_or_b32 exec_lo, exec_lo, s0
	s_and_saveexec_b32 s0, s2
	s_cbranch_execnz .LBB724_78
.LBB724_70:
	s_or_b32 exec_lo, exec_lo, s0
	s_and_saveexec_b32 s0, s3
.LBB724_71:
	s_or_b32 s6, s6, exec_lo
.LBB724_72:
	s_or_b32 exec_lo, exec_lo, s0
.LBB724_73:
	s_and_saveexec_b32 s0, s6
	s_cbranch_execnz .LBB724_75
; %bb.74:
	s_endpgm
.LBB724_75:
	flat_store_dword v[1:2], v7 offset:1536
	s_endpgm
.LBB724_76:
	flat_store_dword v[1:2], v8
	s_or_b32 exec_lo, exec_lo, s0
	s_and_saveexec_b32 s0, s1
	s_cbranch_execz .LBB724_69
.LBB724_77:
	flat_store_dword v[1:2], v9 offset:512
	s_or_b32 exec_lo, exec_lo, s0
	s_and_saveexec_b32 s0, s2
	s_cbranch_execz .LBB724_70
.LBB724_78:
	flat_store_dword v[1:2], v10 offset:1024
	s_or_b32 exec_lo, exec_lo, s0
	s_and_saveexec_b32 s0, s3
	s_cbranch_execnz .LBB724_71
	s_branch .LBB724_72
	.section	.rodata,"a",@progbits
	.p2align	6, 0x0
	.amdhsa_kernel _ZN7rocprim17ROCPRIM_400000_NS6detail17trampoline_kernelINS0_14default_configENS1_29binary_search_config_selectorIsiEEZNS1_14transform_implILb0ES3_S5_N6thrust23THRUST_200600_302600_NS6detail15normal_iteratorINS8_7pointerIsNS8_11hip_rocprim5par_tENS8_11use_defaultESE_EEEENSA_INSB_IiSD_SE_SE_EEEEZNS1_13binary_searchIS3_S5_NSA_INS8_10device_ptrIsEEEESG_SI_NS1_16binary_search_opENS9_16wrapped_functionINS8_6system6detail7generic6detail18binary_search_lessEbEEEE10hipError_tPvRmT1_T2_T3_mmT4_T5_P12ihipStream_tbEUlRKsE_EESV_SZ_S10_mS11_S14_bEUlT_E_NS1_11comp_targetILNS1_3genE8ELNS1_11target_archE1030ELNS1_3gpuE2ELNS1_3repE0EEENS1_30default_config_static_selectorELNS0_4arch9wavefront6targetE0EEEvSY_
		.amdhsa_group_segment_fixed_size 0
		.amdhsa_private_segment_fixed_size 0
		.amdhsa_kernarg_size 312
		.amdhsa_user_sgpr_count 6
		.amdhsa_user_sgpr_private_segment_buffer 1
		.amdhsa_user_sgpr_dispatch_ptr 0
		.amdhsa_user_sgpr_queue_ptr 0
		.amdhsa_user_sgpr_kernarg_segment_ptr 1
		.amdhsa_user_sgpr_dispatch_id 0
		.amdhsa_user_sgpr_flat_scratch_init 0
		.amdhsa_user_sgpr_private_segment_size 0
		.amdhsa_wavefront_size32 1
		.amdhsa_uses_dynamic_stack 0
		.amdhsa_system_sgpr_private_segment_wavefront_offset 0
		.amdhsa_system_sgpr_workgroup_id_x 1
		.amdhsa_system_sgpr_workgroup_id_y 0
		.amdhsa_system_sgpr_workgroup_id_z 0
		.amdhsa_system_sgpr_workgroup_info 0
		.amdhsa_system_vgpr_workitem_id 0
		.amdhsa_next_free_vgpr 15
		.amdhsa_next_free_sgpr 20
		.amdhsa_reserve_vcc 1
		.amdhsa_reserve_flat_scratch 1
		.amdhsa_float_round_mode_32 0
		.amdhsa_float_round_mode_16_64 0
		.amdhsa_float_denorm_mode_32 3
		.amdhsa_float_denorm_mode_16_64 3
		.amdhsa_dx10_clamp 1
		.amdhsa_ieee_mode 1
		.amdhsa_fp16_overflow 0
		.amdhsa_workgroup_processor_mode 1
		.amdhsa_memory_ordered 1
		.amdhsa_forward_progress 1
		.amdhsa_shared_vgpr_count 0
		.amdhsa_exception_fp_ieee_invalid_op 0
		.amdhsa_exception_fp_denorm_src 0
		.amdhsa_exception_fp_ieee_div_zero 0
		.amdhsa_exception_fp_ieee_overflow 0
		.amdhsa_exception_fp_ieee_underflow 0
		.amdhsa_exception_fp_ieee_inexact 0
		.amdhsa_exception_int_div_zero 0
	.end_amdhsa_kernel
	.section	.text._ZN7rocprim17ROCPRIM_400000_NS6detail17trampoline_kernelINS0_14default_configENS1_29binary_search_config_selectorIsiEEZNS1_14transform_implILb0ES3_S5_N6thrust23THRUST_200600_302600_NS6detail15normal_iteratorINS8_7pointerIsNS8_11hip_rocprim5par_tENS8_11use_defaultESE_EEEENSA_INSB_IiSD_SE_SE_EEEEZNS1_13binary_searchIS3_S5_NSA_INS8_10device_ptrIsEEEESG_SI_NS1_16binary_search_opENS9_16wrapped_functionINS8_6system6detail7generic6detail18binary_search_lessEbEEEE10hipError_tPvRmT1_T2_T3_mmT4_T5_P12ihipStream_tbEUlRKsE_EESV_SZ_S10_mS11_S14_bEUlT_E_NS1_11comp_targetILNS1_3genE8ELNS1_11target_archE1030ELNS1_3gpuE2ELNS1_3repE0EEENS1_30default_config_static_selectorELNS0_4arch9wavefront6targetE0EEEvSY_,"axG",@progbits,_ZN7rocprim17ROCPRIM_400000_NS6detail17trampoline_kernelINS0_14default_configENS1_29binary_search_config_selectorIsiEEZNS1_14transform_implILb0ES3_S5_N6thrust23THRUST_200600_302600_NS6detail15normal_iteratorINS8_7pointerIsNS8_11hip_rocprim5par_tENS8_11use_defaultESE_EEEENSA_INSB_IiSD_SE_SE_EEEEZNS1_13binary_searchIS3_S5_NSA_INS8_10device_ptrIsEEEESG_SI_NS1_16binary_search_opENS9_16wrapped_functionINS8_6system6detail7generic6detail18binary_search_lessEbEEEE10hipError_tPvRmT1_T2_T3_mmT4_T5_P12ihipStream_tbEUlRKsE_EESV_SZ_S10_mS11_S14_bEUlT_E_NS1_11comp_targetILNS1_3genE8ELNS1_11target_archE1030ELNS1_3gpuE2ELNS1_3repE0EEENS1_30default_config_static_selectorELNS0_4arch9wavefront6targetE0EEEvSY_,comdat
.Lfunc_end724:
	.size	_ZN7rocprim17ROCPRIM_400000_NS6detail17trampoline_kernelINS0_14default_configENS1_29binary_search_config_selectorIsiEEZNS1_14transform_implILb0ES3_S5_N6thrust23THRUST_200600_302600_NS6detail15normal_iteratorINS8_7pointerIsNS8_11hip_rocprim5par_tENS8_11use_defaultESE_EEEENSA_INSB_IiSD_SE_SE_EEEEZNS1_13binary_searchIS3_S5_NSA_INS8_10device_ptrIsEEEESG_SI_NS1_16binary_search_opENS9_16wrapped_functionINS8_6system6detail7generic6detail18binary_search_lessEbEEEE10hipError_tPvRmT1_T2_T3_mmT4_T5_P12ihipStream_tbEUlRKsE_EESV_SZ_S10_mS11_S14_bEUlT_E_NS1_11comp_targetILNS1_3genE8ELNS1_11target_archE1030ELNS1_3gpuE2ELNS1_3repE0EEENS1_30default_config_static_selectorELNS0_4arch9wavefront6targetE0EEEvSY_, .Lfunc_end724-_ZN7rocprim17ROCPRIM_400000_NS6detail17trampoline_kernelINS0_14default_configENS1_29binary_search_config_selectorIsiEEZNS1_14transform_implILb0ES3_S5_N6thrust23THRUST_200600_302600_NS6detail15normal_iteratorINS8_7pointerIsNS8_11hip_rocprim5par_tENS8_11use_defaultESE_EEEENSA_INSB_IiSD_SE_SE_EEEEZNS1_13binary_searchIS3_S5_NSA_INS8_10device_ptrIsEEEESG_SI_NS1_16binary_search_opENS9_16wrapped_functionINS8_6system6detail7generic6detail18binary_search_lessEbEEEE10hipError_tPvRmT1_T2_T3_mmT4_T5_P12ihipStream_tbEUlRKsE_EESV_SZ_S10_mS11_S14_bEUlT_E_NS1_11comp_targetILNS1_3genE8ELNS1_11target_archE1030ELNS1_3gpuE2ELNS1_3repE0EEENS1_30default_config_static_selectorELNS0_4arch9wavefront6targetE0EEEvSY_
                                        ; -- End function
	.set _ZN7rocprim17ROCPRIM_400000_NS6detail17trampoline_kernelINS0_14default_configENS1_29binary_search_config_selectorIsiEEZNS1_14transform_implILb0ES3_S5_N6thrust23THRUST_200600_302600_NS6detail15normal_iteratorINS8_7pointerIsNS8_11hip_rocprim5par_tENS8_11use_defaultESE_EEEENSA_INSB_IiSD_SE_SE_EEEEZNS1_13binary_searchIS3_S5_NSA_INS8_10device_ptrIsEEEESG_SI_NS1_16binary_search_opENS9_16wrapped_functionINS8_6system6detail7generic6detail18binary_search_lessEbEEEE10hipError_tPvRmT1_T2_T3_mmT4_T5_P12ihipStream_tbEUlRKsE_EESV_SZ_S10_mS11_S14_bEUlT_E_NS1_11comp_targetILNS1_3genE8ELNS1_11target_archE1030ELNS1_3gpuE2ELNS1_3repE0EEENS1_30default_config_static_selectorELNS0_4arch9wavefront6targetE0EEEvSY_.num_vgpr, 15
	.set _ZN7rocprim17ROCPRIM_400000_NS6detail17trampoline_kernelINS0_14default_configENS1_29binary_search_config_selectorIsiEEZNS1_14transform_implILb0ES3_S5_N6thrust23THRUST_200600_302600_NS6detail15normal_iteratorINS8_7pointerIsNS8_11hip_rocprim5par_tENS8_11use_defaultESE_EEEENSA_INSB_IiSD_SE_SE_EEEEZNS1_13binary_searchIS3_S5_NSA_INS8_10device_ptrIsEEEESG_SI_NS1_16binary_search_opENS9_16wrapped_functionINS8_6system6detail7generic6detail18binary_search_lessEbEEEE10hipError_tPvRmT1_T2_T3_mmT4_T5_P12ihipStream_tbEUlRKsE_EESV_SZ_S10_mS11_S14_bEUlT_E_NS1_11comp_targetILNS1_3genE8ELNS1_11target_archE1030ELNS1_3gpuE2ELNS1_3repE0EEENS1_30default_config_static_selectorELNS0_4arch9wavefront6targetE0EEEvSY_.num_agpr, 0
	.set _ZN7rocprim17ROCPRIM_400000_NS6detail17trampoline_kernelINS0_14default_configENS1_29binary_search_config_selectorIsiEEZNS1_14transform_implILb0ES3_S5_N6thrust23THRUST_200600_302600_NS6detail15normal_iteratorINS8_7pointerIsNS8_11hip_rocprim5par_tENS8_11use_defaultESE_EEEENSA_INSB_IiSD_SE_SE_EEEEZNS1_13binary_searchIS3_S5_NSA_INS8_10device_ptrIsEEEESG_SI_NS1_16binary_search_opENS9_16wrapped_functionINS8_6system6detail7generic6detail18binary_search_lessEbEEEE10hipError_tPvRmT1_T2_T3_mmT4_T5_P12ihipStream_tbEUlRKsE_EESV_SZ_S10_mS11_S14_bEUlT_E_NS1_11comp_targetILNS1_3genE8ELNS1_11target_archE1030ELNS1_3gpuE2ELNS1_3repE0EEENS1_30default_config_static_selectorELNS0_4arch9wavefront6targetE0EEEvSY_.numbered_sgpr, 20
	.set _ZN7rocprim17ROCPRIM_400000_NS6detail17trampoline_kernelINS0_14default_configENS1_29binary_search_config_selectorIsiEEZNS1_14transform_implILb0ES3_S5_N6thrust23THRUST_200600_302600_NS6detail15normal_iteratorINS8_7pointerIsNS8_11hip_rocprim5par_tENS8_11use_defaultESE_EEEENSA_INSB_IiSD_SE_SE_EEEEZNS1_13binary_searchIS3_S5_NSA_INS8_10device_ptrIsEEEESG_SI_NS1_16binary_search_opENS9_16wrapped_functionINS8_6system6detail7generic6detail18binary_search_lessEbEEEE10hipError_tPvRmT1_T2_T3_mmT4_T5_P12ihipStream_tbEUlRKsE_EESV_SZ_S10_mS11_S14_bEUlT_E_NS1_11comp_targetILNS1_3genE8ELNS1_11target_archE1030ELNS1_3gpuE2ELNS1_3repE0EEENS1_30default_config_static_selectorELNS0_4arch9wavefront6targetE0EEEvSY_.num_named_barrier, 0
	.set _ZN7rocprim17ROCPRIM_400000_NS6detail17trampoline_kernelINS0_14default_configENS1_29binary_search_config_selectorIsiEEZNS1_14transform_implILb0ES3_S5_N6thrust23THRUST_200600_302600_NS6detail15normal_iteratorINS8_7pointerIsNS8_11hip_rocprim5par_tENS8_11use_defaultESE_EEEENSA_INSB_IiSD_SE_SE_EEEEZNS1_13binary_searchIS3_S5_NSA_INS8_10device_ptrIsEEEESG_SI_NS1_16binary_search_opENS9_16wrapped_functionINS8_6system6detail7generic6detail18binary_search_lessEbEEEE10hipError_tPvRmT1_T2_T3_mmT4_T5_P12ihipStream_tbEUlRKsE_EESV_SZ_S10_mS11_S14_bEUlT_E_NS1_11comp_targetILNS1_3genE8ELNS1_11target_archE1030ELNS1_3gpuE2ELNS1_3repE0EEENS1_30default_config_static_selectorELNS0_4arch9wavefront6targetE0EEEvSY_.private_seg_size, 0
	.set _ZN7rocprim17ROCPRIM_400000_NS6detail17trampoline_kernelINS0_14default_configENS1_29binary_search_config_selectorIsiEEZNS1_14transform_implILb0ES3_S5_N6thrust23THRUST_200600_302600_NS6detail15normal_iteratorINS8_7pointerIsNS8_11hip_rocprim5par_tENS8_11use_defaultESE_EEEENSA_INSB_IiSD_SE_SE_EEEEZNS1_13binary_searchIS3_S5_NSA_INS8_10device_ptrIsEEEESG_SI_NS1_16binary_search_opENS9_16wrapped_functionINS8_6system6detail7generic6detail18binary_search_lessEbEEEE10hipError_tPvRmT1_T2_T3_mmT4_T5_P12ihipStream_tbEUlRKsE_EESV_SZ_S10_mS11_S14_bEUlT_E_NS1_11comp_targetILNS1_3genE8ELNS1_11target_archE1030ELNS1_3gpuE2ELNS1_3repE0EEENS1_30default_config_static_selectorELNS0_4arch9wavefront6targetE0EEEvSY_.uses_vcc, 1
	.set _ZN7rocprim17ROCPRIM_400000_NS6detail17trampoline_kernelINS0_14default_configENS1_29binary_search_config_selectorIsiEEZNS1_14transform_implILb0ES3_S5_N6thrust23THRUST_200600_302600_NS6detail15normal_iteratorINS8_7pointerIsNS8_11hip_rocprim5par_tENS8_11use_defaultESE_EEEENSA_INSB_IiSD_SE_SE_EEEEZNS1_13binary_searchIS3_S5_NSA_INS8_10device_ptrIsEEEESG_SI_NS1_16binary_search_opENS9_16wrapped_functionINS8_6system6detail7generic6detail18binary_search_lessEbEEEE10hipError_tPvRmT1_T2_T3_mmT4_T5_P12ihipStream_tbEUlRKsE_EESV_SZ_S10_mS11_S14_bEUlT_E_NS1_11comp_targetILNS1_3genE8ELNS1_11target_archE1030ELNS1_3gpuE2ELNS1_3repE0EEENS1_30default_config_static_selectorELNS0_4arch9wavefront6targetE0EEEvSY_.uses_flat_scratch, 1
	.set _ZN7rocprim17ROCPRIM_400000_NS6detail17trampoline_kernelINS0_14default_configENS1_29binary_search_config_selectorIsiEEZNS1_14transform_implILb0ES3_S5_N6thrust23THRUST_200600_302600_NS6detail15normal_iteratorINS8_7pointerIsNS8_11hip_rocprim5par_tENS8_11use_defaultESE_EEEENSA_INSB_IiSD_SE_SE_EEEEZNS1_13binary_searchIS3_S5_NSA_INS8_10device_ptrIsEEEESG_SI_NS1_16binary_search_opENS9_16wrapped_functionINS8_6system6detail7generic6detail18binary_search_lessEbEEEE10hipError_tPvRmT1_T2_T3_mmT4_T5_P12ihipStream_tbEUlRKsE_EESV_SZ_S10_mS11_S14_bEUlT_E_NS1_11comp_targetILNS1_3genE8ELNS1_11target_archE1030ELNS1_3gpuE2ELNS1_3repE0EEENS1_30default_config_static_selectorELNS0_4arch9wavefront6targetE0EEEvSY_.has_dyn_sized_stack, 0
	.set _ZN7rocprim17ROCPRIM_400000_NS6detail17trampoline_kernelINS0_14default_configENS1_29binary_search_config_selectorIsiEEZNS1_14transform_implILb0ES3_S5_N6thrust23THRUST_200600_302600_NS6detail15normal_iteratorINS8_7pointerIsNS8_11hip_rocprim5par_tENS8_11use_defaultESE_EEEENSA_INSB_IiSD_SE_SE_EEEEZNS1_13binary_searchIS3_S5_NSA_INS8_10device_ptrIsEEEESG_SI_NS1_16binary_search_opENS9_16wrapped_functionINS8_6system6detail7generic6detail18binary_search_lessEbEEEE10hipError_tPvRmT1_T2_T3_mmT4_T5_P12ihipStream_tbEUlRKsE_EESV_SZ_S10_mS11_S14_bEUlT_E_NS1_11comp_targetILNS1_3genE8ELNS1_11target_archE1030ELNS1_3gpuE2ELNS1_3repE0EEENS1_30default_config_static_selectorELNS0_4arch9wavefront6targetE0EEEvSY_.has_recursion, 0
	.set _ZN7rocprim17ROCPRIM_400000_NS6detail17trampoline_kernelINS0_14default_configENS1_29binary_search_config_selectorIsiEEZNS1_14transform_implILb0ES3_S5_N6thrust23THRUST_200600_302600_NS6detail15normal_iteratorINS8_7pointerIsNS8_11hip_rocprim5par_tENS8_11use_defaultESE_EEEENSA_INSB_IiSD_SE_SE_EEEEZNS1_13binary_searchIS3_S5_NSA_INS8_10device_ptrIsEEEESG_SI_NS1_16binary_search_opENS9_16wrapped_functionINS8_6system6detail7generic6detail18binary_search_lessEbEEEE10hipError_tPvRmT1_T2_T3_mmT4_T5_P12ihipStream_tbEUlRKsE_EESV_SZ_S10_mS11_S14_bEUlT_E_NS1_11comp_targetILNS1_3genE8ELNS1_11target_archE1030ELNS1_3gpuE2ELNS1_3repE0EEENS1_30default_config_static_selectorELNS0_4arch9wavefront6targetE0EEEvSY_.has_indirect_call, 0
	.section	.AMDGPU.csdata,"",@progbits
; Kernel info:
; codeLenInByte = 3244
; TotalNumSgprs: 22
; NumVgprs: 15
; ScratchSize: 0
; MemoryBound: 0
; FloatMode: 240
; IeeeMode: 1
; LDSByteSize: 0 bytes/workgroup (compile time only)
; SGPRBlocks: 0
; VGPRBlocks: 1
; NumSGPRsForWavesPerEU: 22
; NumVGPRsForWavesPerEU: 15
; Occupancy: 16
; WaveLimiterHint : 1
; COMPUTE_PGM_RSRC2:SCRATCH_EN: 0
; COMPUTE_PGM_RSRC2:USER_SGPR: 6
; COMPUTE_PGM_RSRC2:TRAP_HANDLER: 0
; COMPUTE_PGM_RSRC2:TGID_X_EN: 1
; COMPUTE_PGM_RSRC2:TGID_Y_EN: 0
; COMPUTE_PGM_RSRC2:TGID_Z_EN: 0
; COMPUTE_PGM_RSRC2:TIDIG_COMP_CNT: 0
	.section	.text._ZN7rocprim17ROCPRIM_400000_NS6detail17trampoline_kernelINS0_14default_configENS1_29binary_search_config_selectorIN6thrust23THRUST_200600_302600_NS5tupleIiiNS6_9null_typeES8_S8_S8_S8_S8_S8_S8_EEiEEZNS1_14transform_implILb0ES3_SA_NS6_6detail15normal_iteratorINS6_7pointerIS9_NS6_11hip_rocprim5par_tENS6_11use_defaultESH_EEEENSD_INSE_IiSG_SH_SH_EEEEZNS1_13binary_searchIS3_SA_NSD_INS6_10device_ptrIS9_EEEESJ_SL_NS1_16binary_search_opENSC_16wrapped_functionINS6_6system6detail7generic6detail18binary_search_lessEbEEEE10hipError_tPvRmT1_T2_T3_mmT4_T5_P12ihipStream_tbEUlRKS9_E_EESY_S12_S13_mS14_S17_bEUlT_E_NS1_11comp_targetILNS1_3genE0ELNS1_11target_archE4294967295ELNS1_3gpuE0ELNS1_3repE0EEENS1_30default_config_static_selectorELNS0_4arch9wavefront6targetE0EEEvS11_,"axG",@progbits,_ZN7rocprim17ROCPRIM_400000_NS6detail17trampoline_kernelINS0_14default_configENS1_29binary_search_config_selectorIN6thrust23THRUST_200600_302600_NS5tupleIiiNS6_9null_typeES8_S8_S8_S8_S8_S8_S8_EEiEEZNS1_14transform_implILb0ES3_SA_NS6_6detail15normal_iteratorINS6_7pointerIS9_NS6_11hip_rocprim5par_tENS6_11use_defaultESH_EEEENSD_INSE_IiSG_SH_SH_EEEEZNS1_13binary_searchIS3_SA_NSD_INS6_10device_ptrIS9_EEEESJ_SL_NS1_16binary_search_opENSC_16wrapped_functionINS6_6system6detail7generic6detail18binary_search_lessEbEEEE10hipError_tPvRmT1_T2_T3_mmT4_T5_P12ihipStream_tbEUlRKS9_E_EESY_S12_S13_mS14_S17_bEUlT_E_NS1_11comp_targetILNS1_3genE0ELNS1_11target_archE4294967295ELNS1_3gpuE0ELNS1_3repE0EEENS1_30default_config_static_selectorELNS0_4arch9wavefront6targetE0EEEvS11_,comdat
	.protected	_ZN7rocprim17ROCPRIM_400000_NS6detail17trampoline_kernelINS0_14default_configENS1_29binary_search_config_selectorIN6thrust23THRUST_200600_302600_NS5tupleIiiNS6_9null_typeES8_S8_S8_S8_S8_S8_S8_EEiEEZNS1_14transform_implILb0ES3_SA_NS6_6detail15normal_iteratorINS6_7pointerIS9_NS6_11hip_rocprim5par_tENS6_11use_defaultESH_EEEENSD_INSE_IiSG_SH_SH_EEEEZNS1_13binary_searchIS3_SA_NSD_INS6_10device_ptrIS9_EEEESJ_SL_NS1_16binary_search_opENSC_16wrapped_functionINS6_6system6detail7generic6detail18binary_search_lessEbEEEE10hipError_tPvRmT1_T2_T3_mmT4_T5_P12ihipStream_tbEUlRKS9_E_EESY_S12_S13_mS14_S17_bEUlT_E_NS1_11comp_targetILNS1_3genE0ELNS1_11target_archE4294967295ELNS1_3gpuE0ELNS1_3repE0EEENS1_30default_config_static_selectorELNS0_4arch9wavefront6targetE0EEEvS11_ ; -- Begin function _ZN7rocprim17ROCPRIM_400000_NS6detail17trampoline_kernelINS0_14default_configENS1_29binary_search_config_selectorIN6thrust23THRUST_200600_302600_NS5tupleIiiNS6_9null_typeES8_S8_S8_S8_S8_S8_S8_EEiEEZNS1_14transform_implILb0ES3_SA_NS6_6detail15normal_iteratorINS6_7pointerIS9_NS6_11hip_rocprim5par_tENS6_11use_defaultESH_EEEENSD_INSE_IiSG_SH_SH_EEEEZNS1_13binary_searchIS3_SA_NSD_INS6_10device_ptrIS9_EEEESJ_SL_NS1_16binary_search_opENSC_16wrapped_functionINS6_6system6detail7generic6detail18binary_search_lessEbEEEE10hipError_tPvRmT1_T2_T3_mmT4_T5_P12ihipStream_tbEUlRKS9_E_EESY_S12_S13_mS14_S17_bEUlT_E_NS1_11comp_targetILNS1_3genE0ELNS1_11target_archE4294967295ELNS1_3gpuE0ELNS1_3repE0EEENS1_30default_config_static_selectorELNS0_4arch9wavefront6targetE0EEEvS11_
	.globl	_ZN7rocprim17ROCPRIM_400000_NS6detail17trampoline_kernelINS0_14default_configENS1_29binary_search_config_selectorIN6thrust23THRUST_200600_302600_NS5tupleIiiNS6_9null_typeES8_S8_S8_S8_S8_S8_S8_EEiEEZNS1_14transform_implILb0ES3_SA_NS6_6detail15normal_iteratorINS6_7pointerIS9_NS6_11hip_rocprim5par_tENS6_11use_defaultESH_EEEENSD_INSE_IiSG_SH_SH_EEEEZNS1_13binary_searchIS3_SA_NSD_INS6_10device_ptrIS9_EEEESJ_SL_NS1_16binary_search_opENSC_16wrapped_functionINS6_6system6detail7generic6detail18binary_search_lessEbEEEE10hipError_tPvRmT1_T2_T3_mmT4_T5_P12ihipStream_tbEUlRKS9_E_EESY_S12_S13_mS14_S17_bEUlT_E_NS1_11comp_targetILNS1_3genE0ELNS1_11target_archE4294967295ELNS1_3gpuE0ELNS1_3repE0EEENS1_30default_config_static_selectorELNS0_4arch9wavefront6targetE0EEEvS11_
	.p2align	8
	.type	_ZN7rocprim17ROCPRIM_400000_NS6detail17trampoline_kernelINS0_14default_configENS1_29binary_search_config_selectorIN6thrust23THRUST_200600_302600_NS5tupleIiiNS6_9null_typeES8_S8_S8_S8_S8_S8_S8_EEiEEZNS1_14transform_implILb0ES3_SA_NS6_6detail15normal_iteratorINS6_7pointerIS9_NS6_11hip_rocprim5par_tENS6_11use_defaultESH_EEEENSD_INSE_IiSG_SH_SH_EEEEZNS1_13binary_searchIS3_SA_NSD_INS6_10device_ptrIS9_EEEESJ_SL_NS1_16binary_search_opENSC_16wrapped_functionINS6_6system6detail7generic6detail18binary_search_lessEbEEEE10hipError_tPvRmT1_T2_T3_mmT4_T5_P12ihipStream_tbEUlRKS9_E_EESY_S12_S13_mS14_S17_bEUlT_E_NS1_11comp_targetILNS1_3genE0ELNS1_11target_archE4294967295ELNS1_3gpuE0ELNS1_3repE0EEENS1_30default_config_static_selectorELNS0_4arch9wavefront6targetE0EEEvS11_,@function
_ZN7rocprim17ROCPRIM_400000_NS6detail17trampoline_kernelINS0_14default_configENS1_29binary_search_config_selectorIN6thrust23THRUST_200600_302600_NS5tupleIiiNS6_9null_typeES8_S8_S8_S8_S8_S8_S8_EEiEEZNS1_14transform_implILb0ES3_SA_NS6_6detail15normal_iteratorINS6_7pointerIS9_NS6_11hip_rocprim5par_tENS6_11use_defaultESH_EEEENSD_INSE_IiSG_SH_SH_EEEEZNS1_13binary_searchIS3_SA_NSD_INS6_10device_ptrIS9_EEEESJ_SL_NS1_16binary_search_opENSC_16wrapped_functionINS6_6system6detail7generic6detail18binary_search_lessEbEEEE10hipError_tPvRmT1_T2_T3_mmT4_T5_P12ihipStream_tbEUlRKS9_E_EESY_S12_S13_mS14_S17_bEUlT_E_NS1_11comp_targetILNS1_3genE0ELNS1_11target_archE4294967295ELNS1_3gpuE0ELNS1_3repE0EEENS1_30default_config_static_selectorELNS0_4arch9wavefront6targetE0EEEvS11_: ; @_ZN7rocprim17ROCPRIM_400000_NS6detail17trampoline_kernelINS0_14default_configENS1_29binary_search_config_selectorIN6thrust23THRUST_200600_302600_NS5tupleIiiNS6_9null_typeES8_S8_S8_S8_S8_S8_S8_EEiEEZNS1_14transform_implILb0ES3_SA_NS6_6detail15normal_iteratorINS6_7pointerIS9_NS6_11hip_rocprim5par_tENS6_11use_defaultESH_EEEENSD_INSE_IiSG_SH_SH_EEEEZNS1_13binary_searchIS3_SA_NSD_INS6_10device_ptrIS9_EEEESJ_SL_NS1_16binary_search_opENSC_16wrapped_functionINS6_6system6detail7generic6detail18binary_search_lessEbEEEE10hipError_tPvRmT1_T2_T3_mmT4_T5_P12ihipStream_tbEUlRKS9_E_EESY_S12_S13_mS14_S17_bEUlT_E_NS1_11comp_targetILNS1_3genE0ELNS1_11target_archE4294967295ELNS1_3gpuE0ELNS1_3repE0EEENS1_30default_config_static_selectorELNS0_4arch9wavefront6targetE0EEEvS11_
; %bb.0:
	.section	.rodata,"a",@progbits
	.p2align	6, 0x0
	.amdhsa_kernel _ZN7rocprim17ROCPRIM_400000_NS6detail17trampoline_kernelINS0_14default_configENS1_29binary_search_config_selectorIN6thrust23THRUST_200600_302600_NS5tupleIiiNS6_9null_typeES8_S8_S8_S8_S8_S8_S8_EEiEEZNS1_14transform_implILb0ES3_SA_NS6_6detail15normal_iteratorINS6_7pointerIS9_NS6_11hip_rocprim5par_tENS6_11use_defaultESH_EEEENSD_INSE_IiSG_SH_SH_EEEEZNS1_13binary_searchIS3_SA_NSD_INS6_10device_ptrIS9_EEEESJ_SL_NS1_16binary_search_opENSC_16wrapped_functionINS6_6system6detail7generic6detail18binary_search_lessEbEEEE10hipError_tPvRmT1_T2_T3_mmT4_T5_P12ihipStream_tbEUlRKS9_E_EESY_S12_S13_mS14_S17_bEUlT_E_NS1_11comp_targetILNS1_3genE0ELNS1_11target_archE4294967295ELNS1_3gpuE0ELNS1_3repE0EEENS1_30default_config_static_selectorELNS0_4arch9wavefront6targetE0EEEvS11_
		.amdhsa_group_segment_fixed_size 0
		.amdhsa_private_segment_fixed_size 0
		.amdhsa_kernarg_size 56
		.amdhsa_user_sgpr_count 6
		.amdhsa_user_sgpr_private_segment_buffer 1
		.amdhsa_user_sgpr_dispatch_ptr 0
		.amdhsa_user_sgpr_queue_ptr 0
		.amdhsa_user_sgpr_kernarg_segment_ptr 1
		.amdhsa_user_sgpr_dispatch_id 0
		.amdhsa_user_sgpr_flat_scratch_init 0
		.amdhsa_user_sgpr_private_segment_size 0
		.amdhsa_wavefront_size32 1
		.amdhsa_uses_dynamic_stack 0
		.amdhsa_system_sgpr_private_segment_wavefront_offset 0
		.amdhsa_system_sgpr_workgroup_id_x 1
		.amdhsa_system_sgpr_workgroup_id_y 0
		.amdhsa_system_sgpr_workgroup_id_z 0
		.amdhsa_system_sgpr_workgroup_info 0
		.amdhsa_system_vgpr_workitem_id 0
		.amdhsa_next_free_vgpr 1
		.amdhsa_next_free_sgpr 1
		.amdhsa_reserve_vcc 0
		.amdhsa_reserve_flat_scratch 0
		.amdhsa_float_round_mode_32 0
		.amdhsa_float_round_mode_16_64 0
		.amdhsa_float_denorm_mode_32 3
		.amdhsa_float_denorm_mode_16_64 3
		.amdhsa_dx10_clamp 1
		.amdhsa_ieee_mode 1
		.amdhsa_fp16_overflow 0
		.amdhsa_workgroup_processor_mode 1
		.amdhsa_memory_ordered 1
		.amdhsa_forward_progress 1
		.amdhsa_shared_vgpr_count 0
		.amdhsa_exception_fp_ieee_invalid_op 0
		.amdhsa_exception_fp_denorm_src 0
		.amdhsa_exception_fp_ieee_div_zero 0
		.amdhsa_exception_fp_ieee_overflow 0
		.amdhsa_exception_fp_ieee_underflow 0
		.amdhsa_exception_fp_ieee_inexact 0
		.amdhsa_exception_int_div_zero 0
	.end_amdhsa_kernel
	.section	.text._ZN7rocprim17ROCPRIM_400000_NS6detail17trampoline_kernelINS0_14default_configENS1_29binary_search_config_selectorIN6thrust23THRUST_200600_302600_NS5tupleIiiNS6_9null_typeES8_S8_S8_S8_S8_S8_S8_EEiEEZNS1_14transform_implILb0ES3_SA_NS6_6detail15normal_iteratorINS6_7pointerIS9_NS6_11hip_rocprim5par_tENS6_11use_defaultESH_EEEENSD_INSE_IiSG_SH_SH_EEEEZNS1_13binary_searchIS3_SA_NSD_INS6_10device_ptrIS9_EEEESJ_SL_NS1_16binary_search_opENSC_16wrapped_functionINS6_6system6detail7generic6detail18binary_search_lessEbEEEE10hipError_tPvRmT1_T2_T3_mmT4_T5_P12ihipStream_tbEUlRKS9_E_EESY_S12_S13_mS14_S17_bEUlT_E_NS1_11comp_targetILNS1_3genE0ELNS1_11target_archE4294967295ELNS1_3gpuE0ELNS1_3repE0EEENS1_30default_config_static_selectorELNS0_4arch9wavefront6targetE0EEEvS11_,"axG",@progbits,_ZN7rocprim17ROCPRIM_400000_NS6detail17trampoline_kernelINS0_14default_configENS1_29binary_search_config_selectorIN6thrust23THRUST_200600_302600_NS5tupleIiiNS6_9null_typeES8_S8_S8_S8_S8_S8_S8_EEiEEZNS1_14transform_implILb0ES3_SA_NS6_6detail15normal_iteratorINS6_7pointerIS9_NS6_11hip_rocprim5par_tENS6_11use_defaultESH_EEEENSD_INSE_IiSG_SH_SH_EEEEZNS1_13binary_searchIS3_SA_NSD_INS6_10device_ptrIS9_EEEESJ_SL_NS1_16binary_search_opENSC_16wrapped_functionINS6_6system6detail7generic6detail18binary_search_lessEbEEEE10hipError_tPvRmT1_T2_T3_mmT4_T5_P12ihipStream_tbEUlRKS9_E_EESY_S12_S13_mS14_S17_bEUlT_E_NS1_11comp_targetILNS1_3genE0ELNS1_11target_archE4294967295ELNS1_3gpuE0ELNS1_3repE0EEENS1_30default_config_static_selectorELNS0_4arch9wavefront6targetE0EEEvS11_,comdat
.Lfunc_end725:
	.size	_ZN7rocprim17ROCPRIM_400000_NS6detail17trampoline_kernelINS0_14default_configENS1_29binary_search_config_selectorIN6thrust23THRUST_200600_302600_NS5tupleIiiNS6_9null_typeES8_S8_S8_S8_S8_S8_S8_EEiEEZNS1_14transform_implILb0ES3_SA_NS6_6detail15normal_iteratorINS6_7pointerIS9_NS6_11hip_rocprim5par_tENS6_11use_defaultESH_EEEENSD_INSE_IiSG_SH_SH_EEEEZNS1_13binary_searchIS3_SA_NSD_INS6_10device_ptrIS9_EEEESJ_SL_NS1_16binary_search_opENSC_16wrapped_functionINS6_6system6detail7generic6detail18binary_search_lessEbEEEE10hipError_tPvRmT1_T2_T3_mmT4_T5_P12ihipStream_tbEUlRKS9_E_EESY_S12_S13_mS14_S17_bEUlT_E_NS1_11comp_targetILNS1_3genE0ELNS1_11target_archE4294967295ELNS1_3gpuE0ELNS1_3repE0EEENS1_30default_config_static_selectorELNS0_4arch9wavefront6targetE0EEEvS11_, .Lfunc_end725-_ZN7rocprim17ROCPRIM_400000_NS6detail17trampoline_kernelINS0_14default_configENS1_29binary_search_config_selectorIN6thrust23THRUST_200600_302600_NS5tupleIiiNS6_9null_typeES8_S8_S8_S8_S8_S8_S8_EEiEEZNS1_14transform_implILb0ES3_SA_NS6_6detail15normal_iteratorINS6_7pointerIS9_NS6_11hip_rocprim5par_tENS6_11use_defaultESH_EEEENSD_INSE_IiSG_SH_SH_EEEEZNS1_13binary_searchIS3_SA_NSD_INS6_10device_ptrIS9_EEEESJ_SL_NS1_16binary_search_opENSC_16wrapped_functionINS6_6system6detail7generic6detail18binary_search_lessEbEEEE10hipError_tPvRmT1_T2_T3_mmT4_T5_P12ihipStream_tbEUlRKS9_E_EESY_S12_S13_mS14_S17_bEUlT_E_NS1_11comp_targetILNS1_3genE0ELNS1_11target_archE4294967295ELNS1_3gpuE0ELNS1_3repE0EEENS1_30default_config_static_selectorELNS0_4arch9wavefront6targetE0EEEvS11_
                                        ; -- End function
	.set _ZN7rocprim17ROCPRIM_400000_NS6detail17trampoline_kernelINS0_14default_configENS1_29binary_search_config_selectorIN6thrust23THRUST_200600_302600_NS5tupleIiiNS6_9null_typeES8_S8_S8_S8_S8_S8_S8_EEiEEZNS1_14transform_implILb0ES3_SA_NS6_6detail15normal_iteratorINS6_7pointerIS9_NS6_11hip_rocprim5par_tENS6_11use_defaultESH_EEEENSD_INSE_IiSG_SH_SH_EEEEZNS1_13binary_searchIS3_SA_NSD_INS6_10device_ptrIS9_EEEESJ_SL_NS1_16binary_search_opENSC_16wrapped_functionINS6_6system6detail7generic6detail18binary_search_lessEbEEEE10hipError_tPvRmT1_T2_T3_mmT4_T5_P12ihipStream_tbEUlRKS9_E_EESY_S12_S13_mS14_S17_bEUlT_E_NS1_11comp_targetILNS1_3genE0ELNS1_11target_archE4294967295ELNS1_3gpuE0ELNS1_3repE0EEENS1_30default_config_static_selectorELNS0_4arch9wavefront6targetE0EEEvS11_.num_vgpr, 0
	.set _ZN7rocprim17ROCPRIM_400000_NS6detail17trampoline_kernelINS0_14default_configENS1_29binary_search_config_selectorIN6thrust23THRUST_200600_302600_NS5tupleIiiNS6_9null_typeES8_S8_S8_S8_S8_S8_S8_EEiEEZNS1_14transform_implILb0ES3_SA_NS6_6detail15normal_iteratorINS6_7pointerIS9_NS6_11hip_rocprim5par_tENS6_11use_defaultESH_EEEENSD_INSE_IiSG_SH_SH_EEEEZNS1_13binary_searchIS3_SA_NSD_INS6_10device_ptrIS9_EEEESJ_SL_NS1_16binary_search_opENSC_16wrapped_functionINS6_6system6detail7generic6detail18binary_search_lessEbEEEE10hipError_tPvRmT1_T2_T3_mmT4_T5_P12ihipStream_tbEUlRKS9_E_EESY_S12_S13_mS14_S17_bEUlT_E_NS1_11comp_targetILNS1_3genE0ELNS1_11target_archE4294967295ELNS1_3gpuE0ELNS1_3repE0EEENS1_30default_config_static_selectorELNS0_4arch9wavefront6targetE0EEEvS11_.num_agpr, 0
	.set _ZN7rocprim17ROCPRIM_400000_NS6detail17trampoline_kernelINS0_14default_configENS1_29binary_search_config_selectorIN6thrust23THRUST_200600_302600_NS5tupleIiiNS6_9null_typeES8_S8_S8_S8_S8_S8_S8_EEiEEZNS1_14transform_implILb0ES3_SA_NS6_6detail15normal_iteratorINS6_7pointerIS9_NS6_11hip_rocprim5par_tENS6_11use_defaultESH_EEEENSD_INSE_IiSG_SH_SH_EEEEZNS1_13binary_searchIS3_SA_NSD_INS6_10device_ptrIS9_EEEESJ_SL_NS1_16binary_search_opENSC_16wrapped_functionINS6_6system6detail7generic6detail18binary_search_lessEbEEEE10hipError_tPvRmT1_T2_T3_mmT4_T5_P12ihipStream_tbEUlRKS9_E_EESY_S12_S13_mS14_S17_bEUlT_E_NS1_11comp_targetILNS1_3genE0ELNS1_11target_archE4294967295ELNS1_3gpuE0ELNS1_3repE0EEENS1_30default_config_static_selectorELNS0_4arch9wavefront6targetE0EEEvS11_.numbered_sgpr, 0
	.set _ZN7rocprim17ROCPRIM_400000_NS6detail17trampoline_kernelINS0_14default_configENS1_29binary_search_config_selectorIN6thrust23THRUST_200600_302600_NS5tupleIiiNS6_9null_typeES8_S8_S8_S8_S8_S8_S8_EEiEEZNS1_14transform_implILb0ES3_SA_NS6_6detail15normal_iteratorINS6_7pointerIS9_NS6_11hip_rocprim5par_tENS6_11use_defaultESH_EEEENSD_INSE_IiSG_SH_SH_EEEEZNS1_13binary_searchIS3_SA_NSD_INS6_10device_ptrIS9_EEEESJ_SL_NS1_16binary_search_opENSC_16wrapped_functionINS6_6system6detail7generic6detail18binary_search_lessEbEEEE10hipError_tPvRmT1_T2_T3_mmT4_T5_P12ihipStream_tbEUlRKS9_E_EESY_S12_S13_mS14_S17_bEUlT_E_NS1_11comp_targetILNS1_3genE0ELNS1_11target_archE4294967295ELNS1_3gpuE0ELNS1_3repE0EEENS1_30default_config_static_selectorELNS0_4arch9wavefront6targetE0EEEvS11_.num_named_barrier, 0
	.set _ZN7rocprim17ROCPRIM_400000_NS6detail17trampoline_kernelINS0_14default_configENS1_29binary_search_config_selectorIN6thrust23THRUST_200600_302600_NS5tupleIiiNS6_9null_typeES8_S8_S8_S8_S8_S8_S8_EEiEEZNS1_14transform_implILb0ES3_SA_NS6_6detail15normal_iteratorINS6_7pointerIS9_NS6_11hip_rocprim5par_tENS6_11use_defaultESH_EEEENSD_INSE_IiSG_SH_SH_EEEEZNS1_13binary_searchIS3_SA_NSD_INS6_10device_ptrIS9_EEEESJ_SL_NS1_16binary_search_opENSC_16wrapped_functionINS6_6system6detail7generic6detail18binary_search_lessEbEEEE10hipError_tPvRmT1_T2_T3_mmT4_T5_P12ihipStream_tbEUlRKS9_E_EESY_S12_S13_mS14_S17_bEUlT_E_NS1_11comp_targetILNS1_3genE0ELNS1_11target_archE4294967295ELNS1_3gpuE0ELNS1_3repE0EEENS1_30default_config_static_selectorELNS0_4arch9wavefront6targetE0EEEvS11_.private_seg_size, 0
	.set _ZN7rocprim17ROCPRIM_400000_NS6detail17trampoline_kernelINS0_14default_configENS1_29binary_search_config_selectorIN6thrust23THRUST_200600_302600_NS5tupleIiiNS6_9null_typeES8_S8_S8_S8_S8_S8_S8_EEiEEZNS1_14transform_implILb0ES3_SA_NS6_6detail15normal_iteratorINS6_7pointerIS9_NS6_11hip_rocprim5par_tENS6_11use_defaultESH_EEEENSD_INSE_IiSG_SH_SH_EEEEZNS1_13binary_searchIS3_SA_NSD_INS6_10device_ptrIS9_EEEESJ_SL_NS1_16binary_search_opENSC_16wrapped_functionINS6_6system6detail7generic6detail18binary_search_lessEbEEEE10hipError_tPvRmT1_T2_T3_mmT4_T5_P12ihipStream_tbEUlRKS9_E_EESY_S12_S13_mS14_S17_bEUlT_E_NS1_11comp_targetILNS1_3genE0ELNS1_11target_archE4294967295ELNS1_3gpuE0ELNS1_3repE0EEENS1_30default_config_static_selectorELNS0_4arch9wavefront6targetE0EEEvS11_.uses_vcc, 0
	.set _ZN7rocprim17ROCPRIM_400000_NS6detail17trampoline_kernelINS0_14default_configENS1_29binary_search_config_selectorIN6thrust23THRUST_200600_302600_NS5tupleIiiNS6_9null_typeES8_S8_S8_S8_S8_S8_S8_EEiEEZNS1_14transform_implILb0ES3_SA_NS6_6detail15normal_iteratorINS6_7pointerIS9_NS6_11hip_rocprim5par_tENS6_11use_defaultESH_EEEENSD_INSE_IiSG_SH_SH_EEEEZNS1_13binary_searchIS3_SA_NSD_INS6_10device_ptrIS9_EEEESJ_SL_NS1_16binary_search_opENSC_16wrapped_functionINS6_6system6detail7generic6detail18binary_search_lessEbEEEE10hipError_tPvRmT1_T2_T3_mmT4_T5_P12ihipStream_tbEUlRKS9_E_EESY_S12_S13_mS14_S17_bEUlT_E_NS1_11comp_targetILNS1_3genE0ELNS1_11target_archE4294967295ELNS1_3gpuE0ELNS1_3repE0EEENS1_30default_config_static_selectorELNS0_4arch9wavefront6targetE0EEEvS11_.uses_flat_scratch, 0
	.set _ZN7rocprim17ROCPRIM_400000_NS6detail17trampoline_kernelINS0_14default_configENS1_29binary_search_config_selectorIN6thrust23THRUST_200600_302600_NS5tupleIiiNS6_9null_typeES8_S8_S8_S8_S8_S8_S8_EEiEEZNS1_14transform_implILb0ES3_SA_NS6_6detail15normal_iteratorINS6_7pointerIS9_NS6_11hip_rocprim5par_tENS6_11use_defaultESH_EEEENSD_INSE_IiSG_SH_SH_EEEEZNS1_13binary_searchIS3_SA_NSD_INS6_10device_ptrIS9_EEEESJ_SL_NS1_16binary_search_opENSC_16wrapped_functionINS6_6system6detail7generic6detail18binary_search_lessEbEEEE10hipError_tPvRmT1_T2_T3_mmT4_T5_P12ihipStream_tbEUlRKS9_E_EESY_S12_S13_mS14_S17_bEUlT_E_NS1_11comp_targetILNS1_3genE0ELNS1_11target_archE4294967295ELNS1_3gpuE0ELNS1_3repE0EEENS1_30default_config_static_selectorELNS0_4arch9wavefront6targetE0EEEvS11_.has_dyn_sized_stack, 0
	.set _ZN7rocprim17ROCPRIM_400000_NS6detail17trampoline_kernelINS0_14default_configENS1_29binary_search_config_selectorIN6thrust23THRUST_200600_302600_NS5tupleIiiNS6_9null_typeES8_S8_S8_S8_S8_S8_S8_EEiEEZNS1_14transform_implILb0ES3_SA_NS6_6detail15normal_iteratorINS6_7pointerIS9_NS6_11hip_rocprim5par_tENS6_11use_defaultESH_EEEENSD_INSE_IiSG_SH_SH_EEEEZNS1_13binary_searchIS3_SA_NSD_INS6_10device_ptrIS9_EEEESJ_SL_NS1_16binary_search_opENSC_16wrapped_functionINS6_6system6detail7generic6detail18binary_search_lessEbEEEE10hipError_tPvRmT1_T2_T3_mmT4_T5_P12ihipStream_tbEUlRKS9_E_EESY_S12_S13_mS14_S17_bEUlT_E_NS1_11comp_targetILNS1_3genE0ELNS1_11target_archE4294967295ELNS1_3gpuE0ELNS1_3repE0EEENS1_30default_config_static_selectorELNS0_4arch9wavefront6targetE0EEEvS11_.has_recursion, 0
	.set _ZN7rocprim17ROCPRIM_400000_NS6detail17trampoline_kernelINS0_14default_configENS1_29binary_search_config_selectorIN6thrust23THRUST_200600_302600_NS5tupleIiiNS6_9null_typeES8_S8_S8_S8_S8_S8_S8_EEiEEZNS1_14transform_implILb0ES3_SA_NS6_6detail15normal_iteratorINS6_7pointerIS9_NS6_11hip_rocprim5par_tENS6_11use_defaultESH_EEEENSD_INSE_IiSG_SH_SH_EEEEZNS1_13binary_searchIS3_SA_NSD_INS6_10device_ptrIS9_EEEESJ_SL_NS1_16binary_search_opENSC_16wrapped_functionINS6_6system6detail7generic6detail18binary_search_lessEbEEEE10hipError_tPvRmT1_T2_T3_mmT4_T5_P12ihipStream_tbEUlRKS9_E_EESY_S12_S13_mS14_S17_bEUlT_E_NS1_11comp_targetILNS1_3genE0ELNS1_11target_archE4294967295ELNS1_3gpuE0ELNS1_3repE0EEENS1_30default_config_static_selectorELNS0_4arch9wavefront6targetE0EEEvS11_.has_indirect_call, 0
	.section	.AMDGPU.csdata,"",@progbits
; Kernel info:
; codeLenInByte = 0
; TotalNumSgprs: 0
; NumVgprs: 0
; ScratchSize: 0
; MemoryBound: 0
; FloatMode: 240
; IeeeMode: 1
; LDSByteSize: 0 bytes/workgroup (compile time only)
; SGPRBlocks: 0
; VGPRBlocks: 0
; NumSGPRsForWavesPerEU: 1
; NumVGPRsForWavesPerEU: 1
; Occupancy: 16
; WaveLimiterHint : 0
; COMPUTE_PGM_RSRC2:SCRATCH_EN: 0
; COMPUTE_PGM_RSRC2:USER_SGPR: 6
; COMPUTE_PGM_RSRC2:TRAP_HANDLER: 0
; COMPUTE_PGM_RSRC2:TGID_X_EN: 1
; COMPUTE_PGM_RSRC2:TGID_Y_EN: 0
; COMPUTE_PGM_RSRC2:TGID_Z_EN: 0
; COMPUTE_PGM_RSRC2:TIDIG_COMP_CNT: 0
	.section	.text._ZN7rocprim17ROCPRIM_400000_NS6detail17trampoline_kernelINS0_14default_configENS1_29binary_search_config_selectorIN6thrust23THRUST_200600_302600_NS5tupleIiiNS6_9null_typeES8_S8_S8_S8_S8_S8_S8_EEiEEZNS1_14transform_implILb0ES3_SA_NS6_6detail15normal_iteratorINS6_7pointerIS9_NS6_11hip_rocprim5par_tENS6_11use_defaultESH_EEEENSD_INSE_IiSG_SH_SH_EEEEZNS1_13binary_searchIS3_SA_NSD_INS6_10device_ptrIS9_EEEESJ_SL_NS1_16binary_search_opENSC_16wrapped_functionINS6_6system6detail7generic6detail18binary_search_lessEbEEEE10hipError_tPvRmT1_T2_T3_mmT4_T5_P12ihipStream_tbEUlRKS9_E_EESY_S12_S13_mS14_S17_bEUlT_E_NS1_11comp_targetILNS1_3genE5ELNS1_11target_archE942ELNS1_3gpuE9ELNS1_3repE0EEENS1_30default_config_static_selectorELNS0_4arch9wavefront6targetE0EEEvS11_,"axG",@progbits,_ZN7rocprim17ROCPRIM_400000_NS6detail17trampoline_kernelINS0_14default_configENS1_29binary_search_config_selectorIN6thrust23THRUST_200600_302600_NS5tupleIiiNS6_9null_typeES8_S8_S8_S8_S8_S8_S8_EEiEEZNS1_14transform_implILb0ES3_SA_NS6_6detail15normal_iteratorINS6_7pointerIS9_NS6_11hip_rocprim5par_tENS6_11use_defaultESH_EEEENSD_INSE_IiSG_SH_SH_EEEEZNS1_13binary_searchIS3_SA_NSD_INS6_10device_ptrIS9_EEEESJ_SL_NS1_16binary_search_opENSC_16wrapped_functionINS6_6system6detail7generic6detail18binary_search_lessEbEEEE10hipError_tPvRmT1_T2_T3_mmT4_T5_P12ihipStream_tbEUlRKS9_E_EESY_S12_S13_mS14_S17_bEUlT_E_NS1_11comp_targetILNS1_3genE5ELNS1_11target_archE942ELNS1_3gpuE9ELNS1_3repE0EEENS1_30default_config_static_selectorELNS0_4arch9wavefront6targetE0EEEvS11_,comdat
	.protected	_ZN7rocprim17ROCPRIM_400000_NS6detail17trampoline_kernelINS0_14default_configENS1_29binary_search_config_selectorIN6thrust23THRUST_200600_302600_NS5tupleIiiNS6_9null_typeES8_S8_S8_S8_S8_S8_S8_EEiEEZNS1_14transform_implILb0ES3_SA_NS6_6detail15normal_iteratorINS6_7pointerIS9_NS6_11hip_rocprim5par_tENS6_11use_defaultESH_EEEENSD_INSE_IiSG_SH_SH_EEEEZNS1_13binary_searchIS3_SA_NSD_INS6_10device_ptrIS9_EEEESJ_SL_NS1_16binary_search_opENSC_16wrapped_functionINS6_6system6detail7generic6detail18binary_search_lessEbEEEE10hipError_tPvRmT1_T2_T3_mmT4_T5_P12ihipStream_tbEUlRKS9_E_EESY_S12_S13_mS14_S17_bEUlT_E_NS1_11comp_targetILNS1_3genE5ELNS1_11target_archE942ELNS1_3gpuE9ELNS1_3repE0EEENS1_30default_config_static_selectorELNS0_4arch9wavefront6targetE0EEEvS11_ ; -- Begin function _ZN7rocprim17ROCPRIM_400000_NS6detail17trampoline_kernelINS0_14default_configENS1_29binary_search_config_selectorIN6thrust23THRUST_200600_302600_NS5tupleIiiNS6_9null_typeES8_S8_S8_S8_S8_S8_S8_EEiEEZNS1_14transform_implILb0ES3_SA_NS6_6detail15normal_iteratorINS6_7pointerIS9_NS6_11hip_rocprim5par_tENS6_11use_defaultESH_EEEENSD_INSE_IiSG_SH_SH_EEEEZNS1_13binary_searchIS3_SA_NSD_INS6_10device_ptrIS9_EEEESJ_SL_NS1_16binary_search_opENSC_16wrapped_functionINS6_6system6detail7generic6detail18binary_search_lessEbEEEE10hipError_tPvRmT1_T2_T3_mmT4_T5_P12ihipStream_tbEUlRKS9_E_EESY_S12_S13_mS14_S17_bEUlT_E_NS1_11comp_targetILNS1_3genE5ELNS1_11target_archE942ELNS1_3gpuE9ELNS1_3repE0EEENS1_30default_config_static_selectorELNS0_4arch9wavefront6targetE0EEEvS11_
	.globl	_ZN7rocprim17ROCPRIM_400000_NS6detail17trampoline_kernelINS0_14default_configENS1_29binary_search_config_selectorIN6thrust23THRUST_200600_302600_NS5tupleIiiNS6_9null_typeES8_S8_S8_S8_S8_S8_S8_EEiEEZNS1_14transform_implILb0ES3_SA_NS6_6detail15normal_iteratorINS6_7pointerIS9_NS6_11hip_rocprim5par_tENS6_11use_defaultESH_EEEENSD_INSE_IiSG_SH_SH_EEEEZNS1_13binary_searchIS3_SA_NSD_INS6_10device_ptrIS9_EEEESJ_SL_NS1_16binary_search_opENSC_16wrapped_functionINS6_6system6detail7generic6detail18binary_search_lessEbEEEE10hipError_tPvRmT1_T2_T3_mmT4_T5_P12ihipStream_tbEUlRKS9_E_EESY_S12_S13_mS14_S17_bEUlT_E_NS1_11comp_targetILNS1_3genE5ELNS1_11target_archE942ELNS1_3gpuE9ELNS1_3repE0EEENS1_30default_config_static_selectorELNS0_4arch9wavefront6targetE0EEEvS11_
	.p2align	8
	.type	_ZN7rocprim17ROCPRIM_400000_NS6detail17trampoline_kernelINS0_14default_configENS1_29binary_search_config_selectorIN6thrust23THRUST_200600_302600_NS5tupleIiiNS6_9null_typeES8_S8_S8_S8_S8_S8_S8_EEiEEZNS1_14transform_implILb0ES3_SA_NS6_6detail15normal_iteratorINS6_7pointerIS9_NS6_11hip_rocprim5par_tENS6_11use_defaultESH_EEEENSD_INSE_IiSG_SH_SH_EEEEZNS1_13binary_searchIS3_SA_NSD_INS6_10device_ptrIS9_EEEESJ_SL_NS1_16binary_search_opENSC_16wrapped_functionINS6_6system6detail7generic6detail18binary_search_lessEbEEEE10hipError_tPvRmT1_T2_T3_mmT4_T5_P12ihipStream_tbEUlRKS9_E_EESY_S12_S13_mS14_S17_bEUlT_E_NS1_11comp_targetILNS1_3genE5ELNS1_11target_archE942ELNS1_3gpuE9ELNS1_3repE0EEENS1_30default_config_static_selectorELNS0_4arch9wavefront6targetE0EEEvS11_,@function
_ZN7rocprim17ROCPRIM_400000_NS6detail17trampoline_kernelINS0_14default_configENS1_29binary_search_config_selectorIN6thrust23THRUST_200600_302600_NS5tupleIiiNS6_9null_typeES8_S8_S8_S8_S8_S8_S8_EEiEEZNS1_14transform_implILb0ES3_SA_NS6_6detail15normal_iteratorINS6_7pointerIS9_NS6_11hip_rocprim5par_tENS6_11use_defaultESH_EEEENSD_INSE_IiSG_SH_SH_EEEEZNS1_13binary_searchIS3_SA_NSD_INS6_10device_ptrIS9_EEEESJ_SL_NS1_16binary_search_opENSC_16wrapped_functionINS6_6system6detail7generic6detail18binary_search_lessEbEEEE10hipError_tPvRmT1_T2_T3_mmT4_T5_P12ihipStream_tbEUlRKS9_E_EESY_S12_S13_mS14_S17_bEUlT_E_NS1_11comp_targetILNS1_3genE5ELNS1_11target_archE942ELNS1_3gpuE9ELNS1_3repE0EEENS1_30default_config_static_selectorELNS0_4arch9wavefront6targetE0EEEvS11_: ; @_ZN7rocprim17ROCPRIM_400000_NS6detail17trampoline_kernelINS0_14default_configENS1_29binary_search_config_selectorIN6thrust23THRUST_200600_302600_NS5tupleIiiNS6_9null_typeES8_S8_S8_S8_S8_S8_S8_EEiEEZNS1_14transform_implILb0ES3_SA_NS6_6detail15normal_iteratorINS6_7pointerIS9_NS6_11hip_rocprim5par_tENS6_11use_defaultESH_EEEENSD_INSE_IiSG_SH_SH_EEEEZNS1_13binary_searchIS3_SA_NSD_INS6_10device_ptrIS9_EEEESJ_SL_NS1_16binary_search_opENSC_16wrapped_functionINS6_6system6detail7generic6detail18binary_search_lessEbEEEE10hipError_tPvRmT1_T2_T3_mmT4_T5_P12ihipStream_tbEUlRKS9_E_EESY_S12_S13_mS14_S17_bEUlT_E_NS1_11comp_targetILNS1_3genE5ELNS1_11target_archE942ELNS1_3gpuE9ELNS1_3repE0EEENS1_30default_config_static_selectorELNS0_4arch9wavefront6targetE0EEEvS11_
; %bb.0:
	.section	.rodata,"a",@progbits
	.p2align	6, 0x0
	.amdhsa_kernel _ZN7rocprim17ROCPRIM_400000_NS6detail17trampoline_kernelINS0_14default_configENS1_29binary_search_config_selectorIN6thrust23THRUST_200600_302600_NS5tupleIiiNS6_9null_typeES8_S8_S8_S8_S8_S8_S8_EEiEEZNS1_14transform_implILb0ES3_SA_NS6_6detail15normal_iteratorINS6_7pointerIS9_NS6_11hip_rocprim5par_tENS6_11use_defaultESH_EEEENSD_INSE_IiSG_SH_SH_EEEEZNS1_13binary_searchIS3_SA_NSD_INS6_10device_ptrIS9_EEEESJ_SL_NS1_16binary_search_opENSC_16wrapped_functionINS6_6system6detail7generic6detail18binary_search_lessEbEEEE10hipError_tPvRmT1_T2_T3_mmT4_T5_P12ihipStream_tbEUlRKS9_E_EESY_S12_S13_mS14_S17_bEUlT_E_NS1_11comp_targetILNS1_3genE5ELNS1_11target_archE942ELNS1_3gpuE9ELNS1_3repE0EEENS1_30default_config_static_selectorELNS0_4arch9wavefront6targetE0EEEvS11_
		.amdhsa_group_segment_fixed_size 0
		.amdhsa_private_segment_fixed_size 0
		.amdhsa_kernarg_size 56
		.amdhsa_user_sgpr_count 6
		.amdhsa_user_sgpr_private_segment_buffer 1
		.amdhsa_user_sgpr_dispatch_ptr 0
		.amdhsa_user_sgpr_queue_ptr 0
		.amdhsa_user_sgpr_kernarg_segment_ptr 1
		.amdhsa_user_sgpr_dispatch_id 0
		.amdhsa_user_sgpr_flat_scratch_init 0
		.amdhsa_user_sgpr_private_segment_size 0
		.amdhsa_wavefront_size32 1
		.amdhsa_uses_dynamic_stack 0
		.amdhsa_system_sgpr_private_segment_wavefront_offset 0
		.amdhsa_system_sgpr_workgroup_id_x 1
		.amdhsa_system_sgpr_workgroup_id_y 0
		.amdhsa_system_sgpr_workgroup_id_z 0
		.amdhsa_system_sgpr_workgroup_info 0
		.amdhsa_system_vgpr_workitem_id 0
		.amdhsa_next_free_vgpr 1
		.amdhsa_next_free_sgpr 1
		.amdhsa_reserve_vcc 0
		.amdhsa_reserve_flat_scratch 0
		.amdhsa_float_round_mode_32 0
		.amdhsa_float_round_mode_16_64 0
		.amdhsa_float_denorm_mode_32 3
		.amdhsa_float_denorm_mode_16_64 3
		.amdhsa_dx10_clamp 1
		.amdhsa_ieee_mode 1
		.amdhsa_fp16_overflow 0
		.amdhsa_workgroup_processor_mode 1
		.amdhsa_memory_ordered 1
		.amdhsa_forward_progress 1
		.amdhsa_shared_vgpr_count 0
		.amdhsa_exception_fp_ieee_invalid_op 0
		.amdhsa_exception_fp_denorm_src 0
		.amdhsa_exception_fp_ieee_div_zero 0
		.amdhsa_exception_fp_ieee_overflow 0
		.amdhsa_exception_fp_ieee_underflow 0
		.amdhsa_exception_fp_ieee_inexact 0
		.amdhsa_exception_int_div_zero 0
	.end_amdhsa_kernel
	.section	.text._ZN7rocprim17ROCPRIM_400000_NS6detail17trampoline_kernelINS0_14default_configENS1_29binary_search_config_selectorIN6thrust23THRUST_200600_302600_NS5tupleIiiNS6_9null_typeES8_S8_S8_S8_S8_S8_S8_EEiEEZNS1_14transform_implILb0ES3_SA_NS6_6detail15normal_iteratorINS6_7pointerIS9_NS6_11hip_rocprim5par_tENS6_11use_defaultESH_EEEENSD_INSE_IiSG_SH_SH_EEEEZNS1_13binary_searchIS3_SA_NSD_INS6_10device_ptrIS9_EEEESJ_SL_NS1_16binary_search_opENSC_16wrapped_functionINS6_6system6detail7generic6detail18binary_search_lessEbEEEE10hipError_tPvRmT1_T2_T3_mmT4_T5_P12ihipStream_tbEUlRKS9_E_EESY_S12_S13_mS14_S17_bEUlT_E_NS1_11comp_targetILNS1_3genE5ELNS1_11target_archE942ELNS1_3gpuE9ELNS1_3repE0EEENS1_30default_config_static_selectorELNS0_4arch9wavefront6targetE0EEEvS11_,"axG",@progbits,_ZN7rocprim17ROCPRIM_400000_NS6detail17trampoline_kernelINS0_14default_configENS1_29binary_search_config_selectorIN6thrust23THRUST_200600_302600_NS5tupleIiiNS6_9null_typeES8_S8_S8_S8_S8_S8_S8_EEiEEZNS1_14transform_implILb0ES3_SA_NS6_6detail15normal_iteratorINS6_7pointerIS9_NS6_11hip_rocprim5par_tENS6_11use_defaultESH_EEEENSD_INSE_IiSG_SH_SH_EEEEZNS1_13binary_searchIS3_SA_NSD_INS6_10device_ptrIS9_EEEESJ_SL_NS1_16binary_search_opENSC_16wrapped_functionINS6_6system6detail7generic6detail18binary_search_lessEbEEEE10hipError_tPvRmT1_T2_T3_mmT4_T5_P12ihipStream_tbEUlRKS9_E_EESY_S12_S13_mS14_S17_bEUlT_E_NS1_11comp_targetILNS1_3genE5ELNS1_11target_archE942ELNS1_3gpuE9ELNS1_3repE0EEENS1_30default_config_static_selectorELNS0_4arch9wavefront6targetE0EEEvS11_,comdat
.Lfunc_end726:
	.size	_ZN7rocprim17ROCPRIM_400000_NS6detail17trampoline_kernelINS0_14default_configENS1_29binary_search_config_selectorIN6thrust23THRUST_200600_302600_NS5tupleIiiNS6_9null_typeES8_S8_S8_S8_S8_S8_S8_EEiEEZNS1_14transform_implILb0ES3_SA_NS6_6detail15normal_iteratorINS6_7pointerIS9_NS6_11hip_rocprim5par_tENS6_11use_defaultESH_EEEENSD_INSE_IiSG_SH_SH_EEEEZNS1_13binary_searchIS3_SA_NSD_INS6_10device_ptrIS9_EEEESJ_SL_NS1_16binary_search_opENSC_16wrapped_functionINS6_6system6detail7generic6detail18binary_search_lessEbEEEE10hipError_tPvRmT1_T2_T3_mmT4_T5_P12ihipStream_tbEUlRKS9_E_EESY_S12_S13_mS14_S17_bEUlT_E_NS1_11comp_targetILNS1_3genE5ELNS1_11target_archE942ELNS1_3gpuE9ELNS1_3repE0EEENS1_30default_config_static_selectorELNS0_4arch9wavefront6targetE0EEEvS11_, .Lfunc_end726-_ZN7rocprim17ROCPRIM_400000_NS6detail17trampoline_kernelINS0_14default_configENS1_29binary_search_config_selectorIN6thrust23THRUST_200600_302600_NS5tupleIiiNS6_9null_typeES8_S8_S8_S8_S8_S8_S8_EEiEEZNS1_14transform_implILb0ES3_SA_NS6_6detail15normal_iteratorINS6_7pointerIS9_NS6_11hip_rocprim5par_tENS6_11use_defaultESH_EEEENSD_INSE_IiSG_SH_SH_EEEEZNS1_13binary_searchIS3_SA_NSD_INS6_10device_ptrIS9_EEEESJ_SL_NS1_16binary_search_opENSC_16wrapped_functionINS6_6system6detail7generic6detail18binary_search_lessEbEEEE10hipError_tPvRmT1_T2_T3_mmT4_T5_P12ihipStream_tbEUlRKS9_E_EESY_S12_S13_mS14_S17_bEUlT_E_NS1_11comp_targetILNS1_3genE5ELNS1_11target_archE942ELNS1_3gpuE9ELNS1_3repE0EEENS1_30default_config_static_selectorELNS0_4arch9wavefront6targetE0EEEvS11_
                                        ; -- End function
	.set _ZN7rocprim17ROCPRIM_400000_NS6detail17trampoline_kernelINS0_14default_configENS1_29binary_search_config_selectorIN6thrust23THRUST_200600_302600_NS5tupleIiiNS6_9null_typeES8_S8_S8_S8_S8_S8_S8_EEiEEZNS1_14transform_implILb0ES3_SA_NS6_6detail15normal_iteratorINS6_7pointerIS9_NS6_11hip_rocprim5par_tENS6_11use_defaultESH_EEEENSD_INSE_IiSG_SH_SH_EEEEZNS1_13binary_searchIS3_SA_NSD_INS6_10device_ptrIS9_EEEESJ_SL_NS1_16binary_search_opENSC_16wrapped_functionINS6_6system6detail7generic6detail18binary_search_lessEbEEEE10hipError_tPvRmT1_T2_T3_mmT4_T5_P12ihipStream_tbEUlRKS9_E_EESY_S12_S13_mS14_S17_bEUlT_E_NS1_11comp_targetILNS1_3genE5ELNS1_11target_archE942ELNS1_3gpuE9ELNS1_3repE0EEENS1_30default_config_static_selectorELNS0_4arch9wavefront6targetE0EEEvS11_.num_vgpr, 0
	.set _ZN7rocprim17ROCPRIM_400000_NS6detail17trampoline_kernelINS0_14default_configENS1_29binary_search_config_selectorIN6thrust23THRUST_200600_302600_NS5tupleIiiNS6_9null_typeES8_S8_S8_S8_S8_S8_S8_EEiEEZNS1_14transform_implILb0ES3_SA_NS6_6detail15normal_iteratorINS6_7pointerIS9_NS6_11hip_rocprim5par_tENS6_11use_defaultESH_EEEENSD_INSE_IiSG_SH_SH_EEEEZNS1_13binary_searchIS3_SA_NSD_INS6_10device_ptrIS9_EEEESJ_SL_NS1_16binary_search_opENSC_16wrapped_functionINS6_6system6detail7generic6detail18binary_search_lessEbEEEE10hipError_tPvRmT1_T2_T3_mmT4_T5_P12ihipStream_tbEUlRKS9_E_EESY_S12_S13_mS14_S17_bEUlT_E_NS1_11comp_targetILNS1_3genE5ELNS1_11target_archE942ELNS1_3gpuE9ELNS1_3repE0EEENS1_30default_config_static_selectorELNS0_4arch9wavefront6targetE0EEEvS11_.num_agpr, 0
	.set _ZN7rocprim17ROCPRIM_400000_NS6detail17trampoline_kernelINS0_14default_configENS1_29binary_search_config_selectorIN6thrust23THRUST_200600_302600_NS5tupleIiiNS6_9null_typeES8_S8_S8_S8_S8_S8_S8_EEiEEZNS1_14transform_implILb0ES3_SA_NS6_6detail15normal_iteratorINS6_7pointerIS9_NS6_11hip_rocprim5par_tENS6_11use_defaultESH_EEEENSD_INSE_IiSG_SH_SH_EEEEZNS1_13binary_searchIS3_SA_NSD_INS6_10device_ptrIS9_EEEESJ_SL_NS1_16binary_search_opENSC_16wrapped_functionINS6_6system6detail7generic6detail18binary_search_lessEbEEEE10hipError_tPvRmT1_T2_T3_mmT4_T5_P12ihipStream_tbEUlRKS9_E_EESY_S12_S13_mS14_S17_bEUlT_E_NS1_11comp_targetILNS1_3genE5ELNS1_11target_archE942ELNS1_3gpuE9ELNS1_3repE0EEENS1_30default_config_static_selectorELNS0_4arch9wavefront6targetE0EEEvS11_.numbered_sgpr, 0
	.set _ZN7rocprim17ROCPRIM_400000_NS6detail17trampoline_kernelINS0_14default_configENS1_29binary_search_config_selectorIN6thrust23THRUST_200600_302600_NS5tupleIiiNS6_9null_typeES8_S8_S8_S8_S8_S8_S8_EEiEEZNS1_14transform_implILb0ES3_SA_NS6_6detail15normal_iteratorINS6_7pointerIS9_NS6_11hip_rocprim5par_tENS6_11use_defaultESH_EEEENSD_INSE_IiSG_SH_SH_EEEEZNS1_13binary_searchIS3_SA_NSD_INS6_10device_ptrIS9_EEEESJ_SL_NS1_16binary_search_opENSC_16wrapped_functionINS6_6system6detail7generic6detail18binary_search_lessEbEEEE10hipError_tPvRmT1_T2_T3_mmT4_T5_P12ihipStream_tbEUlRKS9_E_EESY_S12_S13_mS14_S17_bEUlT_E_NS1_11comp_targetILNS1_3genE5ELNS1_11target_archE942ELNS1_3gpuE9ELNS1_3repE0EEENS1_30default_config_static_selectorELNS0_4arch9wavefront6targetE0EEEvS11_.num_named_barrier, 0
	.set _ZN7rocprim17ROCPRIM_400000_NS6detail17trampoline_kernelINS0_14default_configENS1_29binary_search_config_selectorIN6thrust23THRUST_200600_302600_NS5tupleIiiNS6_9null_typeES8_S8_S8_S8_S8_S8_S8_EEiEEZNS1_14transform_implILb0ES3_SA_NS6_6detail15normal_iteratorINS6_7pointerIS9_NS6_11hip_rocprim5par_tENS6_11use_defaultESH_EEEENSD_INSE_IiSG_SH_SH_EEEEZNS1_13binary_searchIS3_SA_NSD_INS6_10device_ptrIS9_EEEESJ_SL_NS1_16binary_search_opENSC_16wrapped_functionINS6_6system6detail7generic6detail18binary_search_lessEbEEEE10hipError_tPvRmT1_T2_T3_mmT4_T5_P12ihipStream_tbEUlRKS9_E_EESY_S12_S13_mS14_S17_bEUlT_E_NS1_11comp_targetILNS1_3genE5ELNS1_11target_archE942ELNS1_3gpuE9ELNS1_3repE0EEENS1_30default_config_static_selectorELNS0_4arch9wavefront6targetE0EEEvS11_.private_seg_size, 0
	.set _ZN7rocprim17ROCPRIM_400000_NS6detail17trampoline_kernelINS0_14default_configENS1_29binary_search_config_selectorIN6thrust23THRUST_200600_302600_NS5tupleIiiNS6_9null_typeES8_S8_S8_S8_S8_S8_S8_EEiEEZNS1_14transform_implILb0ES3_SA_NS6_6detail15normal_iteratorINS6_7pointerIS9_NS6_11hip_rocprim5par_tENS6_11use_defaultESH_EEEENSD_INSE_IiSG_SH_SH_EEEEZNS1_13binary_searchIS3_SA_NSD_INS6_10device_ptrIS9_EEEESJ_SL_NS1_16binary_search_opENSC_16wrapped_functionINS6_6system6detail7generic6detail18binary_search_lessEbEEEE10hipError_tPvRmT1_T2_T3_mmT4_T5_P12ihipStream_tbEUlRKS9_E_EESY_S12_S13_mS14_S17_bEUlT_E_NS1_11comp_targetILNS1_3genE5ELNS1_11target_archE942ELNS1_3gpuE9ELNS1_3repE0EEENS1_30default_config_static_selectorELNS0_4arch9wavefront6targetE0EEEvS11_.uses_vcc, 0
	.set _ZN7rocprim17ROCPRIM_400000_NS6detail17trampoline_kernelINS0_14default_configENS1_29binary_search_config_selectorIN6thrust23THRUST_200600_302600_NS5tupleIiiNS6_9null_typeES8_S8_S8_S8_S8_S8_S8_EEiEEZNS1_14transform_implILb0ES3_SA_NS6_6detail15normal_iteratorINS6_7pointerIS9_NS6_11hip_rocprim5par_tENS6_11use_defaultESH_EEEENSD_INSE_IiSG_SH_SH_EEEEZNS1_13binary_searchIS3_SA_NSD_INS6_10device_ptrIS9_EEEESJ_SL_NS1_16binary_search_opENSC_16wrapped_functionINS6_6system6detail7generic6detail18binary_search_lessEbEEEE10hipError_tPvRmT1_T2_T3_mmT4_T5_P12ihipStream_tbEUlRKS9_E_EESY_S12_S13_mS14_S17_bEUlT_E_NS1_11comp_targetILNS1_3genE5ELNS1_11target_archE942ELNS1_3gpuE9ELNS1_3repE0EEENS1_30default_config_static_selectorELNS0_4arch9wavefront6targetE0EEEvS11_.uses_flat_scratch, 0
	.set _ZN7rocprim17ROCPRIM_400000_NS6detail17trampoline_kernelINS0_14default_configENS1_29binary_search_config_selectorIN6thrust23THRUST_200600_302600_NS5tupleIiiNS6_9null_typeES8_S8_S8_S8_S8_S8_S8_EEiEEZNS1_14transform_implILb0ES3_SA_NS6_6detail15normal_iteratorINS6_7pointerIS9_NS6_11hip_rocprim5par_tENS6_11use_defaultESH_EEEENSD_INSE_IiSG_SH_SH_EEEEZNS1_13binary_searchIS3_SA_NSD_INS6_10device_ptrIS9_EEEESJ_SL_NS1_16binary_search_opENSC_16wrapped_functionINS6_6system6detail7generic6detail18binary_search_lessEbEEEE10hipError_tPvRmT1_T2_T3_mmT4_T5_P12ihipStream_tbEUlRKS9_E_EESY_S12_S13_mS14_S17_bEUlT_E_NS1_11comp_targetILNS1_3genE5ELNS1_11target_archE942ELNS1_3gpuE9ELNS1_3repE0EEENS1_30default_config_static_selectorELNS0_4arch9wavefront6targetE0EEEvS11_.has_dyn_sized_stack, 0
	.set _ZN7rocprim17ROCPRIM_400000_NS6detail17trampoline_kernelINS0_14default_configENS1_29binary_search_config_selectorIN6thrust23THRUST_200600_302600_NS5tupleIiiNS6_9null_typeES8_S8_S8_S8_S8_S8_S8_EEiEEZNS1_14transform_implILb0ES3_SA_NS6_6detail15normal_iteratorINS6_7pointerIS9_NS6_11hip_rocprim5par_tENS6_11use_defaultESH_EEEENSD_INSE_IiSG_SH_SH_EEEEZNS1_13binary_searchIS3_SA_NSD_INS6_10device_ptrIS9_EEEESJ_SL_NS1_16binary_search_opENSC_16wrapped_functionINS6_6system6detail7generic6detail18binary_search_lessEbEEEE10hipError_tPvRmT1_T2_T3_mmT4_T5_P12ihipStream_tbEUlRKS9_E_EESY_S12_S13_mS14_S17_bEUlT_E_NS1_11comp_targetILNS1_3genE5ELNS1_11target_archE942ELNS1_3gpuE9ELNS1_3repE0EEENS1_30default_config_static_selectorELNS0_4arch9wavefront6targetE0EEEvS11_.has_recursion, 0
	.set _ZN7rocprim17ROCPRIM_400000_NS6detail17trampoline_kernelINS0_14default_configENS1_29binary_search_config_selectorIN6thrust23THRUST_200600_302600_NS5tupleIiiNS6_9null_typeES8_S8_S8_S8_S8_S8_S8_EEiEEZNS1_14transform_implILb0ES3_SA_NS6_6detail15normal_iteratorINS6_7pointerIS9_NS6_11hip_rocprim5par_tENS6_11use_defaultESH_EEEENSD_INSE_IiSG_SH_SH_EEEEZNS1_13binary_searchIS3_SA_NSD_INS6_10device_ptrIS9_EEEESJ_SL_NS1_16binary_search_opENSC_16wrapped_functionINS6_6system6detail7generic6detail18binary_search_lessEbEEEE10hipError_tPvRmT1_T2_T3_mmT4_T5_P12ihipStream_tbEUlRKS9_E_EESY_S12_S13_mS14_S17_bEUlT_E_NS1_11comp_targetILNS1_3genE5ELNS1_11target_archE942ELNS1_3gpuE9ELNS1_3repE0EEENS1_30default_config_static_selectorELNS0_4arch9wavefront6targetE0EEEvS11_.has_indirect_call, 0
	.section	.AMDGPU.csdata,"",@progbits
; Kernel info:
; codeLenInByte = 0
; TotalNumSgprs: 0
; NumVgprs: 0
; ScratchSize: 0
; MemoryBound: 0
; FloatMode: 240
; IeeeMode: 1
; LDSByteSize: 0 bytes/workgroup (compile time only)
; SGPRBlocks: 0
; VGPRBlocks: 0
; NumSGPRsForWavesPerEU: 1
; NumVGPRsForWavesPerEU: 1
; Occupancy: 16
; WaveLimiterHint : 0
; COMPUTE_PGM_RSRC2:SCRATCH_EN: 0
; COMPUTE_PGM_RSRC2:USER_SGPR: 6
; COMPUTE_PGM_RSRC2:TRAP_HANDLER: 0
; COMPUTE_PGM_RSRC2:TGID_X_EN: 1
; COMPUTE_PGM_RSRC2:TGID_Y_EN: 0
; COMPUTE_PGM_RSRC2:TGID_Z_EN: 0
; COMPUTE_PGM_RSRC2:TIDIG_COMP_CNT: 0
	.section	.text._ZN7rocprim17ROCPRIM_400000_NS6detail17trampoline_kernelINS0_14default_configENS1_29binary_search_config_selectorIN6thrust23THRUST_200600_302600_NS5tupleIiiNS6_9null_typeES8_S8_S8_S8_S8_S8_S8_EEiEEZNS1_14transform_implILb0ES3_SA_NS6_6detail15normal_iteratorINS6_7pointerIS9_NS6_11hip_rocprim5par_tENS6_11use_defaultESH_EEEENSD_INSE_IiSG_SH_SH_EEEEZNS1_13binary_searchIS3_SA_NSD_INS6_10device_ptrIS9_EEEESJ_SL_NS1_16binary_search_opENSC_16wrapped_functionINS6_6system6detail7generic6detail18binary_search_lessEbEEEE10hipError_tPvRmT1_T2_T3_mmT4_T5_P12ihipStream_tbEUlRKS9_E_EESY_S12_S13_mS14_S17_bEUlT_E_NS1_11comp_targetILNS1_3genE4ELNS1_11target_archE910ELNS1_3gpuE8ELNS1_3repE0EEENS1_30default_config_static_selectorELNS0_4arch9wavefront6targetE0EEEvS11_,"axG",@progbits,_ZN7rocprim17ROCPRIM_400000_NS6detail17trampoline_kernelINS0_14default_configENS1_29binary_search_config_selectorIN6thrust23THRUST_200600_302600_NS5tupleIiiNS6_9null_typeES8_S8_S8_S8_S8_S8_S8_EEiEEZNS1_14transform_implILb0ES3_SA_NS6_6detail15normal_iteratorINS6_7pointerIS9_NS6_11hip_rocprim5par_tENS6_11use_defaultESH_EEEENSD_INSE_IiSG_SH_SH_EEEEZNS1_13binary_searchIS3_SA_NSD_INS6_10device_ptrIS9_EEEESJ_SL_NS1_16binary_search_opENSC_16wrapped_functionINS6_6system6detail7generic6detail18binary_search_lessEbEEEE10hipError_tPvRmT1_T2_T3_mmT4_T5_P12ihipStream_tbEUlRKS9_E_EESY_S12_S13_mS14_S17_bEUlT_E_NS1_11comp_targetILNS1_3genE4ELNS1_11target_archE910ELNS1_3gpuE8ELNS1_3repE0EEENS1_30default_config_static_selectorELNS0_4arch9wavefront6targetE0EEEvS11_,comdat
	.protected	_ZN7rocprim17ROCPRIM_400000_NS6detail17trampoline_kernelINS0_14default_configENS1_29binary_search_config_selectorIN6thrust23THRUST_200600_302600_NS5tupleIiiNS6_9null_typeES8_S8_S8_S8_S8_S8_S8_EEiEEZNS1_14transform_implILb0ES3_SA_NS6_6detail15normal_iteratorINS6_7pointerIS9_NS6_11hip_rocprim5par_tENS6_11use_defaultESH_EEEENSD_INSE_IiSG_SH_SH_EEEEZNS1_13binary_searchIS3_SA_NSD_INS6_10device_ptrIS9_EEEESJ_SL_NS1_16binary_search_opENSC_16wrapped_functionINS6_6system6detail7generic6detail18binary_search_lessEbEEEE10hipError_tPvRmT1_T2_T3_mmT4_T5_P12ihipStream_tbEUlRKS9_E_EESY_S12_S13_mS14_S17_bEUlT_E_NS1_11comp_targetILNS1_3genE4ELNS1_11target_archE910ELNS1_3gpuE8ELNS1_3repE0EEENS1_30default_config_static_selectorELNS0_4arch9wavefront6targetE0EEEvS11_ ; -- Begin function _ZN7rocprim17ROCPRIM_400000_NS6detail17trampoline_kernelINS0_14default_configENS1_29binary_search_config_selectorIN6thrust23THRUST_200600_302600_NS5tupleIiiNS6_9null_typeES8_S8_S8_S8_S8_S8_S8_EEiEEZNS1_14transform_implILb0ES3_SA_NS6_6detail15normal_iteratorINS6_7pointerIS9_NS6_11hip_rocprim5par_tENS6_11use_defaultESH_EEEENSD_INSE_IiSG_SH_SH_EEEEZNS1_13binary_searchIS3_SA_NSD_INS6_10device_ptrIS9_EEEESJ_SL_NS1_16binary_search_opENSC_16wrapped_functionINS6_6system6detail7generic6detail18binary_search_lessEbEEEE10hipError_tPvRmT1_T2_T3_mmT4_T5_P12ihipStream_tbEUlRKS9_E_EESY_S12_S13_mS14_S17_bEUlT_E_NS1_11comp_targetILNS1_3genE4ELNS1_11target_archE910ELNS1_3gpuE8ELNS1_3repE0EEENS1_30default_config_static_selectorELNS0_4arch9wavefront6targetE0EEEvS11_
	.globl	_ZN7rocprim17ROCPRIM_400000_NS6detail17trampoline_kernelINS0_14default_configENS1_29binary_search_config_selectorIN6thrust23THRUST_200600_302600_NS5tupleIiiNS6_9null_typeES8_S8_S8_S8_S8_S8_S8_EEiEEZNS1_14transform_implILb0ES3_SA_NS6_6detail15normal_iteratorINS6_7pointerIS9_NS6_11hip_rocprim5par_tENS6_11use_defaultESH_EEEENSD_INSE_IiSG_SH_SH_EEEEZNS1_13binary_searchIS3_SA_NSD_INS6_10device_ptrIS9_EEEESJ_SL_NS1_16binary_search_opENSC_16wrapped_functionINS6_6system6detail7generic6detail18binary_search_lessEbEEEE10hipError_tPvRmT1_T2_T3_mmT4_T5_P12ihipStream_tbEUlRKS9_E_EESY_S12_S13_mS14_S17_bEUlT_E_NS1_11comp_targetILNS1_3genE4ELNS1_11target_archE910ELNS1_3gpuE8ELNS1_3repE0EEENS1_30default_config_static_selectorELNS0_4arch9wavefront6targetE0EEEvS11_
	.p2align	8
	.type	_ZN7rocprim17ROCPRIM_400000_NS6detail17trampoline_kernelINS0_14default_configENS1_29binary_search_config_selectorIN6thrust23THRUST_200600_302600_NS5tupleIiiNS6_9null_typeES8_S8_S8_S8_S8_S8_S8_EEiEEZNS1_14transform_implILb0ES3_SA_NS6_6detail15normal_iteratorINS6_7pointerIS9_NS6_11hip_rocprim5par_tENS6_11use_defaultESH_EEEENSD_INSE_IiSG_SH_SH_EEEEZNS1_13binary_searchIS3_SA_NSD_INS6_10device_ptrIS9_EEEESJ_SL_NS1_16binary_search_opENSC_16wrapped_functionINS6_6system6detail7generic6detail18binary_search_lessEbEEEE10hipError_tPvRmT1_T2_T3_mmT4_T5_P12ihipStream_tbEUlRKS9_E_EESY_S12_S13_mS14_S17_bEUlT_E_NS1_11comp_targetILNS1_3genE4ELNS1_11target_archE910ELNS1_3gpuE8ELNS1_3repE0EEENS1_30default_config_static_selectorELNS0_4arch9wavefront6targetE0EEEvS11_,@function
_ZN7rocprim17ROCPRIM_400000_NS6detail17trampoline_kernelINS0_14default_configENS1_29binary_search_config_selectorIN6thrust23THRUST_200600_302600_NS5tupleIiiNS6_9null_typeES8_S8_S8_S8_S8_S8_S8_EEiEEZNS1_14transform_implILb0ES3_SA_NS6_6detail15normal_iteratorINS6_7pointerIS9_NS6_11hip_rocprim5par_tENS6_11use_defaultESH_EEEENSD_INSE_IiSG_SH_SH_EEEEZNS1_13binary_searchIS3_SA_NSD_INS6_10device_ptrIS9_EEEESJ_SL_NS1_16binary_search_opENSC_16wrapped_functionINS6_6system6detail7generic6detail18binary_search_lessEbEEEE10hipError_tPvRmT1_T2_T3_mmT4_T5_P12ihipStream_tbEUlRKS9_E_EESY_S12_S13_mS14_S17_bEUlT_E_NS1_11comp_targetILNS1_3genE4ELNS1_11target_archE910ELNS1_3gpuE8ELNS1_3repE0EEENS1_30default_config_static_selectorELNS0_4arch9wavefront6targetE0EEEvS11_: ; @_ZN7rocprim17ROCPRIM_400000_NS6detail17trampoline_kernelINS0_14default_configENS1_29binary_search_config_selectorIN6thrust23THRUST_200600_302600_NS5tupleIiiNS6_9null_typeES8_S8_S8_S8_S8_S8_S8_EEiEEZNS1_14transform_implILb0ES3_SA_NS6_6detail15normal_iteratorINS6_7pointerIS9_NS6_11hip_rocprim5par_tENS6_11use_defaultESH_EEEENSD_INSE_IiSG_SH_SH_EEEEZNS1_13binary_searchIS3_SA_NSD_INS6_10device_ptrIS9_EEEESJ_SL_NS1_16binary_search_opENSC_16wrapped_functionINS6_6system6detail7generic6detail18binary_search_lessEbEEEE10hipError_tPvRmT1_T2_T3_mmT4_T5_P12ihipStream_tbEUlRKS9_E_EESY_S12_S13_mS14_S17_bEUlT_E_NS1_11comp_targetILNS1_3genE4ELNS1_11target_archE910ELNS1_3gpuE8ELNS1_3repE0EEENS1_30default_config_static_selectorELNS0_4arch9wavefront6targetE0EEEvS11_
; %bb.0:
	.section	.rodata,"a",@progbits
	.p2align	6, 0x0
	.amdhsa_kernel _ZN7rocprim17ROCPRIM_400000_NS6detail17trampoline_kernelINS0_14default_configENS1_29binary_search_config_selectorIN6thrust23THRUST_200600_302600_NS5tupleIiiNS6_9null_typeES8_S8_S8_S8_S8_S8_S8_EEiEEZNS1_14transform_implILb0ES3_SA_NS6_6detail15normal_iteratorINS6_7pointerIS9_NS6_11hip_rocprim5par_tENS6_11use_defaultESH_EEEENSD_INSE_IiSG_SH_SH_EEEEZNS1_13binary_searchIS3_SA_NSD_INS6_10device_ptrIS9_EEEESJ_SL_NS1_16binary_search_opENSC_16wrapped_functionINS6_6system6detail7generic6detail18binary_search_lessEbEEEE10hipError_tPvRmT1_T2_T3_mmT4_T5_P12ihipStream_tbEUlRKS9_E_EESY_S12_S13_mS14_S17_bEUlT_E_NS1_11comp_targetILNS1_3genE4ELNS1_11target_archE910ELNS1_3gpuE8ELNS1_3repE0EEENS1_30default_config_static_selectorELNS0_4arch9wavefront6targetE0EEEvS11_
		.amdhsa_group_segment_fixed_size 0
		.amdhsa_private_segment_fixed_size 0
		.amdhsa_kernarg_size 56
		.amdhsa_user_sgpr_count 6
		.amdhsa_user_sgpr_private_segment_buffer 1
		.amdhsa_user_sgpr_dispatch_ptr 0
		.amdhsa_user_sgpr_queue_ptr 0
		.amdhsa_user_sgpr_kernarg_segment_ptr 1
		.amdhsa_user_sgpr_dispatch_id 0
		.amdhsa_user_sgpr_flat_scratch_init 0
		.amdhsa_user_sgpr_private_segment_size 0
		.amdhsa_wavefront_size32 1
		.amdhsa_uses_dynamic_stack 0
		.amdhsa_system_sgpr_private_segment_wavefront_offset 0
		.amdhsa_system_sgpr_workgroup_id_x 1
		.amdhsa_system_sgpr_workgroup_id_y 0
		.amdhsa_system_sgpr_workgroup_id_z 0
		.amdhsa_system_sgpr_workgroup_info 0
		.amdhsa_system_vgpr_workitem_id 0
		.amdhsa_next_free_vgpr 1
		.amdhsa_next_free_sgpr 1
		.amdhsa_reserve_vcc 0
		.amdhsa_reserve_flat_scratch 0
		.amdhsa_float_round_mode_32 0
		.amdhsa_float_round_mode_16_64 0
		.amdhsa_float_denorm_mode_32 3
		.amdhsa_float_denorm_mode_16_64 3
		.amdhsa_dx10_clamp 1
		.amdhsa_ieee_mode 1
		.amdhsa_fp16_overflow 0
		.amdhsa_workgroup_processor_mode 1
		.amdhsa_memory_ordered 1
		.amdhsa_forward_progress 1
		.amdhsa_shared_vgpr_count 0
		.amdhsa_exception_fp_ieee_invalid_op 0
		.amdhsa_exception_fp_denorm_src 0
		.amdhsa_exception_fp_ieee_div_zero 0
		.amdhsa_exception_fp_ieee_overflow 0
		.amdhsa_exception_fp_ieee_underflow 0
		.amdhsa_exception_fp_ieee_inexact 0
		.amdhsa_exception_int_div_zero 0
	.end_amdhsa_kernel
	.section	.text._ZN7rocprim17ROCPRIM_400000_NS6detail17trampoline_kernelINS0_14default_configENS1_29binary_search_config_selectorIN6thrust23THRUST_200600_302600_NS5tupleIiiNS6_9null_typeES8_S8_S8_S8_S8_S8_S8_EEiEEZNS1_14transform_implILb0ES3_SA_NS6_6detail15normal_iteratorINS6_7pointerIS9_NS6_11hip_rocprim5par_tENS6_11use_defaultESH_EEEENSD_INSE_IiSG_SH_SH_EEEEZNS1_13binary_searchIS3_SA_NSD_INS6_10device_ptrIS9_EEEESJ_SL_NS1_16binary_search_opENSC_16wrapped_functionINS6_6system6detail7generic6detail18binary_search_lessEbEEEE10hipError_tPvRmT1_T2_T3_mmT4_T5_P12ihipStream_tbEUlRKS9_E_EESY_S12_S13_mS14_S17_bEUlT_E_NS1_11comp_targetILNS1_3genE4ELNS1_11target_archE910ELNS1_3gpuE8ELNS1_3repE0EEENS1_30default_config_static_selectorELNS0_4arch9wavefront6targetE0EEEvS11_,"axG",@progbits,_ZN7rocprim17ROCPRIM_400000_NS6detail17trampoline_kernelINS0_14default_configENS1_29binary_search_config_selectorIN6thrust23THRUST_200600_302600_NS5tupleIiiNS6_9null_typeES8_S8_S8_S8_S8_S8_S8_EEiEEZNS1_14transform_implILb0ES3_SA_NS6_6detail15normal_iteratorINS6_7pointerIS9_NS6_11hip_rocprim5par_tENS6_11use_defaultESH_EEEENSD_INSE_IiSG_SH_SH_EEEEZNS1_13binary_searchIS3_SA_NSD_INS6_10device_ptrIS9_EEEESJ_SL_NS1_16binary_search_opENSC_16wrapped_functionINS6_6system6detail7generic6detail18binary_search_lessEbEEEE10hipError_tPvRmT1_T2_T3_mmT4_T5_P12ihipStream_tbEUlRKS9_E_EESY_S12_S13_mS14_S17_bEUlT_E_NS1_11comp_targetILNS1_3genE4ELNS1_11target_archE910ELNS1_3gpuE8ELNS1_3repE0EEENS1_30default_config_static_selectorELNS0_4arch9wavefront6targetE0EEEvS11_,comdat
.Lfunc_end727:
	.size	_ZN7rocprim17ROCPRIM_400000_NS6detail17trampoline_kernelINS0_14default_configENS1_29binary_search_config_selectorIN6thrust23THRUST_200600_302600_NS5tupleIiiNS6_9null_typeES8_S8_S8_S8_S8_S8_S8_EEiEEZNS1_14transform_implILb0ES3_SA_NS6_6detail15normal_iteratorINS6_7pointerIS9_NS6_11hip_rocprim5par_tENS6_11use_defaultESH_EEEENSD_INSE_IiSG_SH_SH_EEEEZNS1_13binary_searchIS3_SA_NSD_INS6_10device_ptrIS9_EEEESJ_SL_NS1_16binary_search_opENSC_16wrapped_functionINS6_6system6detail7generic6detail18binary_search_lessEbEEEE10hipError_tPvRmT1_T2_T3_mmT4_T5_P12ihipStream_tbEUlRKS9_E_EESY_S12_S13_mS14_S17_bEUlT_E_NS1_11comp_targetILNS1_3genE4ELNS1_11target_archE910ELNS1_3gpuE8ELNS1_3repE0EEENS1_30default_config_static_selectorELNS0_4arch9wavefront6targetE0EEEvS11_, .Lfunc_end727-_ZN7rocprim17ROCPRIM_400000_NS6detail17trampoline_kernelINS0_14default_configENS1_29binary_search_config_selectorIN6thrust23THRUST_200600_302600_NS5tupleIiiNS6_9null_typeES8_S8_S8_S8_S8_S8_S8_EEiEEZNS1_14transform_implILb0ES3_SA_NS6_6detail15normal_iteratorINS6_7pointerIS9_NS6_11hip_rocprim5par_tENS6_11use_defaultESH_EEEENSD_INSE_IiSG_SH_SH_EEEEZNS1_13binary_searchIS3_SA_NSD_INS6_10device_ptrIS9_EEEESJ_SL_NS1_16binary_search_opENSC_16wrapped_functionINS6_6system6detail7generic6detail18binary_search_lessEbEEEE10hipError_tPvRmT1_T2_T3_mmT4_T5_P12ihipStream_tbEUlRKS9_E_EESY_S12_S13_mS14_S17_bEUlT_E_NS1_11comp_targetILNS1_3genE4ELNS1_11target_archE910ELNS1_3gpuE8ELNS1_3repE0EEENS1_30default_config_static_selectorELNS0_4arch9wavefront6targetE0EEEvS11_
                                        ; -- End function
	.set _ZN7rocprim17ROCPRIM_400000_NS6detail17trampoline_kernelINS0_14default_configENS1_29binary_search_config_selectorIN6thrust23THRUST_200600_302600_NS5tupleIiiNS6_9null_typeES8_S8_S8_S8_S8_S8_S8_EEiEEZNS1_14transform_implILb0ES3_SA_NS6_6detail15normal_iteratorINS6_7pointerIS9_NS6_11hip_rocprim5par_tENS6_11use_defaultESH_EEEENSD_INSE_IiSG_SH_SH_EEEEZNS1_13binary_searchIS3_SA_NSD_INS6_10device_ptrIS9_EEEESJ_SL_NS1_16binary_search_opENSC_16wrapped_functionINS6_6system6detail7generic6detail18binary_search_lessEbEEEE10hipError_tPvRmT1_T2_T3_mmT4_T5_P12ihipStream_tbEUlRKS9_E_EESY_S12_S13_mS14_S17_bEUlT_E_NS1_11comp_targetILNS1_3genE4ELNS1_11target_archE910ELNS1_3gpuE8ELNS1_3repE0EEENS1_30default_config_static_selectorELNS0_4arch9wavefront6targetE0EEEvS11_.num_vgpr, 0
	.set _ZN7rocprim17ROCPRIM_400000_NS6detail17trampoline_kernelINS0_14default_configENS1_29binary_search_config_selectorIN6thrust23THRUST_200600_302600_NS5tupleIiiNS6_9null_typeES8_S8_S8_S8_S8_S8_S8_EEiEEZNS1_14transform_implILb0ES3_SA_NS6_6detail15normal_iteratorINS6_7pointerIS9_NS6_11hip_rocprim5par_tENS6_11use_defaultESH_EEEENSD_INSE_IiSG_SH_SH_EEEEZNS1_13binary_searchIS3_SA_NSD_INS6_10device_ptrIS9_EEEESJ_SL_NS1_16binary_search_opENSC_16wrapped_functionINS6_6system6detail7generic6detail18binary_search_lessEbEEEE10hipError_tPvRmT1_T2_T3_mmT4_T5_P12ihipStream_tbEUlRKS9_E_EESY_S12_S13_mS14_S17_bEUlT_E_NS1_11comp_targetILNS1_3genE4ELNS1_11target_archE910ELNS1_3gpuE8ELNS1_3repE0EEENS1_30default_config_static_selectorELNS0_4arch9wavefront6targetE0EEEvS11_.num_agpr, 0
	.set _ZN7rocprim17ROCPRIM_400000_NS6detail17trampoline_kernelINS0_14default_configENS1_29binary_search_config_selectorIN6thrust23THRUST_200600_302600_NS5tupleIiiNS6_9null_typeES8_S8_S8_S8_S8_S8_S8_EEiEEZNS1_14transform_implILb0ES3_SA_NS6_6detail15normal_iteratorINS6_7pointerIS9_NS6_11hip_rocprim5par_tENS6_11use_defaultESH_EEEENSD_INSE_IiSG_SH_SH_EEEEZNS1_13binary_searchIS3_SA_NSD_INS6_10device_ptrIS9_EEEESJ_SL_NS1_16binary_search_opENSC_16wrapped_functionINS6_6system6detail7generic6detail18binary_search_lessEbEEEE10hipError_tPvRmT1_T2_T3_mmT4_T5_P12ihipStream_tbEUlRKS9_E_EESY_S12_S13_mS14_S17_bEUlT_E_NS1_11comp_targetILNS1_3genE4ELNS1_11target_archE910ELNS1_3gpuE8ELNS1_3repE0EEENS1_30default_config_static_selectorELNS0_4arch9wavefront6targetE0EEEvS11_.numbered_sgpr, 0
	.set _ZN7rocprim17ROCPRIM_400000_NS6detail17trampoline_kernelINS0_14default_configENS1_29binary_search_config_selectorIN6thrust23THRUST_200600_302600_NS5tupleIiiNS6_9null_typeES8_S8_S8_S8_S8_S8_S8_EEiEEZNS1_14transform_implILb0ES3_SA_NS6_6detail15normal_iteratorINS6_7pointerIS9_NS6_11hip_rocprim5par_tENS6_11use_defaultESH_EEEENSD_INSE_IiSG_SH_SH_EEEEZNS1_13binary_searchIS3_SA_NSD_INS6_10device_ptrIS9_EEEESJ_SL_NS1_16binary_search_opENSC_16wrapped_functionINS6_6system6detail7generic6detail18binary_search_lessEbEEEE10hipError_tPvRmT1_T2_T3_mmT4_T5_P12ihipStream_tbEUlRKS9_E_EESY_S12_S13_mS14_S17_bEUlT_E_NS1_11comp_targetILNS1_3genE4ELNS1_11target_archE910ELNS1_3gpuE8ELNS1_3repE0EEENS1_30default_config_static_selectorELNS0_4arch9wavefront6targetE0EEEvS11_.num_named_barrier, 0
	.set _ZN7rocprim17ROCPRIM_400000_NS6detail17trampoline_kernelINS0_14default_configENS1_29binary_search_config_selectorIN6thrust23THRUST_200600_302600_NS5tupleIiiNS6_9null_typeES8_S8_S8_S8_S8_S8_S8_EEiEEZNS1_14transform_implILb0ES3_SA_NS6_6detail15normal_iteratorINS6_7pointerIS9_NS6_11hip_rocprim5par_tENS6_11use_defaultESH_EEEENSD_INSE_IiSG_SH_SH_EEEEZNS1_13binary_searchIS3_SA_NSD_INS6_10device_ptrIS9_EEEESJ_SL_NS1_16binary_search_opENSC_16wrapped_functionINS6_6system6detail7generic6detail18binary_search_lessEbEEEE10hipError_tPvRmT1_T2_T3_mmT4_T5_P12ihipStream_tbEUlRKS9_E_EESY_S12_S13_mS14_S17_bEUlT_E_NS1_11comp_targetILNS1_3genE4ELNS1_11target_archE910ELNS1_3gpuE8ELNS1_3repE0EEENS1_30default_config_static_selectorELNS0_4arch9wavefront6targetE0EEEvS11_.private_seg_size, 0
	.set _ZN7rocprim17ROCPRIM_400000_NS6detail17trampoline_kernelINS0_14default_configENS1_29binary_search_config_selectorIN6thrust23THRUST_200600_302600_NS5tupleIiiNS6_9null_typeES8_S8_S8_S8_S8_S8_S8_EEiEEZNS1_14transform_implILb0ES3_SA_NS6_6detail15normal_iteratorINS6_7pointerIS9_NS6_11hip_rocprim5par_tENS6_11use_defaultESH_EEEENSD_INSE_IiSG_SH_SH_EEEEZNS1_13binary_searchIS3_SA_NSD_INS6_10device_ptrIS9_EEEESJ_SL_NS1_16binary_search_opENSC_16wrapped_functionINS6_6system6detail7generic6detail18binary_search_lessEbEEEE10hipError_tPvRmT1_T2_T3_mmT4_T5_P12ihipStream_tbEUlRKS9_E_EESY_S12_S13_mS14_S17_bEUlT_E_NS1_11comp_targetILNS1_3genE4ELNS1_11target_archE910ELNS1_3gpuE8ELNS1_3repE0EEENS1_30default_config_static_selectorELNS0_4arch9wavefront6targetE0EEEvS11_.uses_vcc, 0
	.set _ZN7rocprim17ROCPRIM_400000_NS6detail17trampoline_kernelINS0_14default_configENS1_29binary_search_config_selectorIN6thrust23THRUST_200600_302600_NS5tupleIiiNS6_9null_typeES8_S8_S8_S8_S8_S8_S8_EEiEEZNS1_14transform_implILb0ES3_SA_NS6_6detail15normal_iteratorINS6_7pointerIS9_NS6_11hip_rocprim5par_tENS6_11use_defaultESH_EEEENSD_INSE_IiSG_SH_SH_EEEEZNS1_13binary_searchIS3_SA_NSD_INS6_10device_ptrIS9_EEEESJ_SL_NS1_16binary_search_opENSC_16wrapped_functionINS6_6system6detail7generic6detail18binary_search_lessEbEEEE10hipError_tPvRmT1_T2_T3_mmT4_T5_P12ihipStream_tbEUlRKS9_E_EESY_S12_S13_mS14_S17_bEUlT_E_NS1_11comp_targetILNS1_3genE4ELNS1_11target_archE910ELNS1_3gpuE8ELNS1_3repE0EEENS1_30default_config_static_selectorELNS0_4arch9wavefront6targetE0EEEvS11_.uses_flat_scratch, 0
	.set _ZN7rocprim17ROCPRIM_400000_NS6detail17trampoline_kernelINS0_14default_configENS1_29binary_search_config_selectorIN6thrust23THRUST_200600_302600_NS5tupleIiiNS6_9null_typeES8_S8_S8_S8_S8_S8_S8_EEiEEZNS1_14transform_implILb0ES3_SA_NS6_6detail15normal_iteratorINS6_7pointerIS9_NS6_11hip_rocprim5par_tENS6_11use_defaultESH_EEEENSD_INSE_IiSG_SH_SH_EEEEZNS1_13binary_searchIS3_SA_NSD_INS6_10device_ptrIS9_EEEESJ_SL_NS1_16binary_search_opENSC_16wrapped_functionINS6_6system6detail7generic6detail18binary_search_lessEbEEEE10hipError_tPvRmT1_T2_T3_mmT4_T5_P12ihipStream_tbEUlRKS9_E_EESY_S12_S13_mS14_S17_bEUlT_E_NS1_11comp_targetILNS1_3genE4ELNS1_11target_archE910ELNS1_3gpuE8ELNS1_3repE0EEENS1_30default_config_static_selectorELNS0_4arch9wavefront6targetE0EEEvS11_.has_dyn_sized_stack, 0
	.set _ZN7rocprim17ROCPRIM_400000_NS6detail17trampoline_kernelINS0_14default_configENS1_29binary_search_config_selectorIN6thrust23THRUST_200600_302600_NS5tupleIiiNS6_9null_typeES8_S8_S8_S8_S8_S8_S8_EEiEEZNS1_14transform_implILb0ES3_SA_NS6_6detail15normal_iteratorINS6_7pointerIS9_NS6_11hip_rocprim5par_tENS6_11use_defaultESH_EEEENSD_INSE_IiSG_SH_SH_EEEEZNS1_13binary_searchIS3_SA_NSD_INS6_10device_ptrIS9_EEEESJ_SL_NS1_16binary_search_opENSC_16wrapped_functionINS6_6system6detail7generic6detail18binary_search_lessEbEEEE10hipError_tPvRmT1_T2_T3_mmT4_T5_P12ihipStream_tbEUlRKS9_E_EESY_S12_S13_mS14_S17_bEUlT_E_NS1_11comp_targetILNS1_3genE4ELNS1_11target_archE910ELNS1_3gpuE8ELNS1_3repE0EEENS1_30default_config_static_selectorELNS0_4arch9wavefront6targetE0EEEvS11_.has_recursion, 0
	.set _ZN7rocprim17ROCPRIM_400000_NS6detail17trampoline_kernelINS0_14default_configENS1_29binary_search_config_selectorIN6thrust23THRUST_200600_302600_NS5tupleIiiNS6_9null_typeES8_S8_S8_S8_S8_S8_S8_EEiEEZNS1_14transform_implILb0ES3_SA_NS6_6detail15normal_iteratorINS6_7pointerIS9_NS6_11hip_rocprim5par_tENS6_11use_defaultESH_EEEENSD_INSE_IiSG_SH_SH_EEEEZNS1_13binary_searchIS3_SA_NSD_INS6_10device_ptrIS9_EEEESJ_SL_NS1_16binary_search_opENSC_16wrapped_functionINS6_6system6detail7generic6detail18binary_search_lessEbEEEE10hipError_tPvRmT1_T2_T3_mmT4_T5_P12ihipStream_tbEUlRKS9_E_EESY_S12_S13_mS14_S17_bEUlT_E_NS1_11comp_targetILNS1_3genE4ELNS1_11target_archE910ELNS1_3gpuE8ELNS1_3repE0EEENS1_30default_config_static_selectorELNS0_4arch9wavefront6targetE0EEEvS11_.has_indirect_call, 0
	.section	.AMDGPU.csdata,"",@progbits
; Kernel info:
; codeLenInByte = 0
; TotalNumSgprs: 0
; NumVgprs: 0
; ScratchSize: 0
; MemoryBound: 0
; FloatMode: 240
; IeeeMode: 1
; LDSByteSize: 0 bytes/workgroup (compile time only)
; SGPRBlocks: 0
; VGPRBlocks: 0
; NumSGPRsForWavesPerEU: 1
; NumVGPRsForWavesPerEU: 1
; Occupancy: 16
; WaveLimiterHint : 0
; COMPUTE_PGM_RSRC2:SCRATCH_EN: 0
; COMPUTE_PGM_RSRC2:USER_SGPR: 6
; COMPUTE_PGM_RSRC2:TRAP_HANDLER: 0
; COMPUTE_PGM_RSRC2:TGID_X_EN: 1
; COMPUTE_PGM_RSRC2:TGID_Y_EN: 0
; COMPUTE_PGM_RSRC2:TGID_Z_EN: 0
; COMPUTE_PGM_RSRC2:TIDIG_COMP_CNT: 0
	.section	.text._ZN7rocprim17ROCPRIM_400000_NS6detail17trampoline_kernelINS0_14default_configENS1_29binary_search_config_selectorIN6thrust23THRUST_200600_302600_NS5tupleIiiNS6_9null_typeES8_S8_S8_S8_S8_S8_S8_EEiEEZNS1_14transform_implILb0ES3_SA_NS6_6detail15normal_iteratorINS6_7pointerIS9_NS6_11hip_rocprim5par_tENS6_11use_defaultESH_EEEENSD_INSE_IiSG_SH_SH_EEEEZNS1_13binary_searchIS3_SA_NSD_INS6_10device_ptrIS9_EEEESJ_SL_NS1_16binary_search_opENSC_16wrapped_functionINS6_6system6detail7generic6detail18binary_search_lessEbEEEE10hipError_tPvRmT1_T2_T3_mmT4_T5_P12ihipStream_tbEUlRKS9_E_EESY_S12_S13_mS14_S17_bEUlT_E_NS1_11comp_targetILNS1_3genE3ELNS1_11target_archE908ELNS1_3gpuE7ELNS1_3repE0EEENS1_30default_config_static_selectorELNS0_4arch9wavefront6targetE0EEEvS11_,"axG",@progbits,_ZN7rocprim17ROCPRIM_400000_NS6detail17trampoline_kernelINS0_14default_configENS1_29binary_search_config_selectorIN6thrust23THRUST_200600_302600_NS5tupleIiiNS6_9null_typeES8_S8_S8_S8_S8_S8_S8_EEiEEZNS1_14transform_implILb0ES3_SA_NS6_6detail15normal_iteratorINS6_7pointerIS9_NS6_11hip_rocprim5par_tENS6_11use_defaultESH_EEEENSD_INSE_IiSG_SH_SH_EEEEZNS1_13binary_searchIS3_SA_NSD_INS6_10device_ptrIS9_EEEESJ_SL_NS1_16binary_search_opENSC_16wrapped_functionINS6_6system6detail7generic6detail18binary_search_lessEbEEEE10hipError_tPvRmT1_T2_T3_mmT4_T5_P12ihipStream_tbEUlRKS9_E_EESY_S12_S13_mS14_S17_bEUlT_E_NS1_11comp_targetILNS1_3genE3ELNS1_11target_archE908ELNS1_3gpuE7ELNS1_3repE0EEENS1_30default_config_static_selectorELNS0_4arch9wavefront6targetE0EEEvS11_,comdat
	.protected	_ZN7rocprim17ROCPRIM_400000_NS6detail17trampoline_kernelINS0_14default_configENS1_29binary_search_config_selectorIN6thrust23THRUST_200600_302600_NS5tupleIiiNS6_9null_typeES8_S8_S8_S8_S8_S8_S8_EEiEEZNS1_14transform_implILb0ES3_SA_NS6_6detail15normal_iteratorINS6_7pointerIS9_NS6_11hip_rocprim5par_tENS6_11use_defaultESH_EEEENSD_INSE_IiSG_SH_SH_EEEEZNS1_13binary_searchIS3_SA_NSD_INS6_10device_ptrIS9_EEEESJ_SL_NS1_16binary_search_opENSC_16wrapped_functionINS6_6system6detail7generic6detail18binary_search_lessEbEEEE10hipError_tPvRmT1_T2_T3_mmT4_T5_P12ihipStream_tbEUlRKS9_E_EESY_S12_S13_mS14_S17_bEUlT_E_NS1_11comp_targetILNS1_3genE3ELNS1_11target_archE908ELNS1_3gpuE7ELNS1_3repE0EEENS1_30default_config_static_selectorELNS0_4arch9wavefront6targetE0EEEvS11_ ; -- Begin function _ZN7rocprim17ROCPRIM_400000_NS6detail17trampoline_kernelINS0_14default_configENS1_29binary_search_config_selectorIN6thrust23THRUST_200600_302600_NS5tupleIiiNS6_9null_typeES8_S8_S8_S8_S8_S8_S8_EEiEEZNS1_14transform_implILb0ES3_SA_NS6_6detail15normal_iteratorINS6_7pointerIS9_NS6_11hip_rocprim5par_tENS6_11use_defaultESH_EEEENSD_INSE_IiSG_SH_SH_EEEEZNS1_13binary_searchIS3_SA_NSD_INS6_10device_ptrIS9_EEEESJ_SL_NS1_16binary_search_opENSC_16wrapped_functionINS6_6system6detail7generic6detail18binary_search_lessEbEEEE10hipError_tPvRmT1_T2_T3_mmT4_T5_P12ihipStream_tbEUlRKS9_E_EESY_S12_S13_mS14_S17_bEUlT_E_NS1_11comp_targetILNS1_3genE3ELNS1_11target_archE908ELNS1_3gpuE7ELNS1_3repE0EEENS1_30default_config_static_selectorELNS0_4arch9wavefront6targetE0EEEvS11_
	.globl	_ZN7rocprim17ROCPRIM_400000_NS6detail17trampoline_kernelINS0_14default_configENS1_29binary_search_config_selectorIN6thrust23THRUST_200600_302600_NS5tupleIiiNS6_9null_typeES8_S8_S8_S8_S8_S8_S8_EEiEEZNS1_14transform_implILb0ES3_SA_NS6_6detail15normal_iteratorINS6_7pointerIS9_NS6_11hip_rocprim5par_tENS6_11use_defaultESH_EEEENSD_INSE_IiSG_SH_SH_EEEEZNS1_13binary_searchIS3_SA_NSD_INS6_10device_ptrIS9_EEEESJ_SL_NS1_16binary_search_opENSC_16wrapped_functionINS6_6system6detail7generic6detail18binary_search_lessEbEEEE10hipError_tPvRmT1_T2_T3_mmT4_T5_P12ihipStream_tbEUlRKS9_E_EESY_S12_S13_mS14_S17_bEUlT_E_NS1_11comp_targetILNS1_3genE3ELNS1_11target_archE908ELNS1_3gpuE7ELNS1_3repE0EEENS1_30default_config_static_selectorELNS0_4arch9wavefront6targetE0EEEvS11_
	.p2align	8
	.type	_ZN7rocprim17ROCPRIM_400000_NS6detail17trampoline_kernelINS0_14default_configENS1_29binary_search_config_selectorIN6thrust23THRUST_200600_302600_NS5tupleIiiNS6_9null_typeES8_S8_S8_S8_S8_S8_S8_EEiEEZNS1_14transform_implILb0ES3_SA_NS6_6detail15normal_iteratorINS6_7pointerIS9_NS6_11hip_rocprim5par_tENS6_11use_defaultESH_EEEENSD_INSE_IiSG_SH_SH_EEEEZNS1_13binary_searchIS3_SA_NSD_INS6_10device_ptrIS9_EEEESJ_SL_NS1_16binary_search_opENSC_16wrapped_functionINS6_6system6detail7generic6detail18binary_search_lessEbEEEE10hipError_tPvRmT1_T2_T3_mmT4_T5_P12ihipStream_tbEUlRKS9_E_EESY_S12_S13_mS14_S17_bEUlT_E_NS1_11comp_targetILNS1_3genE3ELNS1_11target_archE908ELNS1_3gpuE7ELNS1_3repE0EEENS1_30default_config_static_selectorELNS0_4arch9wavefront6targetE0EEEvS11_,@function
_ZN7rocprim17ROCPRIM_400000_NS6detail17trampoline_kernelINS0_14default_configENS1_29binary_search_config_selectorIN6thrust23THRUST_200600_302600_NS5tupleIiiNS6_9null_typeES8_S8_S8_S8_S8_S8_S8_EEiEEZNS1_14transform_implILb0ES3_SA_NS6_6detail15normal_iteratorINS6_7pointerIS9_NS6_11hip_rocprim5par_tENS6_11use_defaultESH_EEEENSD_INSE_IiSG_SH_SH_EEEEZNS1_13binary_searchIS3_SA_NSD_INS6_10device_ptrIS9_EEEESJ_SL_NS1_16binary_search_opENSC_16wrapped_functionINS6_6system6detail7generic6detail18binary_search_lessEbEEEE10hipError_tPvRmT1_T2_T3_mmT4_T5_P12ihipStream_tbEUlRKS9_E_EESY_S12_S13_mS14_S17_bEUlT_E_NS1_11comp_targetILNS1_3genE3ELNS1_11target_archE908ELNS1_3gpuE7ELNS1_3repE0EEENS1_30default_config_static_selectorELNS0_4arch9wavefront6targetE0EEEvS11_: ; @_ZN7rocprim17ROCPRIM_400000_NS6detail17trampoline_kernelINS0_14default_configENS1_29binary_search_config_selectorIN6thrust23THRUST_200600_302600_NS5tupleIiiNS6_9null_typeES8_S8_S8_S8_S8_S8_S8_EEiEEZNS1_14transform_implILb0ES3_SA_NS6_6detail15normal_iteratorINS6_7pointerIS9_NS6_11hip_rocprim5par_tENS6_11use_defaultESH_EEEENSD_INSE_IiSG_SH_SH_EEEEZNS1_13binary_searchIS3_SA_NSD_INS6_10device_ptrIS9_EEEESJ_SL_NS1_16binary_search_opENSC_16wrapped_functionINS6_6system6detail7generic6detail18binary_search_lessEbEEEE10hipError_tPvRmT1_T2_T3_mmT4_T5_P12ihipStream_tbEUlRKS9_E_EESY_S12_S13_mS14_S17_bEUlT_E_NS1_11comp_targetILNS1_3genE3ELNS1_11target_archE908ELNS1_3gpuE7ELNS1_3repE0EEENS1_30default_config_static_selectorELNS0_4arch9wavefront6targetE0EEEvS11_
; %bb.0:
	.section	.rodata,"a",@progbits
	.p2align	6, 0x0
	.amdhsa_kernel _ZN7rocprim17ROCPRIM_400000_NS6detail17trampoline_kernelINS0_14default_configENS1_29binary_search_config_selectorIN6thrust23THRUST_200600_302600_NS5tupleIiiNS6_9null_typeES8_S8_S8_S8_S8_S8_S8_EEiEEZNS1_14transform_implILb0ES3_SA_NS6_6detail15normal_iteratorINS6_7pointerIS9_NS6_11hip_rocprim5par_tENS6_11use_defaultESH_EEEENSD_INSE_IiSG_SH_SH_EEEEZNS1_13binary_searchIS3_SA_NSD_INS6_10device_ptrIS9_EEEESJ_SL_NS1_16binary_search_opENSC_16wrapped_functionINS6_6system6detail7generic6detail18binary_search_lessEbEEEE10hipError_tPvRmT1_T2_T3_mmT4_T5_P12ihipStream_tbEUlRKS9_E_EESY_S12_S13_mS14_S17_bEUlT_E_NS1_11comp_targetILNS1_3genE3ELNS1_11target_archE908ELNS1_3gpuE7ELNS1_3repE0EEENS1_30default_config_static_selectorELNS0_4arch9wavefront6targetE0EEEvS11_
		.amdhsa_group_segment_fixed_size 0
		.amdhsa_private_segment_fixed_size 0
		.amdhsa_kernarg_size 56
		.amdhsa_user_sgpr_count 6
		.amdhsa_user_sgpr_private_segment_buffer 1
		.amdhsa_user_sgpr_dispatch_ptr 0
		.amdhsa_user_sgpr_queue_ptr 0
		.amdhsa_user_sgpr_kernarg_segment_ptr 1
		.amdhsa_user_sgpr_dispatch_id 0
		.amdhsa_user_sgpr_flat_scratch_init 0
		.amdhsa_user_sgpr_private_segment_size 0
		.amdhsa_wavefront_size32 1
		.amdhsa_uses_dynamic_stack 0
		.amdhsa_system_sgpr_private_segment_wavefront_offset 0
		.amdhsa_system_sgpr_workgroup_id_x 1
		.amdhsa_system_sgpr_workgroup_id_y 0
		.amdhsa_system_sgpr_workgroup_id_z 0
		.amdhsa_system_sgpr_workgroup_info 0
		.amdhsa_system_vgpr_workitem_id 0
		.amdhsa_next_free_vgpr 1
		.amdhsa_next_free_sgpr 1
		.amdhsa_reserve_vcc 0
		.amdhsa_reserve_flat_scratch 0
		.amdhsa_float_round_mode_32 0
		.amdhsa_float_round_mode_16_64 0
		.amdhsa_float_denorm_mode_32 3
		.amdhsa_float_denorm_mode_16_64 3
		.amdhsa_dx10_clamp 1
		.amdhsa_ieee_mode 1
		.amdhsa_fp16_overflow 0
		.amdhsa_workgroup_processor_mode 1
		.amdhsa_memory_ordered 1
		.amdhsa_forward_progress 1
		.amdhsa_shared_vgpr_count 0
		.amdhsa_exception_fp_ieee_invalid_op 0
		.amdhsa_exception_fp_denorm_src 0
		.amdhsa_exception_fp_ieee_div_zero 0
		.amdhsa_exception_fp_ieee_overflow 0
		.amdhsa_exception_fp_ieee_underflow 0
		.amdhsa_exception_fp_ieee_inexact 0
		.amdhsa_exception_int_div_zero 0
	.end_amdhsa_kernel
	.section	.text._ZN7rocprim17ROCPRIM_400000_NS6detail17trampoline_kernelINS0_14default_configENS1_29binary_search_config_selectorIN6thrust23THRUST_200600_302600_NS5tupleIiiNS6_9null_typeES8_S8_S8_S8_S8_S8_S8_EEiEEZNS1_14transform_implILb0ES3_SA_NS6_6detail15normal_iteratorINS6_7pointerIS9_NS6_11hip_rocprim5par_tENS6_11use_defaultESH_EEEENSD_INSE_IiSG_SH_SH_EEEEZNS1_13binary_searchIS3_SA_NSD_INS6_10device_ptrIS9_EEEESJ_SL_NS1_16binary_search_opENSC_16wrapped_functionINS6_6system6detail7generic6detail18binary_search_lessEbEEEE10hipError_tPvRmT1_T2_T3_mmT4_T5_P12ihipStream_tbEUlRKS9_E_EESY_S12_S13_mS14_S17_bEUlT_E_NS1_11comp_targetILNS1_3genE3ELNS1_11target_archE908ELNS1_3gpuE7ELNS1_3repE0EEENS1_30default_config_static_selectorELNS0_4arch9wavefront6targetE0EEEvS11_,"axG",@progbits,_ZN7rocprim17ROCPRIM_400000_NS6detail17trampoline_kernelINS0_14default_configENS1_29binary_search_config_selectorIN6thrust23THRUST_200600_302600_NS5tupleIiiNS6_9null_typeES8_S8_S8_S8_S8_S8_S8_EEiEEZNS1_14transform_implILb0ES3_SA_NS6_6detail15normal_iteratorINS6_7pointerIS9_NS6_11hip_rocprim5par_tENS6_11use_defaultESH_EEEENSD_INSE_IiSG_SH_SH_EEEEZNS1_13binary_searchIS3_SA_NSD_INS6_10device_ptrIS9_EEEESJ_SL_NS1_16binary_search_opENSC_16wrapped_functionINS6_6system6detail7generic6detail18binary_search_lessEbEEEE10hipError_tPvRmT1_T2_T3_mmT4_T5_P12ihipStream_tbEUlRKS9_E_EESY_S12_S13_mS14_S17_bEUlT_E_NS1_11comp_targetILNS1_3genE3ELNS1_11target_archE908ELNS1_3gpuE7ELNS1_3repE0EEENS1_30default_config_static_selectorELNS0_4arch9wavefront6targetE0EEEvS11_,comdat
.Lfunc_end728:
	.size	_ZN7rocprim17ROCPRIM_400000_NS6detail17trampoline_kernelINS0_14default_configENS1_29binary_search_config_selectorIN6thrust23THRUST_200600_302600_NS5tupleIiiNS6_9null_typeES8_S8_S8_S8_S8_S8_S8_EEiEEZNS1_14transform_implILb0ES3_SA_NS6_6detail15normal_iteratorINS6_7pointerIS9_NS6_11hip_rocprim5par_tENS6_11use_defaultESH_EEEENSD_INSE_IiSG_SH_SH_EEEEZNS1_13binary_searchIS3_SA_NSD_INS6_10device_ptrIS9_EEEESJ_SL_NS1_16binary_search_opENSC_16wrapped_functionINS6_6system6detail7generic6detail18binary_search_lessEbEEEE10hipError_tPvRmT1_T2_T3_mmT4_T5_P12ihipStream_tbEUlRKS9_E_EESY_S12_S13_mS14_S17_bEUlT_E_NS1_11comp_targetILNS1_3genE3ELNS1_11target_archE908ELNS1_3gpuE7ELNS1_3repE0EEENS1_30default_config_static_selectorELNS0_4arch9wavefront6targetE0EEEvS11_, .Lfunc_end728-_ZN7rocprim17ROCPRIM_400000_NS6detail17trampoline_kernelINS0_14default_configENS1_29binary_search_config_selectorIN6thrust23THRUST_200600_302600_NS5tupleIiiNS6_9null_typeES8_S8_S8_S8_S8_S8_S8_EEiEEZNS1_14transform_implILb0ES3_SA_NS6_6detail15normal_iteratorINS6_7pointerIS9_NS6_11hip_rocprim5par_tENS6_11use_defaultESH_EEEENSD_INSE_IiSG_SH_SH_EEEEZNS1_13binary_searchIS3_SA_NSD_INS6_10device_ptrIS9_EEEESJ_SL_NS1_16binary_search_opENSC_16wrapped_functionINS6_6system6detail7generic6detail18binary_search_lessEbEEEE10hipError_tPvRmT1_T2_T3_mmT4_T5_P12ihipStream_tbEUlRKS9_E_EESY_S12_S13_mS14_S17_bEUlT_E_NS1_11comp_targetILNS1_3genE3ELNS1_11target_archE908ELNS1_3gpuE7ELNS1_3repE0EEENS1_30default_config_static_selectorELNS0_4arch9wavefront6targetE0EEEvS11_
                                        ; -- End function
	.set _ZN7rocprim17ROCPRIM_400000_NS6detail17trampoline_kernelINS0_14default_configENS1_29binary_search_config_selectorIN6thrust23THRUST_200600_302600_NS5tupleIiiNS6_9null_typeES8_S8_S8_S8_S8_S8_S8_EEiEEZNS1_14transform_implILb0ES3_SA_NS6_6detail15normal_iteratorINS6_7pointerIS9_NS6_11hip_rocprim5par_tENS6_11use_defaultESH_EEEENSD_INSE_IiSG_SH_SH_EEEEZNS1_13binary_searchIS3_SA_NSD_INS6_10device_ptrIS9_EEEESJ_SL_NS1_16binary_search_opENSC_16wrapped_functionINS6_6system6detail7generic6detail18binary_search_lessEbEEEE10hipError_tPvRmT1_T2_T3_mmT4_T5_P12ihipStream_tbEUlRKS9_E_EESY_S12_S13_mS14_S17_bEUlT_E_NS1_11comp_targetILNS1_3genE3ELNS1_11target_archE908ELNS1_3gpuE7ELNS1_3repE0EEENS1_30default_config_static_selectorELNS0_4arch9wavefront6targetE0EEEvS11_.num_vgpr, 0
	.set _ZN7rocprim17ROCPRIM_400000_NS6detail17trampoline_kernelINS0_14default_configENS1_29binary_search_config_selectorIN6thrust23THRUST_200600_302600_NS5tupleIiiNS6_9null_typeES8_S8_S8_S8_S8_S8_S8_EEiEEZNS1_14transform_implILb0ES3_SA_NS6_6detail15normal_iteratorINS6_7pointerIS9_NS6_11hip_rocprim5par_tENS6_11use_defaultESH_EEEENSD_INSE_IiSG_SH_SH_EEEEZNS1_13binary_searchIS3_SA_NSD_INS6_10device_ptrIS9_EEEESJ_SL_NS1_16binary_search_opENSC_16wrapped_functionINS6_6system6detail7generic6detail18binary_search_lessEbEEEE10hipError_tPvRmT1_T2_T3_mmT4_T5_P12ihipStream_tbEUlRKS9_E_EESY_S12_S13_mS14_S17_bEUlT_E_NS1_11comp_targetILNS1_3genE3ELNS1_11target_archE908ELNS1_3gpuE7ELNS1_3repE0EEENS1_30default_config_static_selectorELNS0_4arch9wavefront6targetE0EEEvS11_.num_agpr, 0
	.set _ZN7rocprim17ROCPRIM_400000_NS6detail17trampoline_kernelINS0_14default_configENS1_29binary_search_config_selectorIN6thrust23THRUST_200600_302600_NS5tupleIiiNS6_9null_typeES8_S8_S8_S8_S8_S8_S8_EEiEEZNS1_14transform_implILb0ES3_SA_NS6_6detail15normal_iteratorINS6_7pointerIS9_NS6_11hip_rocprim5par_tENS6_11use_defaultESH_EEEENSD_INSE_IiSG_SH_SH_EEEEZNS1_13binary_searchIS3_SA_NSD_INS6_10device_ptrIS9_EEEESJ_SL_NS1_16binary_search_opENSC_16wrapped_functionINS6_6system6detail7generic6detail18binary_search_lessEbEEEE10hipError_tPvRmT1_T2_T3_mmT4_T5_P12ihipStream_tbEUlRKS9_E_EESY_S12_S13_mS14_S17_bEUlT_E_NS1_11comp_targetILNS1_3genE3ELNS1_11target_archE908ELNS1_3gpuE7ELNS1_3repE0EEENS1_30default_config_static_selectorELNS0_4arch9wavefront6targetE0EEEvS11_.numbered_sgpr, 0
	.set _ZN7rocprim17ROCPRIM_400000_NS6detail17trampoline_kernelINS0_14default_configENS1_29binary_search_config_selectorIN6thrust23THRUST_200600_302600_NS5tupleIiiNS6_9null_typeES8_S8_S8_S8_S8_S8_S8_EEiEEZNS1_14transform_implILb0ES3_SA_NS6_6detail15normal_iteratorINS6_7pointerIS9_NS6_11hip_rocprim5par_tENS6_11use_defaultESH_EEEENSD_INSE_IiSG_SH_SH_EEEEZNS1_13binary_searchIS3_SA_NSD_INS6_10device_ptrIS9_EEEESJ_SL_NS1_16binary_search_opENSC_16wrapped_functionINS6_6system6detail7generic6detail18binary_search_lessEbEEEE10hipError_tPvRmT1_T2_T3_mmT4_T5_P12ihipStream_tbEUlRKS9_E_EESY_S12_S13_mS14_S17_bEUlT_E_NS1_11comp_targetILNS1_3genE3ELNS1_11target_archE908ELNS1_3gpuE7ELNS1_3repE0EEENS1_30default_config_static_selectorELNS0_4arch9wavefront6targetE0EEEvS11_.num_named_barrier, 0
	.set _ZN7rocprim17ROCPRIM_400000_NS6detail17trampoline_kernelINS0_14default_configENS1_29binary_search_config_selectorIN6thrust23THRUST_200600_302600_NS5tupleIiiNS6_9null_typeES8_S8_S8_S8_S8_S8_S8_EEiEEZNS1_14transform_implILb0ES3_SA_NS6_6detail15normal_iteratorINS6_7pointerIS9_NS6_11hip_rocprim5par_tENS6_11use_defaultESH_EEEENSD_INSE_IiSG_SH_SH_EEEEZNS1_13binary_searchIS3_SA_NSD_INS6_10device_ptrIS9_EEEESJ_SL_NS1_16binary_search_opENSC_16wrapped_functionINS6_6system6detail7generic6detail18binary_search_lessEbEEEE10hipError_tPvRmT1_T2_T3_mmT4_T5_P12ihipStream_tbEUlRKS9_E_EESY_S12_S13_mS14_S17_bEUlT_E_NS1_11comp_targetILNS1_3genE3ELNS1_11target_archE908ELNS1_3gpuE7ELNS1_3repE0EEENS1_30default_config_static_selectorELNS0_4arch9wavefront6targetE0EEEvS11_.private_seg_size, 0
	.set _ZN7rocprim17ROCPRIM_400000_NS6detail17trampoline_kernelINS0_14default_configENS1_29binary_search_config_selectorIN6thrust23THRUST_200600_302600_NS5tupleIiiNS6_9null_typeES8_S8_S8_S8_S8_S8_S8_EEiEEZNS1_14transform_implILb0ES3_SA_NS6_6detail15normal_iteratorINS6_7pointerIS9_NS6_11hip_rocprim5par_tENS6_11use_defaultESH_EEEENSD_INSE_IiSG_SH_SH_EEEEZNS1_13binary_searchIS3_SA_NSD_INS6_10device_ptrIS9_EEEESJ_SL_NS1_16binary_search_opENSC_16wrapped_functionINS6_6system6detail7generic6detail18binary_search_lessEbEEEE10hipError_tPvRmT1_T2_T3_mmT4_T5_P12ihipStream_tbEUlRKS9_E_EESY_S12_S13_mS14_S17_bEUlT_E_NS1_11comp_targetILNS1_3genE3ELNS1_11target_archE908ELNS1_3gpuE7ELNS1_3repE0EEENS1_30default_config_static_selectorELNS0_4arch9wavefront6targetE0EEEvS11_.uses_vcc, 0
	.set _ZN7rocprim17ROCPRIM_400000_NS6detail17trampoline_kernelINS0_14default_configENS1_29binary_search_config_selectorIN6thrust23THRUST_200600_302600_NS5tupleIiiNS6_9null_typeES8_S8_S8_S8_S8_S8_S8_EEiEEZNS1_14transform_implILb0ES3_SA_NS6_6detail15normal_iteratorINS6_7pointerIS9_NS6_11hip_rocprim5par_tENS6_11use_defaultESH_EEEENSD_INSE_IiSG_SH_SH_EEEEZNS1_13binary_searchIS3_SA_NSD_INS6_10device_ptrIS9_EEEESJ_SL_NS1_16binary_search_opENSC_16wrapped_functionINS6_6system6detail7generic6detail18binary_search_lessEbEEEE10hipError_tPvRmT1_T2_T3_mmT4_T5_P12ihipStream_tbEUlRKS9_E_EESY_S12_S13_mS14_S17_bEUlT_E_NS1_11comp_targetILNS1_3genE3ELNS1_11target_archE908ELNS1_3gpuE7ELNS1_3repE0EEENS1_30default_config_static_selectorELNS0_4arch9wavefront6targetE0EEEvS11_.uses_flat_scratch, 0
	.set _ZN7rocprim17ROCPRIM_400000_NS6detail17trampoline_kernelINS0_14default_configENS1_29binary_search_config_selectorIN6thrust23THRUST_200600_302600_NS5tupleIiiNS6_9null_typeES8_S8_S8_S8_S8_S8_S8_EEiEEZNS1_14transform_implILb0ES3_SA_NS6_6detail15normal_iteratorINS6_7pointerIS9_NS6_11hip_rocprim5par_tENS6_11use_defaultESH_EEEENSD_INSE_IiSG_SH_SH_EEEEZNS1_13binary_searchIS3_SA_NSD_INS6_10device_ptrIS9_EEEESJ_SL_NS1_16binary_search_opENSC_16wrapped_functionINS6_6system6detail7generic6detail18binary_search_lessEbEEEE10hipError_tPvRmT1_T2_T3_mmT4_T5_P12ihipStream_tbEUlRKS9_E_EESY_S12_S13_mS14_S17_bEUlT_E_NS1_11comp_targetILNS1_3genE3ELNS1_11target_archE908ELNS1_3gpuE7ELNS1_3repE0EEENS1_30default_config_static_selectorELNS0_4arch9wavefront6targetE0EEEvS11_.has_dyn_sized_stack, 0
	.set _ZN7rocprim17ROCPRIM_400000_NS6detail17trampoline_kernelINS0_14default_configENS1_29binary_search_config_selectorIN6thrust23THRUST_200600_302600_NS5tupleIiiNS6_9null_typeES8_S8_S8_S8_S8_S8_S8_EEiEEZNS1_14transform_implILb0ES3_SA_NS6_6detail15normal_iteratorINS6_7pointerIS9_NS6_11hip_rocprim5par_tENS6_11use_defaultESH_EEEENSD_INSE_IiSG_SH_SH_EEEEZNS1_13binary_searchIS3_SA_NSD_INS6_10device_ptrIS9_EEEESJ_SL_NS1_16binary_search_opENSC_16wrapped_functionINS6_6system6detail7generic6detail18binary_search_lessEbEEEE10hipError_tPvRmT1_T2_T3_mmT4_T5_P12ihipStream_tbEUlRKS9_E_EESY_S12_S13_mS14_S17_bEUlT_E_NS1_11comp_targetILNS1_3genE3ELNS1_11target_archE908ELNS1_3gpuE7ELNS1_3repE0EEENS1_30default_config_static_selectorELNS0_4arch9wavefront6targetE0EEEvS11_.has_recursion, 0
	.set _ZN7rocprim17ROCPRIM_400000_NS6detail17trampoline_kernelINS0_14default_configENS1_29binary_search_config_selectorIN6thrust23THRUST_200600_302600_NS5tupleIiiNS6_9null_typeES8_S8_S8_S8_S8_S8_S8_EEiEEZNS1_14transform_implILb0ES3_SA_NS6_6detail15normal_iteratorINS6_7pointerIS9_NS6_11hip_rocprim5par_tENS6_11use_defaultESH_EEEENSD_INSE_IiSG_SH_SH_EEEEZNS1_13binary_searchIS3_SA_NSD_INS6_10device_ptrIS9_EEEESJ_SL_NS1_16binary_search_opENSC_16wrapped_functionINS6_6system6detail7generic6detail18binary_search_lessEbEEEE10hipError_tPvRmT1_T2_T3_mmT4_T5_P12ihipStream_tbEUlRKS9_E_EESY_S12_S13_mS14_S17_bEUlT_E_NS1_11comp_targetILNS1_3genE3ELNS1_11target_archE908ELNS1_3gpuE7ELNS1_3repE0EEENS1_30default_config_static_selectorELNS0_4arch9wavefront6targetE0EEEvS11_.has_indirect_call, 0
	.section	.AMDGPU.csdata,"",@progbits
; Kernel info:
; codeLenInByte = 0
; TotalNumSgprs: 0
; NumVgprs: 0
; ScratchSize: 0
; MemoryBound: 0
; FloatMode: 240
; IeeeMode: 1
; LDSByteSize: 0 bytes/workgroup (compile time only)
; SGPRBlocks: 0
; VGPRBlocks: 0
; NumSGPRsForWavesPerEU: 1
; NumVGPRsForWavesPerEU: 1
; Occupancy: 16
; WaveLimiterHint : 0
; COMPUTE_PGM_RSRC2:SCRATCH_EN: 0
; COMPUTE_PGM_RSRC2:USER_SGPR: 6
; COMPUTE_PGM_RSRC2:TRAP_HANDLER: 0
; COMPUTE_PGM_RSRC2:TGID_X_EN: 1
; COMPUTE_PGM_RSRC2:TGID_Y_EN: 0
; COMPUTE_PGM_RSRC2:TGID_Z_EN: 0
; COMPUTE_PGM_RSRC2:TIDIG_COMP_CNT: 0
	.section	.text._ZN7rocprim17ROCPRIM_400000_NS6detail17trampoline_kernelINS0_14default_configENS1_29binary_search_config_selectorIN6thrust23THRUST_200600_302600_NS5tupleIiiNS6_9null_typeES8_S8_S8_S8_S8_S8_S8_EEiEEZNS1_14transform_implILb0ES3_SA_NS6_6detail15normal_iteratorINS6_7pointerIS9_NS6_11hip_rocprim5par_tENS6_11use_defaultESH_EEEENSD_INSE_IiSG_SH_SH_EEEEZNS1_13binary_searchIS3_SA_NSD_INS6_10device_ptrIS9_EEEESJ_SL_NS1_16binary_search_opENSC_16wrapped_functionINS6_6system6detail7generic6detail18binary_search_lessEbEEEE10hipError_tPvRmT1_T2_T3_mmT4_T5_P12ihipStream_tbEUlRKS9_E_EESY_S12_S13_mS14_S17_bEUlT_E_NS1_11comp_targetILNS1_3genE2ELNS1_11target_archE906ELNS1_3gpuE6ELNS1_3repE0EEENS1_30default_config_static_selectorELNS0_4arch9wavefront6targetE0EEEvS11_,"axG",@progbits,_ZN7rocprim17ROCPRIM_400000_NS6detail17trampoline_kernelINS0_14default_configENS1_29binary_search_config_selectorIN6thrust23THRUST_200600_302600_NS5tupleIiiNS6_9null_typeES8_S8_S8_S8_S8_S8_S8_EEiEEZNS1_14transform_implILb0ES3_SA_NS6_6detail15normal_iteratorINS6_7pointerIS9_NS6_11hip_rocprim5par_tENS6_11use_defaultESH_EEEENSD_INSE_IiSG_SH_SH_EEEEZNS1_13binary_searchIS3_SA_NSD_INS6_10device_ptrIS9_EEEESJ_SL_NS1_16binary_search_opENSC_16wrapped_functionINS6_6system6detail7generic6detail18binary_search_lessEbEEEE10hipError_tPvRmT1_T2_T3_mmT4_T5_P12ihipStream_tbEUlRKS9_E_EESY_S12_S13_mS14_S17_bEUlT_E_NS1_11comp_targetILNS1_3genE2ELNS1_11target_archE906ELNS1_3gpuE6ELNS1_3repE0EEENS1_30default_config_static_selectorELNS0_4arch9wavefront6targetE0EEEvS11_,comdat
	.protected	_ZN7rocprim17ROCPRIM_400000_NS6detail17trampoline_kernelINS0_14default_configENS1_29binary_search_config_selectorIN6thrust23THRUST_200600_302600_NS5tupleIiiNS6_9null_typeES8_S8_S8_S8_S8_S8_S8_EEiEEZNS1_14transform_implILb0ES3_SA_NS6_6detail15normal_iteratorINS6_7pointerIS9_NS6_11hip_rocprim5par_tENS6_11use_defaultESH_EEEENSD_INSE_IiSG_SH_SH_EEEEZNS1_13binary_searchIS3_SA_NSD_INS6_10device_ptrIS9_EEEESJ_SL_NS1_16binary_search_opENSC_16wrapped_functionINS6_6system6detail7generic6detail18binary_search_lessEbEEEE10hipError_tPvRmT1_T2_T3_mmT4_T5_P12ihipStream_tbEUlRKS9_E_EESY_S12_S13_mS14_S17_bEUlT_E_NS1_11comp_targetILNS1_3genE2ELNS1_11target_archE906ELNS1_3gpuE6ELNS1_3repE0EEENS1_30default_config_static_selectorELNS0_4arch9wavefront6targetE0EEEvS11_ ; -- Begin function _ZN7rocprim17ROCPRIM_400000_NS6detail17trampoline_kernelINS0_14default_configENS1_29binary_search_config_selectorIN6thrust23THRUST_200600_302600_NS5tupleIiiNS6_9null_typeES8_S8_S8_S8_S8_S8_S8_EEiEEZNS1_14transform_implILb0ES3_SA_NS6_6detail15normal_iteratorINS6_7pointerIS9_NS6_11hip_rocprim5par_tENS6_11use_defaultESH_EEEENSD_INSE_IiSG_SH_SH_EEEEZNS1_13binary_searchIS3_SA_NSD_INS6_10device_ptrIS9_EEEESJ_SL_NS1_16binary_search_opENSC_16wrapped_functionINS6_6system6detail7generic6detail18binary_search_lessEbEEEE10hipError_tPvRmT1_T2_T3_mmT4_T5_P12ihipStream_tbEUlRKS9_E_EESY_S12_S13_mS14_S17_bEUlT_E_NS1_11comp_targetILNS1_3genE2ELNS1_11target_archE906ELNS1_3gpuE6ELNS1_3repE0EEENS1_30default_config_static_selectorELNS0_4arch9wavefront6targetE0EEEvS11_
	.globl	_ZN7rocprim17ROCPRIM_400000_NS6detail17trampoline_kernelINS0_14default_configENS1_29binary_search_config_selectorIN6thrust23THRUST_200600_302600_NS5tupleIiiNS6_9null_typeES8_S8_S8_S8_S8_S8_S8_EEiEEZNS1_14transform_implILb0ES3_SA_NS6_6detail15normal_iteratorINS6_7pointerIS9_NS6_11hip_rocprim5par_tENS6_11use_defaultESH_EEEENSD_INSE_IiSG_SH_SH_EEEEZNS1_13binary_searchIS3_SA_NSD_INS6_10device_ptrIS9_EEEESJ_SL_NS1_16binary_search_opENSC_16wrapped_functionINS6_6system6detail7generic6detail18binary_search_lessEbEEEE10hipError_tPvRmT1_T2_T3_mmT4_T5_P12ihipStream_tbEUlRKS9_E_EESY_S12_S13_mS14_S17_bEUlT_E_NS1_11comp_targetILNS1_3genE2ELNS1_11target_archE906ELNS1_3gpuE6ELNS1_3repE0EEENS1_30default_config_static_selectorELNS0_4arch9wavefront6targetE0EEEvS11_
	.p2align	8
	.type	_ZN7rocprim17ROCPRIM_400000_NS6detail17trampoline_kernelINS0_14default_configENS1_29binary_search_config_selectorIN6thrust23THRUST_200600_302600_NS5tupleIiiNS6_9null_typeES8_S8_S8_S8_S8_S8_S8_EEiEEZNS1_14transform_implILb0ES3_SA_NS6_6detail15normal_iteratorINS6_7pointerIS9_NS6_11hip_rocprim5par_tENS6_11use_defaultESH_EEEENSD_INSE_IiSG_SH_SH_EEEEZNS1_13binary_searchIS3_SA_NSD_INS6_10device_ptrIS9_EEEESJ_SL_NS1_16binary_search_opENSC_16wrapped_functionINS6_6system6detail7generic6detail18binary_search_lessEbEEEE10hipError_tPvRmT1_T2_T3_mmT4_T5_P12ihipStream_tbEUlRKS9_E_EESY_S12_S13_mS14_S17_bEUlT_E_NS1_11comp_targetILNS1_3genE2ELNS1_11target_archE906ELNS1_3gpuE6ELNS1_3repE0EEENS1_30default_config_static_selectorELNS0_4arch9wavefront6targetE0EEEvS11_,@function
_ZN7rocprim17ROCPRIM_400000_NS6detail17trampoline_kernelINS0_14default_configENS1_29binary_search_config_selectorIN6thrust23THRUST_200600_302600_NS5tupleIiiNS6_9null_typeES8_S8_S8_S8_S8_S8_S8_EEiEEZNS1_14transform_implILb0ES3_SA_NS6_6detail15normal_iteratorINS6_7pointerIS9_NS6_11hip_rocprim5par_tENS6_11use_defaultESH_EEEENSD_INSE_IiSG_SH_SH_EEEEZNS1_13binary_searchIS3_SA_NSD_INS6_10device_ptrIS9_EEEESJ_SL_NS1_16binary_search_opENSC_16wrapped_functionINS6_6system6detail7generic6detail18binary_search_lessEbEEEE10hipError_tPvRmT1_T2_T3_mmT4_T5_P12ihipStream_tbEUlRKS9_E_EESY_S12_S13_mS14_S17_bEUlT_E_NS1_11comp_targetILNS1_3genE2ELNS1_11target_archE906ELNS1_3gpuE6ELNS1_3repE0EEENS1_30default_config_static_selectorELNS0_4arch9wavefront6targetE0EEEvS11_: ; @_ZN7rocprim17ROCPRIM_400000_NS6detail17trampoline_kernelINS0_14default_configENS1_29binary_search_config_selectorIN6thrust23THRUST_200600_302600_NS5tupleIiiNS6_9null_typeES8_S8_S8_S8_S8_S8_S8_EEiEEZNS1_14transform_implILb0ES3_SA_NS6_6detail15normal_iteratorINS6_7pointerIS9_NS6_11hip_rocprim5par_tENS6_11use_defaultESH_EEEENSD_INSE_IiSG_SH_SH_EEEEZNS1_13binary_searchIS3_SA_NSD_INS6_10device_ptrIS9_EEEESJ_SL_NS1_16binary_search_opENSC_16wrapped_functionINS6_6system6detail7generic6detail18binary_search_lessEbEEEE10hipError_tPvRmT1_T2_T3_mmT4_T5_P12ihipStream_tbEUlRKS9_E_EESY_S12_S13_mS14_S17_bEUlT_E_NS1_11comp_targetILNS1_3genE2ELNS1_11target_archE906ELNS1_3gpuE6ELNS1_3repE0EEENS1_30default_config_static_selectorELNS0_4arch9wavefront6targetE0EEEvS11_
; %bb.0:
	.section	.rodata,"a",@progbits
	.p2align	6, 0x0
	.amdhsa_kernel _ZN7rocprim17ROCPRIM_400000_NS6detail17trampoline_kernelINS0_14default_configENS1_29binary_search_config_selectorIN6thrust23THRUST_200600_302600_NS5tupleIiiNS6_9null_typeES8_S8_S8_S8_S8_S8_S8_EEiEEZNS1_14transform_implILb0ES3_SA_NS6_6detail15normal_iteratorINS6_7pointerIS9_NS6_11hip_rocprim5par_tENS6_11use_defaultESH_EEEENSD_INSE_IiSG_SH_SH_EEEEZNS1_13binary_searchIS3_SA_NSD_INS6_10device_ptrIS9_EEEESJ_SL_NS1_16binary_search_opENSC_16wrapped_functionINS6_6system6detail7generic6detail18binary_search_lessEbEEEE10hipError_tPvRmT1_T2_T3_mmT4_T5_P12ihipStream_tbEUlRKS9_E_EESY_S12_S13_mS14_S17_bEUlT_E_NS1_11comp_targetILNS1_3genE2ELNS1_11target_archE906ELNS1_3gpuE6ELNS1_3repE0EEENS1_30default_config_static_selectorELNS0_4arch9wavefront6targetE0EEEvS11_
		.amdhsa_group_segment_fixed_size 0
		.amdhsa_private_segment_fixed_size 0
		.amdhsa_kernarg_size 56
		.amdhsa_user_sgpr_count 6
		.amdhsa_user_sgpr_private_segment_buffer 1
		.amdhsa_user_sgpr_dispatch_ptr 0
		.amdhsa_user_sgpr_queue_ptr 0
		.amdhsa_user_sgpr_kernarg_segment_ptr 1
		.amdhsa_user_sgpr_dispatch_id 0
		.amdhsa_user_sgpr_flat_scratch_init 0
		.amdhsa_user_sgpr_private_segment_size 0
		.amdhsa_wavefront_size32 1
		.amdhsa_uses_dynamic_stack 0
		.amdhsa_system_sgpr_private_segment_wavefront_offset 0
		.amdhsa_system_sgpr_workgroup_id_x 1
		.amdhsa_system_sgpr_workgroup_id_y 0
		.amdhsa_system_sgpr_workgroup_id_z 0
		.amdhsa_system_sgpr_workgroup_info 0
		.amdhsa_system_vgpr_workitem_id 0
		.amdhsa_next_free_vgpr 1
		.amdhsa_next_free_sgpr 1
		.amdhsa_reserve_vcc 0
		.amdhsa_reserve_flat_scratch 0
		.amdhsa_float_round_mode_32 0
		.amdhsa_float_round_mode_16_64 0
		.amdhsa_float_denorm_mode_32 3
		.amdhsa_float_denorm_mode_16_64 3
		.amdhsa_dx10_clamp 1
		.amdhsa_ieee_mode 1
		.amdhsa_fp16_overflow 0
		.amdhsa_workgroup_processor_mode 1
		.amdhsa_memory_ordered 1
		.amdhsa_forward_progress 1
		.amdhsa_shared_vgpr_count 0
		.amdhsa_exception_fp_ieee_invalid_op 0
		.amdhsa_exception_fp_denorm_src 0
		.amdhsa_exception_fp_ieee_div_zero 0
		.amdhsa_exception_fp_ieee_overflow 0
		.amdhsa_exception_fp_ieee_underflow 0
		.amdhsa_exception_fp_ieee_inexact 0
		.amdhsa_exception_int_div_zero 0
	.end_amdhsa_kernel
	.section	.text._ZN7rocprim17ROCPRIM_400000_NS6detail17trampoline_kernelINS0_14default_configENS1_29binary_search_config_selectorIN6thrust23THRUST_200600_302600_NS5tupleIiiNS6_9null_typeES8_S8_S8_S8_S8_S8_S8_EEiEEZNS1_14transform_implILb0ES3_SA_NS6_6detail15normal_iteratorINS6_7pointerIS9_NS6_11hip_rocprim5par_tENS6_11use_defaultESH_EEEENSD_INSE_IiSG_SH_SH_EEEEZNS1_13binary_searchIS3_SA_NSD_INS6_10device_ptrIS9_EEEESJ_SL_NS1_16binary_search_opENSC_16wrapped_functionINS6_6system6detail7generic6detail18binary_search_lessEbEEEE10hipError_tPvRmT1_T2_T3_mmT4_T5_P12ihipStream_tbEUlRKS9_E_EESY_S12_S13_mS14_S17_bEUlT_E_NS1_11comp_targetILNS1_3genE2ELNS1_11target_archE906ELNS1_3gpuE6ELNS1_3repE0EEENS1_30default_config_static_selectorELNS0_4arch9wavefront6targetE0EEEvS11_,"axG",@progbits,_ZN7rocprim17ROCPRIM_400000_NS6detail17trampoline_kernelINS0_14default_configENS1_29binary_search_config_selectorIN6thrust23THRUST_200600_302600_NS5tupleIiiNS6_9null_typeES8_S8_S8_S8_S8_S8_S8_EEiEEZNS1_14transform_implILb0ES3_SA_NS6_6detail15normal_iteratorINS6_7pointerIS9_NS6_11hip_rocprim5par_tENS6_11use_defaultESH_EEEENSD_INSE_IiSG_SH_SH_EEEEZNS1_13binary_searchIS3_SA_NSD_INS6_10device_ptrIS9_EEEESJ_SL_NS1_16binary_search_opENSC_16wrapped_functionINS6_6system6detail7generic6detail18binary_search_lessEbEEEE10hipError_tPvRmT1_T2_T3_mmT4_T5_P12ihipStream_tbEUlRKS9_E_EESY_S12_S13_mS14_S17_bEUlT_E_NS1_11comp_targetILNS1_3genE2ELNS1_11target_archE906ELNS1_3gpuE6ELNS1_3repE0EEENS1_30default_config_static_selectorELNS0_4arch9wavefront6targetE0EEEvS11_,comdat
.Lfunc_end729:
	.size	_ZN7rocprim17ROCPRIM_400000_NS6detail17trampoline_kernelINS0_14default_configENS1_29binary_search_config_selectorIN6thrust23THRUST_200600_302600_NS5tupleIiiNS6_9null_typeES8_S8_S8_S8_S8_S8_S8_EEiEEZNS1_14transform_implILb0ES3_SA_NS6_6detail15normal_iteratorINS6_7pointerIS9_NS6_11hip_rocprim5par_tENS6_11use_defaultESH_EEEENSD_INSE_IiSG_SH_SH_EEEEZNS1_13binary_searchIS3_SA_NSD_INS6_10device_ptrIS9_EEEESJ_SL_NS1_16binary_search_opENSC_16wrapped_functionINS6_6system6detail7generic6detail18binary_search_lessEbEEEE10hipError_tPvRmT1_T2_T3_mmT4_T5_P12ihipStream_tbEUlRKS9_E_EESY_S12_S13_mS14_S17_bEUlT_E_NS1_11comp_targetILNS1_3genE2ELNS1_11target_archE906ELNS1_3gpuE6ELNS1_3repE0EEENS1_30default_config_static_selectorELNS0_4arch9wavefront6targetE0EEEvS11_, .Lfunc_end729-_ZN7rocprim17ROCPRIM_400000_NS6detail17trampoline_kernelINS0_14default_configENS1_29binary_search_config_selectorIN6thrust23THRUST_200600_302600_NS5tupleIiiNS6_9null_typeES8_S8_S8_S8_S8_S8_S8_EEiEEZNS1_14transform_implILb0ES3_SA_NS6_6detail15normal_iteratorINS6_7pointerIS9_NS6_11hip_rocprim5par_tENS6_11use_defaultESH_EEEENSD_INSE_IiSG_SH_SH_EEEEZNS1_13binary_searchIS3_SA_NSD_INS6_10device_ptrIS9_EEEESJ_SL_NS1_16binary_search_opENSC_16wrapped_functionINS6_6system6detail7generic6detail18binary_search_lessEbEEEE10hipError_tPvRmT1_T2_T3_mmT4_T5_P12ihipStream_tbEUlRKS9_E_EESY_S12_S13_mS14_S17_bEUlT_E_NS1_11comp_targetILNS1_3genE2ELNS1_11target_archE906ELNS1_3gpuE6ELNS1_3repE0EEENS1_30default_config_static_selectorELNS0_4arch9wavefront6targetE0EEEvS11_
                                        ; -- End function
	.set _ZN7rocprim17ROCPRIM_400000_NS6detail17trampoline_kernelINS0_14default_configENS1_29binary_search_config_selectorIN6thrust23THRUST_200600_302600_NS5tupleIiiNS6_9null_typeES8_S8_S8_S8_S8_S8_S8_EEiEEZNS1_14transform_implILb0ES3_SA_NS6_6detail15normal_iteratorINS6_7pointerIS9_NS6_11hip_rocprim5par_tENS6_11use_defaultESH_EEEENSD_INSE_IiSG_SH_SH_EEEEZNS1_13binary_searchIS3_SA_NSD_INS6_10device_ptrIS9_EEEESJ_SL_NS1_16binary_search_opENSC_16wrapped_functionINS6_6system6detail7generic6detail18binary_search_lessEbEEEE10hipError_tPvRmT1_T2_T3_mmT4_T5_P12ihipStream_tbEUlRKS9_E_EESY_S12_S13_mS14_S17_bEUlT_E_NS1_11comp_targetILNS1_3genE2ELNS1_11target_archE906ELNS1_3gpuE6ELNS1_3repE0EEENS1_30default_config_static_selectorELNS0_4arch9wavefront6targetE0EEEvS11_.num_vgpr, 0
	.set _ZN7rocprim17ROCPRIM_400000_NS6detail17trampoline_kernelINS0_14default_configENS1_29binary_search_config_selectorIN6thrust23THRUST_200600_302600_NS5tupleIiiNS6_9null_typeES8_S8_S8_S8_S8_S8_S8_EEiEEZNS1_14transform_implILb0ES3_SA_NS6_6detail15normal_iteratorINS6_7pointerIS9_NS6_11hip_rocprim5par_tENS6_11use_defaultESH_EEEENSD_INSE_IiSG_SH_SH_EEEEZNS1_13binary_searchIS3_SA_NSD_INS6_10device_ptrIS9_EEEESJ_SL_NS1_16binary_search_opENSC_16wrapped_functionINS6_6system6detail7generic6detail18binary_search_lessEbEEEE10hipError_tPvRmT1_T2_T3_mmT4_T5_P12ihipStream_tbEUlRKS9_E_EESY_S12_S13_mS14_S17_bEUlT_E_NS1_11comp_targetILNS1_3genE2ELNS1_11target_archE906ELNS1_3gpuE6ELNS1_3repE0EEENS1_30default_config_static_selectorELNS0_4arch9wavefront6targetE0EEEvS11_.num_agpr, 0
	.set _ZN7rocprim17ROCPRIM_400000_NS6detail17trampoline_kernelINS0_14default_configENS1_29binary_search_config_selectorIN6thrust23THRUST_200600_302600_NS5tupleIiiNS6_9null_typeES8_S8_S8_S8_S8_S8_S8_EEiEEZNS1_14transform_implILb0ES3_SA_NS6_6detail15normal_iteratorINS6_7pointerIS9_NS6_11hip_rocprim5par_tENS6_11use_defaultESH_EEEENSD_INSE_IiSG_SH_SH_EEEEZNS1_13binary_searchIS3_SA_NSD_INS6_10device_ptrIS9_EEEESJ_SL_NS1_16binary_search_opENSC_16wrapped_functionINS6_6system6detail7generic6detail18binary_search_lessEbEEEE10hipError_tPvRmT1_T2_T3_mmT4_T5_P12ihipStream_tbEUlRKS9_E_EESY_S12_S13_mS14_S17_bEUlT_E_NS1_11comp_targetILNS1_3genE2ELNS1_11target_archE906ELNS1_3gpuE6ELNS1_3repE0EEENS1_30default_config_static_selectorELNS0_4arch9wavefront6targetE0EEEvS11_.numbered_sgpr, 0
	.set _ZN7rocprim17ROCPRIM_400000_NS6detail17trampoline_kernelINS0_14default_configENS1_29binary_search_config_selectorIN6thrust23THRUST_200600_302600_NS5tupleIiiNS6_9null_typeES8_S8_S8_S8_S8_S8_S8_EEiEEZNS1_14transform_implILb0ES3_SA_NS6_6detail15normal_iteratorINS6_7pointerIS9_NS6_11hip_rocprim5par_tENS6_11use_defaultESH_EEEENSD_INSE_IiSG_SH_SH_EEEEZNS1_13binary_searchIS3_SA_NSD_INS6_10device_ptrIS9_EEEESJ_SL_NS1_16binary_search_opENSC_16wrapped_functionINS6_6system6detail7generic6detail18binary_search_lessEbEEEE10hipError_tPvRmT1_T2_T3_mmT4_T5_P12ihipStream_tbEUlRKS9_E_EESY_S12_S13_mS14_S17_bEUlT_E_NS1_11comp_targetILNS1_3genE2ELNS1_11target_archE906ELNS1_3gpuE6ELNS1_3repE0EEENS1_30default_config_static_selectorELNS0_4arch9wavefront6targetE0EEEvS11_.num_named_barrier, 0
	.set _ZN7rocprim17ROCPRIM_400000_NS6detail17trampoline_kernelINS0_14default_configENS1_29binary_search_config_selectorIN6thrust23THRUST_200600_302600_NS5tupleIiiNS6_9null_typeES8_S8_S8_S8_S8_S8_S8_EEiEEZNS1_14transform_implILb0ES3_SA_NS6_6detail15normal_iteratorINS6_7pointerIS9_NS6_11hip_rocprim5par_tENS6_11use_defaultESH_EEEENSD_INSE_IiSG_SH_SH_EEEEZNS1_13binary_searchIS3_SA_NSD_INS6_10device_ptrIS9_EEEESJ_SL_NS1_16binary_search_opENSC_16wrapped_functionINS6_6system6detail7generic6detail18binary_search_lessEbEEEE10hipError_tPvRmT1_T2_T3_mmT4_T5_P12ihipStream_tbEUlRKS9_E_EESY_S12_S13_mS14_S17_bEUlT_E_NS1_11comp_targetILNS1_3genE2ELNS1_11target_archE906ELNS1_3gpuE6ELNS1_3repE0EEENS1_30default_config_static_selectorELNS0_4arch9wavefront6targetE0EEEvS11_.private_seg_size, 0
	.set _ZN7rocprim17ROCPRIM_400000_NS6detail17trampoline_kernelINS0_14default_configENS1_29binary_search_config_selectorIN6thrust23THRUST_200600_302600_NS5tupleIiiNS6_9null_typeES8_S8_S8_S8_S8_S8_S8_EEiEEZNS1_14transform_implILb0ES3_SA_NS6_6detail15normal_iteratorINS6_7pointerIS9_NS6_11hip_rocprim5par_tENS6_11use_defaultESH_EEEENSD_INSE_IiSG_SH_SH_EEEEZNS1_13binary_searchIS3_SA_NSD_INS6_10device_ptrIS9_EEEESJ_SL_NS1_16binary_search_opENSC_16wrapped_functionINS6_6system6detail7generic6detail18binary_search_lessEbEEEE10hipError_tPvRmT1_T2_T3_mmT4_T5_P12ihipStream_tbEUlRKS9_E_EESY_S12_S13_mS14_S17_bEUlT_E_NS1_11comp_targetILNS1_3genE2ELNS1_11target_archE906ELNS1_3gpuE6ELNS1_3repE0EEENS1_30default_config_static_selectorELNS0_4arch9wavefront6targetE0EEEvS11_.uses_vcc, 0
	.set _ZN7rocprim17ROCPRIM_400000_NS6detail17trampoline_kernelINS0_14default_configENS1_29binary_search_config_selectorIN6thrust23THRUST_200600_302600_NS5tupleIiiNS6_9null_typeES8_S8_S8_S8_S8_S8_S8_EEiEEZNS1_14transform_implILb0ES3_SA_NS6_6detail15normal_iteratorINS6_7pointerIS9_NS6_11hip_rocprim5par_tENS6_11use_defaultESH_EEEENSD_INSE_IiSG_SH_SH_EEEEZNS1_13binary_searchIS3_SA_NSD_INS6_10device_ptrIS9_EEEESJ_SL_NS1_16binary_search_opENSC_16wrapped_functionINS6_6system6detail7generic6detail18binary_search_lessEbEEEE10hipError_tPvRmT1_T2_T3_mmT4_T5_P12ihipStream_tbEUlRKS9_E_EESY_S12_S13_mS14_S17_bEUlT_E_NS1_11comp_targetILNS1_3genE2ELNS1_11target_archE906ELNS1_3gpuE6ELNS1_3repE0EEENS1_30default_config_static_selectorELNS0_4arch9wavefront6targetE0EEEvS11_.uses_flat_scratch, 0
	.set _ZN7rocprim17ROCPRIM_400000_NS6detail17trampoline_kernelINS0_14default_configENS1_29binary_search_config_selectorIN6thrust23THRUST_200600_302600_NS5tupleIiiNS6_9null_typeES8_S8_S8_S8_S8_S8_S8_EEiEEZNS1_14transform_implILb0ES3_SA_NS6_6detail15normal_iteratorINS6_7pointerIS9_NS6_11hip_rocprim5par_tENS6_11use_defaultESH_EEEENSD_INSE_IiSG_SH_SH_EEEEZNS1_13binary_searchIS3_SA_NSD_INS6_10device_ptrIS9_EEEESJ_SL_NS1_16binary_search_opENSC_16wrapped_functionINS6_6system6detail7generic6detail18binary_search_lessEbEEEE10hipError_tPvRmT1_T2_T3_mmT4_T5_P12ihipStream_tbEUlRKS9_E_EESY_S12_S13_mS14_S17_bEUlT_E_NS1_11comp_targetILNS1_3genE2ELNS1_11target_archE906ELNS1_3gpuE6ELNS1_3repE0EEENS1_30default_config_static_selectorELNS0_4arch9wavefront6targetE0EEEvS11_.has_dyn_sized_stack, 0
	.set _ZN7rocprim17ROCPRIM_400000_NS6detail17trampoline_kernelINS0_14default_configENS1_29binary_search_config_selectorIN6thrust23THRUST_200600_302600_NS5tupleIiiNS6_9null_typeES8_S8_S8_S8_S8_S8_S8_EEiEEZNS1_14transform_implILb0ES3_SA_NS6_6detail15normal_iteratorINS6_7pointerIS9_NS6_11hip_rocprim5par_tENS6_11use_defaultESH_EEEENSD_INSE_IiSG_SH_SH_EEEEZNS1_13binary_searchIS3_SA_NSD_INS6_10device_ptrIS9_EEEESJ_SL_NS1_16binary_search_opENSC_16wrapped_functionINS6_6system6detail7generic6detail18binary_search_lessEbEEEE10hipError_tPvRmT1_T2_T3_mmT4_T5_P12ihipStream_tbEUlRKS9_E_EESY_S12_S13_mS14_S17_bEUlT_E_NS1_11comp_targetILNS1_3genE2ELNS1_11target_archE906ELNS1_3gpuE6ELNS1_3repE0EEENS1_30default_config_static_selectorELNS0_4arch9wavefront6targetE0EEEvS11_.has_recursion, 0
	.set _ZN7rocprim17ROCPRIM_400000_NS6detail17trampoline_kernelINS0_14default_configENS1_29binary_search_config_selectorIN6thrust23THRUST_200600_302600_NS5tupleIiiNS6_9null_typeES8_S8_S8_S8_S8_S8_S8_EEiEEZNS1_14transform_implILb0ES3_SA_NS6_6detail15normal_iteratorINS6_7pointerIS9_NS6_11hip_rocprim5par_tENS6_11use_defaultESH_EEEENSD_INSE_IiSG_SH_SH_EEEEZNS1_13binary_searchIS3_SA_NSD_INS6_10device_ptrIS9_EEEESJ_SL_NS1_16binary_search_opENSC_16wrapped_functionINS6_6system6detail7generic6detail18binary_search_lessEbEEEE10hipError_tPvRmT1_T2_T3_mmT4_T5_P12ihipStream_tbEUlRKS9_E_EESY_S12_S13_mS14_S17_bEUlT_E_NS1_11comp_targetILNS1_3genE2ELNS1_11target_archE906ELNS1_3gpuE6ELNS1_3repE0EEENS1_30default_config_static_selectorELNS0_4arch9wavefront6targetE0EEEvS11_.has_indirect_call, 0
	.section	.AMDGPU.csdata,"",@progbits
; Kernel info:
; codeLenInByte = 0
; TotalNumSgprs: 0
; NumVgprs: 0
; ScratchSize: 0
; MemoryBound: 0
; FloatMode: 240
; IeeeMode: 1
; LDSByteSize: 0 bytes/workgroup (compile time only)
; SGPRBlocks: 0
; VGPRBlocks: 0
; NumSGPRsForWavesPerEU: 1
; NumVGPRsForWavesPerEU: 1
; Occupancy: 16
; WaveLimiterHint : 0
; COMPUTE_PGM_RSRC2:SCRATCH_EN: 0
; COMPUTE_PGM_RSRC2:USER_SGPR: 6
; COMPUTE_PGM_RSRC2:TRAP_HANDLER: 0
; COMPUTE_PGM_RSRC2:TGID_X_EN: 1
; COMPUTE_PGM_RSRC2:TGID_Y_EN: 0
; COMPUTE_PGM_RSRC2:TGID_Z_EN: 0
; COMPUTE_PGM_RSRC2:TIDIG_COMP_CNT: 0
	.section	.text._ZN7rocprim17ROCPRIM_400000_NS6detail17trampoline_kernelINS0_14default_configENS1_29binary_search_config_selectorIN6thrust23THRUST_200600_302600_NS5tupleIiiNS6_9null_typeES8_S8_S8_S8_S8_S8_S8_EEiEEZNS1_14transform_implILb0ES3_SA_NS6_6detail15normal_iteratorINS6_7pointerIS9_NS6_11hip_rocprim5par_tENS6_11use_defaultESH_EEEENSD_INSE_IiSG_SH_SH_EEEEZNS1_13binary_searchIS3_SA_NSD_INS6_10device_ptrIS9_EEEESJ_SL_NS1_16binary_search_opENSC_16wrapped_functionINS6_6system6detail7generic6detail18binary_search_lessEbEEEE10hipError_tPvRmT1_T2_T3_mmT4_T5_P12ihipStream_tbEUlRKS9_E_EESY_S12_S13_mS14_S17_bEUlT_E_NS1_11comp_targetILNS1_3genE10ELNS1_11target_archE1201ELNS1_3gpuE5ELNS1_3repE0EEENS1_30default_config_static_selectorELNS0_4arch9wavefront6targetE0EEEvS11_,"axG",@progbits,_ZN7rocprim17ROCPRIM_400000_NS6detail17trampoline_kernelINS0_14default_configENS1_29binary_search_config_selectorIN6thrust23THRUST_200600_302600_NS5tupleIiiNS6_9null_typeES8_S8_S8_S8_S8_S8_S8_EEiEEZNS1_14transform_implILb0ES3_SA_NS6_6detail15normal_iteratorINS6_7pointerIS9_NS6_11hip_rocprim5par_tENS6_11use_defaultESH_EEEENSD_INSE_IiSG_SH_SH_EEEEZNS1_13binary_searchIS3_SA_NSD_INS6_10device_ptrIS9_EEEESJ_SL_NS1_16binary_search_opENSC_16wrapped_functionINS6_6system6detail7generic6detail18binary_search_lessEbEEEE10hipError_tPvRmT1_T2_T3_mmT4_T5_P12ihipStream_tbEUlRKS9_E_EESY_S12_S13_mS14_S17_bEUlT_E_NS1_11comp_targetILNS1_3genE10ELNS1_11target_archE1201ELNS1_3gpuE5ELNS1_3repE0EEENS1_30default_config_static_selectorELNS0_4arch9wavefront6targetE0EEEvS11_,comdat
	.protected	_ZN7rocprim17ROCPRIM_400000_NS6detail17trampoline_kernelINS0_14default_configENS1_29binary_search_config_selectorIN6thrust23THRUST_200600_302600_NS5tupleIiiNS6_9null_typeES8_S8_S8_S8_S8_S8_S8_EEiEEZNS1_14transform_implILb0ES3_SA_NS6_6detail15normal_iteratorINS6_7pointerIS9_NS6_11hip_rocprim5par_tENS6_11use_defaultESH_EEEENSD_INSE_IiSG_SH_SH_EEEEZNS1_13binary_searchIS3_SA_NSD_INS6_10device_ptrIS9_EEEESJ_SL_NS1_16binary_search_opENSC_16wrapped_functionINS6_6system6detail7generic6detail18binary_search_lessEbEEEE10hipError_tPvRmT1_T2_T3_mmT4_T5_P12ihipStream_tbEUlRKS9_E_EESY_S12_S13_mS14_S17_bEUlT_E_NS1_11comp_targetILNS1_3genE10ELNS1_11target_archE1201ELNS1_3gpuE5ELNS1_3repE0EEENS1_30default_config_static_selectorELNS0_4arch9wavefront6targetE0EEEvS11_ ; -- Begin function _ZN7rocprim17ROCPRIM_400000_NS6detail17trampoline_kernelINS0_14default_configENS1_29binary_search_config_selectorIN6thrust23THRUST_200600_302600_NS5tupleIiiNS6_9null_typeES8_S8_S8_S8_S8_S8_S8_EEiEEZNS1_14transform_implILb0ES3_SA_NS6_6detail15normal_iteratorINS6_7pointerIS9_NS6_11hip_rocprim5par_tENS6_11use_defaultESH_EEEENSD_INSE_IiSG_SH_SH_EEEEZNS1_13binary_searchIS3_SA_NSD_INS6_10device_ptrIS9_EEEESJ_SL_NS1_16binary_search_opENSC_16wrapped_functionINS6_6system6detail7generic6detail18binary_search_lessEbEEEE10hipError_tPvRmT1_T2_T3_mmT4_T5_P12ihipStream_tbEUlRKS9_E_EESY_S12_S13_mS14_S17_bEUlT_E_NS1_11comp_targetILNS1_3genE10ELNS1_11target_archE1201ELNS1_3gpuE5ELNS1_3repE0EEENS1_30default_config_static_selectorELNS0_4arch9wavefront6targetE0EEEvS11_
	.globl	_ZN7rocprim17ROCPRIM_400000_NS6detail17trampoline_kernelINS0_14default_configENS1_29binary_search_config_selectorIN6thrust23THRUST_200600_302600_NS5tupleIiiNS6_9null_typeES8_S8_S8_S8_S8_S8_S8_EEiEEZNS1_14transform_implILb0ES3_SA_NS6_6detail15normal_iteratorINS6_7pointerIS9_NS6_11hip_rocprim5par_tENS6_11use_defaultESH_EEEENSD_INSE_IiSG_SH_SH_EEEEZNS1_13binary_searchIS3_SA_NSD_INS6_10device_ptrIS9_EEEESJ_SL_NS1_16binary_search_opENSC_16wrapped_functionINS6_6system6detail7generic6detail18binary_search_lessEbEEEE10hipError_tPvRmT1_T2_T3_mmT4_T5_P12ihipStream_tbEUlRKS9_E_EESY_S12_S13_mS14_S17_bEUlT_E_NS1_11comp_targetILNS1_3genE10ELNS1_11target_archE1201ELNS1_3gpuE5ELNS1_3repE0EEENS1_30default_config_static_selectorELNS0_4arch9wavefront6targetE0EEEvS11_
	.p2align	8
	.type	_ZN7rocprim17ROCPRIM_400000_NS6detail17trampoline_kernelINS0_14default_configENS1_29binary_search_config_selectorIN6thrust23THRUST_200600_302600_NS5tupleIiiNS6_9null_typeES8_S8_S8_S8_S8_S8_S8_EEiEEZNS1_14transform_implILb0ES3_SA_NS6_6detail15normal_iteratorINS6_7pointerIS9_NS6_11hip_rocprim5par_tENS6_11use_defaultESH_EEEENSD_INSE_IiSG_SH_SH_EEEEZNS1_13binary_searchIS3_SA_NSD_INS6_10device_ptrIS9_EEEESJ_SL_NS1_16binary_search_opENSC_16wrapped_functionINS6_6system6detail7generic6detail18binary_search_lessEbEEEE10hipError_tPvRmT1_T2_T3_mmT4_T5_P12ihipStream_tbEUlRKS9_E_EESY_S12_S13_mS14_S17_bEUlT_E_NS1_11comp_targetILNS1_3genE10ELNS1_11target_archE1201ELNS1_3gpuE5ELNS1_3repE0EEENS1_30default_config_static_selectorELNS0_4arch9wavefront6targetE0EEEvS11_,@function
_ZN7rocprim17ROCPRIM_400000_NS6detail17trampoline_kernelINS0_14default_configENS1_29binary_search_config_selectorIN6thrust23THRUST_200600_302600_NS5tupleIiiNS6_9null_typeES8_S8_S8_S8_S8_S8_S8_EEiEEZNS1_14transform_implILb0ES3_SA_NS6_6detail15normal_iteratorINS6_7pointerIS9_NS6_11hip_rocprim5par_tENS6_11use_defaultESH_EEEENSD_INSE_IiSG_SH_SH_EEEEZNS1_13binary_searchIS3_SA_NSD_INS6_10device_ptrIS9_EEEESJ_SL_NS1_16binary_search_opENSC_16wrapped_functionINS6_6system6detail7generic6detail18binary_search_lessEbEEEE10hipError_tPvRmT1_T2_T3_mmT4_T5_P12ihipStream_tbEUlRKS9_E_EESY_S12_S13_mS14_S17_bEUlT_E_NS1_11comp_targetILNS1_3genE10ELNS1_11target_archE1201ELNS1_3gpuE5ELNS1_3repE0EEENS1_30default_config_static_selectorELNS0_4arch9wavefront6targetE0EEEvS11_: ; @_ZN7rocprim17ROCPRIM_400000_NS6detail17trampoline_kernelINS0_14default_configENS1_29binary_search_config_selectorIN6thrust23THRUST_200600_302600_NS5tupleIiiNS6_9null_typeES8_S8_S8_S8_S8_S8_S8_EEiEEZNS1_14transform_implILb0ES3_SA_NS6_6detail15normal_iteratorINS6_7pointerIS9_NS6_11hip_rocprim5par_tENS6_11use_defaultESH_EEEENSD_INSE_IiSG_SH_SH_EEEEZNS1_13binary_searchIS3_SA_NSD_INS6_10device_ptrIS9_EEEESJ_SL_NS1_16binary_search_opENSC_16wrapped_functionINS6_6system6detail7generic6detail18binary_search_lessEbEEEE10hipError_tPvRmT1_T2_T3_mmT4_T5_P12ihipStream_tbEUlRKS9_E_EESY_S12_S13_mS14_S17_bEUlT_E_NS1_11comp_targetILNS1_3genE10ELNS1_11target_archE1201ELNS1_3gpuE5ELNS1_3repE0EEENS1_30default_config_static_selectorELNS0_4arch9wavefront6targetE0EEEvS11_
; %bb.0:
	.section	.rodata,"a",@progbits
	.p2align	6, 0x0
	.amdhsa_kernel _ZN7rocprim17ROCPRIM_400000_NS6detail17trampoline_kernelINS0_14default_configENS1_29binary_search_config_selectorIN6thrust23THRUST_200600_302600_NS5tupleIiiNS6_9null_typeES8_S8_S8_S8_S8_S8_S8_EEiEEZNS1_14transform_implILb0ES3_SA_NS6_6detail15normal_iteratorINS6_7pointerIS9_NS6_11hip_rocprim5par_tENS6_11use_defaultESH_EEEENSD_INSE_IiSG_SH_SH_EEEEZNS1_13binary_searchIS3_SA_NSD_INS6_10device_ptrIS9_EEEESJ_SL_NS1_16binary_search_opENSC_16wrapped_functionINS6_6system6detail7generic6detail18binary_search_lessEbEEEE10hipError_tPvRmT1_T2_T3_mmT4_T5_P12ihipStream_tbEUlRKS9_E_EESY_S12_S13_mS14_S17_bEUlT_E_NS1_11comp_targetILNS1_3genE10ELNS1_11target_archE1201ELNS1_3gpuE5ELNS1_3repE0EEENS1_30default_config_static_selectorELNS0_4arch9wavefront6targetE0EEEvS11_
		.amdhsa_group_segment_fixed_size 0
		.amdhsa_private_segment_fixed_size 0
		.amdhsa_kernarg_size 56
		.amdhsa_user_sgpr_count 6
		.amdhsa_user_sgpr_private_segment_buffer 1
		.amdhsa_user_sgpr_dispatch_ptr 0
		.amdhsa_user_sgpr_queue_ptr 0
		.amdhsa_user_sgpr_kernarg_segment_ptr 1
		.amdhsa_user_sgpr_dispatch_id 0
		.amdhsa_user_sgpr_flat_scratch_init 0
		.amdhsa_user_sgpr_private_segment_size 0
		.amdhsa_wavefront_size32 1
		.amdhsa_uses_dynamic_stack 0
		.amdhsa_system_sgpr_private_segment_wavefront_offset 0
		.amdhsa_system_sgpr_workgroup_id_x 1
		.amdhsa_system_sgpr_workgroup_id_y 0
		.amdhsa_system_sgpr_workgroup_id_z 0
		.amdhsa_system_sgpr_workgroup_info 0
		.amdhsa_system_vgpr_workitem_id 0
		.amdhsa_next_free_vgpr 1
		.amdhsa_next_free_sgpr 1
		.amdhsa_reserve_vcc 0
		.amdhsa_reserve_flat_scratch 0
		.amdhsa_float_round_mode_32 0
		.amdhsa_float_round_mode_16_64 0
		.amdhsa_float_denorm_mode_32 3
		.amdhsa_float_denorm_mode_16_64 3
		.amdhsa_dx10_clamp 1
		.amdhsa_ieee_mode 1
		.amdhsa_fp16_overflow 0
		.amdhsa_workgroup_processor_mode 1
		.amdhsa_memory_ordered 1
		.amdhsa_forward_progress 1
		.amdhsa_shared_vgpr_count 0
		.amdhsa_exception_fp_ieee_invalid_op 0
		.amdhsa_exception_fp_denorm_src 0
		.amdhsa_exception_fp_ieee_div_zero 0
		.amdhsa_exception_fp_ieee_overflow 0
		.amdhsa_exception_fp_ieee_underflow 0
		.amdhsa_exception_fp_ieee_inexact 0
		.amdhsa_exception_int_div_zero 0
	.end_amdhsa_kernel
	.section	.text._ZN7rocprim17ROCPRIM_400000_NS6detail17trampoline_kernelINS0_14default_configENS1_29binary_search_config_selectorIN6thrust23THRUST_200600_302600_NS5tupleIiiNS6_9null_typeES8_S8_S8_S8_S8_S8_S8_EEiEEZNS1_14transform_implILb0ES3_SA_NS6_6detail15normal_iteratorINS6_7pointerIS9_NS6_11hip_rocprim5par_tENS6_11use_defaultESH_EEEENSD_INSE_IiSG_SH_SH_EEEEZNS1_13binary_searchIS3_SA_NSD_INS6_10device_ptrIS9_EEEESJ_SL_NS1_16binary_search_opENSC_16wrapped_functionINS6_6system6detail7generic6detail18binary_search_lessEbEEEE10hipError_tPvRmT1_T2_T3_mmT4_T5_P12ihipStream_tbEUlRKS9_E_EESY_S12_S13_mS14_S17_bEUlT_E_NS1_11comp_targetILNS1_3genE10ELNS1_11target_archE1201ELNS1_3gpuE5ELNS1_3repE0EEENS1_30default_config_static_selectorELNS0_4arch9wavefront6targetE0EEEvS11_,"axG",@progbits,_ZN7rocprim17ROCPRIM_400000_NS6detail17trampoline_kernelINS0_14default_configENS1_29binary_search_config_selectorIN6thrust23THRUST_200600_302600_NS5tupleIiiNS6_9null_typeES8_S8_S8_S8_S8_S8_S8_EEiEEZNS1_14transform_implILb0ES3_SA_NS6_6detail15normal_iteratorINS6_7pointerIS9_NS6_11hip_rocprim5par_tENS6_11use_defaultESH_EEEENSD_INSE_IiSG_SH_SH_EEEEZNS1_13binary_searchIS3_SA_NSD_INS6_10device_ptrIS9_EEEESJ_SL_NS1_16binary_search_opENSC_16wrapped_functionINS6_6system6detail7generic6detail18binary_search_lessEbEEEE10hipError_tPvRmT1_T2_T3_mmT4_T5_P12ihipStream_tbEUlRKS9_E_EESY_S12_S13_mS14_S17_bEUlT_E_NS1_11comp_targetILNS1_3genE10ELNS1_11target_archE1201ELNS1_3gpuE5ELNS1_3repE0EEENS1_30default_config_static_selectorELNS0_4arch9wavefront6targetE0EEEvS11_,comdat
.Lfunc_end730:
	.size	_ZN7rocprim17ROCPRIM_400000_NS6detail17trampoline_kernelINS0_14default_configENS1_29binary_search_config_selectorIN6thrust23THRUST_200600_302600_NS5tupleIiiNS6_9null_typeES8_S8_S8_S8_S8_S8_S8_EEiEEZNS1_14transform_implILb0ES3_SA_NS6_6detail15normal_iteratorINS6_7pointerIS9_NS6_11hip_rocprim5par_tENS6_11use_defaultESH_EEEENSD_INSE_IiSG_SH_SH_EEEEZNS1_13binary_searchIS3_SA_NSD_INS6_10device_ptrIS9_EEEESJ_SL_NS1_16binary_search_opENSC_16wrapped_functionINS6_6system6detail7generic6detail18binary_search_lessEbEEEE10hipError_tPvRmT1_T2_T3_mmT4_T5_P12ihipStream_tbEUlRKS9_E_EESY_S12_S13_mS14_S17_bEUlT_E_NS1_11comp_targetILNS1_3genE10ELNS1_11target_archE1201ELNS1_3gpuE5ELNS1_3repE0EEENS1_30default_config_static_selectorELNS0_4arch9wavefront6targetE0EEEvS11_, .Lfunc_end730-_ZN7rocprim17ROCPRIM_400000_NS6detail17trampoline_kernelINS0_14default_configENS1_29binary_search_config_selectorIN6thrust23THRUST_200600_302600_NS5tupleIiiNS6_9null_typeES8_S8_S8_S8_S8_S8_S8_EEiEEZNS1_14transform_implILb0ES3_SA_NS6_6detail15normal_iteratorINS6_7pointerIS9_NS6_11hip_rocprim5par_tENS6_11use_defaultESH_EEEENSD_INSE_IiSG_SH_SH_EEEEZNS1_13binary_searchIS3_SA_NSD_INS6_10device_ptrIS9_EEEESJ_SL_NS1_16binary_search_opENSC_16wrapped_functionINS6_6system6detail7generic6detail18binary_search_lessEbEEEE10hipError_tPvRmT1_T2_T3_mmT4_T5_P12ihipStream_tbEUlRKS9_E_EESY_S12_S13_mS14_S17_bEUlT_E_NS1_11comp_targetILNS1_3genE10ELNS1_11target_archE1201ELNS1_3gpuE5ELNS1_3repE0EEENS1_30default_config_static_selectorELNS0_4arch9wavefront6targetE0EEEvS11_
                                        ; -- End function
	.set _ZN7rocprim17ROCPRIM_400000_NS6detail17trampoline_kernelINS0_14default_configENS1_29binary_search_config_selectorIN6thrust23THRUST_200600_302600_NS5tupleIiiNS6_9null_typeES8_S8_S8_S8_S8_S8_S8_EEiEEZNS1_14transform_implILb0ES3_SA_NS6_6detail15normal_iteratorINS6_7pointerIS9_NS6_11hip_rocprim5par_tENS6_11use_defaultESH_EEEENSD_INSE_IiSG_SH_SH_EEEEZNS1_13binary_searchIS3_SA_NSD_INS6_10device_ptrIS9_EEEESJ_SL_NS1_16binary_search_opENSC_16wrapped_functionINS6_6system6detail7generic6detail18binary_search_lessEbEEEE10hipError_tPvRmT1_T2_T3_mmT4_T5_P12ihipStream_tbEUlRKS9_E_EESY_S12_S13_mS14_S17_bEUlT_E_NS1_11comp_targetILNS1_3genE10ELNS1_11target_archE1201ELNS1_3gpuE5ELNS1_3repE0EEENS1_30default_config_static_selectorELNS0_4arch9wavefront6targetE0EEEvS11_.num_vgpr, 0
	.set _ZN7rocprim17ROCPRIM_400000_NS6detail17trampoline_kernelINS0_14default_configENS1_29binary_search_config_selectorIN6thrust23THRUST_200600_302600_NS5tupleIiiNS6_9null_typeES8_S8_S8_S8_S8_S8_S8_EEiEEZNS1_14transform_implILb0ES3_SA_NS6_6detail15normal_iteratorINS6_7pointerIS9_NS6_11hip_rocprim5par_tENS6_11use_defaultESH_EEEENSD_INSE_IiSG_SH_SH_EEEEZNS1_13binary_searchIS3_SA_NSD_INS6_10device_ptrIS9_EEEESJ_SL_NS1_16binary_search_opENSC_16wrapped_functionINS6_6system6detail7generic6detail18binary_search_lessEbEEEE10hipError_tPvRmT1_T2_T3_mmT4_T5_P12ihipStream_tbEUlRKS9_E_EESY_S12_S13_mS14_S17_bEUlT_E_NS1_11comp_targetILNS1_3genE10ELNS1_11target_archE1201ELNS1_3gpuE5ELNS1_3repE0EEENS1_30default_config_static_selectorELNS0_4arch9wavefront6targetE0EEEvS11_.num_agpr, 0
	.set _ZN7rocprim17ROCPRIM_400000_NS6detail17trampoline_kernelINS0_14default_configENS1_29binary_search_config_selectorIN6thrust23THRUST_200600_302600_NS5tupleIiiNS6_9null_typeES8_S8_S8_S8_S8_S8_S8_EEiEEZNS1_14transform_implILb0ES3_SA_NS6_6detail15normal_iteratorINS6_7pointerIS9_NS6_11hip_rocprim5par_tENS6_11use_defaultESH_EEEENSD_INSE_IiSG_SH_SH_EEEEZNS1_13binary_searchIS3_SA_NSD_INS6_10device_ptrIS9_EEEESJ_SL_NS1_16binary_search_opENSC_16wrapped_functionINS6_6system6detail7generic6detail18binary_search_lessEbEEEE10hipError_tPvRmT1_T2_T3_mmT4_T5_P12ihipStream_tbEUlRKS9_E_EESY_S12_S13_mS14_S17_bEUlT_E_NS1_11comp_targetILNS1_3genE10ELNS1_11target_archE1201ELNS1_3gpuE5ELNS1_3repE0EEENS1_30default_config_static_selectorELNS0_4arch9wavefront6targetE0EEEvS11_.numbered_sgpr, 0
	.set _ZN7rocprim17ROCPRIM_400000_NS6detail17trampoline_kernelINS0_14default_configENS1_29binary_search_config_selectorIN6thrust23THRUST_200600_302600_NS5tupleIiiNS6_9null_typeES8_S8_S8_S8_S8_S8_S8_EEiEEZNS1_14transform_implILb0ES3_SA_NS6_6detail15normal_iteratorINS6_7pointerIS9_NS6_11hip_rocprim5par_tENS6_11use_defaultESH_EEEENSD_INSE_IiSG_SH_SH_EEEEZNS1_13binary_searchIS3_SA_NSD_INS6_10device_ptrIS9_EEEESJ_SL_NS1_16binary_search_opENSC_16wrapped_functionINS6_6system6detail7generic6detail18binary_search_lessEbEEEE10hipError_tPvRmT1_T2_T3_mmT4_T5_P12ihipStream_tbEUlRKS9_E_EESY_S12_S13_mS14_S17_bEUlT_E_NS1_11comp_targetILNS1_3genE10ELNS1_11target_archE1201ELNS1_3gpuE5ELNS1_3repE0EEENS1_30default_config_static_selectorELNS0_4arch9wavefront6targetE0EEEvS11_.num_named_barrier, 0
	.set _ZN7rocprim17ROCPRIM_400000_NS6detail17trampoline_kernelINS0_14default_configENS1_29binary_search_config_selectorIN6thrust23THRUST_200600_302600_NS5tupleIiiNS6_9null_typeES8_S8_S8_S8_S8_S8_S8_EEiEEZNS1_14transform_implILb0ES3_SA_NS6_6detail15normal_iteratorINS6_7pointerIS9_NS6_11hip_rocprim5par_tENS6_11use_defaultESH_EEEENSD_INSE_IiSG_SH_SH_EEEEZNS1_13binary_searchIS3_SA_NSD_INS6_10device_ptrIS9_EEEESJ_SL_NS1_16binary_search_opENSC_16wrapped_functionINS6_6system6detail7generic6detail18binary_search_lessEbEEEE10hipError_tPvRmT1_T2_T3_mmT4_T5_P12ihipStream_tbEUlRKS9_E_EESY_S12_S13_mS14_S17_bEUlT_E_NS1_11comp_targetILNS1_3genE10ELNS1_11target_archE1201ELNS1_3gpuE5ELNS1_3repE0EEENS1_30default_config_static_selectorELNS0_4arch9wavefront6targetE0EEEvS11_.private_seg_size, 0
	.set _ZN7rocprim17ROCPRIM_400000_NS6detail17trampoline_kernelINS0_14default_configENS1_29binary_search_config_selectorIN6thrust23THRUST_200600_302600_NS5tupleIiiNS6_9null_typeES8_S8_S8_S8_S8_S8_S8_EEiEEZNS1_14transform_implILb0ES3_SA_NS6_6detail15normal_iteratorINS6_7pointerIS9_NS6_11hip_rocprim5par_tENS6_11use_defaultESH_EEEENSD_INSE_IiSG_SH_SH_EEEEZNS1_13binary_searchIS3_SA_NSD_INS6_10device_ptrIS9_EEEESJ_SL_NS1_16binary_search_opENSC_16wrapped_functionINS6_6system6detail7generic6detail18binary_search_lessEbEEEE10hipError_tPvRmT1_T2_T3_mmT4_T5_P12ihipStream_tbEUlRKS9_E_EESY_S12_S13_mS14_S17_bEUlT_E_NS1_11comp_targetILNS1_3genE10ELNS1_11target_archE1201ELNS1_3gpuE5ELNS1_3repE0EEENS1_30default_config_static_selectorELNS0_4arch9wavefront6targetE0EEEvS11_.uses_vcc, 0
	.set _ZN7rocprim17ROCPRIM_400000_NS6detail17trampoline_kernelINS0_14default_configENS1_29binary_search_config_selectorIN6thrust23THRUST_200600_302600_NS5tupleIiiNS6_9null_typeES8_S8_S8_S8_S8_S8_S8_EEiEEZNS1_14transform_implILb0ES3_SA_NS6_6detail15normal_iteratorINS6_7pointerIS9_NS6_11hip_rocprim5par_tENS6_11use_defaultESH_EEEENSD_INSE_IiSG_SH_SH_EEEEZNS1_13binary_searchIS3_SA_NSD_INS6_10device_ptrIS9_EEEESJ_SL_NS1_16binary_search_opENSC_16wrapped_functionINS6_6system6detail7generic6detail18binary_search_lessEbEEEE10hipError_tPvRmT1_T2_T3_mmT4_T5_P12ihipStream_tbEUlRKS9_E_EESY_S12_S13_mS14_S17_bEUlT_E_NS1_11comp_targetILNS1_3genE10ELNS1_11target_archE1201ELNS1_3gpuE5ELNS1_3repE0EEENS1_30default_config_static_selectorELNS0_4arch9wavefront6targetE0EEEvS11_.uses_flat_scratch, 0
	.set _ZN7rocprim17ROCPRIM_400000_NS6detail17trampoline_kernelINS0_14default_configENS1_29binary_search_config_selectorIN6thrust23THRUST_200600_302600_NS5tupleIiiNS6_9null_typeES8_S8_S8_S8_S8_S8_S8_EEiEEZNS1_14transform_implILb0ES3_SA_NS6_6detail15normal_iteratorINS6_7pointerIS9_NS6_11hip_rocprim5par_tENS6_11use_defaultESH_EEEENSD_INSE_IiSG_SH_SH_EEEEZNS1_13binary_searchIS3_SA_NSD_INS6_10device_ptrIS9_EEEESJ_SL_NS1_16binary_search_opENSC_16wrapped_functionINS6_6system6detail7generic6detail18binary_search_lessEbEEEE10hipError_tPvRmT1_T2_T3_mmT4_T5_P12ihipStream_tbEUlRKS9_E_EESY_S12_S13_mS14_S17_bEUlT_E_NS1_11comp_targetILNS1_3genE10ELNS1_11target_archE1201ELNS1_3gpuE5ELNS1_3repE0EEENS1_30default_config_static_selectorELNS0_4arch9wavefront6targetE0EEEvS11_.has_dyn_sized_stack, 0
	.set _ZN7rocprim17ROCPRIM_400000_NS6detail17trampoline_kernelINS0_14default_configENS1_29binary_search_config_selectorIN6thrust23THRUST_200600_302600_NS5tupleIiiNS6_9null_typeES8_S8_S8_S8_S8_S8_S8_EEiEEZNS1_14transform_implILb0ES3_SA_NS6_6detail15normal_iteratorINS6_7pointerIS9_NS6_11hip_rocprim5par_tENS6_11use_defaultESH_EEEENSD_INSE_IiSG_SH_SH_EEEEZNS1_13binary_searchIS3_SA_NSD_INS6_10device_ptrIS9_EEEESJ_SL_NS1_16binary_search_opENSC_16wrapped_functionINS6_6system6detail7generic6detail18binary_search_lessEbEEEE10hipError_tPvRmT1_T2_T3_mmT4_T5_P12ihipStream_tbEUlRKS9_E_EESY_S12_S13_mS14_S17_bEUlT_E_NS1_11comp_targetILNS1_3genE10ELNS1_11target_archE1201ELNS1_3gpuE5ELNS1_3repE0EEENS1_30default_config_static_selectorELNS0_4arch9wavefront6targetE0EEEvS11_.has_recursion, 0
	.set _ZN7rocprim17ROCPRIM_400000_NS6detail17trampoline_kernelINS0_14default_configENS1_29binary_search_config_selectorIN6thrust23THRUST_200600_302600_NS5tupleIiiNS6_9null_typeES8_S8_S8_S8_S8_S8_S8_EEiEEZNS1_14transform_implILb0ES3_SA_NS6_6detail15normal_iteratorINS6_7pointerIS9_NS6_11hip_rocprim5par_tENS6_11use_defaultESH_EEEENSD_INSE_IiSG_SH_SH_EEEEZNS1_13binary_searchIS3_SA_NSD_INS6_10device_ptrIS9_EEEESJ_SL_NS1_16binary_search_opENSC_16wrapped_functionINS6_6system6detail7generic6detail18binary_search_lessEbEEEE10hipError_tPvRmT1_T2_T3_mmT4_T5_P12ihipStream_tbEUlRKS9_E_EESY_S12_S13_mS14_S17_bEUlT_E_NS1_11comp_targetILNS1_3genE10ELNS1_11target_archE1201ELNS1_3gpuE5ELNS1_3repE0EEENS1_30default_config_static_selectorELNS0_4arch9wavefront6targetE0EEEvS11_.has_indirect_call, 0
	.section	.AMDGPU.csdata,"",@progbits
; Kernel info:
; codeLenInByte = 0
; TotalNumSgprs: 0
; NumVgprs: 0
; ScratchSize: 0
; MemoryBound: 0
; FloatMode: 240
; IeeeMode: 1
; LDSByteSize: 0 bytes/workgroup (compile time only)
; SGPRBlocks: 0
; VGPRBlocks: 0
; NumSGPRsForWavesPerEU: 1
; NumVGPRsForWavesPerEU: 1
; Occupancy: 16
; WaveLimiterHint : 0
; COMPUTE_PGM_RSRC2:SCRATCH_EN: 0
; COMPUTE_PGM_RSRC2:USER_SGPR: 6
; COMPUTE_PGM_RSRC2:TRAP_HANDLER: 0
; COMPUTE_PGM_RSRC2:TGID_X_EN: 1
; COMPUTE_PGM_RSRC2:TGID_Y_EN: 0
; COMPUTE_PGM_RSRC2:TGID_Z_EN: 0
; COMPUTE_PGM_RSRC2:TIDIG_COMP_CNT: 0
	.section	.text._ZN7rocprim17ROCPRIM_400000_NS6detail17trampoline_kernelINS0_14default_configENS1_29binary_search_config_selectorIN6thrust23THRUST_200600_302600_NS5tupleIiiNS6_9null_typeES8_S8_S8_S8_S8_S8_S8_EEiEEZNS1_14transform_implILb0ES3_SA_NS6_6detail15normal_iteratorINS6_7pointerIS9_NS6_11hip_rocprim5par_tENS6_11use_defaultESH_EEEENSD_INSE_IiSG_SH_SH_EEEEZNS1_13binary_searchIS3_SA_NSD_INS6_10device_ptrIS9_EEEESJ_SL_NS1_16binary_search_opENSC_16wrapped_functionINS6_6system6detail7generic6detail18binary_search_lessEbEEEE10hipError_tPvRmT1_T2_T3_mmT4_T5_P12ihipStream_tbEUlRKS9_E_EESY_S12_S13_mS14_S17_bEUlT_E_NS1_11comp_targetILNS1_3genE10ELNS1_11target_archE1200ELNS1_3gpuE4ELNS1_3repE0EEENS1_30default_config_static_selectorELNS0_4arch9wavefront6targetE0EEEvS11_,"axG",@progbits,_ZN7rocprim17ROCPRIM_400000_NS6detail17trampoline_kernelINS0_14default_configENS1_29binary_search_config_selectorIN6thrust23THRUST_200600_302600_NS5tupleIiiNS6_9null_typeES8_S8_S8_S8_S8_S8_S8_EEiEEZNS1_14transform_implILb0ES3_SA_NS6_6detail15normal_iteratorINS6_7pointerIS9_NS6_11hip_rocprim5par_tENS6_11use_defaultESH_EEEENSD_INSE_IiSG_SH_SH_EEEEZNS1_13binary_searchIS3_SA_NSD_INS6_10device_ptrIS9_EEEESJ_SL_NS1_16binary_search_opENSC_16wrapped_functionINS6_6system6detail7generic6detail18binary_search_lessEbEEEE10hipError_tPvRmT1_T2_T3_mmT4_T5_P12ihipStream_tbEUlRKS9_E_EESY_S12_S13_mS14_S17_bEUlT_E_NS1_11comp_targetILNS1_3genE10ELNS1_11target_archE1200ELNS1_3gpuE4ELNS1_3repE0EEENS1_30default_config_static_selectorELNS0_4arch9wavefront6targetE0EEEvS11_,comdat
	.protected	_ZN7rocprim17ROCPRIM_400000_NS6detail17trampoline_kernelINS0_14default_configENS1_29binary_search_config_selectorIN6thrust23THRUST_200600_302600_NS5tupleIiiNS6_9null_typeES8_S8_S8_S8_S8_S8_S8_EEiEEZNS1_14transform_implILb0ES3_SA_NS6_6detail15normal_iteratorINS6_7pointerIS9_NS6_11hip_rocprim5par_tENS6_11use_defaultESH_EEEENSD_INSE_IiSG_SH_SH_EEEEZNS1_13binary_searchIS3_SA_NSD_INS6_10device_ptrIS9_EEEESJ_SL_NS1_16binary_search_opENSC_16wrapped_functionINS6_6system6detail7generic6detail18binary_search_lessEbEEEE10hipError_tPvRmT1_T2_T3_mmT4_T5_P12ihipStream_tbEUlRKS9_E_EESY_S12_S13_mS14_S17_bEUlT_E_NS1_11comp_targetILNS1_3genE10ELNS1_11target_archE1200ELNS1_3gpuE4ELNS1_3repE0EEENS1_30default_config_static_selectorELNS0_4arch9wavefront6targetE0EEEvS11_ ; -- Begin function _ZN7rocprim17ROCPRIM_400000_NS6detail17trampoline_kernelINS0_14default_configENS1_29binary_search_config_selectorIN6thrust23THRUST_200600_302600_NS5tupleIiiNS6_9null_typeES8_S8_S8_S8_S8_S8_S8_EEiEEZNS1_14transform_implILb0ES3_SA_NS6_6detail15normal_iteratorINS6_7pointerIS9_NS6_11hip_rocprim5par_tENS6_11use_defaultESH_EEEENSD_INSE_IiSG_SH_SH_EEEEZNS1_13binary_searchIS3_SA_NSD_INS6_10device_ptrIS9_EEEESJ_SL_NS1_16binary_search_opENSC_16wrapped_functionINS6_6system6detail7generic6detail18binary_search_lessEbEEEE10hipError_tPvRmT1_T2_T3_mmT4_T5_P12ihipStream_tbEUlRKS9_E_EESY_S12_S13_mS14_S17_bEUlT_E_NS1_11comp_targetILNS1_3genE10ELNS1_11target_archE1200ELNS1_3gpuE4ELNS1_3repE0EEENS1_30default_config_static_selectorELNS0_4arch9wavefront6targetE0EEEvS11_
	.globl	_ZN7rocprim17ROCPRIM_400000_NS6detail17trampoline_kernelINS0_14default_configENS1_29binary_search_config_selectorIN6thrust23THRUST_200600_302600_NS5tupleIiiNS6_9null_typeES8_S8_S8_S8_S8_S8_S8_EEiEEZNS1_14transform_implILb0ES3_SA_NS6_6detail15normal_iteratorINS6_7pointerIS9_NS6_11hip_rocprim5par_tENS6_11use_defaultESH_EEEENSD_INSE_IiSG_SH_SH_EEEEZNS1_13binary_searchIS3_SA_NSD_INS6_10device_ptrIS9_EEEESJ_SL_NS1_16binary_search_opENSC_16wrapped_functionINS6_6system6detail7generic6detail18binary_search_lessEbEEEE10hipError_tPvRmT1_T2_T3_mmT4_T5_P12ihipStream_tbEUlRKS9_E_EESY_S12_S13_mS14_S17_bEUlT_E_NS1_11comp_targetILNS1_3genE10ELNS1_11target_archE1200ELNS1_3gpuE4ELNS1_3repE0EEENS1_30default_config_static_selectorELNS0_4arch9wavefront6targetE0EEEvS11_
	.p2align	8
	.type	_ZN7rocprim17ROCPRIM_400000_NS6detail17trampoline_kernelINS0_14default_configENS1_29binary_search_config_selectorIN6thrust23THRUST_200600_302600_NS5tupleIiiNS6_9null_typeES8_S8_S8_S8_S8_S8_S8_EEiEEZNS1_14transform_implILb0ES3_SA_NS6_6detail15normal_iteratorINS6_7pointerIS9_NS6_11hip_rocprim5par_tENS6_11use_defaultESH_EEEENSD_INSE_IiSG_SH_SH_EEEEZNS1_13binary_searchIS3_SA_NSD_INS6_10device_ptrIS9_EEEESJ_SL_NS1_16binary_search_opENSC_16wrapped_functionINS6_6system6detail7generic6detail18binary_search_lessEbEEEE10hipError_tPvRmT1_T2_T3_mmT4_T5_P12ihipStream_tbEUlRKS9_E_EESY_S12_S13_mS14_S17_bEUlT_E_NS1_11comp_targetILNS1_3genE10ELNS1_11target_archE1200ELNS1_3gpuE4ELNS1_3repE0EEENS1_30default_config_static_selectorELNS0_4arch9wavefront6targetE0EEEvS11_,@function
_ZN7rocprim17ROCPRIM_400000_NS6detail17trampoline_kernelINS0_14default_configENS1_29binary_search_config_selectorIN6thrust23THRUST_200600_302600_NS5tupleIiiNS6_9null_typeES8_S8_S8_S8_S8_S8_S8_EEiEEZNS1_14transform_implILb0ES3_SA_NS6_6detail15normal_iteratorINS6_7pointerIS9_NS6_11hip_rocprim5par_tENS6_11use_defaultESH_EEEENSD_INSE_IiSG_SH_SH_EEEEZNS1_13binary_searchIS3_SA_NSD_INS6_10device_ptrIS9_EEEESJ_SL_NS1_16binary_search_opENSC_16wrapped_functionINS6_6system6detail7generic6detail18binary_search_lessEbEEEE10hipError_tPvRmT1_T2_T3_mmT4_T5_P12ihipStream_tbEUlRKS9_E_EESY_S12_S13_mS14_S17_bEUlT_E_NS1_11comp_targetILNS1_3genE10ELNS1_11target_archE1200ELNS1_3gpuE4ELNS1_3repE0EEENS1_30default_config_static_selectorELNS0_4arch9wavefront6targetE0EEEvS11_: ; @_ZN7rocprim17ROCPRIM_400000_NS6detail17trampoline_kernelINS0_14default_configENS1_29binary_search_config_selectorIN6thrust23THRUST_200600_302600_NS5tupleIiiNS6_9null_typeES8_S8_S8_S8_S8_S8_S8_EEiEEZNS1_14transform_implILb0ES3_SA_NS6_6detail15normal_iteratorINS6_7pointerIS9_NS6_11hip_rocprim5par_tENS6_11use_defaultESH_EEEENSD_INSE_IiSG_SH_SH_EEEEZNS1_13binary_searchIS3_SA_NSD_INS6_10device_ptrIS9_EEEESJ_SL_NS1_16binary_search_opENSC_16wrapped_functionINS6_6system6detail7generic6detail18binary_search_lessEbEEEE10hipError_tPvRmT1_T2_T3_mmT4_T5_P12ihipStream_tbEUlRKS9_E_EESY_S12_S13_mS14_S17_bEUlT_E_NS1_11comp_targetILNS1_3genE10ELNS1_11target_archE1200ELNS1_3gpuE4ELNS1_3repE0EEENS1_30default_config_static_selectorELNS0_4arch9wavefront6targetE0EEEvS11_
; %bb.0:
	.section	.rodata,"a",@progbits
	.p2align	6, 0x0
	.amdhsa_kernel _ZN7rocprim17ROCPRIM_400000_NS6detail17trampoline_kernelINS0_14default_configENS1_29binary_search_config_selectorIN6thrust23THRUST_200600_302600_NS5tupleIiiNS6_9null_typeES8_S8_S8_S8_S8_S8_S8_EEiEEZNS1_14transform_implILb0ES3_SA_NS6_6detail15normal_iteratorINS6_7pointerIS9_NS6_11hip_rocprim5par_tENS6_11use_defaultESH_EEEENSD_INSE_IiSG_SH_SH_EEEEZNS1_13binary_searchIS3_SA_NSD_INS6_10device_ptrIS9_EEEESJ_SL_NS1_16binary_search_opENSC_16wrapped_functionINS6_6system6detail7generic6detail18binary_search_lessEbEEEE10hipError_tPvRmT1_T2_T3_mmT4_T5_P12ihipStream_tbEUlRKS9_E_EESY_S12_S13_mS14_S17_bEUlT_E_NS1_11comp_targetILNS1_3genE10ELNS1_11target_archE1200ELNS1_3gpuE4ELNS1_3repE0EEENS1_30default_config_static_selectorELNS0_4arch9wavefront6targetE0EEEvS11_
		.amdhsa_group_segment_fixed_size 0
		.amdhsa_private_segment_fixed_size 0
		.amdhsa_kernarg_size 56
		.amdhsa_user_sgpr_count 6
		.amdhsa_user_sgpr_private_segment_buffer 1
		.amdhsa_user_sgpr_dispatch_ptr 0
		.amdhsa_user_sgpr_queue_ptr 0
		.amdhsa_user_sgpr_kernarg_segment_ptr 1
		.amdhsa_user_sgpr_dispatch_id 0
		.amdhsa_user_sgpr_flat_scratch_init 0
		.amdhsa_user_sgpr_private_segment_size 0
		.amdhsa_wavefront_size32 1
		.amdhsa_uses_dynamic_stack 0
		.amdhsa_system_sgpr_private_segment_wavefront_offset 0
		.amdhsa_system_sgpr_workgroup_id_x 1
		.amdhsa_system_sgpr_workgroup_id_y 0
		.amdhsa_system_sgpr_workgroup_id_z 0
		.amdhsa_system_sgpr_workgroup_info 0
		.amdhsa_system_vgpr_workitem_id 0
		.amdhsa_next_free_vgpr 1
		.amdhsa_next_free_sgpr 1
		.amdhsa_reserve_vcc 0
		.amdhsa_reserve_flat_scratch 0
		.amdhsa_float_round_mode_32 0
		.amdhsa_float_round_mode_16_64 0
		.amdhsa_float_denorm_mode_32 3
		.amdhsa_float_denorm_mode_16_64 3
		.amdhsa_dx10_clamp 1
		.amdhsa_ieee_mode 1
		.amdhsa_fp16_overflow 0
		.amdhsa_workgroup_processor_mode 1
		.amdhsa_memory_ordered 1
		.amdhsa_forward_progress 1
		.amdhsa_shared_vgpr_count 0
		.amdhsa_exception_fp_ieee_invalid_op 0
		.amdhsa_exception_fp_denorm_src 0
		.amdhsa_exception_fp_ieee_div_zero 0
		.amdhsa_exception_fp_ieee_overflow 0
		.amdhsa_exception_fp_ieee_underflow 0
		.amdhsa_exception_fp_ieee_inexact 0
		.amdhsa_exception_int_div_zero 0
	.end_amdhsa_kernel
	.section	.text._ZN7rocprim17ROCPRIM_400000_NS6detail17trampoline_kernelINS0_14default_configENS1_29binary_search_config_selectorIN6thrust23THRUST_200600_302600_NS5tupleIiiNS6_9null_typeES8_S8_S8_S8_S8_S8_S8_EEiEEZNS1_14transform_implILb0ES3_SA_NS6_6detail15normal_iteratorINS6_7pointerIS9_NS6_11hip_rocprim5par_tENS6_11use_defaultESH_EEEENSD_INSE_IiSG_SH_SH_EEEEZNS1_13binary_searchIS3_SA_NSD_INS6_10device_ptrIS9_EEEESJ_SL_NS1_16binary_search_opENSC_16wrapped_functionINS6_6system6detail7generic6detail18binary_search_lessEbEEEE10hipError_tPvRmT1_T2_T3_mmT4_T5_P12ihipStream_tbEUlRKS9_E_EESY_S12_S13_mS14_S17_bEUlT_E_NS1_11comp_targetILNS1_3genE10ELNS1_11target_archE1200ELNS1_3gpuE4ELNS1_3repE0EEENS1_30default_config_static_selectorELNS0_4arch9wavefront6targetE0EEEvS11_,"axG",@progbits,_ZN7rocprim17ROCPRIM_400000_NS6detail17trampoline_kernelINS0_14default_configENS1_29binary_search_config_selectorIN6thrust23THRUST_200600_302600_NS5tupleIiiNS6_9null_typeES8_S8_S8_S8_S8_S8_S8_EEiEEZNS1_14transform_implILb0ES3_SA_NS6_6detail15normal_iteratorINS6_7pointerIS9_NS6_11hip_rocprim5par_tENS6_11use_defaultESH_EEEENSD_INSE_IiSG_SH_SH_EEEEZNS1_13binary_searchIS3_SA_NSD_INS6_10device_ptrIS9_EEEESJ_SL_NS1_16binary_search_opENSC_16wrapped_functionINS6_6system6detail7generic6detail18binary_search_lessEbEEEE10hipError_tPvRmT1_T2_T3_mmT4_T5_P12ihipStream_tbEUlRKS9_E_EESY_S12_S13_mS14_S17_bEUlT_E_NS1_11comp_targetILNS1_3genE10ELNS1_11target_archE1200ELNS1_3gpuE4ELNS1_3repE0EEENS1_30default_config_static_selectorELNS0_4arch9wavefront6targetE0EEEvS11_,comdat
.Lfunc_end731:
	.size	_ZN7rocprim17ROCPRIM_400000_NS6detail17trampoline_kernelINS0_14default_configENS1_29binary_search_config_selectorIN6thrust23THRUST_200600_302600_NS5tupleIiiNS6_9null_typeES8_S8_S8_S8_S8_S8_S8_EEiEEZNS1_14transform_implILb0ES3_SA_NS6_6detail15normal_iteratorINS6_7pointerIS9_NS6_11hip_rocprim5par_tENS6_11use_defaultESH_EEEENSD_INSE_IiSG_SH_SH_EEEEZNS1_13binary_searchIS3_SA_NSD_INS6_10device_ptrIS9_EEEESJ_SL_NS1_16binary_search_opENSC_16wrapped_functionINS6_6system6detail7generic6detail18binary_search_lessEbEEEE10hipError_tPvRmT1_T2_T3_mmT4_T5_P12ihipStream_tbEUlRKS9_E_EESY_S12_S13_mS14_S17_bEUlT_E_NS1_11comp_targetILNS1_3genE10ELNS1_11target_archE1200ELNS1_3gpuE4ELNS1_3repE0EEENS1_30default_config_static_selectorELNS0_4arch9wavefront6targetE0EEEvS11_, .Lfunc_end731-_ZN7rocprim17ROCPRIM_400000_NS6detail17trampoline_kernelINS0_14default_configENS1_29binary_search_config_selectorIN6thrust23THRUST_200600_302600_NS5tupleIiiNS6_9null_typeES8_S8_S8_S8_S8_S8_S8_EEiEEZNS1_14transform_implILb0ES3_SA_NS6_6detail15normal_iteratorINS6_7pointerIS9_NS6_11hip_rocprim5par_tENS6_11use_defaultESH_EEEENSD_INSE_IiSG_SH_SH_EEEEZNS1_13binary_searchIS3_SA_NSD_INS6_10device_ptrIS9_EEEESJ_SL_NS1_16binary_search_opENSC_16wrapped_functionINS6_6system6detail7generic6detail18binary_search_lessEbEEEE10hipError_tPvRmT1_T2_T3_mmT4_T5_P12ihipStream_tbEUlRKS9_E_EESY_S12_S13_mS14_S17_bEUlT_E_NS1_11comp_targetILNS1_3genE10ELNS1_11target_archE1200ELNS1_3gpuE4ELNS1_3repE0EEENS1_30default_config_static_selectorELNS0_4arch9wavefront6targetE0EEEvS11_
                                        ; -- End function
	.set _ZN7rocprim17ROCPRIM_400000_NS6detail17trampoline_kernelINS0_14default_configENS1_29binary_search_config_selectorIN6thrust23THRUST_200600_302600_NS5tupleIiiNS6_9null_typeES8_S8_S8_S8_S8_S8_S8_EEiEEZNS1_14transform_implILb0ES3_SA_NS6_6detail15normal_iteratorINS6_7pointerIS9_NS6_11hip_rocprim5par_tENS6_11use_defaultESH_EEEENSD_INSE_IiSG_SH_SH_EEEEZNS1_13binary_searchIS3_SA_NSD_INS6_10device_ptrIS9_EEEESJ_SL_NS1_16binary_search_opENSC_16wrapped_functionINS6_6system6detail7generic6detail18binary_search_lessEbEEEE10hipError_tPvRmT1_T2_T3_mmT4_T5_P12ihipStream_tbEUlRKS9_E_EESY_S12_S13_mS14_S17_bEUlT_E_NS1_11comp_targetILNS1_3genE10ELNS1_11target_archE1200ELNS1_3gpuE4ELNS1_3repE0EEENS1_30default_config_static_selectorELNS0_4arch9wavefront6targetE0EEEvS11_.num_vgpr, 0
	.set _ZN7rocprim17ROCPRIM_400000_NS6detail17trampoline_kernelINS0_14default_configENS1_29binary_search_config_selectorIN6thrust23THRUST_200600_302600_NS5tupleIiiNS6_9null_typeES8_S8_S8_S8_S8_S8_S8_EEiEEZNS1_14transform_implILb0ES3_SA_NS6_6detail15normal_iteratorINS6_7pointerIS9_NS6_11hip_rocprim5par_tENS6_11use_defaultESH_EEEENSD_INSE_IiSG_SH_SH_EEEEZNS1_13binary_searchIS3_SA_NSD_INS6_10device_ptrIS9_EEEESJ_SL_NS1_16binary_search_opENSC_16wrapped_functionINS6_6system6detail7generic6detail18binary_search_lessEbEEEE10hipError_tPvRmT1_T2_T3_mmT4_T5_P12ihipStream_tbEUlRKS9_E_EESY_S12_S13_mS14_S17_bEUlT_E_NS1_11comp_targetILNS1_3genE10ELNS1_11target_archE1200ELNS1_3gpuE4ELNS1_3repE0EEENS1_30default_config_static_selectorELNS0_4arch9wavefront6targetE0EEEvS11_.num_agpr, 0
	.set _ZN7rocprim17ROCPRIM_400000_NS6detail17trampoline_kernelINS0_14default_configENS1_29binary_search_config_selectorIN6thrust23THRUST_200600_302600_NS5tupleIiiNS6_9null_typeES8_S8_S8_S8_S8_S8_S8_EEiEEZNS1_14transform_implILb0ES3_SA_NS6_6detail15normal_iteratorINS6_7pointerIS9_NS6_11hip_rocprim5par_tENS6_11use_defaultESH_EEEENSD_INSE_IiSG_SH_SH_EEEEZNS1_13binary_searchIS3_SA_NSD_INS6_10device_ptrIS9_EEEESJ_SL_NS1_16binary_search_opENSC_16wrapped_functionINS6_6system6detail7generic6detail18binary_search_lessEbEEEE10hipError_tPvRmT1_T2_T3_mmT4_T5_P12ihipStream_tbEUlRKS9_E_EESY_S12_S13_mS14_S17_bEUlT_E_NS1_11comp_targetILNS1_3genE10ELNS1_11target_archE1200ELNS1_3gpuE4ELNS1_3repE0EEENS1_30default_config_static_selectorELNS0_4arch9wavefront6targetE0EEEvS11_.numbered_sgpr, 0
	.set _ZN7rocprim17ROCPRIM_400000_NS6detail17trampoline_kernelINS0_14default_configENS1_29binary_search_config_selectorIN6thrust23THRUST_200600_302600_NS5tupleIiiNS6_9null_typeES8_S8_S8_S8_S8_S8_S8_EEiEEZNS1_14transform_implILb0ES3_SA_NS6_6detail15normal_iteratorINS6_7pointerIS9_NS6_11hip_rocprim5par_tENS6_11use_defaultESH_EEEENSD_INSE_IiSG_SH_SH_EEEEZNS1_13binary_searchIS3_SA_NSD_INS6_10device_ptrIS9_EEEESJ_SL_NS1_16binary_search_opENSC_16wrapped_functionINS6_6system6detail7generic6detail18binary_search_lessEbEEEE10hipError_tPvRmT1_T2_T3_mmT4_T5_P12ihipStream_tbEUlRKS9_E_EESY_S12_S13_mS14_S17_bEUlT_E_NS1_11comp_targetILNS1_3genE10ELNS1_11target_archE1200ELNS1_3gpuE4ELNS1_3repE0EEENS1_30default_config_static_selectorELNS0_4arch9wavefront6targetE0EEEvS11_.num_named_barrier, 0
	.set _ZN7rocprim17ROCPRIM_400000_NS6detail17trampoline_kernelINS0_14default_configENS1_29binary_search_config_selectorIN6thrust23THRUST_200600_302600_NS5tupleIiiNS6_9null_typeES8_S8_S8_S8_S8_S8_S8_EEiEEZNS1_14transform_implILb0ES3_SA_NS6_6detail15normal_iteratorINS6_7pointerIS9_NS6_11hip_rocprim5par_tENS6_11use_defaultESH_EEEENSD_INSE_IiSG_SH_SH_EEEEZNS1_13binary_searchIS3_SA_NSD_INS6_10device_ptrIS9_EEEESJ_SL_NS1_16binary_search_opENSC_16wrapped_functionINS6_6system6detail7generic6detail18binary_search_lessEbEEEE10hipError_tPvRmT1_T2_T3_mmT4_T5_P12ihipStream_tbEUlRKS9_E_EESY_S12_S13_mS14_S17_bEUlT_E_NS1_11comp_targetILNS1_3genE10ELNS1_11target_archE1200ELNS1_3gpuE4ELNS1_3repE0EEENS1_30default_config_static_selectorELNS0_4arch9wavefront6targetE0EEEvS11_.private_seg_size, 0
	.set _ZN7rocprim17ROCPRIM_400000_NS6detail17trampoline_kernelINS0_14default_configENS1_29binary_search_config_selectorIN6thrust23THRUST_200600_302600_NS5tupleIiiNS6_9null_typeES8_S8_S8_S8_S8_S8_S8_EEiEEZNS1_14transform_implILb0ES3_SA_NS6_6detail15normal_iteratorINS6_7pointerIS9_NS6_11hip_rocprim5par_tENS6_11use_defaultESH_EEEENSD_INSE_IiSG_SH_SH_EEEEZNS1_13binary_searchIS3_SA_NSD_INS6_10device_ptrIS9_EEEESJ_SL_NS1_16binary_search_opENSC_16wrapped_functionINS6_6system6detail7generic6detail18binary_search_lessEbEEEE10hipError_tPvRmT1_T2_T3_mmT4_T5_P12ihipStream_tbEUlRKS9_E_EESY_S12_S13_mS14_S17_bEUlT_E_NS1_11comp_targetILNS1_3genE10ELNS1_11target_archE1200ELNS1_3gpuE4ELNS1_3repE0EEENS1_30default_config_static_selectorELNS0_4arch9wavefront6targetE0EEEvS11_.uses_vcc, 0
	.set _ZN7rocprim17ROCPRIM_400000_NS6detail17trampoline_kernelINS0_14default_configENS1_29binary_search_config_selectorIN6thrust23THRUST_200600_302600_NS5tupleIiiNS6_9null_typeES8_S8_S8_S8_S8_S8_S8_EEiEEZNS1_14transform_implILb0ES3_SA_NS6_6detail15normal_iteratorINS6_7pointerIS9_NS6_11hip_rocprim5par_tENS6_11use_defaultESH_EEEENSD_INSE_IiSG_SH_SH_EEEEZNS1_13binary_searchIS3_SA_NSD_INS6_10device_ptrIS9_EEEESJ_SL_NS1_16binary_search_opENSC_16wrapped_functionINS6_6system6detail7generic6detail18binary_search_lessEbEEEE10hipError_tPvRmT1_T2_T3_mmT4_T5_P12ihipStream_tbEUlRKS9_E_EESY_S12_S13_mS14_S17_bEUlT_E_NS1_11comp_targetILNS1_3genE10ELNS1_11target_archE1200ELNS1_3gpuE4ELNS1_3repE0EEENS1_30default_config_static_selectorELNS0_4arch9wavefront6targetE0EEEvS11_.uses_flat_scratch, 0
	.set _ZN7rocprim17ROCPRIM_400000_NS6detail17trampoline_kernelINS0_14default_configENS1_29binary_search_config_selectorIN6thrust23THRUST_200600_302600_NS5tupleIiiNS6_9null_typeES8_S8_S8_S8_S8_S8_S8_EEiEEZNS1_14transform_implILb0ES3_SA_NS6_6detail15normal_iteratorINS6_7pointerIS9_NS6_11hip_rocprim5par_tENS6_11use_defaultESH_EEEENSD_INSE_IiSG_SH_SH_EEEEZNS1_13binary_searchIS3_SA_NSD_INS6_10device_ptrIS9_EEEESJ_SL_NS1_16binary_search_opENSC_16wrapped_functionINS6_6system6detail7generic6detail18binary_search_lessEbEEEE10hipError_tPvRmT1_T2_T3_mmT4_T5_P12ihipStream_tbEUlRKS9_E_EESY_S12_S13_mS14_S17_bEUlT_E_NS1_11comp_targetILNS1_3genE10ELNS1_11target_archE1200ELNS1_3gpuE4ELNS1_3repE0EEENS1_30default_config_static_selectorELNS0_4arch9wavefront6targetE0EEEvS11_.has_dyn_sized_stack, 0
	.set _ZN7rocprim17ROCPRIM_400000_NS6detail17trampoline_kernelINS0_14default_configENS1_29binary_search_config_selectorIN6thrust23THRUST_200600_302600_NS5tupleIiiNS6_9null_typeES8_S8_S8_S8_S8_S8_S8_EEiEEZNS1_14transform_implILb0ES3_SA_NS6_6detail15normal_iteratorINS6_7pointerIS9_NS6_11hip_rocprim5par_tENS6_11use_defaultESH_EEEENSD_INSE_IiSG_SH_SH_EEEEZNS1_13binary_searchIS3_SA_NSD_INS6_10device_ptrIS9_EEEESJ_SL_NS1_16binary_search_opENSC_16wrapped_functionINS6_6system6detail7generic6detail18binary_search_lessEbEEEE10hipError_tPvRmT1_T2_T3_mmT4_T5_P12ihipStream_tbEUlRKS9_E_EESY_S12_S13_mS14_S17_bEUlT_E_NS1_11comp_targetILNS1_3genE10ELNS1_11target_archE1200ELNS1_3gpuE4ELNS1_3repE0EEENS1_30default_config_static_selectorELNS0_4arch9wavefront6targetE0EEEvS11_.has_recursion, 0
	.set _ZN7rocprim17ROCPRIM_400000_NS6detail17trampoline_kernelINS0_14default_configENS1_29binary_search_config_selectorIN6thrust23THRUST_200600_302600_NS5tupleIiiNS6_9null_typeES8_S8_S8_S8_S8_S8_S8_EEiEEZNS1_14transform_implILb0ES3_SA_NS6_6detail15normal_iteratorINS6_7pointerIS9_NS6_11hip_rocprim5par_tENS6_11use_defaultESH_EEEENSD_INSE_IiSG_SH_SH_EEEEZNS1_13binary_searchIS3_SA_NSD_INS6_10device_ptrIS9_EEEESJ_SL_NS1_16binary_search_opENSC_16wrapped_functionINS6_6system6detail7generic6detail18binary_search_lessEbEEEE10hipError_tPvRmT1_T2_T3_mmT4_T5_P12ihipStream_tbEUlRKS9_E_EESY_S12_S13_mS14_S17_bEUlT_E_NS1_11comp_targetILNS1_3genE10ELNS1_11target_archE1200ELNS1_3gpuE4ELNS1_3repE0EEENS1_30default_config_static_selectorELNS0_4arch9wavefront6targetE0EEEvS11_.has_indirect_call, 0
	.section	.AMDGPU.csdata,"",@progbits
; Kernel info:
; codeLenInByte = 0
; TotalNumSgprs: 0
; NumVgprs: 0
; ScratchSize: 0
; MemoryBound: 0
; FloatMode: 240
; IeeeMode: 1
; LDSByteSize: 0 bytes/workgroup (compile time only)
; SGPRBlocks: 0
; VGPRBlocks: 0
; NumSGPRsForWavesPerEU: 1
; NumVGPRsForWavesPerEU: 1
; Occupancy: 16
; WaveLimiterHint : 0
; COMPUTE_PGM_RSRC2:SCRATCH_EN: 0
; COMPUTE_PGM_RSRC2:USER_SGPR: 6
; COMPUTE_PGM_RSRC2:TRAP_HANDLER: 0
; COMPUTE_PGM_RSRC2:TGID_X_EN: 1
; COMPUTE_PGM_RSRC2:TGID_Y_EN: 0
; COMPUTE_PGM_RSRC2:TGID_Z_EN: 0
; COMPUTE_PGM_RSRC2:TIDIG_COMP_CNT: 0
	.section	.text._ZN7rocprim17ROCPRIM_400000_NS6detail17trampoline_kernelINS0_14default_configENS1_29binary_search_config_selectorIN6thrust23THRUST_200600_302600_NS5tupleIiiNS6_9null_typeES8_S8_S8_S8_S8_S8_S8_EEiEEZNS1_14transform_implILb0ES3_SA_NS6_6detail15normal_iteratorINS6_7pointerIS9_NS6_11hip_rocprim5par_tENS6_11use_defaultESH_EEEENSD_INSE_IiSG_SH_SH_EEEEZNS1_13binary_searchIS3_SA_NSD_INS6_10device_ptrIS9_EEEESJ_SL_NS1_16binary_search_opENSC_16wrapped_functionINS6_6system6detail7generic6detail18binary_search_lessEbEEEE10hipError_tPvRmT1_T2_T3_mmT4_T5_P12ihipStream_tbEUlRKS9_E_EESY_S12_S13_mS14_S17_bEUlT_E_NS1_11comp_targetILNS1_3genE9ELNS1_11target_archE1100ELNS1_3gpuE3ELNS1_3repE0EEENS1_30default_config_static_selectorELNS0_4arch9wavefront6targetE0EEEvS11_,"axG",@progbits,_ZN7rocprim17ROCPRIM_400000_NS6detail17trampoline_kernelINS0_14default_configENS1_29binary_search_config_selectorIN6thrust23THRUST_200600_302600_NS5tupleIiiNS6_9null_typeES8_S8_S8_S8_S8_S8_S8_EEiEEZNS1_14transform_implILb0ES3_SA_NS6_6detail15normal_iteratorINS6_7pointerIS9_NS6_11hip_rocprim5par_tENS6_11use_defaultESH_EEEENSD_INSE_IiSG_SH_SH_EEEEZNS1_13binary_searchIS3_SA_NSD_INS6_10device_ptrIS9_EEEESJ_SL_NS1_16binary_search_opENSC_16wrapped_functionINS6_6system6detail7generic6detail18binary_search_lessEbEEEE10hipError_tPvRmT1_T2_T3_mmT4_T5_P12ihipStream_tbEUlRKS9_E_EESY_S12_S13_mS14_S17_bEUlT_E_NS1_11comp_targetILNS1_3genE9ELNS1_11target_archE1100ELNS1_3gpuE3ELNS1_3repE0EEENS1_30default_config_static_selectorELNS0_4arch9wavefront6targetE0EEEvS11_,comdat
	.protected	_ZN7rocprim17ROCPRIM_400000_NS6detail17trampoline_kernelINS0_14default_configENS1_29binary_search_config_selectorIN6thrust23THRUST_200600_302600_NS5tupleIiiNS6_9null_typeES8_S8_S8_S8_S8_S8_S8_EEiEEZNS1_14transform_implILb0ES3_SA_NS6_6detail15normal_iteratorINS6_7pointerIS9_NS6_11hip_rocprim5par_tENS6_11use_defaultESH_EEEENSD_INSE_IiSG_SH_SH_EEEEZNS1_13binary_searchIS3_SA_NSD_INS6_10device_ptrIS9_EEEESJ_SL_NS1_16binary_search_opENSC_16wrapped_functionINS6_6system6detail7generic6detail18binary_search_lessEbEEEE10hipError_tPvRmT1_T2_T3_mmT4_T5_P12ihipStream_tbEUlRKS9_E_EESY_S12_S13_mS14_S17_bEUlT_E_NS1_11comp_targetILNS1_3genE9ELNS1_11target_archE1100ELNS1_3gpuE3ELNS1_3repE0EEENS1_30default_config_static_selectorELNS0_4arch9wavefront6targetE0EEEvS11_ ; -- Begin function _ZN7rocprim17ROCPRIM_400000_NS6detail17trampoline_kernelINS0_14default_configENS1_29binary_search_config_selectorIN6thrust23THRUST_200600_302600_NS5tupleIiiNS6_9null_typeES8_S8_S8_S8_S8_S8_S8_EEiEEZNS1_14transform_implILb0ES3_SA_NS6_6detail15normal_iteratorINS6_7pointerIS9_NS6_11hip_rocprim5par_tENS6_11use_defaultESH_EEEENSD_INSE_IiSG_SH_SH_EEEEZNS1_13binary_searchIS3_SA_NSD_INS6_10device_ptrIS9_EEEESJ_SL_NS1_16binary_search_opENSC_16wrapped_functionINS6_6system6detail7generic6detail18binary_search_lessEbEEEE10hipError_tPvRmT1_T2_T3_mmT4_T5_P12ihipStream_tbEUlRKS9_E_EESY_S12_S13_mS14_S17_bEUlT_E_NS1_11comp_targetILNS1_3genE9ELNS1_11target_archE1100ELNS1_3gpuE3ELNS1_3repE0EEENS1_30default_config_static_selectorELNS0_4arch9wavefront6targetE0EEEvS11_
	.globl	_ZN7rocprim17ROCPRIM_400000_NS6detail17trampoline_kernelINS0_14default_configENS1_29binary_search_config_selectorIN6thrust23THRUST_200600_302600_NS5tupleIiiNS6_9null_typeES8_S8_S8_S8_S8_S8_S8_EEiEEZNS1_14transform_implILb0ES3_SA_NS6_6detail15normal_iteratorINS6_7pointerIS9_NS6_11hip_rocprim5par_tENS6_11use_defaultESH_EEEENSD_INSE_IiSG_SH_SH_EEEEZNS1_13binary_searchIS3_SA_NSD_INS6_10device_ptrIS9_EEEESJ_SL_NS1_16binary_search_opENSC_16wrapped_functionINS6_6system6detail7generic6detail18binary_search_lessEbEEEE10hipError_tPvRmT1_T2_T3_mmT4_T5_P12ihipStream_tbEUlRKS9_E_EESY_S12_S13_mS14_S17_bEUlT_E_NS1_11comp_targetILNS1_3genE9ELNS1_11target_archE1100ELNS1_3gpuE3ELNS1_3repE0EEENS1_30default_config_static_selectorELNS0_4arch9wavefront6targetE0EEEvS11_
	.p2align	8
	.type	_ZN7rocprim17ROCPRIM_400000_NS6detail17trampoline_kernelINS0_14default_configENS1_29binary_search_config_selectorIN6thrust23THRUST_200600_302600_NS5tupleIiiNS6_9null_typeES8_S8_S8_S8_S8_S8_S8_EEiEEZNS1_14transform_implILb0ES3_SA_NS6_6detail15normal_iteratorINS6_7pointerIS9_NS6_11hip_rocprim5par_tENS6_11use_defaultESH_EEEENSD_INSE_IiSG_SH_SH_EEEEZNS1_13binary_searchIS3_SA_NSD_INS6_10device_ptrIS9_EEEESJ_SL_NS1_16binary_search_opENSC_16wrapped_functionINS6_6system6detail7generic6detail18binary_search_lessEbEEEE10hipError_tPvRmT1_T2_T3_mmT4_T5_P12ihipStream_tbEUlRKS9_E_EESY_S12_S13_mS14_S17_bEUlT_E_NS1_11comp_targetILNS1_3genE9ELNS1_11target_archE1100ELNS1_3gpuE3ELNS1_3repE0EEENS1_30default_config_static_selectorELNS0_4arch9wavefront6targetE0EEEvS11_,@function
_ZN7rocprim17ROCPRIM_400000_NS6detail17trampoline_kernelINS0_14default_configENS1_29binary_search_config_selectorIN6thrust23THRUST_200600_302600_NS5tupleIiiNS6_9null_typeES8_S8_S8_S8_S8_S8_S8_EEiEEZNS1_14transform_implILb0ES3_SA_NS6_6detail15normal_iteratorINS6_7pointerIS9_NS6_11hip_rocprim5par_tENS6_11use_defaultESH_EEEENSD_INSE_IiSG_SH_SH_EEEEZNS1_13binary_searchIS3_SA_NSD_INS6_10device_ptrIS9_EEEESJ_SL_NS1_16binary_search_opENSC_16wrapped_functionINS6_6system6detail7generic6detail18binary_search_lessEbEEEE10hipError_tPvRmT1_T2_T3_mmT4_T5_P12ihipStream_tbEUlRKS9_E_EESY_S12_S13_mS14_S17_bEUlT_E_NS1_11comp_targetILNS1_3genE9ELNS1_11target_archE1100ELNS1_3gpuE3ELNS1_3repE0EEENS1_30default_config_static_selectorELNS0_4arch9wavefront6targetE0EEEvS11_: ; @_ZN7rocprim17ROCPRIM_400000_NS6detail17trampoline_kernelINS0_14default_configENS1_29binary_search_config_selectorIN6thrust23THRUST_200600_302600_NS5tupleIiiNS6_9null_typeES8_S8_S8_S8_S8_S8_S8_EEiEEZNS1_14transform_implILb0ES3_SA_NS6_6detail15normal_iteratorINS6_7pointerIS9_NS6_11hip_rocprim5par_tENS6_11use_defaultESH_EEEENSD_INSE_IiSG_SH_SH_EEEEZNS1_13binary_searchIS3_SA_NSD_INS6_10device_ptrIS9_EEEESJ_SL_NS1_16binary_search_opENSC_16wrapped_functionINS6_6system6detail7generic6detail18binary_search_lessEbEEEE10hipError_tPvRmT1_T2_T3_mmT4_T5_P12ihipStream_tbEUlRKS9_E_EESY_S12_S13_mS14_S17_bEUlT_E_NS1_11comp_targetILNS1_3genE9ELNS1_11target_archE1100ELNS1_3gpuE3ELNS1_3repE0EEENS1_30default_config_static_selectorELNS0_4arch9wavefront6targetE0EEEvS11_
; %bb.0:
	.section	.rodata,"a",@progbits
	.p2align	6, 0x0
	.amdhsa_kernel _ZN7rocprim17ROCPRIM_400000_NS6detail17trampoline_kernelINS0_14default_configENS1_29binary_search_config_selectorIN6thrust23THRUST_200600_302600_NS5tupleIiiNS6_9null_typeES8_S8_S8_S8_S8_S8_S8_EEiEEZNS1_14transform_implILb0ES3_SA_NS6_6detail15normal_iteratorINS6_7pointerIS9_NS6_11hip_rocprim5par_tENS6_11use_defaultESH_EEEENSD_INSE_IiSG_SH_SH_EEEEZNS1_13binary_searchIS3_SA_NSD_INS6_10device_ptrIS9_EEEESJ_SL_NS1_16binary_search_opENSC_16wrapped_functionINS6_6system6detail7generic6detail18binary_search_lessEbEEEE10hipError_tPvRmT1_T2_T3_mmT4_T5_P12ihipStream_tbEUlRKS9_E_EESY_S12_S13_mS14_S17_bEUlT_E_NS1_11comp_targetILNS1_3genE9ELNS1_11target_archE1100ELNS1_3gpuE3ELNS1_3repE0EEENS1_30default_config_static_selectorELNS0_4arch9wavefront6targetE0EEEvS11_
		.amdhsa_group_segment_fixed_size 0
		.amdhsa_private_segment_fixed_size 0
		.amdhsa_kernarg_size 56
		.amdhsa_user_sgpr_count 6
		.amdhsa_user_sgpr_private_segment_buffer 1
		.amdhsa_user_sgpr_dispatch_ptr 0
		.amdhsa_user_sgpr_queue_ptr 0
		.amdhsa_user_sgpr_kernarg_segment_ptr 1
		.amdhsa_user_sgpr_dispatch_id 0
		.amdhsa_user_sgpr_flat_scratch_init 0
		.amdhsa_user_sgpr_private_segment_size 0
		.amdhsa_wavefront_size32 1
		.amdhsa_uses_dynamic_stack 0
		.amdhsa_system_sgpr_private_segment_wavefront_offset 0
		.amdhsa_system_sgpr_workgroup_id_x 1
		.amdhsa_system_sgpr_workgroup_id_y 0
		.amdhsa_system_sgpr_workgroup_id_z 0
		.amdhsa_system_sgpr_workgroup_info 0
		.amdhsa_system_vgpr_workitem_id 0
		.amdhsa_next_free_vgpr 1
		.amdhsa_next_free_sgpr 1
		.amdhsa_reserve_vcc 0
		.amdhsa_reserve_flat_scratch 0
		.amdhsa_float_round_mode_32 0
		.amdhsa_float_round_mode_16_64 0
		.amdhsa_float_denorm_mode_32 3
		.amdhsa_float_denorm_mode_16_64 3
		.amdhsa_dx10_clamp 1
		.amdhsa_ieee_mode 1
		.amdhsa_fp16_overflow 0
		.amdhsa_workgroup_processor_mode 1
		.amdhsa_memory_ordered 1
		.amdhsa_forward_progress 1
		.amdhsa_shared_vgpr_count 0
		.amdhsa_exception_fp_ieee_invalid_op 0
		.amdhsa_exception_fp_denorm_src 0
		.amdhsa_exception_fp_ieee_div_zero 0
		.amdhsa_exception_fp_ieee_overflow 0
		.amdhsa_exception_fp_ieee_underflow 0
		.amdhsa_exception_fp_ieee_inexact 0
		.amdhsa_exception_int_div_zero 0
	.end_amdhsa_kernel
	.section	.text._ZN7rocprim17ROCPRIM_400000_NS6detail17trampoline_kernelINS0_14default_configENS1_29binary_search_config_selectorIN6thrust23THRUST_200600_302600_NS5tupleIiiNS6_9null_typeES8_S8_S8_S8_S8_S8_S8_EEiEEZNS1_14transform_implILb0ES3_SA_NS6_6detail15normal_iteratorINS6_7pointerIS9_NS6_11hip_rocprim5par_tENS6_11use_defaultESH_EEEENSD_INSE_IiSG_SH_SH_EEEEZNS1_13binary_searchIS3_SA_NSD_INS6_10device_ptrIS9_EEEESJ_SL_NS1_16binary_search_opENSC_16wrapped_functionINS6_6system6detail7generic6detail18binary_search_lessEbEEEE10hipError_tPvRmT1_T2_T3_mmT4_T5_P12ihipStream_tbEUlRKS9_E_EESY_S12_S13_mS14_S17_bEUlT_E_NS1_11comp_targetILNS1_3genE9ELNS1_11target_archE1100ELNS1_3gpuE3ELNS1_3repE0EEENS1_30default_config_static_selectorELNS0_4arch9wavefront6targetE0EEEvS11_,"axG",@progbits,_ZN7rocprim17ROCPRIM_400000_NS6detail17trampoline_kernelINS0_14default_configENS1_29binary_search_config_selectorIN6thrust23THRUST_200600_302600_NS5tupleIiiNS6_9null_typeES8_S8_S8_S8_S8_S8_S8_EEiEEZNS1_14transform_implILb0ES3_SA_NS6_6detail15normal_iteratorINS6_7pointerIS9_NS6_11hip_rocprim5par_tENS6_11use_defaultESH_EEEENSD_INSE_IiSG_SH_SH_EEEEZNS1_13binary_searchIS3_SA_NSD_INS6_10device_ptrIS9_EEEESJ_SL_NS1_16binary_search_opENSC_16wrapped_functionINS6_6system6detail7generic6detail18binary_search_lessEbEEEE10hipError_tPvRmT1_T2_T3_mmT4_T5_P12ihipStream_tbEUlRKS9_E_EESY_S12_S13_mS14_S17_bEUlT_E_NS1_11comp_targetILNS1_3genE9ELNS1_11target_archE1100ELNS1_3gpuE3ELNS1_3repE0EEENS1_30default_config_static_selectorELNS0_4arch9wavefront6targetE0EEEvS11_,comdat
.Lfunc_end732:
	.size	_ZN7rocprim17ROCPRIM_400000_NS6detail17trampoline_kernelINS0_14default_configENS1_29binary_search_config_selectorIN6thrust23THRUST_200600_302600_NS5tupleIiiNS6_9null_typeES8_S8_S8_S8_S8_S8_S8_EEiEEZNS1_14transform_implILb0ES3_SA_NS6_6detail15normal_iteratorINS6_7pointerIS9_NS6_11hip_rocprim5par_tENS6_11use_defaultESH_EEEENSD_INSE_IiSG_SH_SH_EEEEZNS1_13binary_searchIS3_SA_NSD_INS6_10device_ptrIS9_EEEESJ_SL_NS1_16binary_search_opENSC_16wrapped_functionINS6_6system6detail7generic6detail18binary_search_lessEbEEEE10hipError_tPvRmT1_T2_T3_mmT4_T5_P12ihipStream_tbEUlRKS9_E_EESY_S12_S13_mS14_S17_bEUlT_E_NS1_11comp_targetILNS1_3genE9ELNS1_11target_archE1100ELNS1_3gpuE3ELNS1_3repE0EEENS1_30default_config_static_selectorELNS0_4arch9wavefront6targetE0EEEvS11_, .Lfunc_end732-_ZN7rocprim17ROCPRIM_400000_NS6detail17trampoline_kernelINS0_14default_configENS1_29binary_search_config_selectorIN6thrust23THRUST_200600_302600_NS5tupleIiiNS6_9null_typeES8_S8_S8_S8_S8_S8_S8_EEiEEZNS1_14transform_implILb0ES3_SA_NS6_6detail15normal_iteratorINS6_7pointerIS9_NS6_11hip_rocprim5par_tENS6_11use_defaultESH_EEEENSD_INSE_IiSG_SH_SH_EEEEZNS1_13binary_searchIS3_SA_NSD_INS6_10device_ptrIS9_EEEESJ_SL_NS1_16binary_search_opENSC_16wrapped_functionINS6_6system6detail7generic6detail18binary_search_lessEbEEEE10hipError_tPvRmT1_T2_T3_mmT4_T5_P12ihipStream_tbEUlRKS9_E_EESY_S12_S13_mS14_S17_bEUlT_E_NS1_11comp_targetILNS1_3genE9ELNS1_11target_archE1100ELNS1_3gpuE3ELNS1_3repE0EEENS1_30default_config_static_selectorELNS0_4arch9wavefront6targetE0EEEvS11_
                                        ; -- End function
	.set _ZN7rocprim17ROCPRIM_400000_NS6detail17trampoline_kernelINS0_14default_configENS1_29binary_search_config_selectorIN6thrust23THRUST_200600_302600_NS5tupleIiiNS6_9null_typeES8_S8_S8_S8_S8_S8_S8_EEiEEZNS1_14transform_implILb0ES3_SA_NS6_6detail15normal_iteratorINS6_7pointerIS9_NS6_11hip_rocprim5par_tENS6_11use_defaultESH_EEEENSD_INSE_IiSG_SH_SH_EEEEZNS1_13binary_searchIS3_SA_NSD_INS6_10device_ptrIS9_EEEESJ_SL_NS1_16binary_search_opENSC_16wrapped_functionINS6_6system6detail7generic6detail18binary_search_lessEbEEEE10hipError_tPvRmT1_T2_T3_mmT4_T5_P12ihipStream_tbEUlRKS9_E_EESY_S12_S13_mS14_S17_bEUlT_E_NS1_11comp_targetILNS1_3genE9ELNS1_11target_archE1100ELNS1_3gpuE3ELNS1_3repE0EEENS1_30default_config_static_selectorELNS0_4arch9wavefront6targetE0EEEvS11_.num_vgpr, 0
	.set _ZN7rocprim17ROCPRIM_400000_NS6detail17trampoline_kernelINS0_14default_configENS1_29binary_search_config_selectorIN6thrust23THRUST_200600_302600_NS5tupleIiiNS6_9null_typeES8_S8_S8_S8_S8_S8_S8_EEiEEZNS1_14transform_implILb0ES3_SA_NS6_6detail15normal_iteratorINS6_7pointerIS9_NS6_11hip_rocprim5par_tENS6_11use_defaultESH_EEEENSD_INSE_IiSG_SH_SH_EEEEZNS1_13binary_searchIS3_SA_NSD_INS6_10device_ptrIS9_EEEESJ_SL_NS1_16binary_search_opENSC_16wrapped_functionINS6_6system6detail7generic6detail18binary_search_lessEbEEEE10hipError_tPvRmT1_T2_T3_mmT4_T5_P12ihipStream_tbEUlRKS9_E_EESY_S12_S13_mS14_S17_bEUlT_E_NS1_11comp_targetILNS1_3genE9ELNS1_11target_archE1100ELNS1_3gpuE3ELNS1_3repE0EEENS1_30default_config_static_selectorELNS0_4arch9wavefront6targetE0EEEvS11_.num_agpr, 0
	.set _ZN7rocprim17ROCPRIM_400000_NS6detail17trampoline_kernelINS0_14default_configENS1_29binary_search_config_selectorIN6thrust23THRUST_200600_302600_NS5tupleIiiNS6_9null_typeES8_S8_S8_S8_S8_S8_S8_EEiEEZNS1_14transform_implILb0ES3_SA_NS6_6detail15normal_iteratorINS6_7pointerIS9_NS6_11hip_rocprim5par_tENS6_11use_defaultESH_EEEENSD_INSE_IiSG_SH_SH_EEEEZNS1_13binary_searchIS3_SA_NSD_INS6_10device_ptrIS9_EEEESJ_SL_NS1_16binary_search_opENSC_16wrapped_functionINS6_6system6detail7generic6detail18binary_search_lessEbEEEE10hipError_tPvRmT1_T2_T3_mmT4_T5_P12ihipStream_tbEUlRKS9_E_EESY_S12_S13_mS14_S17_bEUlT_E_NS1_11comp_targetILNS1_3genE9ELNS1_11target_archE1100ELNS1_3gpuE3ELNS1_3repE0EEENS1_30default_config_static_selectorELNS0_4arch9wavefront6targetE0EEEvS11_.numbered_sgpr, 0
	.set _ZN7rocprim17ROCPRIM_400000_NS6detail17trampoline_kernelINS0_14default_configENS1_29binary_search_config_selectorIN6thrust23THRUST_200600_302600_NS5tupleIiiNS6_9null_typeES8_S8_S8_S8_S8_S8_S8_EEiEEZNS1_14transform_implILb0ES3_SA_NS6_6detail15normal_iteratorINS6_7pointerIS9_NS6_11hip_rocprim5par_tENS6_11use_defaultESH_EEEENSD_INSE_IiSG_SH_SH_EEEEZNS1_13binary_searchIS3_SA_NSD_INS6_10device_ptrIS9_EEEESJ_SL_NS1_16binary_search_opENSC_16wrapped_functionINS6_6system6detail7generic6detail18binary_search_lessEbEEEE10hipError_tPvRmT1_T2_T3_mmT4_T5_P12ihipStream_tbEUlRKS9_E_EESY_S12_S13_mS14_S17_bEUlT_E_NS1_11comp_targetILNS1_3genE9ELNS1_11target_archE1100ELNS1_3gpuE3ELNS1_3repE0EEENS1_30default_config_static_selectorELNS0_4arch9wavefront6targetE0EEEvS11_.num_named_barrier, 0
	.set _ZN7rocprim17ROCPRIM_400000_NS6detail17trampoline_kernelINS0_14default_configENS1_29binary_search_config_selectorIN6thrust23THRUST_200600_302600_NS5tupleIiiNS6_9null_typeES8_S8_S8_S8_S8_S8_S8_EEiEEZNS1_14transform_implILb0ES3_SA_NS6_6detail15normal_iteratorINS6_7pointerIS9_NS6_11hip_rocprim5par_tENS6_11use_defaultESH_EEEENSD_INSE_IiSG_SH_SH_EEEEZNS1_13binary_searchIS3_SA_NSD_INS6_10device_ptrIS9_EEEESJ_SL_NS1_16binary_search_opENSC_16wrapped_functionINS6_6system6detail7generic6detail18binary_search_lessEbEEEE10hipError_tPvRmT1_T2_T3_mmT4_T5_P12ihipStream_tbEUlRKS9_E_EESY_S12_S13_mS14_S17_bEUlT_E_NS1_11comp_targetILNS1_3genE9ELNS1_11target_archE1100ELNS1_3gpuE3ELNS1_3repE0EEENS1_30default_config_static_selectorELNS0_4arch9wavefront6targetE0EEEvS11_.private_seg_size, 0
	.set _ZN7rocprim17ROCPRIM_400000_NS6detail17trampoline_kernelINS0_14default_configENS1_29binary_search_config_selectorIN6thrust23THRUST_200600_302600_NS5tupleIiiNS6_9null_typeES8_S8_S8_S8_S8_S8_S8_EEiEEZNS1_14transform_implILb0ES3_SA_NS6_6detail15normal_iteratorINS6_7pointerIS9_NS6_11hip_rocprim5par_tENS6_11use_defaultESH_EEEENSD_INSE_IiSG_SH_SH_EEEEZNS1_13binary_searchIS3_SA_NSD_INS6_10device_ptrIS9_EEEESJ_SL_NS1_16binary_search_opENSC_16wrapped_functionINS6_6system6detail7generic6detail18binary_search_lessEbEEEE10hipError_tPvRmT1_T2_T3_mmT4_T5_P12ihipStream_tbEUlRKS9_E_EESY_S12_S13_mS14_S17_bEUlT_E_NS1_11comp_targetILNS1_3genE9ELNS1_11target_archE1100ELNS1_3gpuE3ELNS1_3repE0EEENS1_30default_config_static_selectorELNS0_4arch9wavefront6targetE0EEEvS11_.uses_vcc, 0
	.set _ZN7rocprim17ROCPRIM_400000_NS6detail17trampoline_kernelINS0_14default_configENS1_29binary_search_config_selectorIN6thrust23THRUST_200600_302600_NS5tupleIiiNS6_9null_typeES8_S8_S8_S8_S8_S8_S8_EEiEEZNS1_14transform_implILb0ES3_SA_NS6_6detail15normal_iteratorINS6_7pointerIS9_NS6_11hip_rocprim5par_tENS6_11use_defaultESH_EEEENSD_INSE_IiSG_SH_SH_EEEEZNS1_13binary_searchIS3_SA_NSD_INS6_10device_ptrIS9_EEEESJ_SL_NS1_16binary_search_opENSC_16wrapped_functionINS6_6system6detail7generic6detail18binary_search_lessEbEEEE10hipError_tPvRmT1_T2_T3_mmT4_T5_P12ihipStream_tbEUlRKS9_E_EESY_S12_S13_mS14_S17_bEUlT_E_NS1_11comp_targetILNS1_3genE9ELNS1_11target_archE1100ELNS1_3gpuE3ELNS1_3repE0EEENS1_30default_config_static_selectorELNS0_4arch9wavefront6targetE0EEEvS11_.uses_flat_scratch, 0
	.set _ZN7rocprim17ROCPRIM_400000_NS6detail17trampoline_kernelINS0_14default_configENS1_29binary_search_config_selectorIN6thrust23THRUST_200600_302600_NS5tupleIiiNS6_9null_typeES8_S8_S8_S8_S8_S8_S8_EEiEEZNS1_14transform_implILb0ES3_SA_NS6_6detail15normal_iteratorINS6_7pointerIS9_NS6_11hip_rocprim5par_tENS6_11use_defaultESH_EEEENSD_INSE_IiSG_SH_SH_EEEEZNS1_13binary_searchIS3_SA_NSD_INS6_10device_ptrIS9_EEEESJ_SL_NS1_16binary_search_opENSC_16wrapped_functionINS6_6system6detail7generic6detail18binary_search_lessEbEEEE10hipError_tPvRmT1_T2_T3_mmT4_T5_P12ihipStream_tbEUlRKS9_E_EESY_S12_S13_mS14_S17_bEUlT_E_NS1_11comp_targetILNS1_3genE9ELNS1_11target_archE1100ELNS1_3gpuE3ELNS1_3repE0EEENS1_30default_config_static_selectorELNS0_4arch9wavefront6targetE0EEEvS11_.has_dyn_sized_stack, 0
	.set _ZN7rocprim17ROCPRIM_400000_NS6detail17trampoline_kernelINS0_14default_configENS1_29binary_search_config_selectorIN6thrust23THRUST_200600_302600_NS5tupleIiiNS6_9null_typeES8_S8_S8_S8_S8_S8_S8_EEiEEZNS1_14transform_implILb0ES3_SA_NS6_6detail15normal_iteratorINS6_7pointerIS9_NS6_11hip_rocprim5par_tENS6_11use_defaultESH_EEEENSD_INSE_IiSG_SH_SH_EEEEZNS1_13binary_searchIS3_SA_NSD_INS6_10device_ptrIS9_EEEESJ_SL_NS1_16binary_search_opENSC_16wrapped_functionINS6_6system6detail7generic6detail18binary_search_lessEbEEEE10hipError_tPvRmT1_T2_T3_mmT4_T5_P12ihipStream_tbEUlRKS9_E_EESY_S12_S13_mS14_S17_bEUlT_E_NS1_11comp_targetILNS1_3genE9ELNS1_11target_archE1100ELNS1_3gpuE3ELNS1_3repE0EEENS1_30default_config_static_selectorELNS0_4arch9wavefront6targetE0EEEvS11_.has_recursion, 0
	.set _ZN7rocprim17ROCPRIM_400000_NS6detail17trampoline_kernelINS0_14default_configENS1_29binary_search_config_selectorIN6thrust23THRUST_200600_302600_NS5tupleIiiNS6_9null_typeES8_S8_S8_S8_S8_S8_S8_EEiEEZNS1_14transform_implILb0ES3_SA_NS6_6detail15normal_iteratorINS6_7pointerIS9_NS6_11hip_rocprim5par_tENS6_11use_defaultESH_EEEENSD_INSE_IiSG_SH_SH_EEEEZNS1_13binary_searchIS3_SA_NSD_INS6_10device_ptrIS9_EEEESJ_SL_NS1_16binary_search_opENSC_16wrapped_functionINS6_6system6detail7generic6detail18binary_search_lessEbEEEE10hipError_tPvRmT1_T2_T3_mmT4_T5_P12ihipStream_tbEUlRKS9_E_EESY_S12_S13_mS14_S17_bEUlT_E_NS1_11comp_targetILNS1_3genE9ELNS1_11target_archE1100ELNS1_3gpuE3ELNS1_3repE0EEENS1_30default_config_static_selectorELNS0_4arch9wavefront6targetE0EEEvS11_.has_indirect_call, 0
	.section	.AMDGPU.csdata,"",@progbits
; Kernel info:
; codeLenInByte = 0
; TotalNumSgprs: 0
; NumVgprs: 0
; ScratchSize: 0
; MemoryBound: 0
; FloatMode: 240
; IeeeMode: 1
; LDSByteSize: 0 bytes/workgroup (compile time only)
; SGPRBlocks: 0
; VGPRBlocks: 0
; NumSGPRsForWavesPerEU: 1
; NumVGPRsForWavesPerEU: 1
; Occupancy: 16
; WaveLimiterHint : 0
; COMPUTE_PGM_RSRC2:SCRATCH_EN: 0
; COMPUTE_PGM_RSRC2:USER_SGPR: 6
; COMPUTE_PGM_RSRC2:TRAP_HANDLER: 0
; COMPUTE_PGM_RSRC2:TGID_X_EN: 1
; COMPUTE_PGM_RSRC2:TGID_Y_EN: 0
; COMPUTE_PGM_RSRC2:TGID_Z_EN: 0
; COMPUTE_PGM_RSRC2:TIDIG_COMP_CNT: 0
	.section	.text._ZN7rocprim17ROCPRIM_400000_NS6detail17trampoline_kernelINS0_14default_configENS1_29binary_search_config_selectorIN6thrust23THRUST_200600_302600_NS5tupleIiiNS6_9null_typeES8_S8_S8_S8_S8_S8_S8_EEiEEZNS1_14transform_implILb0ES3_SA_NS6_6detail15normal_iteratorINS6_7pointerIS9_NS6_11hip_rocprim5par_tENS6_11use_defaultESH_EEEENSD_INSE_IiSG_SH_SH_EEEEZNS1_13binary_searchIS3_SA_NSD_INS6_10device_ptrIS9_EEEESJ_SL_NS1_16binary_search_opENSC_16wrapped_functionINS6_6system6detail7generic6detail18binary_search_lessEbEEEE10hipError_tPvRmT1_T2_T3_mmT4_T5_P12ihipStream_tbEUlRKS9_E_EESY_S12_S13_mS14_S17_bEUlT_E_NS1_11comp_targetILNS1_3genE8ELNS1_11target_archE1030ELNS1_3gpuE2ELNS1_3repE0EEENS1_30default_config_static_selectorELNS0_4arch9wavefront6targetE0EEEvS11_,"axG",@progbits,_ZN7rocprim17ROCPRIM_400000_NS6detail17trampoline_kernelINS0_14default_configENS1_29binary_search_config_selectorIN6thrust23THRUST_200600_302600_NS5tupleIiiNS6_9null_typeES8_S8_S8_S8_S8_S8_S8_EEiEEZNS1_14transform_implILb0ES3_SA_NS6_6detail15normal_iteratorINS6_7pointerIS9_NS6_11hip_rocprim5par_tENS6_11use_defaultESH_EEEENSD_INSE_IiSG_SH_SH_EEEEZNS1_13binary_searchIS3_SA_NSD_INS6_10device_ptrIS9_EEEESJ_SL_NS1_16binary_search_opENSC_16wrapped_functionINS6_6system6detail7generic6detail18binary_search_lessEbEEEE10hipError_tPvRmT1_T2_T3_mmT4_T5_P12ihipStream_tbEUlRKS9_E_EESY_S12_S13_mS14_S17_bEUlT_E_NS1_11comp_targetILNS1_3genE8ELNS1_11target_archE1030ELNS1_3gpuE2ELNS1_3repE0EEENS1_30default_config_static_selectorELNS0_4arch9wavefront6targetE0EEEvS11_,comdat
	.protected	_ZN7rocprim17ROCPRIM_400000_NS6detail17trampoline_kernelINS0_14default_configENS1_29binary_search_config_selectorIN6thrust23THRUST_200600_302600_NS5tupleIiiNS6_9null_typeES8_S8_S8_S8_S8_S8_S8_EEiEEZNS1_14transform_implILb0ES3_SA_NS6_6detail15normal_iteratorINS6_7pointerIS9_NS6_11hip_rocprim5par_tENS6_11use_defaultESH_EEEENSD_INSE_IiSG_SH_SH_EEEEZNS1_13binary_searchIS3_SA_NSD_INS6_10device_ptrIS9_EEEESJ_SL_NS1_16binary_search_opENSC_16wrapped_functionINS6_6system6detail7generic6detail18binary_search_lessEbEEEE10hipError_tPvRmT1_T2_T3_mmT4_T5_P12ihipStream_tbEUlRKS9_E_EESY_S12_S13_mS14_S17_bEUlT_E_NS1_11comp_targetILNS1_3genE8ELNS1_11target_archE1030ELNS1_3gpuE2ELNS1_3repE0EEENS1_30default_config_static_selectorELNS0_4arch9wavefront6targetE0EEEvS11_ ; -- Begin function _ZN7rocprim17ROCPRIM_400000_NS6detail17trampoline_kernelINS0_14default_configENS1_29binary_search_config_selectorIN6thrust23THRUST_200600_302600_NS5tupleIiiNS6_9null_typeES8_S8_S8_S8_S8_S8_S8_EEiEEZNS1_14transform_implILb0ES3_SA_NS6_6detail15normal_iteratorINS6_7pointerIS9_NS6_11hip_rocprim5par_tENS6_11use_defaultESH_EEEENSD_INSE_IiSG_SH_SH_EEEEZNS1_13binary_searchIS3_SA_NSD_INS6_10device_ptrIS9_EEEESJ_SL_NS1_16binary_search_opENSC_16wrapped_functionINS6_6system6detail7generic6detail18binary_search_lessEbEEEE10hipError_tPvRmT1_T2_T3_mmT4_T5_P12ihipStream_tbEUlRKS9_E_EESY_S12_S13_mS14_S17_bEUlT_E_NS1_11comp_targetILNS1_3genE8ELNS1_11target_archE1030ELNS1_3gpuE2ELNS1_3repE0EEENS1_30default_config_static_selectorELNS0_4arch9wavefront6targetE0EEEvS11_
	.globl	_ZN7rocprim17ROCPRIM_400000_NS6detail17trampoline_kernelINS0_14default_configENS1_29binary_search_config_selectorIN6thrust23THRUST_200600_302600_NS5tupleIiiNS6_9null_typeES8_S8_S8_S8_S8_S8_S8_EEiEEZNS1_14transform_implILb0ES3_SA_NS6_6detail15normal_iteratorINS6_7pointerIS9_NS6_11hip_rocprim5par_tENS6_11use_defaultESH_EEEENSD_INSE_IiSG_SH_SH_EEEEZNS1_13binary_searchIS3_SA_NSD_INS6_10device_ptrIS9_EEEESJ_SL_NS1_16binary_search_opENSC_16wrapped_functionINS6_6system6detail7generic6detail18binary_search_lessEbEEEE10hipError_tPvRmT1_T2_T3_mmT4_T5_P12ihipStream_tbEUlRKS9_E_EESY_S12_S13_mS14_S17_bEUlT_E_NS1_11comp_targetILNS1_3genE8ELNS1_11target_archE1030ELNS1_3gpuE2ELNS1_3repE0EEENS1_30default_config_static_selectorELNS0_4arch9wavefront6targetE0EEEvS11_
	.p2align	8
	.type	_ZN7rocprim17ROCPRIM_400000_NS6detail17trampoline_kernelINS0_14default_configENS1_29binary_search_config_selectorIN6thrust23THRUST_200600_302600_NS5tupleIiiNS6_9null_typeES8_S8_S8_S8_S8_S8_S8_EEiEEZNS1_14transform_implILb0ES3_SA_NS6_6detail15normal_iteratorINS6_7pointerIS9_NS6_11hip_rocprim5par_tENS6_11use_defaultESH_EEEENSD_INSE_IiSG_SH_SH_EEEEZNS1_13binary_searchIS3_SA_NSD_INS6_10device_ptrIS9_EEEESJ_SL_NS1_16binary_search_opENSC_16wrapped_functionINS6_6system6detail7generic6detail18binary_search_lessEbEEEE10hipError_tPvRmT1_T2_T3_mmT4_T5_P12ihipStream_tbEUlRKS9_E_EESY_S12_S13_mS14_S17_bEUlT_E_NS1_11comp_targetILNS1_3genE8ELNS1_11target_archE1030ELNS1_3gpuE2ELNS1_3repE0EEENS1_30default_config_static_selectorELNS0_4arch9wavefront6targetE0EEEvS11_,@function
_ZN7rocprim17ROCPRIM_400000_NS6detail17trampoline_kernelINS0_14default_configENS1_29binary_search_config_selectorIN6thrust23THRUST_200600_302600_NS5tupleIiiNS6_9null_typeES8_S8_S8_S8_S8_S8_S8_EEiEEZNS1_14transform_implILb0ES3_SA_NS6_6detail15normal_iteratorINS6_7pointerIS9_NS6_11hip_rocprim5par_tENS6_11use_defaultESH_EEEENSD_INSE_IiSG_SH_SH_EEEEZNS1_13binary_searchIS3_SA_NSD_INS6_10device_ptrIS9_EEEESJ_SL_NS1_16binary_search_opENSC_16wrapped_functionINS6_6system6detail7generic6detail18binary_search_lessEbEEEE10hipError_tPvRmT1_T2_T3_mmT4_T5_P12ihipStream_tbEUlRKS9_E_EESY_S12_S13_mS14_S17_bEUlT_E_NS1_11comp_targetILNS1_3genE8ELNS1_11target_archE1030ELNS1_3gpuE2ELNS1_3repE0EEENS1_30default_config_static_selectorELNS0_4arch9wavefront6targetE0EEEvS11_: ; @_ZN7rocprim17ROCPRIM_400000_NS6detail17trampoline_kernelINS0_14default_configENS1_29binary_search_config_selectorIN6thrust23THRUST_200600_302600_NS5tupleIiiNS6_9null_typeES8_S8_S8_S8_S8_S8_S8_EEiEEZNS1_14transform_implILb0ES3_SA_NS6_6detail15normal_iteratorINS6_7pointerIS9_NS6_11hip_rocprim5par_tENS6_11use_defaultESH_EEEENSD_INSE_IiSG_SH_SH_EEEEZNS1_13binary_searchIS3_SA_NSD_INS6_10device_ptrIS9_EEEESJ_SL_NS1_16binary_search_opENSC_16wrapped_functionINS6_6system6detail7generic6detail18binary_search_lessEbEEEE10hipError_tPvRmT1_T2_T3_mmT4_T5_P12ihipStream_tbEUlRKS9_E_EESY_S12_S13_mS14_S17_bEUlT_E_NS1_11comp_targetILNS1_3genE8ELNS1_11target_archE1030ELNS1_3gpuE2ELNS1_3repE0EEENS1_30default_config_static_selectorELNS0_4arch9wavefront6targetE0EEEvS11_
; %bb.0:
	s_clause 0x3
	s_load_dwordx4 s[0:3], s[4:5], 0x0
	s_load_dword s7, s[4:5], 0x38
	s_load_dwordx2 s[14:15], s[4:5], 0x28
	s_load_dwordx4 s[8:11], s[4:5], 0x18
	s_waitcnt lgkmcnt(0)
	s_lshl_b64 s[12:13], s[2:3], 3
	s_add_u32 s16, s0, s12
	s_addc_u32 s17, s1, s13
	s_add_i32 s7, s7, -1
	s_lshl_b32 s12, s6, 8
	s_mov_b32 s13, 0
	s_cmp_lg_u32 s6, s7
	s_mov_b32 s0, -1
	s_cbranch_scc0 .LBB733_6
; %bb.1:
	v_lshlrev_b32_e32 v1, 3, v0
	s_lshl_b64 s[0:1], s[12:13], 3
	v_mov_b32_e32 v4, 0
	s_add_u32 s0, s16, s0
	s_addc_u32 s1, s17, s1
	v_add_co_u32 v1, s0, s0, v1
	v_add_co_ci_u32_e64 v2, null, s1, 0, s0
	v_mov_b32_e32 v5, 0
	s_cmp_eq_u64 s[14:15], 0
	flat_load_dwordx2 v[2:3], v[1:2]
	v_mov_b32_e32 v1, 0
	s_cbranch_scc1 .LBB733_5
; %bb.2:
	v_mov_b32_e32 v6, s14
	v_mov_b32_e32 v7, s15
	s_mov_b32 s6, 0
	s_inst_prefetch 0x1
	.p2align	6
.LBB733_3:                              ; =>This Inner Loop Header: Depth=1
	v_sub_co_u32 v8, vcc_lo, v6, v4
	v_sub_co_ci_u32_e64 v9, null, v7, v5, vcc_lo
	v_lshrrev_b64 v[10:11], 1, v[8:9]
	v_lshrrev_b64 v[8:9], 6, v[8:9]
	v_add_co_u32 v10, vcc_lo, v10, v4
	v_add_co_ci_u32_e64 v11, null, v11, v5, vcc_lo
	v_add_co_u32 v8, vcc_lo, v10, v8
	v_add_co_ci_u32_e64 v9, null, v11, v9, vcc_lo
	v_lshlrev_b64 v[10:11], 3, v[8:9]
	v_add_co_u32 v10, vcc_lo, s10, v10
	v_add_co_ci_u32_e64 v11, null, s11, v11, vcc_lo
	v_add_co_u32 v12, vcc_lo, v8, 1
	v_add_co_ci_u32_e64 v13, null, 0, v9, vcc_lo
	global_load_dwordx2 v[10:11], v[10:11], off
	s_waitcnt vmcnt(0) lgkmcnt(0)
	v_cmp_ge_i32_e32 vcc_lo, v2, v10
	v_cmp_lt_i32_e64 s0, v11, v3
	v_cmp_lt_i32_e64 s1, v10, v2
	s_and_b32 s0, vcc_lo, s0
	s_or_b32 vcc_lo, s1, s0
	v_cndmask_b32_e32 v7, v9, v7, vcc_lo
	v_cndmask_b32_e32 v6, v8, v6, vcc_lo
	;; [unrolled: 1-line block ×4, first 2 shown]
	v_cmp_ge_u64_e32 vcc_lo, v[4:5], v[6:7]
	s_or_b32 s6, vcc_lo, s6
	s_andn2_b32 exec_lo, exec_lo, s6
	s_cbranch_execnz .LBB733_3
; %bb.4:
	s_inst_prefetch 0x2
	s_or_b32 exec_lo, exec_lo, s6
.LBB733_5:
	v_cmp_eq_u64_e64 s6, s[14:15], v[4:5]
	v_cmp_ne_u64_e64 s7, s[14:15], v[4:5]
	s_branch .LBB733_14
.LBB733_6:
	s_mov_b32 s7, s13
	s_mov_b32 s6, s13
                                        ; implicit-def: $vgpr3
                                        ; implicit-def: $vgpr4_vgpr5
	s_and_b32 vcc_lo, exec_lo, s0
	s_cbranch_vccz .LBB733_14
; %bb.7:
	s_load_dword s0, s[4:5], 0x10
	s_mov_b32 s4, exec_lo
                                        ; implicit-def: $vgpr3
                                        ; implicit-def: $vgpr4_vgpr5
	s_waitcnt lgkmcnt(0)
	s_sub_i32 s0, s0, s12
	v_cmpx_gt_u32_e64 s0, v0
	s_cbranch_execz .LBB733_13
; %bb.8:
	v_lshlrev_b32_e32 v1, 3, v0
	s_lshl_b64 s[0:1], s[12:13], 3
	v_mov_b32_e32 v4, 0
	s_add_u32 s0, s16, s0
	s_addc_u32 s1, s17, s1
	v_add_co_u32 v1, s0, s0, v1
	s_waitcnt vmcnt(0)
	v_add_co_ci_u32_e64 v2, null, s1, 0, s0
	v_mov_b32_e32 v5, 0
	s_cmp_eq_u64 s[14:15], 0
	flat_load_dwordx2 v[2:3], v[1:2]
	v_mov_b32_e32 v1, 0
	s_cbranch_scc1 .LBB733_12
; %bb.9:
	v_mov_b32_e32 v6, s14
	v_mov_b32_e32 v7, s15
	s_mov_b32 s5, 0
	s_inst_prefetch 0x1
	.p2align	6
.LBB733_10:                             ; =>This Inner Loop Header: Depth=1
	v_sub_co_u32 v8, vcc_lo, v6, v4
	v_sub_co_ci_u32_e64 v9, null, v7, v5, vcc_lo
	v_lshrrev_b64 v[10:11], 1, v[8:9]
	v_lshrrev_b64 v[8:9], 6, v[8:9]
	v_add_co_u32 v10, vcc_lo, v10, v4
	v_add_co_ci_u32_e64 v11, null, v11, v5, vcc_lo
	v_add_co_u32 v8, vcc_lo, v10, v8
	v_add_co_ci_u32_e64 v9, null, v11, v9, vcc_lo
	v_lshlrev_b64 v[10:11], 3, v[8:9]
	v_add_co_u32 v10, vcc_lo, s10, v10
	v_add_co_ci_u32_e64 v11, null, s11, v11, vcc_lo
	v_add_co_u32 v12, vcc_lo, v8, 1
	v_add_co_ci_u32_e64 v13, null, 0, v9, vcc_lo
	global_load_dwordx2 v[10:11], v[10:11], off
	s_waitcnt vmcnt(0) lgkmcnt(0)
	v_cmp_ge_i32_e32 vcc_lo, v2, v10
	v_cmp_lt_i32_e64 s0, v11, v3
	v_cmp_lt_i32_e64 s1, v10, v2
	s_and_b32 s0, vcc_lo, s0
	s_or_b32 vcc_lo, s1, s0
	v_cndmask_b32_e32 v7, v9, v7, vcc_lo
	v_cndmask_b32_e32 v6, v8, v6, vcc_lo
	;; [unrolled: 1-line block ×4, first 2 shown]
	v_cmp_ge_u64_e32 vcc_lo, v[4:5], v[6:7]
	s_or_b32 s5, vcc_lo, s5
	s_andn2_b32 exec_lo, exec_lo, s5
	s_cbranch_execnz .LBB733_10
; %bb.11:
	s_inst_prefetch 0x2
	s_or_b32 exec_lo, exec_lo, s5
.LBB733_12:
	v_cmp_eq_u64_e32 vcc_lo, s[14:15], v[4:5]
	v_cmp_ne_u64_e64 s0, s[14:15], v[4:5]
	s_andn2_b32 s1, s6, exec_lo
	s_andn2_b32 s5, s7, exec_lo
	s_and_b32 s6, vcc_lo, exec_lo
	s_and_b32 s0, s0, exec_lo
	s_or_b32 s6, s1, s6
	s_or_b32 s7, s5, s0
.LBB733_13:
	s_or_b32 exec_lo, exec_lo, s4
.LBB733_14:
	v_mov_b32_e32 v6, 0
	s_and_saveexec_b32 s4, s7
	s_cbranch_execnz .LBB733_17
; %bb.15:
	s_or_b32 exec_lo, exec_lo, s4
	s_and_saveexec_b32 s0, s6
	s_cbranch_execnz .LBB733_18
.LBB733_16:
	s_endpgm
.LBB733_17:
	v_lshlrev_b64 v[4:5], 3, v[4:5]
	s_or_b32 s6, s6, exec_lo
	v_add_co_u32 v4, vcc_lo, s10, v4
	v_add_co_ci_u32_e64 v5, null, s11, v5, vcc_lo
	global_load_dwordx2 v[4:5], v[4:5], off
	s_waitcnt vmcnt(0) lgkmcnt(0)
	v_cmp_lt_i32_e32 vcc_lo, v4, v2
	v_cmp_ge_i32_e64 s0, v3, v5
	v_cmp_ge_i32_e64 s1, v2, v4
	s_or_b32 s0, vcc_lo, s0
	s_and_b32 s0, s1, s0
	v_cndmask_b32_e64 v6, 0, 1, s0
	s_or_b32 exec_lo, exec_lo, s4
	s_and_saveexec_b32 s0, s6
	s_cbranch_execz .LBB733_16
.LBB733_18:
	s_lshl_b64 s[0:1], s[2:3], 2
	v_lshlrev_b64 v[0:1], 2, v[0:1]
	s_add_u32 s2, s8, s0
	s_addc_u32 s3, s9, s1
	s_lshl_b64 s[0:1], s[12:13], 2
	s_add_u32 s0, s2, s0
	s_addc_u32 s1, s3, s1
	v_add_co_u32 v0, vcc_lo, s0, v0
	v_add_co_ci_u32_e64 v1, null, s1, v1, vcc_lo
	flat_store_dword v[0:1], v6
	s_endpgm
	.section	.rodata,"a",@progbits
	.p2align	6, 0x0
	.amdhsa_kernel _ZN7rocprim17ROCPRIM_400000_NS6detail17trampoline_kernelINS0_14default_configENS1_29binary_search_config_selectorIN6thrust23THRUST_200600_302600_NS5tupleIiiNS6_9null_typeES8_S8_S8_S8_S8_S8_S8_EEiEEZNS1_14transform_implILb0ES3_SA_NS6_6detail15normal_iteratorINS6_7pointerIS9_NS6_11hip_rocprim5par_tENS6_11use_defaultESH_EEEENSD_INSE_IiSG_SH_SH_EEEEZNS1_13binary_searchIS3_SA_NSD_INS6_10device_ptrIS9_EEEESJ_SL_NS1_16binary_search_opENSC_16wrapped_functionINS6_6system6detail7generic6detail18binary_search_lessEbEEEE10hipError_tPvRmT1_T2_T3_mmT4_T5_P12ihipStream_tbEUlRKS9_E_EESY_S12_S13_mS14_S17_bEUlT_E_NS1_11comp_targetILNS1_3genE8ELNS1_11target_archE1030ELNS1_3gpuE2ELNS1_3repE0EEENS1_30default_config_static_selectorELNS0_4arch9wavefront6targetE0EEEvS11_
		.amdhsa_group_segment_fixed_size 0
		.amdhsa_private_segment_fixed_size 0
		.amdhsa_kernarg_size 312
		.amdhsa_user_sgpr_count 6
		.amdhsa_user_sgpr_private_segment_buffer 1
		.amdhsa_user_sgpr_dispatch_ptr 0
		.amdhsa_user_sgpr_queue_ptr 0
		.amdhsa_user_sgpr_kernarg_segment_ptr 1
		.amdhsa_user_sgpr_dispatch_id 0
		.amdhsa_user_sgpr_flat_scratch_init 0
		.amdhsa_user_sgpr_private_segment_size 0
		.amdhsa_wavefront_size32 1
		.amdhsa_uses_dynamic_stack 0
		.amdhsa_system_sgpr_private_segment_wavefront_offset 0
		.amdhsa_system_sgpr_workgroup_id_x 1
		.amdhsa_system_sgpr_workgroup_id_y 0
		.amdhsa_system_sgpr_workgroup_id_z 0
		.amdhsa_system_sgpr_workgroup_info 0
		.amdhsa_system_vgpr_workitem_id 0
		.amdhsa_next_free_vgpr 14
		.amdhsa_next_free_sgpr 18
		.amdhsa_reserve_vcc 1
		.amdhsa_reserve_flat_scratch 0
		.amdhsa_float_round_mode_32 0
		.amdhsa_float_round_mode_16_64 0
		.amdhsa_float_denorm_mode_32 3
		.amdhsa_float_denorm_mode_16_64 3
		.amdhsa_dx10_clamp 1
		.amdhsa_ieee_mode 1
		.amdhsa_fp16_overflow 0
		.amdhsa_workgroup_processor_mode 1
		.amdhsa_memory_ordered 1
		.amdhsa_forward_progress 1
		.amdhsa_shared_vgpr_count 0
		.amdhsa_exception_fp_ieee_invalid_op 0
		.amdhsa_exception_fp_denorm_src 0
		.amdhsa_exception_fp_ieee_div_zero 0
		.amdhsa_exception_fp_ieee_overflow 0
		.amdhsa_exception_fp_ieee_underflow 0
		.amdhsa_exception_fp_ieee_inexact 0
		.amdhsa_exception_int_div_zero 0
	.end_amdhsa_kernel
	.section	.text._ZN7rocprim17ROCPRIM_400000_NS6detail17trampoline_kernelINS0_14default_configENS1_29binary_search_config_selectorIN6thrust23THRUST_200600_302600_NS5tupleIiiNS6_9null_typeES8_S8_S8_S8_S8_S8_S8_EEiEEZNS1_14transform_implILb0ES3_SA_NS6_6detail15normal_iteratorINS6_7pointerIS9_NS6_11hip_rocprim5par_tENS6_11use_defaultESH_EEEENSD_INSE_IiSG_SH_SH_EEEEZNS1_13binary_searchIS3_SA_NSD_INS6_10device_ptrIS9_EEEESJ_SL_NS1_16binary_search_opENSC_16wrapped_functionINS6_6system6detail7generic6detail18binary_search_lessEbEEEE10hipError_tPvRmT1_T2_T3_mmT4_T5_P12ihipStream_tbEUlRKS9_E_EESY_S12_S13_mS14_S17_bEUlT_E_NS1_11comp_targetILNS1_3genE8ELNS1_11target_archE1030ELNS1_3gpuE2ELNS1_3repE0EEENS1_30default_config_static_selectorELNS0_4arch9wavefront6targetE0EEEvS11_,"axG",@progbits,_ZN7rocprim17ROCPRIM_400000_NS6detail17trampoline_kernelINS0_14default_configENS1_29binary_search_config_selectorIN6thrust23THRUST_200600_302600_NS5tupleIiiNS6_9null_typeES8_S8_S8_S8_S8_S8_S8_EEiEEZNS1_14transform_implILb0ES3_SA_NS6_6detail15normal_iteratorINS6_7pointerIS9_NS6_11hip_rocprim5par_tENS6_11use_defaultESH_EEEENSD_INSE_IiSG_SH_SH_EEEEZNS1_13binary_searchIS3_SA_NSD_INS6_10device_ptrIS9_EEEESJ_SL_NS1_16binary_search_opENSC_16wrapped_functionINS6_6system6detail7generic6detail18binary_search_lessEbEEEE10hipError_tPvRmT1_T2_T3_mmT4_T5_P12ihipStream_tbEUlRKS9_E_EESY_S12_S13_mS14_S17_bEUlT_E_NS1_11comp_targetILNS1_3genE8ELNS1_11target_archE1030ELNS1_3gpuE2ELNS1_3repE0EEENS1_30default_config_static_selectorELNS0_4arch9wavefront6targetE0EEEvS11_,comdat
.Lfunc_end733:
	.size	_ZN7rocprim17ROCPRIM_400000_NS6detail17trampoline_kernelINS0_14default_configENS1_29binary_search_config_selectorIN6thrust23THRUST_200600_302600_NS5tupleIiiNS6_9null_typeES8_S8_S8_S8_S8_S8_S8_EEiEEZNS1_14transform_implILb0ES3_SA_NS6_6detail15normal_iteratorINS6_7pointerIS9_NS6_11hip_rocprim5par_tENS6_11use_defaultESH_EEEENSD_INSE_IiSG_SH_SH_EEEEZNS1_13binary_searchIS3_SA_NSD_INS6_10device_ptrIS9_EEEESJ_SL_NS1_16binary_search_opENSC_16wrapped_functionINS6_6system6detail7generic6detail18binary_search_lessEbEEEE10hipError_tPvRmT1_T2_T3_mmT4_T5_P12ihipStream_tbEUlRKS9_E_EESY_S12_S13_mS14_S17_bEUlT_E_NS1_11comp_targetILNS1_3genE8ELNS1_11target_archE1030ELNS1_3gpuE2ELNS1_3repE0EEENS1_30default_config_static_selectorELNS0_4arch9wavefront6targetE0EEEvS11_, .Lfunc_end733-_ZN7rocprim17ROCPRIM_400000_NS6detail17trampoline_kernelINS0_14default_configENS1_29binary_search_config_selectorIN6thrust23THRUST_200600_302600_NS5tupleIiiNS6_9null_typeES8_S8_S8_S8_S8_S8_S8_EEiEEZNS1_14transform_implILb0ES3_SA_NS6_6detail15normal_iteratorINS6_7pointerIS9_NS6_11hip_rocprim5par_tENS6_11use_defaultESH_EEEENSD_INSE_IiSG_SH_SH_EEEEZNS1_13binary_searchIS3_SA_NSD_INS6_10device_ptrIS9_EEEESJ_SL_NS1_16binary_search_opENSC_16wrapped_functionINS6_6system6detail7generic6detail18binary_search_lessEbEEEE10hipError_tPvRmT1_T2_T3_mmT4_T5_P12ihipStream_tbEUlRKS9_E_EESY_S12_S13_mS14_S17_bEUlT_E_NS1_11comp_targetILNS1_3genE8ELNS1_11target_archE1030ELNS1_3gpuE2ELNS1_3repE0EEENS1_30default_config_static_selectorELNS0_4arch9wavefront6targetE0EEEvS11_
                                        ; -- End function
	.set _ZN7rocprim17ROCPRIM_400000_NS6detail17trampoline_kernelINS0_14default_configENS1_29binary_search_config_selectorIN6thrust23THRUST_200600_302600_NS5tupleIiiNS6_9null_typeES8_S8_S8_S8_S8_S8_S8_EEiEEZNS1_14transform_implILb0ES3_SA_NS6_6detail15normal_iteratorINS6_7pointerIS9_NS6_11hip_rocprim5par_tENS6_11use_defaultESH_EEEENSD_INSE_IiSG_SH_SH_EEEEZNS1_13binary_searchIS3_SA_NSD_INS6_10device_ptrIS9_EEEESJ_SL_NS1_16binary_search_opENSC_16wrapped_functionINS6_6system6detail7generic6detail18binary_search_lessEbEEEE10hipError_tPvRmT1_T2_T3_mmT4_T5_P12ihipStream_tbEUlRKS9_E_EESY_S12_S13_mS14_S17_bEUlT_E_NS1_11comp_targetILNS1_3genE8ELNS1_11target_archE1030ELNS1_3gpuE2ELNS1_3repE0EEENS1_30default_config_static_selectorELNS0_4arch9wavefront6targetE0EEEvS11_.num_vgpr, 14
	.set _ZN7rocprim17ROCPRIM_400000_NS6detail17trampoline_kernelINS0_14default_configENS1_29binary_search_config_selectorIN6thrust23THRUST_200600_302600_NS5tupleIiiNS6_9null_typeES8_S8_S8_S8_S8_S8_S8_EEiEEZNS1_14transform_implILb0ES3_SA_NS6_6detail15normal_iteratorINS6_7pointerIS9_NS6_11hip_rocprim5par_tENS6_11use_defaultESH_EEEENSD_INSE_IiSG_SH_SH_EEEEZNS1_13binary_searchIS3_SA_NSD_INS6_10device_ptrIS9_EEEESJ_SL_NS1_16binary_search_opENSC_16wrapped_functionINS6_6system6detail7generic6detail18binary_search_lessEbEEEE10hipError_tPvRmT1_T2_T3_mmT4_T5_P12ihipStream_tbEUlRKS9_E_EESY_S12_S13_mS14_S17_bEUlT_E_NS1_11comp_targetILNS1_3genE8ELNS1_11target_archE1030ELNS1_3gpuE2ELNS1_3repE0EEENS1_30default_config_static_selectorELNS0_4arch9wavefront6targetE0EEEvS11_.num_agpr, 0
	.set _ZN7rocprim17ROCPRIM_400000_NS6detail17trampoline_kernelINS0_14default_configENS1_29binary_search_config_selectorIN6thrust23THRUST_200600_302600_NS5tupleIiiNS6_9null_typeES8_S8_S8_S8_S8_S8_S8_EEiEEZNS1_14transform_implILb0ES3_SA_NS6_6detail15normal_iteratorINS6_7pointerIS9_NS6_11hip_rocprim5par_tENS6_11use_defaultESH_EEEENSD_INSE_IiSG_SH_SH_EEEEZNS1_13binary_searchIS3_SA_NSD_INS6_10device_ptrIS9_EEEESJ_SL_NS1_16binary_search_opENSC_16wrapped_functionINS6_6system6detail7generic6detail18binary_search_lessEbEEEE10hipError_tPvRmT1_T2_T3_mmT4_T5_P12ihipStream_tbEUlRKS9_E_EESY_S12_S13_mS14_S17_bEUlT_E_NS1_11comp_targetILNS1_3genE8ELNS1_11target_archE1030ELNS1_3gpuE2ELNS1_3repE0EEENS1_30default_config_static_selectorELNS0_4arch9wavefront6targetE0EEEvS11_.numbered_sgpr, 18
	.set _ZN7rocprim17ROCPRIM_400000_NS6detail17trampoline_kernelINS0_14default_configENS1_29binary_search_config_selectorIN6thrust23THRUST_200600_302600_NS5tupleIiiNS6_9null_typeES8_S8_S8_S8_S8_S8_S8_EEiEEZNS1_14transform_implILb0ES3_SA_NS6_6detail15normal_iteratorINS6_7pointerIS9_NS6_11hip_rocprim5par_tENS6_11use_defaultESH_EEEENSD_INSE_IiSG_SH_SH_EEEEZNS1_13binary_searchIS3_SA_NSD_INS6_10device_ptrIS9_EEEESJ_SL_NS1_16binary_search_opENSC_16wrapped_functionINS6_6system6detail7generic6detail18binary_search_lessEbEEEE10hipError_tPvRmT1_T2_T3_mmT4_T5_P12ihipStream_tbEUlRKS9_E_EESY_S12_S13_mS14_S17_bEUlT_E_NS1_11comp_targetILNS1_3genE8ELNS1_11target_archE1030ELNS1_3gpuE2ELNS1_3repE0EEENS1_30default_config_static_selectorELNS0_4arch9wavefront6targetE0EEEvS11_.num_named_barrier, 0
	.set _ZN7rocprim17ROCPRIM_400000_NS6detail17trampoline_kernelINS0_14default_configENS1_29binary_search_config_selectorIN6thrust23THRUST_200600_302600_NS5tupleIiiNS6_9null_typeES8_S8_S8_S8_S8_S8_S8_EEiEEZNS1_14transform_implILb0ES3_SA_NS6_6detail15normal_iteratorINS6_7pointerIS9_NS6_11hip_rocprim5par_tENS6_11use_defaultESH_EEEENSD_INSE_IiSG_SH_SH_EEEEZNS1_13binary_searchIS3_SA_NSD_INS6_10device_ptrIS9_EEEESJ_SL_NS1_16binary_search_opENSC_16wrapped_functionINS6_6system6detail7generic6detail18binary_search_lessEbEEEE10hipError_tPvRmT1_T2_T3_mmT4_T5_P12ihipStream_tbEUlRKS9_E_EESY_S12_S13_mS14_S17_bEUlT_E_NS1_11comp_targetILNS1_3genE8ELNS1_11target_archE1030ELNS1_3gpuE2ELNS1_3repE0EEENS1_30default_config_static_selectorELNS0_4arch9wavefront6targetE0EEEvS11_.private_seg_size, 0
	.set _ZN7rocprim17ROCPRIM_400000_NS6detail17trampoline_kernelINS0_14default_configENS1_29binary_search_config_selectorIN6thrust23THRUST_200600_302600_NS5tupleIiiNS6_9null_typeES8_S8_S8_S8_S8_S8_S8_EEiEEZNS1_14transform_implILb0ES3_SA_NS6_6detail15normal_iteratorINS6_7pointerIS9_NS6_11hip_rocprim5par_tENS6_11use_defaultESH_EEEENSD_INSE_IiSG_SH_SH_EEEEZNS1_13binary_searchIS3_SA_NSD_INS6_10device_ptrIS9_EEEESJ_SL_NS1_16binary_search_opENSC_16wrapped_functionINS6_6system6detail7generic6detail18binary_search_lessEbEEEE10hipError_tPvRmT1_T2_T3_mmT4_T5_P12ihipStream_tbEUlRKS9_E_EESY_S12_S13_mS14_S17_bEUlT_E_NS1_11comp_targetILNS1_3genE8ELNS1_11target_archE1030ELNS1_3gpuE2ELNS1_3repE0EEENS1_30default_config_static_selectorELNS0_4arch9wavefront6targetE0EEEvS11_.uses_vcc, 1
	.set _ZN7rocprim17ROCPRIM_400000_NS6detail17trampoline_kernelINS0_14default_configENS1_29binary_search_config_selectorIN6thrust23THRUST_200600_302600_NS5tupleIiiNS6_9null_typeES8_S8_S8_S8_S8_S8_S8_EEiEEZNS1_14transform_implILb0ES3_SA_NS6_6detail15normal_iteratorINS6_7pointerIS9_NS6_11hip_rocprim5par_tENS6_11use_defaultESH_EEEENSD_INSE_IiSG_SH_SH_EEEEZNS1_13binary_searchIS3_SA_NSD_INS6_10device_ptrIS9_EEEESJ_SL_NS1_16binary_search_opENSC_16wrapped_functionINS6_6system6detail7generic6detail18binary_search_lessEbEEEE10hipError_tPvRmT1_T2_T3_mmT4_T5_P12ihipStream_tbEUlRKS9_E_EESY_S12_S13_mS14_S17_bEUlT_E_NS1_11comp_targetILNS1_3genE8ELNS1_11target_archE1030ELNS1_3gpuE2ELNS1_3repE0EEENS1_30default_config_static_selectorELNS0_4arch9wavefront6targetE0EEEvS11_.uses_flat_scratch, 0
	.set _ZN7rocprim17ROCPRIM_400000_NS6detail17trampoline_kernelINS0_14default_configENS1_29binary_search_config_selectorIN6thrust23THRUST_200600_302600_NS5tupleIiiNS6_9null_typeES8_S8_S8_S8_S8_S8_S8_EEiEEZNS1_14transform_implILb0ES3_SA_NS6_6detail15normal_iteratorINS6_7pointerIS9_NS6_11hip_rocprim5par_tENS6_11use_defaultESH_EEEENSD_INSE_IiSG_SH_SH_EEEEZNS1_13binary_searchIS3_SA_NSD_INS6_10device_ptrIS9_EEEESJ_SL_NS1_16binary_search_opENSC_16wrapped_functionINS6_6system6detail7generic6detail18binary_search_lessEbEEEE10hipError_tPvRmT1_T2_T3_mmT4_T5_P12ihipStream_tbEUlRKS9_E_EESY_S12_S13_mS14_S17_bEUlT_E_NS1_11comp_targetILNS1_3genE8ELNS1_11target_archE1030ELNS1_3gpuE2ELNS1_3repE0EEENS1_30default_config_static_selectorELNS0_4arch9wavefront6targetE0EEEvS11_.has_dyn_sized_stack, 0
	.set _ZN7rocprim17ROCPRIM_400000_NS6detail17trampoline_kernelINS0_14default_configENS1_29binary_search_config_selectorIN6thrust23THRUST_200600_302600_NS5tupleIiiNS6_9null_typeES8_S8_S8_S8_S8_S8_S8_EEiEEZNS1_14transform_implILb0ES3_SA_NS6_6detail15normal_iteratorINS6_7pointerIS9_NS6_11hip_rocprim5par_tENS6_11use_defaultESH_EEEENSD_INSE_IiSG_SH_SH_EEEEZNS1_13binary_searchIS3_SA_NSD_INS6_10device_ptrIS9_EEEESJ_SL_NS1_16binary_search_opENSC_16wrapped_functionINS6_6system6detail7generic6detail18binary_search_lessEbEEEE10hipError_tPvRmT1_T2_T3_mmT4_T5_P12ihipStream_tbEUlRKS9_E_EESY_S12_S13_mS14_S17_bEUlT_E_NS1_11comp_targetILNS1_3genE8ELNS1_11target_archE1030ELNS1_3gpuE2ELNS1_3repE0EEENS1_30default_config_static_selectorELNS0_4arch9wavefront6targetE0EEEvS11_.has_recursion, 0
	.set _ZN7rocprim17ROCPRIM_400000_NS6detail17trampoline_kernelINS0_14default_configENS1_29binary_search_config_selectorIN6thrust23THRUST_200600_302600_NS5tupleIiiNS6_9null_typeES8_S8_S8_S8_S8_S8_S8_EEiEEZNS1_14transform_implILb0ES3_SA_NS6_6detail15normal_iteratorINS6_7pointerIS9_NS6_11hip_rocprim5par_tENS6_11use_defaultESH_EEEENSD_INSE_IiSG_SH_SH_EEEEZNS1_13binary_searchIS3_SA_NSD_INS6_10device_ptrIS9_EEEESJ_SL_NS1_16binary_search_opENSC_16wrapped_functionINS6_6system6detail7generic6detail18binary_search_lessEbEEEE10hipError_tPvRmT1_T2_T3_mmT4_T5_P12ihipStream_tbEUlRKS9_E_EESY_S12_S13_mS14_S17_bEUlT_E_NS1_11comp_targetILNS1_3genE8ELNS1_11target_archE1030ELNS1_3gpuE2ELNS1_3repE0EEENS1_30default_config_static_selectorELNS0_4arch9wavefront6targetE0EEEvS11_.has_indirect_call, 0
	.section	.AMDGPU.csdata,"",@progbits
; Kernel info:
; codeLenInByte = 976
; TotalNumSgprs: 20
; NumVgprs: 14
; ScratchSize: 0
; MemoryBound: 0
; FloatMode: 240
; IeeeMode: 1
; LDSByteSize: 0 bytes/workgroup (compile time only)
; SGPRBlocks: 0
; VGPRBlocks: 1
; NumSGPRsForWavesPerEU: 20
; NumVGPRsForWavesPerEU: 14
; Occupancy: 16
; WaveLimiterHint : 0
; COMPUTE_PGM_RSRC2:SCRATCH_EN: 0
; COMPUTE_PGM_RSRC2:USER_SGPR: 6
; COMPUTE_PGM_RSRC2:TRAP_HANDLER: 0
; COMPUTE_PGM_RSRC2:TGID_X_EN: 1
; COMPUTE_PGM_RSRC2:TGID_Y_EN: 0
; COMPUTE_PGM_RSRC2:TGID_Z_EN: 0
; COMPUTE_PGM_RSRC2:TIDIG_COMP_CNT: 0
	.section	.text._ZN7rocprim17ROCPRIM_400000_NS6detail17trampoline_kernelINS0_14default_configENS1_29binary_search_config_selectorIibEEZNS1_14transform_implILb0ES3_S5_N6thrust23THRUST_200600_302600_NS6detail15normal_iteratorINS8_10device_ptrIiEEEENSA_INSB_IbEEEEZNS1_13binary_searchIS3_S5_SD_SD_SF_NS1_16binary_search_opENS9_16wrapped_functionINS0_4lessIvEEbEEEE10hipError_tPvRmT1_T2_T3_mmT4_T5_P12ihipStream_tbEUlRKiE_EESM_SQ_SR_mSS_SV_bEUlT_E_NS1_11comp_targetILNS1_3genE0ELNS1_11target_archE4294967295ELNS1_3gpuE0ELNS1_3repE0EEENS1_30default_config_static_selectorELNS0_4arch9wavefront6targetE0EEEvSP_,"axG",@progbits,_ZN7rocprim17ROCPRIM_400000_NS6detail17trampoline_kernelINS0_14default_configENS1_29binary_search_config_selectorIibEEZNS1_14transform_implILb0ES3_S5_N6thrust23THRUST_200600_302600_NS6detail15normal_iteratorINS8_10device_ptrIiEEEENSA_INSB_IbEEEEZNS1_13binary_searchIS3_S5_SD_SD_SF_NS1_16binary_search_opENS9_16wrapped_functionINS0_4lessIvEEbEEEE10hipError_tPvRmT1_T2_T3_mmT4_T5_P12ihipStream_tbEUlRKiE_EESM_SQ_SR_mSS_SV_bEUlT_E_NS1_11comp_targetILNS1_3genE0ELNS1_11target_archE4294967295ELNS1_3gpuE0ELNS1_3repE0EEENS1_30default_config_static_selectorELNS0_4arch9wavefront6targetE0EEEvSP_,comdat
	.protected	_ZN7rocprim17ROCPRIM_400000_NS6detail17trampoline_kernelINS0_14default_configENS1_29binary_search_config_selectorIibEEZNS1_14transform_implILb0ES3_S5_N6thrust23THRUST_200600_302600_NS6detail15normal_iteratorINS8_10device_ptrIiEEEENSA_INSB_IbEEEEZNS1_13binary_searchIS3_S5_SD_SD_SF_NS1_16binary_search_opENS9_16wrapped_functionINS0_4lessIvEEbEEEE10hipError_tPvRmT1_T2_T3_mmT4_T5_P12ihipStream_tbEUlRKiE_EESM_SQ_SR_mSS_SV_bEUlT_E_NS1_11comp_targetILNS1_3genE0ELNS1_11target_archE4294967295ELNS1_3gpuE0ELNS1_3repE0EEENS1_30default_config_static_selectorELNS0_4arch9wavefront6targetE0EEEvSP_ ; -- Begin function _ZN7rocprim17ROCPRIM_400000_NS6detail17trampoline_kernelINS0_14default_configENS1_29binary_search_config_selectorIibEEZNS1_14transform_implILb0ES3_S5_N6thrust23THRUST_200600_302600_NS6detail15normal_iteratorINS8_10device_ptrIiEEEENSA_INSB_IbEEEEZNS1_13binary_searchIS3_S5_SD_SD_SF_NS1_16binary_search_opENS9_16wrapped_functionINS0_4lessIvEEbEEEE10hipError_tPvRmT1_T2_T3_mmT4_T5_P12ihipStream_tbEUlRKiE_EESM_SQ_SR_mSS_SV_bEUlT_E_NS1_11comp_targetILNS1_3genE0ELNS1_11target_archE4294967295ELNS1_3gpuE0ELNS1_3repE0EEENS1_30default_config_static_selectorELNS0_4arch9wavefront6targetE0EEEvSP_
	.globl	_ZN7rocprim17ROCPRIM_400000_NS6detail17trampoline_kernelINS0_14default_configENS1_29binary_search_config_selectorIibEEZNS1_14transform_implILb0ES3_S5_N6thrust23THRUST_200600_302600_NS6detail15normal_iteratorINS8_10device_ptrIiEEEENSA_INSB_IbEEEEZNS1_13binary_searchIS3_S5_SD_SD_SF_NS1_16binary_search_opENS9_16wrapped_functionINS0_4lessIvEEbEEEE10hipError_tPvRmT1_T2_T3_mmT4_T5_P12ihipStream_tbEUlRKiE_EESM_SQ_SR_mSS_SV_bEUlT_E_NS1_11comp_targetILNS1_3genE0ELNS1_11target_archE4294967295ELNS1_3gpuE0ELNS1_3repE0EEENS1_30default_config_static_selectorELNS0_4arch9wavefront6targetE0EEEvSP_
	.p2align	8
	.type	_ZN7rocprim17ROCPRIM_400000_NS6detail17trampoline_kernelINS0_14default_configENS1_29binary_search_config_selectorIibEEZNS1_14transform_implILb0ES3_S5_N6thrust23THRUST_200600_302600_NS6detail15normal_iteratorINS8_10device_ptrIiEEEENSA_INSB_IbEEEEZNS1_13binary_searchIS3_S5_SD_SD_SF_NS1_16binary_search_opENS9_16wrapped_functionINS0_4lessIvEEbEEEE10hipError_tPvRmT1_T2_T3_mmT4_T5_P12ihipStream_tbEUlRKiE_EESM_SQ_SR_mSS_SV_bEUlT_E_NS1_11comp_targetILNS1_3genE0ELNS1_11target_archE4294967295ELNS1_3gpuE0ELNS1_3repE0EEENS1_30default_config_static_selectorELNS0_4arch9wavefront6targetE0EEEvSP_,@function
_ZN7rocprim17ROCPRIM_400000_NS6detail17trampoline_kernelINS0_14default_configENS1_29binary_search_config_selectorIibEEZNS1_14transform_implILb0ES3_S5_N6thrust23THRUST_200600_302600_NS6detail15normal_iteratorINS8_10device_ptrIiEEEENSA_INSB_IbEEEEZNS1_13binary_searchIS3_S5_SD_SD_SF_NS1_16binary_search_opENS9_16wrapped_functionINS0_4lessIvEEbEEEE10hipError_tPvRmT1_T2_T3_mmT4_T5_P12ihipStream_tbEUlRKiE_EESM_SQ_SR_mSS_SV_bEUlT_E_NS1_11comp_targetILNS1_3genE0ELNS1_11target_archE4294967295ELNS1_3gpuE0ELNS1_3repE0EEENS1_30default_config_static_selectorELNS0_4arch9wavefront6targetE0EEEvSP_: ; @_ZN7rocprim17ROCPRIM_400000_NS6detail17trampoline_kernelINS0_14default_configENS1_29binary_search_config_selectorIibEEZNS1_14transform_implILb0ES3_S5_N6thrust23THRUST_200600_302600_NS6detail15normal_iteratorINS8_10device_ptrIiEEEENSA_INSB_IbEEEEZNS1_13binary_searchIS3_S5_SD_SD_SF_NS1_16binary_search_opENS9_16wrapped_functionINS0_4lessIvEEbEEEE10hipError_tPvRmT1_T2_T3_mmT4_T5_P12ihipStream_tbEUlRKiE_EESM_SQ_SR_mSS_SV_bEUlT_E_NS1_11comp_targetILNS1_3genE0ELNS1_11target_archE4294967295ELNS1_3gpuE0ELNS1_3repE0EEENS1_30default_config_static_selectorELNS0_4arch9wavefront6targetE0EEEvSP_
; %bb.0:
	.section	.rodata,"a",@progbits
	.p2align	6, 0x0
	.amdhsa_kernel _ZN7rocprim17ROCPRIM_400000_NS6detail17trampoline_kernelINS0_14default_configENS1_29binary_search_config_selectorIibEEZNS1_14transform_implILb0ES3_S5_N6thrust23THRUST_200600_302600_NS6detail15normal_iteratorINS8_10device_ptrIiEEEENSA_INSB_IbEEEEZNS1_13binary_searchIS3_S5_SD_SD_SF_NS1_16binary_search_opENS9_16wrapped_functionINS0_4lessIvEEbEEEE10hipError_tPvRmT1_T2_T3_mmT4_T5_P12ihipStream_tbEUlRKiE_EESM_SQ_SR_mSS_SV_bEUlT_E_NS1_11comp_targetILNS1_3genE0ELNS1_11target_archE4294967295ELNS1_3gpuE0ELNS1_3repE0EEENS1_30default_config_static_selectorELNS0_4arch9wavefront6targetE0EEEvSP_
		.amdhsa_group_segment_fixed_size 0
		.amdhsa_private_segment_fixed_size 0
		.amdhsa_kernarg_size 56
		.amdhsa_user_sgpr_count 6
		.amdhsa_user_sgpr_private_segment_buffer 1
		.amdhsa_user_sgpr_dispatch_ptr 0
		.amdhsa_user_sgpr_queue_ptr 0
		.amdhsa_user_sgpr_kernarg_segment_ptr 1
		.amdhsa_user_sgpr_dispatch_id 0
		.amdhsa_user_sgpr_flat_scratch_init 0
		.amdhsa_user_sgpr_private_segment_size 0
		.amdhsa_wavefront_size32 1
		.amdhsa_uses_dynamic_stack 0
		.amdhsa_system_sgpr_private_segment_wavefront_offset 0
		.amdhsa_system_sgpr_workgroup_id_x 1
		.amdhsa_system_sgpr_workgroup_id_y 0
		.amdhsa_system_sgpr_workgroup_id_z 0
		.amdhsa_system_sgpr_workgroup_info 0
		.amdhsa_system_vgpr_workitem_id 0
		.amdhsa_next_free_vgpr 1
		.amdhsa_next_free_sgpr 1
		.amdhsa_reserve_vcc 0
		.amdhsa_reserve_flat_scratch 0
		.amdhsa_float_round_mode_32 0
		.amdhsa_float_round_mode_16_64 0
		.amdhsa_float_denorm_mode_32 3
		.amdhsa_float_denorm_mode_16_64 3
		.amdhsa_dx10_clamp 1
		.amdhsa_ieee_mode 1
		.amdhsa_fp16_overflow 0
		.amdhsa_workgroup_processor_mode 1
		.amdhsa_memory_ordered 1
		.amdhsa_forward_progress 1
		.amdhsa_shared_vgpr_count 0
		.amdhsa_exception_fp_ieee_invalid_op 0
		.amdhsa_exception_fp_denorm_src 0
		.amdhsa_exception_fp_ieee_div_zero 0
		.amdhsa_exception_fp_ieee_overflow 0
		.amdhsa_exception_fp_ieee_underflow 0
		.amdhsa_exception_fp_ieee_inexact 0
		.amdhsa_exception_int_div_zero 0
	.end_amdhsa_kernel
	.section	.text._ZN7rocprim17ROCPRIM_400000_NS6detail17trampoline_kernelINS0_14default_configENS1_29binary_search_config_selectorIibEEZNS1_14transform_implILb0ES3_S5_N6thrust23THRUST_200600_302600_NS6detail15normal_iteratorINS8_10device_ptrIiEEEENSA_INSB_IbEEEEZNS1_13binary_searchIS3_S5_SD_SD_SF_NS1_16binary_search_opENS9_16wrapped_functionINS0_4lessIvEEbEEEE10hipError_tPvRmT1_T2_T3_mmT4_T5_P12ihipStream_tbEUlRKiE_EESM_SQ_SR_mSS_SV_bEUlT_E_NS1_11comp_targetILNS1_3genE0ELNS1_11target_archE4294967295ELNS1_3gpuE0ELNS1_3repE0EEENS1_30default_config_static_selectorELNS0_4arch9wavefront6targetE0EEEvSP_,"axG",@progbits,_ZN7rocprim17ROCPRIM_400000_NS6detail17trampoline_kernelINS0_14default_configENS1_29binary_search_config_selectorIibEEZNS1_14transform_implILb0ES3_S5_N6thrust23THRUST_200600_302600_NS6detail15normal_iteratorINS8_10device_ptrIiEEEENSA_INSB_IbEEEEZNS1_13binary_searchIS3_S5_SD_SD_SF_NS1_16binary_search_opENS9_16wrapped_functionINS0_4lessIvEEbEEEE10hipError_tPvRmT1_T2_T3_mmT4_T5_P12ihipStream_tbEUlRKiE_EESM_SQ_SR_mSS_SV_bEUlT_E_NS1_11comp_targetILNS1_3genE0ELNS1_11target_archE4294967295ELNS1_3gpuE0ELNS1_3repE0EEENS1_30default_config_static_selectorELNS0_4arch9wavefront6targetE0EEEvSP_,comdat
.Lfunc_end734:
	.size	_ZN7rocprim17ROCPRIM_400000_NS6detail17trampoline_kernelINS0_14default_configENS1_29binary_search_config_selectorIibEEZNS1_14transform_implILb0ES3_S5_N6thrust23THRUST_200600_302600_NS6detail15normal_iteratorINS8_10device_ptrIiEEEENSA_INSB_IbEEEEZNS1_13binary_searchIS3_S5_SD_SD_SF_NS1_16binary_search_opENS9_16wrapped_functionINS0_4lessIvEEbEEEE10hipError_tPvRmT1_T2_T3_mmT4_T5_P12ihipStream_tbEUlRKiE_EESM_SQ_SR_mSS_SV_bEUlT_E_NS1_11comp_targetILNS1_3genE0ELNS1_11target_archE4294967295ELNS1_3gpuE0ELNS1_3repE0EEENS1_30default_config_static_selectorELNS0_4arch9wavefront6targetE0EEEvSP_, .Lfunc_end734-_ZN7rocprim17ROCPRIM_400000_NS6detail17trampoline_kernelINS0_14default_configENS1_29binary_search_config_selectorIibEEZNS1_14transform_implILb0ES3_S5_N6thrust23THRUST_200600_302600_NS6detail15normal_iteratorINS8_10device_ptrIiEEEENSA_INSB_IbEEEEZNS1_13binary_searchIS3_S5_SD_SD_SF_NS1_16binary_search_opENS9_16wrapped_functionINS0_4lessIvEEbEEEE10hipError_tPvRmT1_T2_T3_mmT4_T5_P12ihipStream_tbEUlRKiE_EESM_SQ_SR_mSS_SV_bEUlT_E_NS1_11comp_targetILNS1_3genE0ELNS1_11target_archE4294967295ELNS1_3gpuE0ELNS1_3repE0EEENS1_30default_config_static_selectorELNS0_4arch9wavefront6targetE0EEEvSP_
                                        ; -- End function
	.set _ZN7rocprim17ROCPRIM_400000_NS6detail17trampoline_kernelINS0_14default_configENS1_29binary_search_config_selectorIibEEZNS1_14transform_implILb0ES3_S5_N6thrust23THRUST_200600_302600_NS6detail15normal_iteratorINS8_10device_ptrIiEEEENSA_INSB_IbEEEEZNS1_13binary_searchIS3_S5_SD_SD_SF_NS1_16binary_search_opENS9_16wrapped_functionINS0_4lessIvEEbEEEE10hipError_tPvRmT1_T2_T3_mmT4_T5_P12ihipStream_tbEUlRKiE_EESM_SQ_SR_mSS_SV_bEUlT_E_NS1_11comp_targetILNS1_3genE0ELNS1_11target_archE4294967295ELNS1_3gpuE0ELNS1_3repE0EEENS1_30default_config_static_selectorELNS0_4arch9wavefront6targetE0EEEvSP_.num_vgpr, 0
	.set _ZN7rocprim17ROCPRIM_400000_NS6detail17trampoline_kernelINS0_14default_configENS1_29binary_search_config_selectorIibEEZNS1_14transform_implILb0ES3_S5_N6thrust23THRUST_200600_302600_NS6detail15normal_iteratorINS8_10device_ptrIiEEEENSA_INSB_IbEEEEZNS1_13binary_searchIS3_S5_SD_SD_SF_NS1_16binary_search_opENS9_16wrapped_functionINS0_4lessIvEEbEEEE10hipError_tPvRmT1_T2_T3_mmT4_T5_P12ihipStream_tbEUlRKiE_EESM_SQ_SR_mSS_SV_bEUlT_E_NS1_11comp_targetILNS1_3genE0ELNS1_11target_archE4294967295ELNS1_3gpuE0ELNS1_3repE0EEENS1_30default_config_static_selectorELNS0_4arch9wavefront6targetE0EEEvSP_.num_agpr, 0
	.set _ZN7rocprim17ROCPRIM_400000_NS6detail17trampoline_kernelINS0_14default_configENS1_29binary_search_config_selectorIibEEZNS1_14transform_implILb0ES3_S5_N6thrust23THRUST_200600_302600_NS6detail15normal_iteratorINS8_10device_ptrIiEEEENSA_INSB_IbEEEEZNS1_13binary_searchIS3_S5_SD_SD_SF_NS1_16binary_search_opENS9_16wrapped_functionINS0_4lessIvEEbEEEE10hipError_tPvRmT1_T2_T3_mmT4_T5_P12ihipStream_tbEUlRKiE_EESM_SQ_SR_mSS_SV_bEUlT_E_NS1_11comp_targetILNS1_3genE0ELNS1_11target_archE4294967295ELNS1_3gpuE0ELNS1_3repE0EEENS1_30default_config_static_selectorELNS0_4arch9wavefront6targetE0EEEvSP_.numbered_sgpr, 0
	.set _ZN7rocprim17ROCPRIM_400000_NS6detail17trampoline_kernelINS0_14default_configENS1_29binary_search_config_selectorIibEEZNS1_14transform_implILb0ES3_S5_N6thrust23THRUST_200600_302600_NS6detail15normal_iteratorINS8_10device_ptrIiEEEENSA_INSB_IbEEEEZNS1_13binary_searchIS3_S5_SD_SD_SF_NS1_16binary_search_opENS9_16wrapped_functionINS0_4lessIvEEbEEEE10hipError_tPvRmT1_T2_T3_mmT4_T5_P12ihipStream_tbEUlRKiE_EESM_SQ_SR_mSS_SV_bEUlT_E_NS1_11comp_targetILNS1_3genE0ELNS1_11target_archE4294967295ELNS1_3gpuE0ELNS1_3repE0EEENS1_30default_config_static_selectorELNS0_4arch9wavefront6targetE0EEEvSP_.num_named_barrier, 0
	.set _ZN7rocprim17ROCPRIM_400000_NS6detail17trampoline_kernelINS0_14default_configENS1_29binary_search_config_selectorIibEEZNS1_14transform_implILb0ES3_S5_N6thrust23THRUST_200600_302600_NS6detail15normal_iteratorINS8_10device_ptrIiEEEENSA_INSB_IbEEEEZNS1_13binary_searchIS3_S5_SD_SD_SF_NS1_16binary_search_opENS9_16wrapped_functionINS0_4lessIvEEbEEEE10hipError_tPvRmT1_T2_T3_mmT4_T5_P12ihipStream_tbEUlRKiE_EESM_SQ_SR_mSS_SV_bEUlT_E_NS1_11comp_targetILNS1_3genE0ELNS1_11target_archE4294967295ELNS1_3gpuE0ELNS1_3repE0EEENS1_30default_config_static_selectorELNS0_4arch9wavefront6targetE0EEEvSP_.private_seg_size, 0
	.set _ZN7rocprim17ROCPRIM_400000_NS6detail17trampoline_kernelINS0_14default_configENS1_29binary_search_config_selectorIibEEZNS1_14transform_implILb0ES3_S5_N6thrust23THRUST_200600_302600_NS6detail15normal_iteratorINS8_10device_ptrIiEEEENSA_INSB_IbEEEEZNS1_13binary_searchIS3_S5_SD_SD_SF_NS1_16binary_search_opENS9_16wrapped_functionINS0_4lessIvEEbEEEE10hipError_tPvRmT1_T2_T3_mmT4_T5_P12ihipStream_tbEUlRKiE_EESM_SQ_SR_mSS_SV_bEUlT_E_NS1_11comp_targetILNS1_3genE0ELNS1_11target_archE4294967295ELNS1_3gpuE0ELNS1_3repE0EEENS1_30default_config_static_selectorELNS0_4arch9wavefront6targetE0EEEvSP_.uses_vcc, 0
	.set _ZN7rocprim17ROCPRIM_400000_NS6detail17trampoline_kernelINS0_14default_configENS1_29binary_search_config_selectorIibEEZNS1_14transform_implILb0ES3_S5_N6thrust23THRUST_200600_302600_NS6detail15normal_iteratorINS8_10device_ptrIiEEEENSA_INSB_IbEEEEZNS1_13binary_searchIS3_S5_SD_SD_SF_NS1_16binary_search_opENS9_16wrapped_functionINS0_4lessIvEEbEEEE10hipError_tPvRmT1_T2_T3_mmT4_T5_P12ihipStream_tbEUlRKiE_EESM_SQ_SR_mSS_SV_bEUlT_E_NS1_11comp_targetILNS1_3genE0ELNS1_11target_archE4294967295ELNS1_3gpuE0ELNS1_3repE0EEENS1_30default_config_static_selectorELNS0_4arch9wavefront6targetE0EEEvSP_.uses_flat_scratch, 0
	.set _ZN7rocprim17ROCPRIM_400000_NS6detail17trampoline_kernelINS0_14default_configENS1_29binary_search_config_selectorIibEEZNS1_14transform_implILb0ES3_S5_N6thrust23THRUST_200600_302600_NS6detail15normal_iteratorINS8_10device_ptrIiEEEENSA_INSB_IbEEEEZNS1_13binary_searchIS3_S5_SD_SD_SF_NS1_16binary_search_opENS9_16wrapped_functionINS0_4lessIvEEbEEEE10hipError_tPvRmT1_T2_T3_mmT4_T5_P12ihipStream_tbEUlRKiE_EESM_SQ_SR_mSS_SV_bEUlT_E_NS1_11comp_targetILNS1_3genE0ELNS1_11target_archE4294967295ELNS1_3gpuE0ELNS1_3repE0EEENS1_30default_config_static_selectorELNS0_4arch9wavefront6targetE0EEEvSP_.has_dyn_sized_stack, 0
	.set _ZN7rocprim17ROCPRIM_400000_NS6detail17trampoline_kernelINS0_14default_configENS1_29binary_search_config_selectorIibEEZNS1_14transform_implILb0ES3_S5_N6thrust23THRUST_200600_302600_NS6detail15normal_iteratorINS8_10device_ptrIiEEEENSA_INSB_IbEEEEZNS1_13binary_searchIS3_S5_SD_SD_SF_NS1_16binary_search_opENS9_16wrapped_functionINS0_4lessIvEEbEEEE10hipError_tPvRmT1_T2_T3_mmT4_T5_P12ihipStream_tbEUlRKiE_EESM_SQ_SR_mSS_SV_bEUlT_E_NS1_11comp_targetILNS1_3genE0ELNS1_11target_archE4294967295ELNS1_3gpuE0ELNS1_3repE0EEENS1_30default_config_static_selectorELNS0_4arch9wavefront6targetE0EEEvSP_.has_recursion, 0
	.set _ZN7rocprim17ROCPRIM_400000_NS6detail17trampoline_kernelINS0_14default_configENS1_29binary_search_config_selectorIibEEZNS1_14transform_implILb0ES3_S5_N6thrust23THRUST_200600_302600_NS6detail15normal_iteratorINS8_10device_ptrIiEEEENSA_INSB_IbEEEEZNS1_13binary_searchIS3_S5_SD_SD_SF_NS1_16binary_search_opENS9_16wrapped_functionINS0_4lessIvEEbEEEE10hipError_tPvRmT1_T2_T3_mmT4_T5_P12ihipStream_tbEUlRKiE_EESM_SQ_SR_mSS_SV_bEUlT_E_NS1_11comp_targetILNS1_3genE0ELNS1_11target_archE4294967295ELNS1_3gpuE0ELNS1_3repE0EEENS1_30default_config_static_selectorELNS0_4arch9wavefront6targetE0EEEvSP_.has_indirect_call, 0
	.section	.AMDGPU.csdata,"",@progbits
; Kernel info:
; codeLenInByte = 0
; TotalNumSgprs: 0
; NumVgprs: 0
; ScratchSize: 0
; MemoryBound: 0
; FloatMode: 240
; IeeeMode: 1
; LDSByteSize: 0 bytes/workgroup (compile time only)
; SGPRBlocks: 0
; VGPRBlocks: 0
; NumSGPRsForWavesPerEU: 1
; NumVGPRsForWavesPerEU: 1
; Occupancy: 16
; WaveLimiterHint : 0
; COMPUTE_PGM_RSRC2:SCRATCH_EN: 0
; COMPUTE_PGM_RSRC2:USER_SGPR: 6
; COMPUTE_PGM_RSRC2:TRAP_HANDLER: 0
; COMPUTE_PGM_RSRC2:TGID_X_EN: 1
; COMPUTE_PGM_RSRC2:TGID_Y_EN: 0
; COMPUTE_PGM_RSRC2:TGID_Z_EN: 0
; COMPUTE_PGM_RSRC2:TIDIG_COMP_CNT: 0
	.section	.text._ZN7rocprim17ROCPRIM_400000_NS6detail17trampoline_kernelINS0_14default_configENS1_29binary_search_config_selectorIibEEZNS1_14transform_implILb0ES3_S5_N6thrust23THRUST_200600_302600_NS6detail15normal_iteratorINS8_10device_ptrIiEEEENSA_INSB_IbEEEEZNS1_13binary_searchIS3_S5_SD_SD_SF_NS1_16binary_search_opENS9_16wrapped_functionINS0_4lessIvEEbEEEE10hipError_tPvRmT1_T2_T3_mmT4_T5_P12ihipStream_tbEUlRKiE_EESM_SQ_SR_mSS_SV_bEUlT_E_NS1_11comp_targetILNS1_3genE5ELNS1_11target_archE942ELNS1_3gpuE9ELNS1_3repE0EEENS1_30default_config_static_selectorELNS0_4arch9wavefront6targetE0EEEvSP_,"axG",@progbits,_ZN7rocprim17ROCPRIM_400000_NS6detail17trampoline_kernelINS0_14default_configENS1_29binary_search_config_selectorIibEEZNS1_14transform_implILb0ES3_S5_N6thrust23THRUST_200600_302600_NS6detail15normal_iteratorINS8_10device_ptrIiEEEENSA_INSB_IbEEEEZNS1_13binary_searchIS3_S5_SD_SD_SF_NS1_16binary_search_opENS9_16wrapped_functionINS0_4lessIvEEbEEEE10hipError_tPvRmT1_T2_T3_mmT4_T5_P12ihipStream_tbEUlRKiE_EESM_SQ_SR_mSS_SV_bEUlT_E_NS1_11comp_targetILNS1_3genE5ELNS1_11target_archE942ELNS1_3gpuE9ELNS1_3repE0EEENS1_30default_config_static_selectorELNS0_4arch9wavefront6targetE0EEEvSP_,comdat
	.protected	_ZN7rocprim17ROCPRIM_400000_NS6detail17trampoline_kernelINS0_14default_configENS1_29binary_search_config_selectorIibEEZNS1_14transform_implILb0ES3_S5_N6thrust23THRUST_200600_302600_NS6detail15normal_iteratorINS8_10device_ptrIiEEEENSA_INSB_IbEEEEZNS1_13binary_searchIS3_S5_SD_SD_SF_NS1_16binary_search_opENS9_16wrapped_functionINS0_4lessIvEEbEEEE10hipError_tPvRmT1_T2_T3_mmT4_T5_P12ihipStream_tbEUlRKiE_EESM_SQ_SR_mSS_SV_bEUlT_E_NS1_11comp_targetILNS1_3genE5ELNS1_11target_archE942ELNS1_3gpuE9ELNS1_3repE0EEENS1_30default_config_static_selectorELNS0_4arch9wavefront6targetE0EEEvSP_ ; -- Begin function _ZN7rocprim17ROCPRIM_400000_NS6detail17trampoline_kernelINS0_14default_configENS1_29binary_search_config_selectorIibEEZNS1_14transform_implILb0ES3_S5_N6thrust23THRUST_200600_302600_NS6detail15normal_iteratorINS8_10device_ptrIiEEEENSA_INSB_IbEEEEZNS1_13binary_searchIS3_S5_SD_SD_SF_NS1_16binary_search_opENS9_16wrapped_functionINS0_4lessIvEEbEEEE10hipError_tPvRmT1_T2_T3_mmT4_T5_P12ihipStream_tbEUlRKiE_EESM_SQ_SR_mSS_SV_bEUlT_E_NS1_11comp_targetILNS1_3genE5ELNS1_11target_archE942ELNS1_3gpuE9ELNS1_3repE0EEENS1_30default_config_static_selectorELNS0_4arch9wavefront6targetE0EEEvSP_
	.globl	_ZN7rocprim17ROCPRIM_400000_NS6detail17trampoline_kernelINS0_14default_configENS1_29binary_search_config_selectorIibEEZNS1_14transform_implILb0ES3_S5_N6thrust23THRUST_200600_302600_NS6detail15normal_iteratorINS8_10device_ptrIiEEEENSA_INSB_IbEEEEZNS1_13binary_searchIS3_S5_SD_SD_SF_NS1_16binary_search_opENS9_16wrapped_functionINS0_4lessIvEEbEEEE10hipError_tPvRmT1_T2_T3_mmT4_T5_P12ihipStream_tbEUlRKiE_EESM_SQ_SR_mSS_SV_bEUlT_E_NS1_11comp_targetILNS1_3genE5ELNS1_11target_archE942ELNS1_3gpuE9ELNS1_3repE0EEENS1_30default_config_static_selectorELNS0_4arch9wavefront6targetE0EEEvSP_
	.p2align	8
	.type	_ZN7rocprim17ROCPRIM_400000_NS6detail17trampoline_kernelINS0_14default_configENS1_29binary_search_config_selectorIibEEZNS1_14transform_implILb0ES3_S5_N6thrust23THRUST_200600_302600_NS6detail15normal_iteratorINS8_10device_ptrIiEEEENSA_INSB_IbEEEEZNS1_13binary_searchIS3_S5_SD_SD_SF_NS1_16binary_search_opENS9_16wrapped_functionINS0_4lessIvEEbEEEE10hipError_tPvRmT1_T2_T3_mmT4_T5_P12ihipStream_tbEUlRKiE_EESM_SQ_SR_mSS_SV_bEUlT_E_NS1_11comp_targetILNS1_3genE5ELNS1_11target_archE942ELNS1_3gpuE9ELNS1_3repE0EEENS1_30default_config_static_selectorELNS0_4arch9wavefront6targetE0EEEvSP_,@function
_ZN7rocprim17ROCPRIM_400000_NS6detail17trampoline_kernelINS0_14default_configENS1_29binary_search_config_selectorIibEEZNS1_14transform_implILb0ES3_S5_N6thrust23THRUST_200600_302600_NS6detail15normal_iteratorINS8_10device_ptrIiEEEENSA_INSB_IbEEEEZNS1_13binary_searchIS3_S5_SD_SD_SF_NS1_16binary_search_opENS9_16wrapped_functionINS0_4lessIvEEbEEEE10hipError_tPvRmT1_T2_T3_mmT4_T5_P12ihipStream_tbEUlRKiE_EESM_SQ_SR_mSS_SV_bEUlT_E_NS1_11comp_targetILNS1_3genE5ELNS1_11target_archE942ELNS1_3gpuE9ELNS1_3repE0EEENS1_30default_config_static_selectorELNS0_4arch9wavefront6targetE0EEEvSP_: ; @_ZN7rocprim17ROCPRIM_400000_NS6detail17trampoline_kernelINS0_14default_configENS1_29binary_search_config_selectorIibEEZNS1_14transform_implILb0ES3_S5_N6thrust23THRUST_200600_302600_NS6detail15normal_iteratorINS8_10device_ptrIiEEEENSA_INSB_IbEEEEZNS1_13binary_searchIS3_S5_SD_SD_SF_NS1_16binary_search_opENS9_16wrapped_functionINS0_4lessIvEEbEEEE10hipError_tPvRmT1_T2_T3_mmT4_T5_P12ihipStream_tbEUlRKiE_EESM_SQ_SR_mSS_SV_bEUlT_E_NS1_11comp_targetILNS1_3genE5ELNS1_11target_archE942ELNS1_3gpuE9ELNS1_3repE0EEENS1_30default_config_static_selectorELNS0_4arch9wavefront6targetE0EEEvSP_
; %bb.0:
	.section	.rodata,"a",@progbits
	.p2align	6, 0x0
	.amdhsa_kernel _ZN7rocprim17ROCPRIM_400000_NS6detail17trampoline_kernelINS0_14default_configENS1_29binary_search_config_selectorIibEEZNS1_14transform_implILb0ES3_S5_N6thrust23THRUST_200600_302600_NS6detail15normal_iteratorINS8_10device_ptrIiEEEENSA_INSB_IbEEEEZNS1_13binary_searchIS3_S5_SD_SD_SF_NS1_16binary_search_opENS9_16wrapped_functionINS0_4lessIvEEbEEEE10hipError_tPvRmT1_T2_T3_mmT4_T5_P12ihipStream_tbEUlRKiE_EESM_SQ_SR_mSS_SV_bEUlT_E_NS1_11comp_targetILNS1_3genE5ELNS1_11target_archE942ELNS1_3gpuE9ELNS1_3repE0EEENS1_30default_config_static_selectorELNS0_4arch9wavefront6targetE0EEEvSP_
		.amdhsa_group_segment_fixed_size 0
		.amdhsa_private_segment_fixed_size 0
		.amdhsa_kernarg_size 56
		.amdhsa_user_sgpr_count 6
		.amdhsa_user_sgpr_private_segment_buffer 1
		.amdhsa_user_sgpr_dispatch_ptr 0
		.amdhsa_user_sgpr_queue_ptr 0
		.amdhsa_user_sgpr_kernarg_segment_ptr 1
		.amdhsa_user_sgpr_dispatch_id 0
		.amdhsa_user_sgpr_flat_scratch_init 0
		.amdhsa_user_sgpr_private_segment_size 0
		.amdhsa_wavefront_size32 1
		.amdhsa_uses_dynamic_stack 0
		.amdhsa_system_sgpr_private_segment_wavefront_offset 0
		.amdhsa_system_sgpr_workgroup_id_x 1
		.amdhsa_system_sgpr_workgroup_id_y 0
		.amdhsa_system_sgpr_workgroup_id_z 0
		.amdhsa_system_sgpr_workgroup_info 0
		.amdhsa_system_vgpr_workitem_id 0
		.amdhsa_next_free_vgpr 1
		.amdhsa_next_free_sgpr 1
		.amdhsa_reserve_vcc 0
		.amdhsa_reserve_flat_scratch 0
		.amdhsa_float_round_mode_32 0
		.amdhsa_float_round_mode_16_64 0
		.amdhsa_float_denorm_mode_32 3
		.amdhsa_float_denorm_mode_16_64 3
		.amdhsa_dx10_clamp 1
		.amdhsa_ieee_mode 1
		.amdhsa_fp16_overflow 0
		.amdhsa_workgroup_processor_mode 1
		.amdhsa_memory_ordered 1
		.amdhsa_forward_progress 1
		.amdhsa_shared_vgpr_count 0
		.amdhsa_exception_fp_ieee_invalid_op 0
		.amdhsa_exception_fp_denorm_src 0
		.amdhsa_exception_fp_ieee_div_zero 0
		.amdhsa_exception_fp_ieee_overflow 0
		.amdhsa_exception_fp_ieee_underflow 0
		.amdhsa_exception_fp_ieee_inexact 0
		.amdhsa_exception_int_div_zero 0
	.end_amdhsa_kernel
	.section	.text._ZN7rocprim17ROCPRIM_400000_NS6detail17trampoline_kernelINS0_14default_configENS1_29binary_search_config_selectorIibEEZNS1_14transform_implILb0ES3_S5_N6thrust23THRUST_200600_302600_NS6detail15normal_iteratorINS8_10device_ptrIiEEEENSA_INSB_IbEEEEZNS1_13binary_searchIS3_S5_SD_SD_SF_NS1_16binary_search_opENS9_16wrapped_functionINS0_4lessIvEEbEEEE10hipError_tPvRmT1_T2_T3_mmT4_T5_P12ihipStream_tbEUlRKiE_EESM_SQ_SR_mSS_SV_bEUlT_E_NS1_11comp_targetILNS1_3genE5ELNS1_11target_archE942ELNS1_3gpuE9ELNS1_3repE0EEENS1_30default_config_static_selectorELNS0_4arch9wavefront6targetE0EEEvSP_,"axG",@progbits,_ZN7rocprim17ROCPRIM_400000_NS6detail17trampoline_kernelINS0_14default_configENS1_29binary_search_config_selectorIibEEZNS1_14transform_implILb0ES3_S5_N6thrust23THRUST_200600_302600_NS6detail15normal_iteratorINS8_10device_ptrIiEEEENSA_INSB_IbEEEEZNS1_13binary_searchIS3_S5_SD_SD_SF_NS1_16binary_search_opENS9_16wrapped_functionINS0_4lessIvEEbEEEE10hipError_tPvRmT1_T2_T3_mmT4_T5_P12ihipStream_tbEUlRKiE_EESM_SQ_SR_mSS_SV_bEUlT_E_NS1_11comp_targetILNS1_3genE5ELNS1_11target_archE942ELNS1_3gpuE9ELNS1_3repE0EEENS1_30default_config_static_selectorELNS0_4arch9wavefront6targetE0EEEvSP_,comdat
.Lfunc_end735:
	.size	_ZN7rocprim17ROCPRIM_400000_NS6detail17trampoline_kernelINS0_14default_configENS1_29binary_search_config_selectorIibEEZNS1_14transform_implILb0ES3_S5_N6thrust23THRUST_200600_302600_NS6detail15normal_iteratorINS8_10device_ptrIiEEEENSA_INSB_IbEEEEZNS1_13binary_searchIS3_S5_SD_SD_SF_NS1_16binary_search_opENS9_16wrapped_functionINS0_4lessIvEEbEEEE10hipError_tPvRmT1_T2_T3_mmT4_T5_P12ihipStream_tbEUlRKiE_EESM_SQ_SR_mSS_SV_bEUlT_E_NS1_11comp_targetILNS1_3genE5ELNS1_11target_archE942ELNS1_3gpuE9ELNS1_3repE0EEENS1_30default_config_static_selectorELNS0_4arch9wavefront6targetE0EEEvSP_, .Lfunc_end735-_ZN7rocprim17ROCPRIM_400000_NS6detail17trampoline_kernelINS0_14default_configENS1_29binary_search_config_selectorIibEEZNS1_14transform_implILb0ES3_S5_N6thrust23THRUST_200600_302600_NS6detail15normal_iteratorINS8_10device_ptrIiEEEENSA_INSB_IbEEEEZNS1_13binary_searchIS3_S5_SD_SD_SF_NS1_16binary_search_opENS9_16wrapped_functionINS0_4lessIvEEbEEEE10hipError_tPvRmT1_T2_T3_mmT4_T5_P12ihipStream_tbEUlRKiE_EESM_SQ_SR_mSS_SV_bEUlT_E_NS1_11comp_targetILNS1_3genE5ELNS1_11target_archE942ELNS1_3gpuE9ELNS1_3repE0EEENS1_30default_config_static_selectorELNS0_4arch9wavefront6targetE0EEEvSP_
                                        ; -- End function
	.set _ZN7rocprim17ROCPRIM_400000_NS6detail17trampoline_kernelINS0_14default_configENS1_29binary_search_config_selectorIibEEZNS1_14transform_implILb0ES3_S5_N6thrust23THRUST_200600_302600_NS6detail15normal_iteratorINS8_10device_ptrIiEEEENSA_INSB_IbEEEEZNS1_13binary_searchIS3_S5_SD_SD_SF_NS1_16binary_search_opENS9_16wrapped_functionINS0_4lessIvEEbEEEE10hipError_tPvRmT1_T2_T3_mmT4_T5_P12ihipStream_tbEUlRKiE_EESM_SQ_SR_mSS_SV_bEUlT_E_NS1_11comp_targetILNS1_3genE5ELNS1_11target_archE942ELNS1_3gpuE9ELNS1_3repE0EEENS1_30default_config_static_selectorELNS0_4arch9wavefront6targetE0EEEvSP_.num_vgpr, 0
	.set _ZN7rocprim17ROCPRIM_400000_NS6detail17trampoline_kernelINS0_14default_configENS1_29binary_search_config_selectorIibEEZNS1_14transform_implILb0ES3_S5_N6thrust23THRUST_200600_302600_NS6detail15normal_iteratorINS8_10device_ptrIiEEEENSA_INSB_IbEEEEZNS1_13binary_searchIS3_S5_SD_SD_SF_NS1_16binary_search_opENS9_16wrapped_functionINS0_4lessIvEEbEEEE10hipError_tPvRmT1_T2_T3_mmT4_T5_P12ihipStream_tbEUlRKiE_EESM_SQ_SR_mSS_SV_bEUlT_E_NS1_11comp_targetILNS1_3genE5ELNS1_11target_archE942ELNS1_3gpuE9ELNS1_3repE0EEENS1_30default_config_static_selectorELNS0_4arch9wavefront6targetE0EEEvSP_.num_agpr, 0
	.set _ZN7rocprim17ROCPRIM_400000_NS6detail17trampoline_kernelINS0_14default_configENS1_29binary_search_config_selectorIibEEZNS1_14transform_implILb0ES3_S5_N6thrust23THRUST_200600_302600_NS6detail15normal_iteratorINS8_10device_ptrIiEEEENSA_INSB_IbEEEEZNS1_13binary_searchIS3_S5_SD_SD_SF_NS1_16binary_search_opENS9_16wrapped_functionINS0_4lessIvEEbEEEE10hipError_tPvRmT1_T2_T3_mmT4_T5_P12ihipStream_tbEUlRKiE_EESM_SQ_SR_mSS_SV_bEUlT_E_NS1_11comp_targetILNS1_3genE5ELNS1_11target_archE942ELNS1_3gpuE9ELNS1_3repE0EEENS1_30default_config_static_selectorELNS0_4arch9wavefront6targetE0EEEvSP_.numbered_sgpr, 0
	.set _ZN7rocprim17ROCPRIM_400000_NS6detail17trampoline_kernelINS0_14default_configENS1_29binary_search_config_selectorIibEEZNS1_14transform_implILb0ES3_S5_N6thrust23THRUST_200600_302600_NS6detail15normal_iteratorINS8_10device_ptrIiEEEENSA_INSB_IbEEEEZNS1_13binary_searchIS3_S5_SD_SD_SF_NS1_16binary_search_opENS9_16wrapped_functionINS0_4lessIvEEbEEEE10hipError_tPvRmT1_T2_T3_mmT4_T5_P12ihipStream_tbEUlRKiE_EESM_SQ_SR_mSS_SV_bEUlT_E_NS1_11comp_targetILNS1_3genE5ELNS1_11target_archE942ELNS1_3gpuE9ELNS1_3repE0EEENS1_30default_config_static_selectorELNS0_4arch9wavefront6targetE0EEEvSP_.num_named_barrier, 0
	.set _ZN7rocprim17ROCPRIM_400000_NS6detail17trampoline_kernelINS0_14default_configENS1_29binary_search_config_selectorIibEEZNS1_14transform_implILb0ES3_S5_N6thrust23THRUST_200600_302600_NS6detail15normal_iteratorINS8_10device_ptrIiEEEENSA_INSB_IbEEEEZNS1_13binary_searchIS3_S5_SD_SD_SF_NS1_16binary_search_opENS9_16wrapped_functionINS0_4lessIvEEbEEEE10hipError_tPvRmT1_T2_T3_mmT4_T5_P12ihipStream_tbEUlRKiE_EESM_SQ_SR_mSS_SV_bEUlT_E_NS1_11comp_targetILNS1_3genE5ELNS1_11target_archE942ELNS1_3gpuE9ELNS1_3repE0EEENS1_30default_config_static_selectorELNS0_4arch9wavefront6targetE0EEEvSP_.private_seg_size, 0
	.set _ZN7rocprim17ROCPRIM_400000_NS6detail17trampoline_kernelINS0_14default_configENS1_29binary_search_config_selectorIibEEZNS1_14transform_implILb0ES3_S5_N6thrust23THRUST_200600_302600_NS6detail15normal_iteratorINS8_10device_ptrIiEEEENSA_INSB_IbEEEEZNS1_13binary_searchIS3_S5_SD_SD_SF_NS1_16binary_search_opENS9_16wrapped_functionINS0_4lessIvEEbEEEE10hipError_tPvRmT1_T2_T3_mmT4_T5_P12ihipStream_tbEUlRKiE_EESM_SQ_SR_mSS_SV_bEUlT_E_NS1_11comp_targetILNS1_3genE5ELNS1_11target_archE942ELNS1_3gpuE9ELNS1_3repE0EEENS1_30default_config_static_selectorELNS0_4arch9wavefront6targetE0EEEvSP_.uses_vcc, 0
	.set _ZN7rocprim17ROCPRIM_400000_NS6detail17trampoline_kernelINS0_14default_configENS1_29binary_search_config_selectorIibEEZNS1_14transform_implILb0ES3_S5_N6thrust23THRUST_200600_302600_NS6detail15normal_iteratorINS8_10device_ptrIiEEEENSA_INSB_IbEEEEZNS1_13binary_searchIS3_S5_SD_SD_SF_NS1_16binary_search_opENS9_16wrapped_functionINS0_4lessIvEEbEEEE10hipError_tPvRmT1_T2_T3_mmT4_T5_P12ihipStream_tbEUlRKiE_EESM_SQ_SR_mSS_SV_bEUlT_E_NS1_11comp_targetILNS1_3genE5ELNS1_11target_archE942ELNS1_3gpuE9ELNS1_3repE0EEENS1_30default_config_static_selectorELNS0_4arch9wavefront6targetE0EEEvSP_.uses_flat_scratch, 0
	.set _ZN7rocprim17ROCPRIM_400000_NS6detail17trampoline_kernelINS0_14default_configENS1_29binary_search_config_selectorIibEEZNS1_14transform_implILb0ES3_S5_N6thrust23THRUST_200600_302600_NS6detail15normal_iteratorINS8_10device_ptrIiEEEENSA_INSB_IbEEEEZNS1_13binary_searchIS3_S5_SD_SD_SF_NS1_16binary_search_opENS9_16wrapped_functionINS0_4lessIvEEbEEEE10hipError_tPvRmT1_T2_T3_mmT4_T5_P12ihipStream_tbEUlRKiE_EESM_SQ_SR_mSS_SV_bEUlT_E_NS1_11comp_targetILNS1_3genE5ELNS1_11target_archE942ELNS1_3gpuE9ELNS1_3repE0EEENS1_30default_config_static_selectorELNS0_4arch9wavefront6targetE0EEEvSP_.has_dyn_sized_stack, 0
	.set _ZN7rocprim17ROCPRIM_400000_NS6detail17trampoline_kernelINS0_14default_configENS1_29binary_search_config_selectorIibEEZNS1_14transform_implILb0ES3_S5_N6thrust23THRUST_200600_302600_NS6detail15normal_iteratorINS8_10device_ptrIiEEEENSA_INSB_IbEEEEZNS1_13binary_searchIS3_S5_SD_SD_SF_NS1_16binary_search_opENS9_16wrapped_functionINS0_4lessIvEEbEEEE10hipError_tPvRmT1_T2_T3_mmT4_T5_P12ihipStream_tbEUlRKiE_EESM_SQ_SR_mSS_SV_bEUlT_E_NS1_11comp_targetILNS1_3genE5ELNS1_11target_archE942ELNS1_3gpuE9ELNS1_3repE0EEENS1_30default_config_static_selectorELNS0_4arch9wavefront6targetE0EEEvSP_.has_recursion, 0
	.set _ZN7rocprim17ROCPRIM_400000_NS6detail17trampoline_kernelINS0_14default_configENS1_29binary_search_config_selectorIibEEZNS1_14transform_implILb0ES3_S5_N6thrust23THRUST_200600_302600_NS6detail15normal_iteratorINS8_10device_ptrIiEEEENSA_INSB_IbEEEEZNS1_13binary_searchIS3_S5_SD_SD_SF_NS1_16binary_search_opENS9_16wrapped_functionINS0_4lessIvEEbEEEE10hipError_tPvRmT1_T2_T3_mmT4_T5_P12ihipStream_tbEUlRKiE_EESM_SQ_SR_mSS_SV_bEUlT_E_NS1_11comp_targetILNS1_3genE5ELNS1_11target_archE942ELNS1_3gpuE9ELNS1_3repE0EEENS1_30default_config_static_selectorELNS0_4arch9wavefront6targetE0EEEvSP_.has_indirect_call, 0
	.section	.AMDGPU.csdata,"",@progbits
; Kernel info:
; codeLenInByte = 0
; TotalNumSgprs: 0
; NumVgprs: 0
; ScratchSize: 0
; MemoryBound: 0
; FloatMode: 240
; IeeeMode: 1
; LDSByteSize: 0 bytes/workgroup (compile time only)
; SGPRBlocks: 0
; VGPRBlocks: 0
; NumSGPRsForWavesPerEU: 1
; NumVGPRsForWavesPerEU: 1
; Occupancy: 16
; WaveLimiterHint : 0
; COMPUTE_PGM_RSRC2:SCRATCH_EN: 0
; COMPUTE_PGM_RSRC2:USER_SGPR: 6
; COMPUTE_PGM_RSRC2:TRAP_HANDLER: 0
; COMPUTE_PGM_RSRC2:TGID_X_EN: 1
; COMPUTE_PGM_RSRC2:TGID_Y_EN: 0
; COMPUTE_PGM_RSRC2:TGID_Z_EN: 0
; COMPUTE_PGM_RSRC2:TIDIG_COMP_CNT: 0
	.section	.text._ZN7rocprim17ROCPRIM_400000_NS6detail17trampoline_kernelINS0_14default_configENS1_29binary_search_config_selectorIibEEZNS1_14transform_implILb0ES3_S5_N6thrust23THRUST_200600_302600_NS6detail15normal_iteratorINS8_10device_ptrIiEEEENSA_INSB_IbEEEEZNS1_13binary_searchIS3_S5_SD_SD_SF_NS1_16binary_search_opENS9_16wrapped_functionINS0_4lessIvEEbEEEE10hipError_tPvRmT1_T2_T3_mmT4_T5_P12ihipStream_tbEUlRKiE_EESM_SQ_SR_mSS_SV_bEUlT_E_NS1_11comp_targetILNS1_3genE4ELNS1_11target_archE910ELNS1_3gpuE8ELNS1_3repE0EEENS1_30default_config_static_selectorELNS0_4arch9wavefront6targetE0EEEvSP_,"axG",@progbits,_ZN7rocprim17ROCPRIM_400000_NS6detail17trampoline_kernelINS0_14default_configENS1_29binary_search_config_selectorIibEEZNS1_14transform_implILb0ES3_S5_N6thrust23THRUST_200600_302600_NS6detail15normal_iteratorINS8_10device_ptrIiEEEENSA_INSB_IbEEEEZNS1_13binary_searchIS3_S5_SD_SD_SF_NS1_16binary_search_opENS9_16wrapped_functionINS0_4lessIvEEbEEEE10hipError_tPvRmT1_T2_T3_mmT4_T5_P12ihipStream_tbEUlRKiE_EESM_SQ_SR_mSS_SV_bEUlT_E_NS1_11comp_targetILNS1_3genE4ELNS1_11target_archE910ELNS1_3gpuE8ELNS1_3repE0EEENS1_30default_config_static_selectorELNS0_4arch9wavefront6targetE0EEEvSP_,comdat
	.protected	_ZN7rocprim17ROCPRIM_400000_NS6detail17trampoline_kernelINS0_14default_configENS1_29binary_search_config_selectorIibEEZNS1_14transform_implILb0ES3_S5_N6thrust23THRUST_200600_302600_NS6detail15normal_iteratorINS8_10device_ptrIiEEEENSA_INSB_IbEEEEZNS1_13binary_searchIS3_S5_SD_SD_SF_NS1_16binary_search_opENS9_16wrapped_functionINS0_4lessIvEEbEEEE10hipError_tPvRmT1_T2_T3_mmT4_T5_P12ihipStream_tbEUlRKiE_EESM_SQ_SR_mSS_SV_bEUlT_E_NS1_11comp_targetILNS1_3genE4ELNS1_11target_archE910ELNS1_3gpuE8ELNS1_3repE0EEENS1_30default_config_static_selectorELNS0_4arch9wavefront6targetE0EEEvSP_ ; -- Begin function _ZN7rocprim17ROCPRIM_400000_NS6detail17trampoline_kernelINS0_14default_configENS1_29binary_search_config_selectorIibEEZNS1_14transform_implILb0ES3_S5_N6thrust23THRUST_200600_302600_NS6detail15normal_iteratorINS8_10device_ptrIiEEEENSA_INSB_IbEEEEZNS1_13binary_searchIS3_S5_SD_SD_SF_NS1_16binary_search_opENS9_16wrapped_functionINS0_4lessIvEEbEEEE10hipError_tPvRmT1_T2_T3_mmT4_T5_P12ihipStream_tbEUlRKiE_EESM_SQ_SR_mSS_SV_bEUlT_E_NS1_11comp_targetILNS1_3genE4ELNS1_11target_archE910ELNS1_3gpuE8ELNS1_3repE0EEENS1_30default_config_static_selectorELNS0_4arch9wavefront6targetE0EEEvSP_
	.globl	_ZN7rocprim17ROCPRIM_400000_NS6detail17trampoline_kernelINS0_14default_configENS1_29binary_search_config_selectorIibEEZNS1_14transform_implILb0ES3_S5_N6thrust23THRUST_200600_302600_NS6detail15normal_iteratorINS8_10device_ptrIiEEEENSA_INSB_IbEEEEZNS1_13binary_searchIS3_S5_SD_SD_SF_NS1_16binary_search_opENS9_16wrapped_functionINS0_4lessIvEEbEEEE10hipError_tPvRmT1_T2_T3_mmT4_T5_P12ihipStream_tbEUlRKiE_EESM_SQ_SR_mSS_SV_bEUlT_E_NS1_11comp_targetILNS1_3genE4ELNS1_11target_archE910ELNS1_3gpuE8ELNS1_3repE0EEENS1_30default_config_static_selectorELNS0_4arch9wavefront6targetE0EEEvSP_
	.p2align	8
	.type	_ZN7rocprim17ROCPRIM_400000_NS6detail17trampoline_kernelINS0_14default_configENS1_29binary_search_config_selectorIibEEZNS1_14transform_implILb0ES3_S5_N6thrust23THRUST_200600_302600_NS6detail15normal_iteratorINS8_10device_ptrIiEEEENSA_INSB_IbEEEEZNS1_13binary_searchIS3_S5_SD_SD_SF_NS1_16binary_search_opENS9_16wrapped_functionINS0_4lessIvEEbEEEE10hipError_tPvRmT1_T2_T3_mmT4_T5_P12ihipStream_tbEUlRKiE_EESM_SQ_SR_mSS_SV_bEUlT_E_NS1_11comp_targetILNS1_3genE4ELNS1_11target_archE910ELNS1_3gpuE8ELNS1_3repE0EEENS1_30default_config_static_selectorELNS0_4arch9wavefront6targetE0EEEvSP_,@function
_ZN7rocprim17ROCPRIM_400000_NS6detail17trampoline_kernelINS0_14default_configENS1_29binary_search_config_selectorIibEEZNS1_14transform_implILb0ES3_S5_N6thrust23THRUST_200600_302600_NS6detail15normal_iteratorINS8_10device_ptrIiEEEENSA_INSB_IbEEEEZNS1_13binary_searchIS3_S5_SD_SD_SF_NS1_16binary_search_opENS9_16wrapped_functionINS0_4lessIvEEbEEEE10hipError_tPvRmT1_T2_T3_mmT4_T5_P12ihipStream_tbEUlRKiE_EESM_SQ_SR_mSS_SV_bEUlT_E_NS1_11comp_targetILNS1_3genE4ELNS1_11target_archE910ELNS1_3gpuE8ELNS1_3repE0EEENS1_30default_config_static_selectorELNS0_4arch9wavefront6targetE0EEEvSP_: ; @_ZN7rocprim17ROCPRIM_400000_NS6detail17trampoline_kernelINS0_14default_configENS1_29binary_search_config_selectorIibEEZNS1_14transform_implILb0ES3_S5_N6thrust23THRUST_200600_302600_NS6detail15normal_iteratorINS8_10device_ptrIiEEEENSA_INSB_IbEEEEZNS1_13binary_searchIS3_S5_SD_SD_SF_NS1_16binary_search_opENS9_16wrapped_functionINS0_4lessIvEEbEEEE10hipError_tPvRmT1_T2_T3_mmT4_T5_P12ihipStream_tbEUlRKiE_EESM_SQ_SR_mSS_SV_bEUlT_E_NS1_11comp_targetILNS1_3genE4ELNS1_11target_archE910ELNS1_3gpuE8ELNS1_3repE0EEENS1_30default_config_static_selectorELNS0_4arch9wavefront6targetE0EEEvSP_
; %bb.0:
	.section	.rodata,"a",@progbits
	.p2align	6, 0x0
	.amdhsa_kernel _ZN7rocprim17ROCPRIM_400000_NS6detail17trampoline_kernelINS0_14default_configENS1_29binary_search_config_selectorIibEEZNS1_14transform_implILb0ES3_S5_N6thrust23THRUST_200600_302600_NS6detail15normal_iteratorINS8_10device_ptrIiEEEENSA_INSB_IbEEEEZNS1_13binary_searchIS3_S5_SD_SD_SF_NS1_16binary_search_opENS9_16wrapped_functionINS0_4lessIvEEbEEEE10hipError_tPvRmT1_T2_T3_mmT4_T5_P12ihipStream_tbEUlRKiE_EESM_SQ_SR_mSS_SV_bEUlT_E_NS1_11comp_targetILNS1_3genE4ELNS1_11target_archE910ELNS1_3gpuE8ELNS1_3repE0EEENS1_30default_config_static_selectorELNS0_4arch9wavefront6targetE0EEEvSP_
		.amdhsa_group_segment_fixed_size 0
		.amdhsa_private_segment_fixed_size 0
		.amdhsa_kernarg_size 56
		.amdhsa_user_sgpr_count 6
		.amdhsa_user_sgpr_private_segment_buffer 1
		.amdhsa_user_sgpr_dispatch_ptr 0
		.amdhsa_user_sgpr_queue_ptr 0
		.amdhsa_user_sgpr_kernarg_segment_ptr 1
		.amdhsa_user_sgpr_dispatch_id 0
		.amdhsa_user_sgpr_flat_scratch_init 0
		.amdhsa_user_sgpr_private_segment_size 0
		.amdhsa_wavefront_size32 1
		.amdhsa_uses_dynamic_stack 0
		.amdhsa_system_sgpr_private_segment_wavefront_offset 0
		.amdhsa_system_sgpr_workgroup_id_x 1
		.amdhsa_system_sgpr_workgroup_id_y 0
		.amdhsa_system_sgpr_workgroup_id_z 0
		.amdhsa_system_sgpr_workgroup_info 0
		.amdhsa_system_vgpr_workitem_id 0
		.amdhsa_next_free_vgpr 1
		.amdhsa_next_free_sgpr 1
		.amdhsa_reserve_vcc 0
		.amdhsa_reserve_flat_scratch 0
		.amdhsa_float_round_mode_32 0
		.amdhsa_float_round_mode_16_64 0
		.amdhsa_float_denorm_mode_32 3
		.amdhsa_float_denorm_mode_16_64 3
		.amdhsa_dx10_clamp 1
		.amdhsa_ieee_mode 1
		.amdhsa_fp16_overflow 0
		.amdhsa_workgroup_processor_mode 1
		.amdhsa_memory_ordered 1
		.amdhsa_forward_progress 1
		.amdhsa_shared_vgpr_count 0
		.amdhsa_exception_fp_ieee_invalid_op 0
		.amdhsa_exception_fp_denorm_src 0
		.amdhsa_exception_fp_ieee_div_zero 0
		.amdhsa_exception_fp_ieee_overflow 0
		.amdhsa_exception_fp_ieee_underflow 0
		.amdhsa_exception_fp_ieee_inexact 0
		.amdhsa_exception_int_div_zero 0
	.end_amdhsa_kernel
	.section	.text._ZN7rocprim17ROCPRIM_400000_NS6detail17trampoline_kernelINS0_14default_configENS1_29binary_search_config_selectorIibEEZNS1_14transform_implILb0ES3_S5_N6thrust23THRUST_200600_302600_NS6detail15normal_iteratorINS8_10device_ptrIiEEEENSA_INSB_IbEEEEZNS1_13binary_searchIS3_S5_SD_SD_SF_NS1_16binary_search_opENS9_16wrapped_functionINS0_4lessIvEEbEEEE10hipError_tPvRmT1_T2_T3_mmT4_T5_P12ihipStream_tbEUlRKiE_EESM_SQ_SR_mSS_SV_bEUlT_E_NS1_11comp_targetILNS1_3genE4ELNS1_11target_archE910ELNS1_3gpuE8ELNS1_3repE0EEENS1_30default_config_static_selectorELNS0_4arch9wavefront6targetE0EEEvSP_,"axG",@progbits,_ZN7rocprim17ROCPRIM_400000_NS6detail17trampoline_kernelINS0_14default_configENS1_29binary_search_config_selectorIibEEZNS1_14transform_implILb0ES3_S5_N6thrust23THRUST_200600_302600_NS6detail15normal_iteratorINS8_10device_ptrIiEEEENSA_INSB_IbEEEEZNS1_13binary_searchIS3_S5_SD_SD_SF_NS1_16binary_search_opENS9_16wrapped_functionINS0_4lessIvEEbEEEE10hipError_tPvRmT1_T2_T3_mmT4_T5_P12ihipStream_tbEUlRKiE_EESM_SQ_SR_mSS_SV_bEUlT_E_NS1_11comp_targetILNS1_3genE4ELNS1_11target_archE910ELNS1_3gpuE8ELNS1_3repE0EEENS1_30default_config_static_selectorELNS0_4arch9wavefront6targetE0EEEvSP_,comdat
.Lfunc_end736:
	.size	_ZN7rocprim17ROCPRIM_400000_NS6detail17trampoline_kernelINS0_14default_configENS1_29binary_search_config_selectorIibEEZNS1_14transform_implILb0ES3_S5_N6thrust23THRUST_200600_302600_NS6detail15normal_iteratorINS8_10device_ptrIiEEEENSA_INSB_IbEEEEZNS1_13binary_searchIS3_S5_SD_SD_SF_NS1_16binary_search_opENS9_16wrapped_functionINS0_4lessIvEEbEEEE10hipError_tPvRmT1_T2_T3_mmT4_T5_P12ihipStream_tbEUlRKiE_EESM_SQ_SR_mSS_SV_bEUlT_E_NS1_11comp_targetILNS1_3genE4ELNS1_11target_archE910ELNS1_3gpuE8ELNS1_3repE0EEENS1_30default_config_static_selectorELNS0_4arch9wavefront6targetE0EEEvSP_, .Lfunc_end736-_ZN7rocprim17ROCPRIM_400000_NS6detail17trampoline_kernelINS0_14default_configENS1_29binary_search_config_selectorIibEEZNS1_14transform_implILb0ES3_S5_N6thrust23THRUST_200600_302600_NS6detail15normal_iteratorINS8_10device_ptrIiEEEENSA_INSB_IbEEEEZNS1_13binary_searchIS3_S5_SD_SD_SF_NS1_16binary_search_opENS9_16wrapped_functionINS0_4lessIvEEbEEEE10hipError_tPvRmT1_T2_T3_mmT4_T5_P12ihipStream_tbEUlRKiE_EESM_SQ_SR_mSS_SV_bEUlT_E_NS1_11comp_targetILNS1_3genE4ELNS1_11target_archE910ELNS1_3gpuE8ELNS1_3repE0EEENS1_30default_config_static_selectorELNS0_4arch9wavefront6targetE0EEEvSP_
                                        ; -- End function
	.set _ZN7rocprim17ROCPRIM_400000_NS6detail17trampoline_kernelINS0_14default_configENS1_29binary_search_config_selectorIibEEZNS1_14transform_implILb0ES3_S5_N6thrust23THRUST_200600_302600_NS6detail15normal_iteratorINS8_10device_ptrIiEEEENSA_INSB_IbEEEEZNS1_13binary_searchIS3_S5_SD_SD_SF_NS1_16binary_search_opENS9_16wrapped_functionINS0_4lessIvEEbEEEE10hipError_tPvRmT1_T2_T3_mmT4_T5_P12ihipStream_tbEUlRKiE_EESM_SQ_SR_mSS_SV_bEUlT_E_NS1_11comp_targetILNS1_3genE4ELNS1_11target_archE910ELNS1_3gpuE8ELNS1_3repE0EEENS1_30default_config_static_selectorELNS0_4arch9wavefront6targetE0EEEvSP_.num_vgpr, 0
	.set _ZN7rocprim17ROCPRIM_400000_NS6detail17trampoline_kernelINS0_14default_configENS1_29binary_search_config_selectorIibEEZNS1_14transform_implILb0ES3_S5_N6thrust23THRUST_200600_302600_NS6detail15normal_iteratorINS8_10device_ptrIiEEEENSA_INSB_IbEEEEZNS1_13binary_searchIS3_S5_SD_SD_SF_NS1_16binary_search_opENS9_16wrapped_functionINS0_4lessIvEEbEEEE10hipError_tPvRmT1_T2_T3_mmT4_T5_P12ihipStream_tbEUlRKiE_EESM_SQ_SR_mSS_SV_bEUlT_E_NS1_11comp_targetILNS1_3genE4ELNS1_11target_archE910ELNS1_3gpuE8ELNS1_3repE0EEENS1_30default_config_static_selectorELNS0_4arch9wavefront6targetE0EEEvSP_.num_agpr, 0
	.set _ZN7rocprim17ROCPRIM_400000_NS6detail17trampoline_kernelINS0_14default_configENS1_29binary_search_config_selectorIibEEZNS1_14transform_implILb0ES3_S5_N6thrust23THRUST_200600_302600_NS6detail15normal_iteratorINS8_10device_ptrIiEEEENSA_INSB_IbEEEEZNS1_13binary_searchIS3_S5_SD_SD_SF_NS1_16binary_search_opENS9_16wrapped_functionINS0_4lessIvEEbEEEE10hipError_tPvRmT1_T2_T3_mmT4_T5_P12ihipStream_tbEUlRKiE_EESM_SQ_SR_mSS_SV_bEUlT_E_NS1_11comp_targetILNS1_3genE4ELNS1_11target_archE910ELNS1_3gpuE8ELNS1_3repE0EEENS1_30default_config_static_selectorELNS0_4arch9wavefront6targetE0EEEvSP_.numbered_sgpr, 0
	.set _ZN7rocprim17ROCPRIM_400000_NS6detail17trampoline_kernelINS0_14default_configENS1_29binary_search_config_selectorIibEEZNS1_14transform_implILb0ES3_S5_N6thrust23THRUST_200600_302600_NS6detail15normal_iteratorINS8_10device_ptrIiEEEENSA_INSB_IbEEEEZNS1_13binary_searchIS3_S5_SD_SD_SF_NS1_16binary_search_opENS9_16wrapped_functionINS0_4lessIvEEbEEEE10hipError_tPvRmT1_T2_T3_mmT4_T5_P12ihipStream_tbEUlRKiE_EESM_SQ_SR_mSS_SV_bEUlT_E_NS1_11comp_targetILNS1_3genE4ELNS1_11target_archE910ELNS1_3gpuE8ELNS1_3repE0EEENS1_30default_config_static_selectorELNS0_4arch9wavefront6targetE0EEEvSP_.num_named_barrier, 0
	.set _ZN7rocprim17ROCPRIM_400000_NS6detail17trampoline_kernelINS0_14default_configENS1_29binary_search_config_selectorIibEEZNS1_14transform_implILb0ES3_S5_N6thrust23THRUST_200600_302600_NS6detail15normal_iteratorINS8_10device_ptrIiEEEENSA_INSB_IbEEEEZNS1_13binary_searchIS3_S5_SD_SD_SF_NS1_16binary_search_opENS9_16wrapped_functionINS0_4lessIvEEbEEEE10hipError_tPvRmT1_T2_T3_mmT4_T5_P12ihipStream_tbEUlRKiE_EESM_SQ_SR_mSS_SV_bEUlT_E_NS1_11comp_targetILNS1_3genE4ELNS1_11target_archE910ELNS1_3gpuE8ELNS1_3repE0EEENS1_30default_config_static_selectorELNS0_4arch9wavefront6targetE0EEEvSP_.private_seg_size, 0
	.set _ZN7rocprim17ROCPRIM_400000_NS6detail17trampoline_kernelINS0_14default_configENS1_29binary_search_config_selectorIibEEZNS1_14transform_implILb0ES3_S5_N6thrust23THRUST_200600_302600_NS6detail15normal_iteratorINS8_10device_ptrIiEEEENSA_INSB_IbEEEEZNS1_13binary_searchIS3_S5_SD_SD_SF_NS1_16binary_search_opENS9_16wrapped_functionINS0_4lessIvEEbEEEE10hipError_tPvRmT1_T2_T3_mmT4_T5_P12ihipStream_tbEUlRKiE_EESM_SQ_SR_mSS_SV_bEUlT_E_NS1_11comp_targetILNS1_3genE4ELNS1_11target_archE910ELNS1_3gpuE8ELNS1_3repE0EEENS1_30default_config_static_selectorELNS0_4arch9wavefront6targetE0EEEvSP_.uses_vcc, 0
	.set _ZN7rocprim17ROCPRIM_400000_NS6detail17trampoline_kernelINS0_14default_configENS1_29binary_search_config_selectorIibEEZNS1_14transform_implILb0ES3_S5_N6thrust23THRUST_200600_302600_NS6detail15normal_iteratorINS8_10device_ptrIiEEEENSA_INSB_IbEEEEZNS1_13binary_searchIS3_S5_SD_SD_SF_NS1_16binary_search_opENS9_16wrapped_functionINS0_4lessIvEEbEEEE10hipError_tPvRmT1_T2_T3_mmT4_T5_P12ihipStream_tbEUlRKiE_EESM_SQ_SR_mSS_SV_bEUlT_E_NS1_11comp_targetILNS1_3genE4ELNS1_11target_archE910ELNS1_3gpuE8ELNS1_3repE0EEENS1_30default_config_static_selectorELNS0_4arch9wavefront6targetE0EEEvSP_.uses_flat_scratch, 0
	.set _ZN7rocprim17ROCPRIM_400000_NS6detail17trampoline_kernelINS0_14default_configENS1_29binary_search_config_selectorIibEEZNS1_14transform_implILb0ES3_S5_N6thrust23THRUST_200600_302600_NS6detail15normal_iteratorINS8_10device_ptrIiEEEENSA_INSB_IbEEEEZNS1_13binary_searchIS3_S5_SD_SD_SF_NS1_16binary_search_opENS9_16wrapped_functionINS0_4lessIvEEbEEEE10hipError_tPvRmT1_T2_T3_mmT4_T5_P12ihipStream_tbEUlRKiE_EESM_SQ_SR_mSS_SV_bEUlT_E_NS1_11comp_targetILNS1_3genE4ELNS1_11target_archE910ELNS1_3gpuE8ELNS1_3repE0EEENS1_30default_config_static_selectorELNS0_4arch9wavefront6targetE0EEEvSP_.has_dyn_sized_stack, 0
	.set _ZN7rocprim17ROCPRIM_400000_NS6detail17trampoline_kernelINS0_14default_configENS1_29binary_search_config_selectorIibEEZNS1_14transform_implILb0ES3_S5_N6thrust23THRUST_200600_302600_NS6detail15normal_iteratorINS8_10device_ptrIiEEEENSA_INSB_IbEEEEZNS1_13binary_searchIS3_S5_SD_SD_SF_NS1_16binary_search_opENS9_16wrapped_functionINS0_4lessIvEEbEEEE10hipError_tPvRmT1_T2_T3_mmT4_T5_P12ihipStream_tbEUlRKiE_EESM_SQ_SR_mSS_SV_bEUlT_E_NS1_11comp_targetILNS1_3genE4ELNS1_11target_archE910ELNS1_3gpuE8ELNS1_3repE0EEENS1_30default_config_static_selectorELNS0_4arch9wavefront6targetE0EEEvSP_.has_recursion, 0
	.set _ZN7rocprim17ROCPRIM_400000_NS6detail17trampoline_kernelINS0_14default_configENS1_29binary_search_config_selectorIibEEZNS1_14transform_implILb0ES3_S5_N6thrust23THRUST_200600_302600_NS6detail15normal_iteratorINS8_10device_ptrIiEEEENSA_INSB_IbEEEEZNS1_13binary_searchIS3_S5_SD_SD_SF_NS1_16binary_search_opENS9_16wrapped_functionINS0_4lessIvEEbEEEE10hipError_tPvRmT1_T2_T3_mmT4_T5_P12ihipStream_tbEUlRKiE_EESM_SQ_SR_mSS_SV_bEUlT_E_NS1_11comp_targetILNS1_3genE4ELNS1_11target_archE910ELNS1_3gpuE8ELNS1_3repE0EEENS1_30default_config_static_selectorELNS0_4arch9wavefront6targetE0EEEvSP_.has_indirect_call, 0
	.section	.AMDGPU.csdata,"",@progbits
; Kernel info:
; codeLenInByte = 0
; TotalNumSgprs: 0
; NumVgprs: 0
; ScratchSize: 0
; MemoryBound: 0
; FloatMode: 240
; IeeeMode: 1
; LDSByteSize: 0 bytes/workgroup (compile time only)
; SGPRBlocks: 0
; VGPRBlocks: 0
; NumSGPRsForWavesPerEU: 1
; NumVGPRsForWavesPerEU: 1
; Occupancy: 16
; WaveLimiterHint : 0
; COMPUTE_PGM_RSRC2:SCRATCH_EN: 0
; COMPUTE_PGM_RSRC2:USER_SGPR: 6
; COMPUTE_PGM_RSRC2:TRAP_HANDLER: 0
; COMPUTE_PGM_RSRC2:TGID_X_EN: 1
; COMPUTE_PGM_RSRC2:TGID_Y_EN: 0
; COMPUTE_PGM_RSRC2:TGID_Z_EN: 0
; COMPUTE_PGM_RSRC2:TIDIG_COMP_CNT: 0
	.section	.text._ZN7rocprim17ROCPRIM_400000_NS6detail17trampoline_kernelINS0_14default_configENS1_29binary_search_config_selectorIibEEZNS1_14transform_implILb0ES3_S5_N6thrust23THRUST_200600_302600_NS6detail15normal_iteratorINS8_10device_ptrIiEEEENSA_INSB_IbEEEEZNS1_13binary_searchIS3_S5_SD_SD_SF_NS1_16binary_search_opENS9_16wrapped_functionINS0_4lessIvEEbEEEE10hipError_tPvRmT1_T2_T3_mmT4_T5_P12ihipStream_tbEUlRKiE_EESM_SQ_SR_mSS_SV_bEUlT_E_NS1_11comp_targetILNS1_3genE3ELNS1_11target_archE908ELNS1_3gpuE7ELNS1_3repE0EEENS1_30default_config_static_selectorELNS0_4arch9wavefront6targetE0EEEvSP_,"axG",@progbits,_ZN7rocprim17ROCPRIM_400000_NS6detail17trampoline_kernelINS0_14default_configENS1_29binary_search_config_selectorIibEEZNS1_14transform_implILb0ES3_S5_N6thrust23THRUST_200600_302600_NS6detail15normal_iteratorINS8_10device_ptrIiEEEENSA_INSB_IbEEEEZNS1_13binary_searchIS3_S5_SD_SD_SF_NS1_16binary_search_opENS9_16wrapped_functionINS0_4lessIvEEbEEEE10hipError_tPvRmT1_T2_T3_mmT4_T5_P12ihipStream_tbEUlRKiE_EESM_SQ_SR_mSS_SV_bEUlT_E_NS1_11comp_targetILNS1_3genE3ELNS1_11target_archE908ELNS1_3gpuE7ELNS1_3repE0EEENS1_30default_config_static_selectorELNS0_4arch9wavefront6targetE0EEEvSP_,comdat
	.protected	_ZN7rocprim17ROCPRIM_400000_NS6detail17trampoline_kernelINS0_14default_configENS1_29binary_search_config_selectorIibEEZNS1_14transform_implILb0ES3_S5_N6thrust23THRUST_200600_302600_NS6detail15normal_iteratorINS8_10device_ptrIiEEEENSA_INSB_IbEEEEZNS1_13binary_searchIS3_S5_SD_SD_SF_NS1_16binary_search_opENS9_16wrapped_functionINS0_4lessIvEEbEEEE10hipError_tPvRmT1_T2_T3_mmT4_T5_P12ihipStream_tbEUlRKiE_EESM_SQ_SR_mSS_SV_bEUlT_E_NS1_11comp_targetILNS1_3genE3ELNS1_11target_archE908ELNS1_3gpuE7ELNS1_3repE0EEENS1_30default_config_static_selectorELNS0_4arch9wavefront6targetE0EEEvSP_ ; -- Begin function _ZN7rocprim17ROCPRIM_400000_NS6detail17trampoline_kernelINS0_14default_configENS1_29binary_search_config_selectorIibEEZNS1_14transform_implILb0ES3_S5_N6thrust23THRUST_200600_302600_NS6detail15normal_iteratorINS8_10device_ptrIiEEEENSA_INSB_IbEEEEZNS1_13binary_searchIS3_S5_SD_SD_SF_NS1_16binary_search_opENS9_16wrapped_functionINS0_4lessIvEEbEEEE10hipError_tPvRmT1_T2_T3_mmT4_T5_P12ihipStream_tbEUlRKiE_EESM_SQ_SR_mSS_SV_bEUlT_E_NS1_11comp_targetILNS1_3genE3ELNS1_11target_archE908ELNS1_3gpuE7ELNS1_3repE0EEENS1_30default_config_static_selectorELNS0_4arch9wavefront6targetE0EEEvSP_
	.globl	_ZN7rocprim17ROCPRIM_400000_NS6detail17trampoline_kernelINS0_14default_configENS1_29binary_search_config_selectorIibEEZNS1_14transform_implILb0ES3_S5_N6thrust23THRUST_200600_302600_NS6detail15normal_iteratorINS8_10device_ptrIiEEEENSA_INSB_IbEEEEZNS1_13binary_searchIS3_S5_SD_SD_SF_NS1_16binary_search_opENS9_16wrapped_functionINS0_4lessIvEEbEEEE10hipError_tPvRmT1_T2_T3_mmT4_T5_P12ihipStream_tbEUlRKiE_EESM_SQ_SR_mSS_SV_bEUlT_E_NS1_11comp_targetILNS1_3genE3ELNS1_11target_archE908ELNS1_3gpuE7ELNS1_3repE0EEENS1_30default_config_static_selectorELNS0_4arch9wavefront6targetE0EEEvSP_
	.p2align	8
	.type	_ZN7rocprim17ROCPRIM_400000_NS6detail17trampoline_kernelINS0_14default_configENS1_29binary_search_config_selectorIibEEZNS1_14transform_implILb0ES3_S5_N6thrust23THRUST_200600_302600_NS6detail15normal_iteratorINS8_10device_ptrIiEEEENSA_INSB_IbEEEEZNS1_13binary_searchIS3_S5_SD_SD_SF_NS1_16binary_search_opENS9_16wrapped_functionINS0_4lessIvEEbEEEE10hipError_tPvRmT1_T2_T3_mmT4_T5_P12ihipStream_tbEUlRKiE_EESM_SQ_SR_mSS_SV_bEUlT_E_NS1_11comp_targetILNS1_3genE3ELNS1_11target_archE908ELNS1_3gpuE7ELNS1_3repE0EEENS1_30default_config_static_selectorELNS0_4arch9wavefront6targetE0EEEvSP_,@function
_ZN7rocprim17ROCPRIM_400000_NS6detail17trampoline_kernelINS0_14default_configENS1_29binary_search_config_selectorIibEEZNS1_14transform_implILb0ES3_S5_N6thrust23THRUST_200600_302600_NS6detail15normal_iteratorINS8_10device_ptrIiEEEENSA_INSB_IbEEEEZNS1_13binary_searchIS3_S5_SD_SD_SF_NS1_16binary_search_opENS9_16wrapped_functionINS0_4lessIvEEbEEEE10hipError_tPvRmT1_T2_T3_mmT4_T5_P12ihipStream_tbEUlRKiE_EESM_SQ_SR_mSS_SV_bEUlT_E_NS1_11comp_targetILNS1_3genE3ELNS1_11target_archE908ELNS1_3gpuE7ELNS1_3repE0EEENS1_30default_config_static_selectorELNS0_4arch9wavefront6targetE0EEEvSP_: ; @_ZN7rocprim17ROCPRIM_400000_NS6detail17trampoline_kernelINS0_14default_configENS1_29binary_search_config_selectorIibEEZNS1_14transform_implILb0ES3_S5_N6thrust23THRUST_200600_302600_NS6detail15normal_iteratorINS8_10device_ptrIiEEEENSA_INSB_IbEEEEZNS1_13binary_searchIS3_S5_SD_SD_SF_NS1_16binary_search_opENS9_16wrapped_functionINS0_4lessIvEEbEEEE10hipError_tPvRmT1_T2_T3_mmT4_T5_P12ihipStream_tbEUlRKiE_EESM_SQ_SR_mSS_SV_bEUlT_E_NS1_11comp_targetILNS1_3genE3ELNS1_11target_archE908ELNS1_3gpuE7ELNS1_3repE0EEENS1_30default_config_static_selectorELNS0_4arch9wavefront6targetE0EEEvSP_
; %bb.0:
	.section	.rodata,"a",@progbits
	.p2align	6, 0x0
	.amdhsa_kernel _ZN7rocprim17ROCPRIM_400000_NS6detail17trampoline_kernelINS0_14default_configENS1_29binary_search_config_selectorIibEEZNS1_14transform_implILb0ES3_S5_N6thrust23THRUST_200600_302600_NS6detail15normal_iteratorINS8_10device_ptrIiEEEENSA_INSB_IbEEEEZNS1_13binary_searchIS3_S5_SD_SD_SF_NS1_16binary_search_opENS9_16wrapped_functionINS0_4lessIvEEbEEEE10hipError_tPvRmT1_T2_T3_mmT4_T5_P12ihipStream_tbEUlRKiE_EESM_SQ_SR_mSS_SV_bEUlT_E_NS1_11comp_targetILNS1_3genE3ELNS1_11target_archE908ELNS1_3gpuE7ELNS1_3repE0EEENS1_30default_config_static_selectorELNS0_4arch9wavefront6targetE0EEEvSP_
		.amdhsa_group_segment_fixed_size 0
		.amdhsa_private_segment_fixed_size 0
		.amdhsa_kernarg_size 56
		.amdhsa_user_sgpr_count 6
		.amdhsa_user_sgpr_private_segment_buffer 1
		.amdhsa_user_sgpr_dispatch_ptr 0
		.amdhsa_user_sgpr_queue_ptr 0
		.amdhsa_user_sgpr_kernarg_segment_ptr 1
		.amdhsa_user_sgpr_dispatch_id 0
		.amdhsa_user_sgpr_flat_scratch_init 0
		.amdhsa_user_sgpr_private_segment_size 0
		.amdhsa_wavefront_size32 1
		.amdhsa_uses_dynamic_stack 0
		.amdhsa_system_sgpr_private_segment_wavefront_offset 0
		.amdhsa_system_sgpr_workgroup_id_x 1
		.amdhsa_system_sgpr_workgroup_id_y 0
		.amdhsa_system_sgpr_workgroup_id_z 0
		.amdhsa_system_sgpr_workgroup_info 0
		.amdhsa_system_vgpr_workitem_id 0
		.amdhsa_next_free_vgpr 1
		.amdhsa_next_free_sgpr 1
		.amdhsa_reserve_vcc 0
		.amdhsa_reserve_flat_scratch 0
		.amdhsa_float_round_mode_32 0
		.amdhsa_float_round_mode_16_64 0
		.amdhsa_float_denorm_mode_32 3
		.amdhsa_float_denorm_mode_16_64 3
		.amdhsa_dx10_clamp 1
		.amdhsa_ieee_mode 1
		.amdhsa_fp16_overflow 0
		.amdhsa_workgroup_processor_mode 1
		.amdhsa_memory_ordered 1
		.amdhsa_forward_progress 1
		.amdhsa_shared_vgpr_count 0
		.amdhsa_exception_fp_ieee_invalid_op 0
		.amdhsa_exception_fp_denorm_src 0
		.amdhsa_exception_fp_ieee_div_zero 0
		.amdhsa_exception_fp_ieee_overflow 0
		.amdhsa_exception_fp_ieee_underflow 0
		.amdhsa_exception_fp_ieee_inexact 0
		.amdhsa_exception_int_div_zero 0
	.end_amdhsa_kernel
	.section	.text._ZN7rocprim17ROCPRIM_400000_NS6detail17trampoline_kernelINS0_14default_configENS1_29binary_search_config_selectorIibEEZNS1_14transform_implILb0ES3_S5_N6thrust23THRUST_200600_302600_NS6detail15normal_iteratorINS8_10device_ptrIiEEEENSA_INSB_IbEEEEZNS1_13binary_searchIS3_S5_SD_SD_SF_NS1_16binary_search_opENS9_16wrapped_functionINS0_4lessIvEEbEEEE10hipError_tPvRmT1_T2_T3_mmT4_T5_P12ihipStream_tbEUlRKiE_EESM_SQ_SR_mSS_SV_bEUlT_E_NS1_11comp_targetILNS1_3genE3ELNS1_11target_archE908ELNS1_3gpuE7ELNS1_3repE0EEENS1_30default_config_static_selectorELNS0_4arch9wavefront6targetE0EEEvSP_,"axG",@progbits,_ZN7rocprim17ROCPRIM_400000_NS6detail17trampoline_kernelINS0_14default_configENS1_29binary_search_config_selectorIibEEZNS1_14transform_implILb0ES3_S5_N6thrust23THRUST_200600_302600_NS6detail15normal_iteratorINS8_10device_ptrIiEEEENSA_INSB_IbEEEEZNS1_13binary_searchIS3_S5_SD_SD_SF_NS1_16binary_search_opENS9_16wrapped_functionINS0_4lessIvEEbEEEE10hipError_tPvRmT1_T2_T3_mmT4_T5_P12ihipStream_tbEUlRKiE_EESM_SQ_SR_mSS_SV_bEUlT_E_NS1_11comp_targetILNS1_3genE3ELNS1_11target_archE908ELNS1_3gpuE7ELNS1_3repE0EEENS1_30default_config_static_selectorELNS0_4arch9wavefront6targetE0EEEvSP_,comdat
.Lfunc_end737:
	.size	_ZN7rocprim17ROCPRIM_400000_NS6detail17trampoline_kernelINS0_14default_configENS1_29binary_search_config_selectorIibEEZNS1_14transform_implILb0ES3_S5_N6thrust23THRUST_200600_302600_NS6detail15normal_iteratorINS8_10device_ptrIiEEEENSA_INSB_IbEEEEZNS1_13binary_searchIS3_S5_SD_SD_SF_NS1_16binary_search_opENS9_16wrapped_functionINS0_4lessIvEEbEEEE10hipError_tPvRmT1_T2_T3_mmT4_T5_P12ihipStream_tbEUlRKiE_EESM_SQ_SR_mSS_SV_bEUlT_E_NS1_11comp_targetILNS1_3genE3ELNS1_11target_archE908ELNS1_3gpuE7ELNS1_3repE0EEENS1_30default_config_static_selectorELNS0_4arch9wavefront6targetE0EEEvSP_, .Lfunc_end737-_ZN7rocprim17ROCPRIM_400000_NS6detail17trampoline_kernelINS0_14default_configENS1_29binary_search_config_selectorIibEEZNS1_14transform_implILb0ES3_S5_N6thrust23THRUST_200600_302600_NS6detail15normal_iteratorINS8_10device_ptrIiEEEENSA_INSB_IbEEEEZNS1_13binary_searchIS3_S5_SD_SD_SF_NS1_16binary_search_opENS9_16wrapped_functionINS0_4lessIvEEbEEEE10hipError_tPvRmT1_T2_T3_mmT4_T5_P12ihipStream_tbEUlRKiE_EESM_SQ_SR_mSS_SV_bEUlT_E_NS1_11comp_targetILNS1_3genE3ELNS1_11target_archE908ELNS1_3gpuE7ELNS1_3repE0EEENS1_30default_config_static_selectorELNS0_4arch9wavefront6targetE0EEEvSP_
                                        ; -- End function
	.set _ZN7rocprim17ROCPRIM_400000_NS6detail17trampoline_kernelINS0_14default_configENS1_29binary_search_config_selectorIibEEZNS1_14transform_implILb0ES3_S5_N6thrust23THRUST_200600_302600_NS6detail15normal_iteratorINS8_10device_ptrIiEEEENSA_INSB_IbEEEEZNS1_13binary_searchIS3_S5_SD_SD_SF_NS1_16binary_search_opENS9_16wrapped_functionINS0_4lessIvEEbEEEE10hipError_tPvRmT1_T2_T3_mmT4_T5_P12ihipStream_tbEUlRKiE_EESM_SQ_SR_mSS_SV_bEUlT_E_NS1_11comp_targetILNS1_3genE3ELNS1_11target_archE908ELNS1_3gpuE7ELNS1_3repE0EEENS1_30default_config_static_selectorELNS0_4arch9wavefront6targetE0EEEvSP_.num_vgpr, 0
	.set _ZN7rocprim17ROCPRIM_400000_NS6detail17trampoline_kernelINS0_14default_configENS1_29binary_search_config_selectorIibEEZNS1_14transform_implILb0ES3_S5_N6thrust23THRUST_200600_302600_NS6detail15normal_iteratorINS8_10device_ptrIiEEEENSA_INSB_IbEEEEZNS1_13binary_searchIS3_S5_SD_SD_SF_NS1_16binary_search_opENS9_16wrapped_functionINS0_4lessIvEEbEEEE10hipError_tPvRmT1_T2_T3_mmT4_T5_P12ihipStream_tbEUlRKiE_EESM_SQ_SR_mSS_SV_bEUlT_E_NS1_11comp_targetILNS1_3genE3ELNS1_11target_archE908ELNS1_3gpuE7ELNS1_3repE0EEENS1_30default_config_static_selectorELNS0_4arch9wavefront6targetE0EEEvSP_.num_agpr, 0
	.set _ZN7rocprim17ROCPRIM_400000_NS6detail17trampoline_kernelINS0_14default_configENS1_29binary_search_config_selectorIibEEZNS1_14transform_implILb0ES3_S5_N6thrust23THRUST_200600_302600_NS6detail15normal_iteratorINS8_10device_ptrIiEEEENSA_INSB_IbEEEEZNS1_13binary_searchIS3_S5_SD_SD_SF_NS1_16binary_search_opENS9_16wrapped_functionINS0_4lessIvEEbEEEE10hipError_tPvRmT1_T2_T3_mmT4_T5_P12ihipStream_tbEUlRKiE_EESM_SQ_SR_mSS_SV_bEUlT_E_NS1_11comp_targetILNS1_3genE3ELNS1_11target_archE908ELNS1_3gpuE7ELNS1_3repE0EEENS1_30default_config_static_selectorELNS0_4arch9wavefront6targetE0EEEvSP_.numbered_sgpr, 0
	.set _ZN7rocprim17ROCPRIM_400000_NS6detail17trampoline_kernelINS0_14default_configENS1_29binary_search_config_selectorIibEEZNS1_14transform_implILb0ES3_S5_N6thrust23THRUST_200600_302600_NS6detail15normal_iteratorINS8_10device_ptrIiEEEENSA_INSB_IbEEEEZNS1_13binary_searchIS3_S5_SD_SD_SF_NS1_16binary_search_opENS9_16wrapped_functionINS0_4lessIvEEbEEEE10hipError_tPvRmT1_T2_T3_mmT4_T5_P12ihipStream_tbEUlRKiE_EESM_SQ_SR_mSS_SV_bEUlT_E_NS1_11comp_targetILNS1_3genE3ELNS1_11target_archE908ELNS1_3gpuE7ELNS1_3repE0EEENS1_30default_config_static_selectorELNS0_4arch9wavefront6targetE0EEEvSP_.num_named_barrier, 0
	.set _ZN7rocprim17ROCPRIM_400000_NS6detail17trampoline_kernelINS0_14default_configENS1_29binary_search_config_selectorIibEEZNS1_14transform_implILb0ES3_S5_N6thrust23THRUST_200600_302600_NS6detail15normal_iteratorINS8_10device_ptrIiEEEENSA_INSB_IbEEEEZNS1_13binary_searchIS3_S5_SD_SD_SF_NS1_16binary_search_opENS9_16wrapped_functionINS0_4lessIvEEbEEEE10hipError_tPvRmT1_T2_T3_mmT4_T5_P12ihipStream_tbEUlRKiE_EESM_SQ_SR_mSS_SV_bEUlT_E_NS1_11comp_targetILNS1_3genE3ELNS1_11target_archE908ELNS1_3gpuE7ELNS1_3repE0EEENS1_30default_config_static_selectorELNS0_4arch9wavefront6targetE0EEEvSP_.private_seg_size, 0
	.set _ZN7rocprim17ROCPRIM_400000_NS6detail17trampoline_kernelINS0_14default_configENS1_29binary_search_config_selectorIibEEZNS1_14transform_implILb0ES3_S5_N6thrust23THRUST_200600_302600_NS6detail15normal_iteratorINS8_10device_ptrIiEEEENSA_INSB_IbEEEEZNS1_13binary_searchIS3_S5_SD_SD_SF_NS1_16binary_search_opENS9_16wrapped_functionINS0_4lessIvEEbEEEE10hipError_tPvRmT1_T2_T3_mmT4_T5_P12ihipStream_tbEUlRKiE_EESM_SQ_SR_mSS_SV_bEUlT_E_NS1_11comp_targetILNS1_3genE3ELNS1_11target_archE908ELNS1_3gpuE7ELNS1_3repE0EEENS1_30default_config_static_selectorELNS0_4arch9wavefront6targetE0EEEvSP_.uses_vcc, 0
	.set _ZN7rocprim17ROCPRIM_400000_NS6detail17trampoline_kernelINS0_14default_configENS1_29binary_search_config_selectorIibEEZNS1_14transform_implILb0ES3_S5_N6thrust23THRUST_200600_302600_NS6detail15normal_iteratorINS8_10device_ptrIiEEEENSA_INSB_IbEEEEZNS1_13binary_searchIS3_S5_SD_SD_SF_NS1_16binary_search_opENS9_16wrapped_functionINS0_4lessIvEEbEEEE10hipError_tPvRmT1_T2_T3_mmT4_T5_P12ihipStream_tbEUlRKiE_EESM_SQ_SR_mSS_SV_bEUlT_E_NS1_11comp_targetILNS1_3genE3ELNS1_11target_archE908ELNS1_3gpuE7ELNS1_3repE0EEENS1_30default_config_static_selectorELNS0_4arch9wavefront6targetE0EEEvSP_.uses_flat_scratch, 0
	.set _ZN7rocprim17ROCPRIM_400000_NS6detail17trampoline_kernelINS0_14default_configENS1_29binary_search_config_selectorIibEEZNS1_14transform_implILb0ES3_S5_N6thrust23THRUST_200600_302600_NS6detail15normal_iteratorINS8_10device_ptrIiEEEENSA_INSB_IbEEEEZNS1_13binary_searchIS3_S5_SD_SD_SF_NS1_16binary_search_opENS9_16wrapped_functionINS0_4lessIvEEbEEEE10hipError_tPvRmT1_T2_T3_mmT4_T5_P12ihipStream_tbEUlRKiE_EESM_SQ_SR_mSS_SV_bEUlT_E_NS1_11comp_targetILNS1_3genE3ELNS1_11target_archE908ELNS1_3gpuE7ELNS1_3repE0EEENS1_30default_config_static_selectorELNS0_4arch9wavefront6targetE0EEEvSP_.has_dyn_sized_stack, 0
	.set _ZN7rocprim17ROCPRIM_400000_NS6detail17trampoline_kernelINS0_14default_configENS1_29binary_search_config_selectorIibEEZNS1_14transform_implILb0ES3_S5_N6thrust23THRUST_200600_302600_NS6detail15normal_iteratorINS8_10device_ptrIiEEEENSA_INSB_IbEEEEZNS1_13binary_searchIS3_S5_SD_SD_SF_NS1_16binary_search_opENS9_16wrapped_functionINS0_4lessIvEEbEEEE10hipError_tPvRmT1_T2_T3_mmT4_T5_P12ihipStream_tbEUlRKiE_EESM_SQ_SR_mSS_SV_bEUlT_E_NS1_11comp_targetILNS1_3genE3ELNS1_11target_archE908ELNS1_3gpuE7ELNS1_3repE0EEENS1_30default_config_static_selectorELNS0_4arch9wavefront6targetE0EEEvSP_.has_recursion, 0
	.set _ZN7rocprim17ROCPRIM_400000_NS6detail17trampoline_kernelINS0_14default_configENS1_29binary_search_config_selectorIibEEZNS1_14transform_implILb0ES3_S5_N6thrust23THRUST_200600_302600_NS6detail15normal_iteratorINS8_10device_ptrIiEEEENSA_INSB_IbEEEEZNS1_13binary_searchIS3_S5_SD_SD_SF_NS1_16binary_search_opENS9_16wrapped_functionINS0_4lessIvEEbEEEE10hipError_tPvRmT1_T2_T3_mmT4_T5_P12ihipStream_tbEUlRKiE_EESM_SQ_SR_mSS_SV_bEUlT_E_NS1_11comp_targetILNS1_3genE3ELNS1_11target_archE908ELNS1_3gpuE7ELNS1_3repE0EEENS1_30default_config_static_selectorELNS0_4arch9wavefront6targetE0EEEvSP_.has_indirect_call, 0
	.section	.AMDGPU.csdata,"",@progbits
; Kernel info:
; codeLenInByte = 0
; TotalNumSgprs: 0
; NumVgprs: 0
; ScratchSize: 0
; MemoryBound: 0
; FloatMode: 240
; IeeeMode: 1
; LDSByteSize: 0 bytes/workgroup (compile time only)
; SGPRBlocks: 0
; VGPRBlocks: 0
; NumSGPRsForWavesPerEU: 1
; NumVGPRsForWavesPerEU: 1
; Occupancy: 16
; WaveLimiterHint : 0
; COMPUTE_PGM_RSRC2:SCRATCH_EN: 0
; COMPUTE_PGM_RSRC2:USER_SGPR: 6
; COMPUTE_PGM_RSRC2:TRAP_HANDLER: 0
; COMPUTE_PGM_RSRC2:TGID_X_EN: 1
; COMPUTE_PGM_RSRC2:TGID_Y_EN: 0
; COMPUTE_PGM_RSRC2:TGID_Z_EN: 0
; COMPUTE_PGM_RSRC2:TIDIG_COMP_CNT: 0
	.section	.text._ZN7rocprim17ROCPRIM_400000_NS6detail17trampoline_kernelINS0_14default_configENS1_29binary_search_config_selectorIibEEZNS1_14transform_implILb0ES3_S5_N6thrust23THRUST_200600_302600_NS6detail15normal_iteratorINS8_10device_ptrIiEEEENSA_INSB_IbEEEEZNS1_13binary_searchIS3_S5_SD_SD_SF_NS1_16binary_search_opENS9_16wrapped_functionINS0_4lessIvEEbEEEE10hipError_tPvRmT1_T2_T3_mmT4_T5_P12ihipStream_tbEUlRKiE_EESM_SQ_SR_mSS_SV_bEUlT_E_NS1_11comp_targetILNS1_3genE2ELNS1_11target_archE906ELNS1_3gpuE6ELNS1_3repE0EEENS1_30default_config_static_selectorELNS0_4arch9wavefront6targetE0EEEvSP_,"axG",@progbits,_ZN7rocprim17ROCPRIM_400000_NS6detail17trampoline_kernelINS0_14default_configENS1_29binary_search_config_selectorIibEEZNS1_14transform_implILb0ES3_S5_N6thrust23THRUST_200600_302600_NS6detail15normal_iteratorINS8_10device_ptrIiEEEENSA_INSB_IbEEEEZNS1_13binary_searchIS3_S5_SD_SD_SF_NS1_16binary_search_opENS9_16wrapped_functionINS0_4lessIvEEbEEEE10hipError_tPvRmT1_T2_T3_mmT4_T5_P12ihipStream_tbEUlRKiE_EESM_SQ_SR_mSS_SV_bEUlT_E_NS1_11comp_targetILNS1_3genE2ELNS1_11target_archE906ELNS1_3gpuE6ELNS1_3repE0EEENS1_30default_config_static_selectorELNS0_4arch9wavefront6targetE0EEEvSP_,comdat
	.protected	_ZN7rocprim17ROCPRIM_400000_NS6detail17trampoline_kernelINS0_14default_configENS1_29binary_search_config_selectorIibEEZNS1_14transform_implILb0ES3_S5_N6thrust23THRUST_200600_302600_NS6detail15normal_iteratorINS8_10device_ptrIiEEEENSA_INSB_IbEEEEZNS1_13binary_searchIS3_S5_SD_SD_SF_NS1_16binary_search_opENS9_16wrapped_functionINS0_4lessIvEEbEEEE10hipError_tPvRmT1_T2_T3_mmT4_T5_P12ihipStream_tbEUlRKiE_EESM_SQ_SR_mSS_SV_bEUlT_E_NS1_11comp_targetILNS1_3genE2ELNS1_11target_archE906ELNS1_3gpuE6ELNS1_3repE0EEENS1_30default_config_static_selectorELNS0_4arch9wavefront6targetE0EEEvSP_ ; -- Begin function _ZN7rocprim17ROCPRIM_400000_NS6detail17trampoline_kernelINS0_14default_configENS1_29binary_search_config_selectorIibEEZNS1_14transform_implILb0ES3_S5_N6thrust23THRUST_200600_302600_NS6detail15normal_iteratorINS8_10device_ptrIiEEEENSA_INSB_IbEEEEZNS1_13binary_searchIS3_S5_SD_SD_SF_NS1_16binary_search_opENS9_16wrapped_functionINS0_4lessIvEEbEEEE10hipError_tPvRmT1_T2_T3_mmT4_T5_P12ihipStream_tbEUlRKiE_EESM_SQ_SR_mSS_SV_bEUlT_E_NS1_11comp_targetILNS1_3genE2ELNS1_11target_archE906ELNS1_3gpuE6ELNS1_3repE0EEENS1_30default_config_static_selectorELNS0_4arch9wavefront6targetE0EEEvSP_
	.globl	_ZN7rocprim17ROCPRIM_400000_NS6detail17trampoline_kernelINS0_14default_configENS1_29binary_search_config_selectorIibEEZNS1_14transform_implILb0ES3_S5_N6thrust23THRUST_200600_302600_NS6detail15normal_iteratorINS8_10device_ptrIiEEEENSA_INSB_IbEEEEZNS1_13binary_searchIS3_S5_SD_SD_SF_NS1_16binary_search_opENS9_16wrapped_functionINS0_4lessIvEEbEEEE10hipError_tPvRmT1_T2_T3_mmT4_T5_P12ihipStream_tbEUlRKiE_EESM_SQ_SR_mSS_SV_bEUlT_E_NS1_11comp_targetILNS1_3genE2ELNS1_11target_archE906ELNS1_3gpuE6ELNS1_3repE0EEENS1_30default_config_static_selectorELNS0_4arch9wavefront6targetE0EEEvSP_
	.p2align	8
	.type	_ZN7rocprim17ROCPRIM_400000_NS6detail17trampoline_kernelINS0_14default_configENS1_29binary_search_config_selectorIibEEZNS1_14transform_implILb0ES3_S5_N6thrust23THRUST_200600_302600_NS6detail15normal_iteratorINS8_10device_ptrIiEEEENSA_INSB_IbEEEEZNS1_13binary_searchIS3_S5_SD_SD_SF_NS1_16binary_search_opENS9_16wrapped_functionINS0_4lessIvEEbEEEE10hipError_tPvRmT1_T2_T3_mmT4_T5_P12ihipStream_tbEUlRKiE_EESM_SQ_SR_mSS_SV_bEUlT_E_NS1_11comp_targetILNS1_3genE2ELNS1_11target_archE906ELNS1_3gpuE6ELNS1_3repE0EEENS1_30default_config_static_selectorELNS0_4arch9wavefront6targetE0EEEvSP_,@function
_ZN7rocprim17ROCPRIM_400000_NS6detail17trampoline_kernelINS0_14default_configENS1_29binary_search_config_selectorIibEEZNS1_14transform_implILb0ES3_S5_N6thrust23THRUST_200600_302600_NS6detail15normal_iteratorINS8_10device_ptrIiEEEENSA_INSB_IbEEEEZNS1_13binary_searchIS3_S5_SD_SD_SF_NS1_16binary_search_opENS9_16wrapped_functionINS0_4lessIvEEbEEEE10hipError_tPvRmT1_T2_T3_mmT4_T5_P12ihipStream_tbEUlRKiE_EESM_SQ_SR_mSS_SV_bEUlT_E_NS1_11comp_targetILNS1_3genE2ELNS1_11target_archE906ELNS1_3gpuE6ELNS1_3repE0EEENS1_30default_config_static_selectorELNS0_4arch9wavefront6targetE0EEEvSP_: ; @_ZN7rocprim17ROCPRIM_400000_NS6detail17trampoline_kernelINS0_14default_configENS1_29binary_search_config_selectorIibEEZNS1_14transform_implILb0ES3_S5_N6thrust23THRUST_200600_302600_NS6detail15normal_iteratorINS8_10device_ptrIiEEEENSA_INSB_IbEEEEZNS1_13binary_searchIS3_S5_SD_SD_SF_NS1_16binary_search_opENS9_16wrapped_functionINS0_4lessIvEEbEEEE10hipError_tPvRmT1_T2_T3_mmT4_T5_P12ihipStream_tbEUlRKiE_EESM_SQ_SR_mSS_SV_bEUlT_E_NS1_11comp_targetILNS1_3genE2ELNS1_11target_archE906ELNS1_3gpuE6ELNS1_3repE0EEENS1_30default_config_static_selectorELNS0_4arch9wavefront6targetE0EEEvSP_
; %bb.0:
	.section	.rodata,"a",@progbits
	.p2align	6, 0x0
	.amdhsa_kernel _ZN7rocprim17ROCPRIM_400000_NS6detail17trampoline_kernelINS0_14default_configENS1_29binary_search_config_selectorIibEEZNS1_14transform_implILb0ES3_S5_N6thrust23THRUST_200600_302600_NS6detail15normal_iteratorINS8_10device_ptrIiEEEENSA_INSB_IbEEEEZNS1_13binary_searchIS3_S5_SD_SD_SF_NS1_16binary_search_opENS9_16wrapped_functionINS0_4lessIvEEbEEEE10hipError_tPvRmT1_T2_T3_mmT4_T5_P12ihipStream_tbEUlRKiE_EESM_SQ_SR_mSS_SV_bEUlT_E_NS1_11comp_targetILNS1_3genE2ELNS1_11target_archE906ELNS1_3gpuE6ELNS1_3repE0EEENS1_30default_config_static_selectorELNS0_4arch9wavefront6targetE0EEEvSP_
		.amdhsa_group_segment_fixed_size 0
		.amdhsa_private_segment_fixed_size 0
		.amdhsa_kernarg_size 56
		.amdhsa_user_sgpr_count 6
		.amdhsa_user_sgpr_private_segment_buffer 1
		.amdhsa_user_sgpr_dispatch_ptr 0
		.amdhsa_user_sgpr_queue_ptr 0
		.amdhsa_user_sgpr_kernarg_segment_ptr 1
		.amdhsa_user_sgpr_dispatch_id 0
		.amdhsa_user_sgpr_flat_scratch_init 0
		.amdhsa_user_sgpr_private_segment_size 0
		.amdhsa_wavefront_size32 1
		.amdhsa_uses_dynamic_stack 0
		.amdhsa_system_sgpr_private_segment_wavefront_offset 0
		.amdhsa_system_sgpr_workgroup_id_x 1
		.amdhsa_system_sgpr_workgroup_id_y 0
		.amdhsa_system_sgpr_workgroup_id_z 0
		.amdhsa_system_sgpr_workgroup_info 0
		.amdhsa_system_vgpr_workitem_id 0
		.amdhsa_next_free_vgpr 1
		.amdhsa_next_free_sgpr 1
		.amdhsa_reserve_vcc 0
		.amdhsa_reserve_flat_scratch 0
		.amdhsa_float_round_mode_32 0
		.amdhsa_float_round_mode_16_64 0
		.amdhsa_float_denorm_mode_32 3
		.amdhsa_float_denorm_mode_16_64 3
		.amdhsa_dx10_clamp 1
		.amdhsa_ieee_mode 1
		.amdhsa_fp16_overflow 0
		.amdhsa_workgroup_processor_mode 1
		.amdhsa_memory_ordered 1
		.amdhsa_forward_progress 1
		.amdhsa_shared_vgpr_count 0
		.amdhsa_exception_fp_ieee_invalid_op 0
		.amdhsa_exception_fp_denorm_src 0
		.amdhsa_exception_fp_ieee_div_zero 0
		.amdhsa_exception_fp_ieee_overflow 0
		.amdhsa_exception_fp_ieee_underflow 0
		.amdhsa_exception_fp_ieee_inexact 0
		.amdhsa_exception_int_div_zero 0
	.end_amdhsa_kernel
	.section	.text._ZN7rocprim17ROCPRIM_400000_NS6detail17trampoline_kernelINS0_14default_configENS1_29binary_search_config_selectorIibEEZNS1_14transform_implILb0ES3_S5_N6thrust23THRUST_200600_302600_NS6detail15normal_iteratorINS8_10device_ptrIiEEEENSA_INSB_IbEEEEZNS1_13binary_searchIS3_S5_SD_SD_SF_NS1_16binary_search_opENS9_16wrapped_functionINS0_4lessIvEEbEEEE10hipError_tPvRmT1_T2_T3_mmT4_T5_P12ihipStream_tbEUlRKiE_EESM_SQ_SR_mSS_SV_bEUlT_E_NS1_11comp_targetILNS1_3genE2ELNS1_11target_archE906ELNS1_3gpuE6ELNS1_3repE0EEENS1_30default_config_static_selectorELNS0_4arch9wavefront6targetE0EEEvSP_,"axG",@progbits,_ZN7rocprim17ROCPRIM_400000_NS6detail17trampoline_kernelINS0_14default_configENS1_29binary_search_config_selectorIibEEZNS1_14transform_implILb0ES3_S5_N6thrust23THRUST_200600_302600_NS6detail15normal_iteratorINS8_10device_ptrIiEEEENSA_INSB_IbEEEEZNS1_13binary_searchIS3_S5_SD_SD_SF_NS1_16binary_search_opENS9_16wrapped_functionINS0_4lessIvEEbEEEE10hipError_tPvRmT1_T2_T3_mmT4_T5_P12ihipStream_tbEUlRKiE_EESM_SQ_SR_mSS_SV_bEUlT_E_NS1_11comp_targetILNS1_3genE2ELNS1_11target_archE906ELNS1_3gpuE6ELNS1_3repE0EEENS1_30default_config_static_selectorELNS0_4arch9wavefront6targetE0EEEvSP_,comdat
.Lfunc_end738:
	.size	_ZN7rocprim17ROCPRIM_400000_NS6detail17trampoline_kernelINS0_14default_configENS1_29binary_search_config_selectorIibEEZNS1_14transform_implILb0ES3_S5_N6thrust23THRUST_200600_302600_NS6detail15normal_iteratorINS8_10device_ptrIiEEEENSA_INSB_IbEEEEZNS1_13binary_searchIS3_S5_SD_SD_SF_NS1_16binary_search_opENS9_16wrapped_functionINS0_4lessIvEEbEEEE10hipError_tPvRmT1_T2_T3_mmT4_T5_P12ihipStream_tbEUlRKiE_EESM_SQ_SR_mSS_SV_bEUlT_E_NS1_11comp_targetILNS1_3genE2ELNS1_11target_archE906ELNS1_3gpuE6ELNS1_3repE0EEENS1_30default_config_static_selectorELNS0_4arch9wavefront6targetE0EEEvSP_, .Lfunc_end738-_ZN7rocprim17ROCPRIM_400000_NS6detail17trampoline_kernelINS0_14default_configENS1_29binary_search_config_selectorIibEEZNS1_14transform_implILb0ES3_S5_N6thrust23THRUST_200600_302600_NS6detail15normal_iteratorINS8_10device_ptrIiEEEENSA_INSB_IbEEEEZNS1_13binary_searchIS3_S5_SD_SD_SF_NS1_16binary_search_opENS9_16wrapped_functionINS0_4lessIvEEbEEEE10hipError_tPvRmT1_T2_T3_mmT4_T5_P12ihipStream_tbEUlRKiE_EESM_SQ_SR_mSS_SV_bEUlT_E_NS1_11comp_targetILNS1_3genE2ELNS1_11target_archE906ELNS1_3gpuE6ELNS1_3repE0EEENS1_30default_config_static_selectorELNS0_4arch9wavefront6targetE0EEEvSP_
                                        ; -- End function
	.set _ZN7rocprim17ROCPRIM_400000_NS6detail17trampoline_kernelINS0_14default_configENS1_29binary_search_config_selectorIibEEZNS1_14transform_implILb0ES3_S5_N6thrust23THRUST_200600_302600_NS6detail15normal_iteratorINS8_10device_ptrIiEEEENSA_INSB_IbEEEEZNS1_13binary_searchIS3_S5_SD_SD_SF_NS1_16binary_search_opENS9_16wrapped_functionINS0_4lessIvEEbEEEE10hipError_tPvRmT1_T2_T3_mmT4_T5_P12ihipStream_tbEUlRKiE_EESM_SQ_SR_mSS_SV_bEUlT_E_NS1_11comp_targetILNS1_3genE2ELNS1_11target_archE906ELNS1_3gpuE6ELNS1_3repE0EEENS1_30default_config_static_selectorELNS0_4arch9wavefront6targetE0EEEvSP_.num_vgpr, 0
	.set _ZN7rocprim17ROCPRIM_400000_NS6detail17trampoline_kernelINS0_14default_configENS1_29binary_search_config_selectorIibEEZNS1_14transform_implILb0ES3_S5_N6thrust23THRUST_200600_302600_NS6detail15normal_iteratorINS8_10device_ptrIiEEEENSA_INSB_IbEEEEZNS1_13binary_searchIS3_S5_SD_SD_SF_NS1_16binary_search_opENS9_16wrapped_functionINS0_4lessIvEEbEEEE10hipError_tPvRmT1_T2_T3_mmT4_T5_P12ihipStream_tbEUlRKiE_EESM_SQ_SR_mSS_SV_bEUlT_E_NS1_11comp_targetILNS1_3genE2ELNS1_11target_archE906ELNS1_3gpuE6ELNS1_3repE0EEENS1_30default_config_static_selectorELNS0_4arch9wavefront6targetE0EEEvSP_.num_agpr, 0
	.set _ZN7rocprim17ROCPRIM_400000_NS6detail17trampoline_kernelINS0_14default_configENS1_29binary_search_config_selectorIibEEZNS1_14transform_implILb0ES3_S5_N6thrust23THRUST_200600_302600_NS6detail15normal_iteratorINS8_10device_ptrIiEEEENSA_INSB_IbEEEEZNS1_13binary_searchIS3_S5_SD_SD_SF_NS1_16binary_search_opENS9_16wrapped_functionINS0_4lessIvEEbEEEE10hipError_tPvRmT1_T2_T3_mmT4_T5_P12ihipStream_tbEUlRKiE_EESM_SQ_SR_mSS_SV_bEUlT_E_NS1_11comp_targetILNS1_3genE2ELNS1_11target_archE906ELNS1_3gpuE6ELNS1_3repE0EEENS1_30default_config_static_selectorELNS0_4arch9wavefront6targetE0EEEvSP_.numbered_sgpr, 0
	.set _ZN7rocprim17ROCPRIM_400000_NS6detail17trampoline_kernelINS0_14default_configENS1_29binary_search_config_selectorIibEEZNS1_14transform_implILb0ES3_S5_N6thrust23THRUST_200600_302600_NS6detail15normal_iteratorINS8_10device_ptrIiEEEENSA_INSB_IbEEEEZNS1_13binary_searchIS3_S5_SD_SD_SF_NS1_16binary_search_opENS9_16wrapped_functionINS0_4lessIvEEbEEEE10hipError_tPvRmT1_T2_T3_mmT4_T5_P12ihipStream_tbEUlRKiE_EESM_SQ_SR_mSS_SV_bEUlT_E_NS1_11comp_targetILNS1_3genE2ELNS1_11target_archE906ELNS1_3gpuE6ELNS1_3repE0EEENS1_30default_config_static_selectorELNS0_4arch9wavefront6targetE0EEEvSP_.num_named_barrier, 0
	.set _ZN7rocprim17ROCPRIM_400000_NS6detail17trampoline_kernelINS0_14default_configENS1_29binary_search_config_selectorIibEEZNS1_14transform_implILb0ES3_S5_N6thrust23THRUST_200600_302600_NS6detail15normal_iteratorINS8_10device_ptrIiEEEENSA_INSB_IbEEEEZNS1_13binary_searchIS3_S5_SD_SD_SF_NS1_16binary_search_opENS9_16wrapped_functionINS0_4lessIvEEbEEEE10hipError_tPvRmT1_T2_T3_mmT4_T5_P12ihipStream_tbEUlRKiE_EESM_SQ_SR_mSS_SV_bEUlT_E_NS1_11comp_targetILNS1_3genE2ELNS1_11target_archE906ELNS1_3gpuE6ELNS1_3repE0EEENS1_30default_config_static_selectorELNS0_4arch9wavefront6targetE0EEEvSP_.private_seg_size, 0
	.set _ZN7rocprim17ROCPRIM_400000_NS6detail17trampoline_kernelINS0_14default_configENS1_29binary_search_config_selectorIibEEZNS1_14transform_implILb0ES3_S5_N6thrust23THRUST_200600_302600_NS6detail15normal_iteratorINS8_10device_ptrIiEEEENSA_INSB_IbEEEEZNS1_13binary_searchIS3_S5_SD_SD_SF_NS1_16binary_search_opENS9_16wrapped_functionINS0_4lessIvEEbEEEE10hipError_tPvRmT1_T2_T3_mmT4_T5_P12ihipStream_tbEUlRKiE_EESM_SQ_SR_mSS_SV_bEUlT_E_NS1_11comp_targetILNS1_3genE2ELNS1_11target_archE906ELNS1_3gpuE6ELNS1_3repE0EEENS1_30default_config_static_selectorELNS0_4arch9wavefront6targetE0EEEvSP_.uses_vcc, 0
	.set _ZN7rocprim17ROCPRIM_400000_NS6detail17trampoline_kernelINS0_14default_configENS1_29binary_search_config_selectorIibEEZNS1_14transform_implILb0ES3_S5_N6thrust23THRUST_200600_302600_NS6detail15normal_iteratorINS8_10device_ptrIiEEEENSA_INSB_IbEEEEZNS1_13binary_searchIS3_S5_SD_SD_SF_NS1_16binary_search_opENS9_16wrapped_functionINS0_4lessIvEEbEEEE10hipError_tPvRmT1_T2_T3_mmT4_T5_P12ihipStream_tbEUlRKiE_EESM_SQ_SR_mSS_SV_bEUlT_E_NS1_11comp_targetILNS1_3genE2ELNS1_11target_archE906ELNS1_3gpuE6ELNS1_3repE0EEENS1_30default_config_static_selectorELNS0_4arch9wavefront6targetE0EEEvSP_.uses_flat_scratch, 0
	.set _ZN7rocprim17ROCPRIM_400000_NS6detail17trampoline_kernelINS0_14default_configENS1_29binary_search_config_selectorIibEEZNS1_14transform_implILb0ES3_S5_N6thrust23THRUST_200600_302600_NS6detail15normal_iteratorINS8_10device_ptrIiEEEENSA_INSB_IbEEEEZNS1_13binary_searchIS3_S5_SD_SD_SF_NS1_16binary_search_opENS9_16wrapped_functionINS0_4lessIvEEbEEEE10hipError_tPvRmT1_T2_T3_mmT4_T5_P12ihipStream_tbEUlRKiE_EESM_SQ_SR_mSS_SV_bEUlT_E_NS1_11comp_targetILNS1_3genE2ELNS1_11target_archE906ELNS1_3gpuE6ELNS1_3repE0EEENS1_30default_config_static_selectorELNS0_4arch9wavefront6targetE0EEEvSP_.has_dyn_sized_stack, 0
	.set _ZN7rocprim17ROCPRIM_400000_NS6detail17trampoline_kernelINS0_14default_configENS1_29binary_search_config_selectorIibEEZNS1_14transform_implILb0ES3_S5_N6thrust23THRUST_200600_302600_NS6detail15normal_iteratorINS8_10device_ptrIiEEEENSA_INSB_IbEEEEZNS1_13binary_searchIS3_S5_SD_SD_SF_NS1_16binary_search_opENS9_16wrapped_functionINS0_4lessIvEEbEEEE10hipError_tPvRmT1_T2_T3_mmT4_T5_P12ihipStream_tbEUlRKiE_EESM_SQ_SR_mSS_SV_bEUlT_E_NS1_11comp_targetILNS1_3genE2ELNS1_11target_archE906ELNS1_3gpuE6ELNS1_3repE0EEENS1_30default_config_static_selectorELNS0_4arch9wavefront6targetE0EEEvSP_.has_recursion, 0
	.set _ZN7rocprim17ROCPRIM_400000_NS6detail17trampoline_kernelINS0_14default_configENS1_29binary_search_config_selectorIibEEZNS1_14transform_implILb0ES3_S5_N6thrust23THRUST_200600_302600_NS6detail15normal_iteratorINS8_10device_ptrIiEEEENSA_INSB_IbEEEEZNS1_13binary_searchIS3_S5_SD_SD_SF_NS1_16binary_search_opENS9_16wrapped_functionINS0_4lessIvEEbEEEE10hipError_tPvRmT1_T2_T3_mmT4_T5_P12ihipStream_tbEUlRKiE_EESM_SQ_SR_mSS_SV_bEUlT_E_NS1_11comp_targetILNS1_3genE2ELNS1_11target_archE906ELNS1_3gpuE6ELNS1_3repE0EEENS1_30default_config_static_selectorELNS0_4arch9wavefront6targetE0EEEvSP_.has_indirect_call, 0
	.section	.AMDGPU.csdata,"",@progbits
; Kernel info:
; codeLenInByte = 0
; TotalNumSgprs: 0
; NumVgprs: 0
; ScratchSize: 0
; MemoryBound: 0
; FloatMode: 240
; IeeeMode: 1
; LDSByteSize: 0 bytes/workgroup (compile time only)
; SGPRBlocks: 0
; VGPRBlocks: 0
; NumSGPRsForWavesPerEU: 1
; NumVGPRsForWavesPerEU: 1
; Occupancy: 16
; WaveLimiterHint : 0
; COMPUTE_PGM_RSRC2:SCRATCH_EN: 0
; COMPUTE_PGM_RSRC2:USER_SGPR: 6
; COMPUTE_PGM_RSRC2:TRAP_HANDLER: 0
; COMPUTE_PGM_RSRC2:TGID_X_EN: 1
; COMPUTE_PGM_RSRC2:TGID_Y_EN: 0
; COMPUTE_PGM_RSRC2:TGID_Z_EN: 0
; COMPUTE_PGM_RSRC2:TIDIG_COMP_CNT: 0
	.section	.text._ZN7rocprim17ROCPRIM_400000_NS6detail17trampoline_kernelINS0_14default_configENS1_29binary_search_config_selectorIibEEZNS1_14transform_implILb0ES3_S5_N6thrust23THRUST_200600_302600_NS6detail15normal_iteratorINS8_10device_ptrIiEEEENSA_INSB_IbEEEEZNS1_13binary_searchIS3_S5_SD_SD_SF_NS1_16binary_search_opENS9_16wrapped_functionINS0_4lessIvEEbEEEE10hipError_tPvRmT1_T2_T3_mmT4_T5_P12ihipStream_tbEUlRKiE_EESM_SQ_SR_mSS_SV_bEUlT_E_NS1_11comp_targetILNS1_3genE10ELNS1_11target_archE1201ELNS1_3gpuE5ELNS1_3repE0EEENS1_30default_config_static_selectorELNS0_4arch9wavefront6targetE0EEEvSP_,"axG",@progbits,_ZN7rocprim17ROCPRIM_400000_NS6detail17trampoline_kernelINS0_14default_configENS1_29binary_search_config_selectorIibEEZNS1_14transform_implILb0ES3_S5_N6thrust23THRUST_200600_302600_NS6detail15normal_iteratorINS8_10device_ptrIiEEEENSA_INSB_IbEEEEZNS1_13binary_searchIS3_S5_SD_SD_SF_NS1_16binary_search_opENS9_16wrapped_functionINS0_4lessIvEEbEEEE10hipError_tPvRmT1_T2_T3_mmT4_T5_P12ihipStream_tbEUlRKiE_EESM_SQ_SR_mSS_SV_bEUlT_E_NS1_11comp_targetILNS1_3genE10ELNS1_11target_archE1201ELNS1_3gpuE5ELNS1_3repE0EEENS1_30default_config_static_selectorELNS0_4arch9wavefront6targetE0EEEvSP_,comdat
	.protected	_ZN7rocprim17ROCPRIM_400000_NS6detail17trampoline_kernelINS0_14default_configENS1_29binary_search_config_selectorIibEEZNS1_14transform_implILb0ES3_S5_N6thrust23THRUST_200600_302600_NS6detail15normal_iteratorINS8_10device_ptrIiEEEENSA_INSB_IbEEEEZNS1_13binary_searchIS3_S5_SD_SD_SF_NS1_16binary_search_opENS9_16wrapped_functionINS0_4lessIvEEbEEEE10hipError_tPvRmT1_T2_T3_mmT4_T5_P12ihipStream_tbEUlRKiE_EESM_SQ_SR_mSS_SV_bEUlT_E_NS1_11comp_targetILNS1_3genE10ELNS1_11target_archE1201ELNS1_3gpuE5ELNS1_3repE0EEENS1_30default_config_static_selectorELNS0_4arch9wavefront6targetE0EEEvSP_ ; -- Begin function _ZN7rocprim17ROCPRIM_400000_NS6detail17trampoline_kernelINS0_14default_configENS1_29binary_search_config_selectorIibEEZNS1_14transform_implILb0ES3_S5_N6thrust23THRUST_200600_302600_NS6detail15normal_iteratorINS8_10device_ptrIiEEEENSA_INSB_IbEEEEZNS1_13binary_searchIS3_S5_SD_SD_SF_NS1_16binary_search_opENS9_16wrapped_functionINS0_4lessIvEEbEEEE10hipError_tPvRmT1_T2_T3_mmT4_T5_P12ihipStream_tbEUlRKiE_EESM_SQ_SR_mSS_SV_bEUlT_E_NS1_11comp_targetILNS1_3genE10ELNS1_11target_archE1201ELNS1_3gpuE5ELNS1_3repE0EEENS1_30default_config_static_selectorELNS0_4arch9wavefront6targetE0EEEvSP_
	.globl	_ZN7rocprim17ROCPRIM_400000_NS6detail17trampoline_kernelINS0_14default_configENS1_29binary_search_config_selectorIibEEZNS1_14transform_implILb0ES3_S5_N6thrust23THRUST_200600_302600_NS6detail15normal_iteratorINS8_10device_ptrIiEEEENSA_INSB_IbEEEEZNS1_13binary_searchIS3_S5_SD_SD_SF_NS1_16binary_search_opENS9_16wrapped_functionINS0_4lessIvEEbEEEE10hipError_tPvRmT1_T2_T3_mmT4_T5_P12ihipStream_tbEUlRKiE_EESM_SQ_SR_mSS_SV_bEUlT_E_NS1_11comp_targetILNS1_3genE10ELNS1_11target_archE1201ELNS1_3gpuE5ELNS1_3repE0EEENS1_30default_config_static_selectorELNS0_4arch9wavefront6targetE0EEEvSP_
	.p2align	8
	.type	_ZN7rocprim17ROCPRIM_400000_NS6detail17trampoline_kernelINS0_14default_configENS1_29binary_search_config_selectorIibEEZNS1_14transform_implILb0ES3_S5_N6thrust23THRUST_200600_302600_NS6detail15normal_iteratorINS8_10device_ptrIiEEEENSA_INSB_IbEEEEZNS1_13binary_searchIS3_S5_SD_SD_SF_NS1_16binary_search_opENS9_16wrapped_functionINS0_4lessIvEEbEEEE10hipError_tPvRmT1_T2_T3_mmT4_T5_P12ihipStream_tbEUlRKiE_EESM_SQ_SR_mSS_SV_bEUlT_E_NS1_11comp_targetILNS1_3genE10ELNS1_11target_archE1201ELNS1_3gpuE5ELNS1_3repE0EEENS1_30default_config_static_selectorELNS0_4arch9wavefront6targetE0EEEvSP_,@function
_ZN7rocprim17ROCPRIM_400000_NS6detail17trampoline_kernelINS0_14default_configENS1_29binary_search_config_selectorIibEEZNS1_14transform_implILb0ES3_S5_N6thrust23THRUST_200600_302600_NS6detail15normal_iteratorINS8_10device_ptrIiEEEENSA_INSB_IbEEEEZNS1_13binary_searchIS3_S5_SD_SD_SF_NS1_16binary_search_opENS9_16wrapped_functionINS0_4lessIvEEbEEEE10hipError_tPvRmT1_T2_T3_mmT4_T5_P12ihipStream_tbEUlRKiE_EESM_SQ_SR_mSS_SV_bEUlT_E_NS1_11comp_targetILNS1_3genE10ELNS1_11target_archE1201ELNS1_3gpuE5ELNS1_3repE0EEENS1_30default_config_static_selectorELNS0_4arch9wavefront6targetE0EEEvSP_: ; @_ZN7rocprim17ROCPRIM_400000_NS6detail17trampoline_kernelINS0_14default_configENS1_29binary_search_config_selectorIibEEZNS1_14transform_implILb0ES3_S5_N6thrust23THRUST_200600_302600_NS6detail15normal_iteratorINS8_10device_ptrIiEEEENSA_INSB_IbEEEEZNS1_13binary_searchIS3_S5_SD_SD_SF_NS1_16binary_search_opENS9_16wrapped_functionINS0_4lessIvEEbEEEE10hipError_tPvRmT1_T2_T3_mmT4_T5_P12ihipStream_tbEUlRKiE_EESM_SQ_SR_mSS_SV_bEUlT_E_NS1_11comp_targetILNS1_3genE10ELNS1_11target_archE1201ELNS1_3gpuE5ELNS1_3repE0EEENS1_30default_config_static_selectorELNS0_4arch9wavefront6targetE0EEEvSP_
; %bb.0:
	.section	.rodata,"a",@progbits
	.p2align	6, 0x0
	.amdhsa_kernel _ZN7rocprim17ROCPRIM_400000_NS6detail17trampoline_kernelINS0_14default_configENS1_29binary_search_config_selectorIibEEZNS1_14transform_implILb0ES3_S5_N6thrust23THRUST_200600_302600_NS6detail15normal_iteratorINS8_10device_ptrIiEEEENSA_INSB_IbEEEEZNS1_13binary_searchIS3_S5_SD_SD_SF_NS1_16binary_search_opENS9_16wrapped_functionINS0_4lessIvEEbEEEE10hipError_tPvRmT1_T2_T3_mmT4_T5_P12ihipStream_tbEUlRKiE_EESM_SQ_SR_mSS_SV_bEUlT_E_NS1_11comp_targetILNS1_3genE10ELNS1_11target_archE1201ELNS1_3gpuE5ELNS1_3repE0EEENS1_30default_config_static_selectorELNS0_4arch9wavefront6targetE0EEEvSP_
		.amdhsa_group_segment_fixed_size 0
		.amdhsa_private_segment_fixed_size 0
		.amdhsa_kernarg_size 56
		.amdhsa_user_sgpr_count 6
		.amdhsa_user_sgpr_private_segment_buffer 1
		.amdhsa_user_sgpr_dispatch_ptr 0
		.amdhsa_user_sgpr_queue_ptr 0
		.amdhsa_user_sgpr_kernarg_segment_ptr 1
		.amdhsa_user_sgpr_dispatch_id 0
		.amdhsa_user_sgpr_flat_scratch_init 0
		.amdhsa_user_sgpr_private_segment_size 0
		.amdhsa_wavefront_size32 1
		.amdhsa_uses_dynamic_stack 0
		.amdhsa_system_sgpr_private_segment_wavefront_offset 0
		.amdhsa_system_sgpr_workgroup_id_x 1
		.amdhsa_system_sgpr_workgroup_id_y 0
		.amdhsa_system_sgpr_workgroup_id_z 0
		.amdhsa_system_sgpr_workgroup_info 0
		.amdhsa_system_vgpr_workitem_id 0
		.amdhsa_next_free_vgpr 1
		.amdhsa_next_free_sgpr 1
		.amdhsa_reserve_vcc 0
		.amdhsa_reserve_flat_scratch 0
		.amdhsa_float_round_mode_32 0
		.amdhsa_float_round_mode_16_64 0
		.amdhsa_float_denorm_mode_32 3
		.amdhsa_float_denorm_mode_16_64 3
		.amdhsa_dx10_clamp 1
		.amdhsa_ieee_mode 1
		.amdhsa_fp16_overflow 0
		.amdhsa_workgroup_processor_mode 1
		.amdhsa_memory_ordered 1
		.amdhsa_forward_progress 1
		.amdhsa_shared_vgpr_count 0
		.amdhsa_exception_fp_ieee_invalid_op 0
		.amdhsa_exception_fp_denorm_src 0
		.amdhsa_exception_fp_ieee_div_zero 0
		.amdhsa_exception_fp_ieee_overflow 0
		.amdhsa_exception_fp_ieee_underflow 0
		.amdhsa_exception_fp_ieee_inexact 0
		.amdhsa_exception_int_div_zero 0
	.end_amdhsa_kernel
	.section	.text._ZN7rocprim17ROCPRIM_400000_NS6detail17trampoline_kernelINS0_14default_configENS1_29binary_search_config_selectorIibEEZNS1_14transform_implILb0ES3_S5_N6thrust23THRUST_200600_302600_NS6detail15normal_iteratorINS8_10device_ptrIiEEEENSA_INSB_IbEEEEZNS1_13binary_searchIS3_S5_SD_SD_SF_NS1_16binary_search_opENS9_16wrapped_functionINS0_4lessIvEEbEEEE10hipError_tPvRmT1_T2_T3_mmT4_T5_P12ihipStream_tbEUlRKiE_EESM_SQ_SR_mSS_SV_bEUlT_E_NS1_11comp_targetILNS1_3genE10ELNS1_11target_archE1201ELNS1_3gpuE5ELNS1_3repE0EEENS1_30default_config_static_selectorELNS0_4arch9wavefront6targetE0EEEvSP_,"axG",@progbits,_ZN7rocprim17ROCPRIM_400000_NS6detail17trampoline_kernelINS0_14default_configENS1_29binary_search_config_selectorIibEEZNS1_14transform_implILb0ES3_S5_N6thrust23THRUST_200600_302600_NS6detail15normal_iteratorINS8_10device_ptrIiEEEENSA_INSB_IbEEEEZNS1_13binary_searchIS3_S5_SD_SD_SF_NS1_16binary_search_opENS9_16wrapped_functionINS0_4lessIvEEbEEEE10hipError_tPvRmT1_T2_T3_mmT4_T5_P12ihipStream_tbEUlRKiE_EESM_SQ_SR_mSS_SV_bEUlT_E_NS1_11comp_targetILNS1_3genE10ELNS1_11target_archE1201ELNS1_3gpuE5ELNS1_3repE0EEENS1_30default_config_static_selectorELNS0_4arch9wavefront6targetE0EEEvSP_,comdat
.Lfunc_end739:
	.size	_ZN7rocprim17ROCPRIM_400000_NS6detail17trampoline_kernelINS0_14default_configENS1_29binary_search_config_selectorIibEEZNS1_14transform_implILb0ES3_S5_N6thrust23THRUST_200600_302600_NS6detail15normal_iteratorINS8_10device_ptrIiEEEENSA_INSB_IbEEEEZNS1_13binary_searchIS3_S5_SD_SD_SF_NS1_16binary_search_opENS9_16wrapped_functionINS0_4lessIvEEbEEEE10hipError_tPvRmT1_T2_T3_mmT4_T5_P12ihipStream_tbEUlRKiE_EESM_SQ_SR_mSS_SV_bEUlT_E_NS1_11comp_targetILNS1_3genE10ELNS1_11target_archE1201ELNS1_3gpuE5ELNS1_3repE0EEENS1_30default_config_static_selectorELNS0_4arch9wavefront6targetE0EEEvSP_, .Lfunc_end739-_ZN7rocprim17ROCPRIM_400000_NS6detail17trampoline_kernelINS0_14default_configENS1_29binary_search_config_selectorIibEEZNS1_14transform_implILb0ES3_S5_N6thrust23THRUST_200600_302600_NS6detail15normal_iteratorINS8_10device_ptrIiEEEENSA_INSB_IbEEEEZNS1_13binary_searchIS3_S5_SD_SD_SF_NS1_16binary_search_opENS9_16wrapped_functionINS0_4lessIvEEbEEEE10hipError_tPvRmT1_T2_T3_mmT4_T5_P12ihipStream_tbEUlRKiE_EESM_SQ_SR_mSS_SV_bEUlT_E_NS1_11comp_targetILNS1_3genE10ELNS1_11target_archE1201ELNS1_3gpuE5ELNS1_3repE0EEENS1_30default_config_static_selectorELNS0_4arch9wavefront6targetE0EEEvSP_
                                        ; -- End function
	.set _ZN7rocprim17ROCPRIM_400000_NS6detail17trampoline_kernelINS0_14default_configENS1_29binary_search_config_selectorIibEEZNS1_14transform_implILb0ES3_S5_N6thrust23THRUST_200600_302600_NS6detail15normal_iteratorINS8_10device_ptrIiEEEENSA_INSB_IbEEEEZNS1_13binary_searchIS3_S5_SD_SD_SF_NS1_16binary_search_opENS9_16wrapped_functionINS0_4lessIvEEbEEEE10hipError_tPvRmT1_T2_T3_mmT4_T5_P12ihipStream_tbEUlRKiE_EESM_SQ_SR_mSS_SV_bEUlT_E_NS1_11comp_targetILNS1_3genE10ELNS1_11target_archE1201ELNS1_3gpuE5ELNS1_3repE0EEENS1_30default_config_static_selectorELNS0_4arch9wavefront6targetE0EEEvSP_.num_vgpr, 0
	.set _ZN7rocprim17ROCPRIM_400000_NS6detail17trampoline_kernelINS0_14default_configENS1_29binary_search_config_selectorIibEEZNS1_14transform_implILb0ES3_S5_N6thrust23THRUST_200600_302600_NS6detail15normal_iteratorINS8_10device_ptrIiEEEENSA_INSB_IbEEEEZNS1_13binary_searchIS3_S5_SD_SD_SF_NS1_16binary_search_opENS9_16wrapped_functionINS0_4lessIvEEbEEEE10hipError_tPvRmT1_T2_T3_mmT4_T5_P12ihipStream_tbEUlRKiE_EESM_SQ_SR_mSS_SV_bEUlT_E_NS1_11comp_targetILNS1_3genE10ELNS1_11target_archE1201ELNS1_3gpuE5ELNS1_3repE0EEENS1_30default_config_static_selectorELNS0_4arch9wavefront6targetE0EEEvSP_.num_agpr, 0
	.set _ZN7rocprim17ROCPRIM_400000_NS6detail17trampoline_kernelINS0_14default_configENS1_29binary_search_config_selectorIibEEZNS1_14transform_implILb0ES3_S5_N6thrust23THRUST_200600_302600_NS6detail15normal_iteratorINS8_10device_ptrIiEEEENSA_INSB_IbEEEEZNS1_13binary_searchIS3_S5_SD_SD_SF_NS1_16binary_search_opENS9_16wrapped_functionINS0_4lessIvEEbEEEE10hipError_tPvRmT1_T2_T3_mmT4_T5_P12ihipStream_tbEUlRKiE_EESM_SQ_SR_mSS_SV_bEUlT_E_NS1_11comp_targetILNS1_3genE10ELNS1_11target_archE1201ELNS1_3gpuE5ELNS1_3repE0EEENS1_30default_config_static_selectorELNS0_4arch9wavefront6targetE0EEEvSP_.numbered_sgpr, 0
	.set _ZN7rocprim17ROCPRIM_400000_NS6detail17trampoline_kernelINS0_14default_configENS1_29binary_search_config_selectorIibEEZNS1_14transform_implILb0ES3_S5_N6thrust23THRUST_200600_302600_NS6detail15normal_iteratorINS8_10device_ptrIiEEEENSA_INSB_IbEEEEZNS1_13binary_searchIS3_S5_SD_SD_SF_NS1_16binary_search_opENS9_16wrapped_functionINS0_4lessIvEEbEEEE10hipError_tPvRmT1_T2_T3_mmT4_T5_P12ihipStream_tbEUlRKiE_EESM_SQ_SR_mSS_SV_bEUlT_E_NS1_11comp_targetILNS1_3genE10ELNS1_11target_archE1201ELNS1_3gpuE5ELNS1_3repE0EEENS1_30default_config_static_selectorELNS0_4arch9wavefront6targetE0EEEvSP_.num_named_barrier, 0
	.set _ZN7rocprim17ROCPRIM_400000_NS6detail17trampoline_kernelINS0_14default_configENS1_29binary_search_config_selectorIibEEZNS1_14transform_implILb0ES3_S5_N6thrust23THRUST_200600_302600_NS6detail15normal_iteratorINS8_10device_ptrIiEEEENSA_INSB_IbEEEEZNS1_13binary_searchIS3_S5_SD_SD_SF_NS1_16binary_search_opENS9_16wrapped_functionINS0_4lessIvEEbEEEE10hipError_tPvRmT1_T2_T3_mmT4_T5_P12ihipStream_tbEUlRKiE_EESM_SQ_SR_mSS_SV_bEUlT_E_NS1_11comp_targetILNS1_3genE10ELNS1_11target_archE1201ELNS1_3gpuE5ELNS1_3repE0EEENS1_30default_config_static_selectorELNS0_4arch9wavefront6targetE0EEEvSP_.private_seg_size, 0
	.set _ZN7rocprim17ROCPRIM_400000_NS6detail17trampoline_kernelINS0_14default_configENS1_29binary_search_config_selectorIibEEZNS1_14transform_implILb0ES3_S5_N6thrust23THRUST_200600_302600_NS6detail15normal_iteratorINS8_10device_ptrIiEEEENSA_INSB_IbEEEEZNS1_13binary_searchIS3_S5_SD_SD_SF_NS1_16binary_search_opENS9_16wrapped_functionINS0_4lessIvEEbEEEE10hipError_tPvRmT1_T2_T3_mmT4_T5_P12ihipStream_tbEUlRKiE_EESM_SQ_SR_mSS_SV_bEUlT_E_NS1_11comp_targetILNS1_3genE10ELNS1_11target_archE1201ELNS1_3gpuE5ELNS1_3repE0EEENS1_30default_config_static_selectorELNS0_4arch9wavefront6targetE0EEEvSP_.uses_vcc, 0
	.set _ZN7rocprim17ROCPRIM_400000_NS6detail17trampoline_kernelINS0_14default_configENS1_29binary_search_config_selectorIibEEZNS1_14transform_implILb0ES3_S5_N6thrust23THRUST_200600_302600_NS6detail15normal_iteratorINS8_10device_ptrIiEEEENSA_INSB_IbEEEEZNS1_13binary_searchIS3_S5_SD_SD_SF_NS1_16binary_search_opENS9_16wrapped_functionINS0_4lessIvEEbEEEE10hipError_tPvRmT1_T2_T3_mmT4_T5_P12ihipStream_tbEUlRKiE_EESM_SQ_SR_mSS_SV_bEUlT_E_NS1_11comp_targetILNS1_3genE10ELNS1_11target_archE1201ELNS1_3gpuE5ELNS1_3repE0EEENS1_30default_config_static_selectorELNS0_4arch9wavefront6targetE0EEEvSP_.uses_flat_scratch, 0
	.set _ZN7rocprim17ROCPRIM_400000_NS6detail17trampoline_kernelINS0_14default_configENS1_29binary_search_config_selectorIibEEZNS1_14transform_implILb0ES3_S5_N6thrust23THRUST_200600_302600_NS6detail15normal_iteratorINS8_10device_ptrIiEEEENSA_INSB_IbEEEEZNS1_13binary_searchIS3_S5_SD_SD_SF_NS1_16binary_search_opENS9_16wrapped_functionINS0_4lessIvEEbEEEE10hipError_tPvRmT1_T2_T3_mmT4_T5_P12ihipStream_tbEUlRKiE_EESM_SQ_SR_mSS_SV_bEUlT_E_NS1_11comp_targetILNS1_3genE10ELNS1_11target_archE1201ELNS1_3gpuE5ELNS1_3repE0EEENS1_30default_config_static_selectorELNS0_4arch9wavefront6targetE0EEEvSP_.has_dyn_sized_stack, 0
	.set _ZN7rocprim17ROCPRIM_400000_NS6detail17trampoline_kernelINS0_14default_configENS1_29binary_search_config_selectorIibEEZNS1_14transform_implILb0ES3_S5_N6thrust23THRUST_200600_302600_NS6detail15normal_iteratorINS8_10device_ptrIiEEEENSA_INSB_IbEEEEZNS1_13binary_searchIS3_S5_SD_SD_SF_NS1_16binary_search_opENS9_16wrapped_functionINS0_4lessIvEEbEEEE10hipError_tPvRmT1_T2_T3_mmT4_T5_P12ihipStream_tbEUlRKiE_EESM_SQ_SR_mSS_SV_bEUlT_E_NS1_11comp_targetILNS1_3genE10ELNS1_11target_archE1201ELNS1_3gpuE5ELNS1_3repE0EEENS1_30default_config_static_selectorELNS0_4arch9wavefront6targetE0EEEvSP_.has_recursion, 0
	.set _ZN7rocprim17ROCPRIM_400000_NS6detail17trampoline_kernelINS0_14default_configENS1_29binary_search_config_selectorIibEEZNS1_14transform_implILb0ES3_S5_N6thrust23THRUST_200600_302600_NS6detail15normal_iteratorINS8_10device_ptrIiEEEENSA_INSB_IbEEEEZNS1_13binary_searchIS3_S5_SD_SD_SF_NS1_16binary_search_opENS9_16wrapped_functionINS0_4lessIvEEbEEEE10hipError_tPvRmT1_T2_T3_mmT4_T5_P12ihipStream_tbEUlRKiE_EESM_SQ_SR_mSS_SV_bEUlT_E_NS1_11comp_targetILNS1_3genE10ELNS1_11target_archE1201ELNS1_3gpuE5ELNS1_3repE0EEENS1_30default_config_static_selectorELNS0_4arch9wavefront6targetE0EEEvSP_.has_indirect_call, 0
	.section	.AMDGPU.csdata,"",@progbits
; Kernel info:
; codeLenInByte = 0
; TotalNumSgprs: 0
; NumVgprs: 0
; ScratchSize: 0
; MemoryBound: 0
; FloatMode: 240
; IeeeMode: 1
; LDSByteSize: 0 bytes/workgroup (compile time only)
; SGPRBlocks: 0
; VGPRBlocks: 0
; NumSGPRsForWavesPerEU: 1
; NumVGPRsForWavesPerEU: 1
; Occupancy: 16
; WaveLimiterHint : 0
; COMPUTE_PGM_RSRC2:SCRATCH_EN: 0
; COMPUTE_PGM_RSRC2:USER_SGPR: 6
; COMPUTE_PGM_RSRC2:TRAP_HANDLER: 0
; COMPUTE_PGM_RSRC2:TGID_X_EN: 1
; COMPUTE_PGM_RSRC2:TGID_Y_EN: 0
; COMPUTE_PGM_RSRC2:TGID_Z_EN: 0
; COMPUTE_PGM_RSRC2:TIDIG_COMP_CNT: 0
	.section	.text._ZN7rocprim17ROCPRIM_400000_NS6detail17trampoline_kernelINS0_14default_configENS1_29binary_search_config_selectorIibEEZNS1_14transform_implILb0ES3_S5_N6thrust23THRUST_200600_302600_NS6detail15normal_iteratorINS8_10device_ptrIiEEEENSA_INSB_IbEEEEZNS1_13binary_searchIS3_S5_SD_SD_SF_NS1_16binary_search_opENS9_16wrapped_functionINS0_4lessIvEEbEEEE10hipError_tPvRmT1_T2_T3_mmT4_T5_P12ihipStream_tbEUlRKiE_EESM_SQ_SR_mSS_SV_bEUlT_E_NS1_11comp_targetILNS1_3genE10ELNS1_11target_archE1200ELNS1_3gpuE4ELNS1_3repE0EEENS1_30default_config_static_selectorELNS0_4arch9wavefront6targetE0EEEvSP_,"axG",@progbits,_ZN7rocprim17ROCPRIM_400000_NS6detail17trampoline_kernelINS0_14default_configENS1_29binary_search_config_selectorIibEEZNS1_14transform_implILb0ES3_S5_N6thrust23THRUST_200600_302600_NS6detail15normal_iteratorINS8_10device_ptrIiEEEENSA_INSB_IbEEEEZNS1_13binary_searchIS3_S5_SD_SD_SF_NS1_16binary_search_opENS9_16wrapped_functionINS0_4lessIvEEbEEEE10hipError_tPvRmT1_T2_T3_mmT4_T5_P12ihipStream_tbEUlRKiE_EESM_SQ_SR_mSS_SV_bEUlT_E_NS1_11comp_targetILNS1_3genE10ELNS1_11target_archE1200ELNS1_3gpuE4ELNS1_3repE0EEENS1_30default_config_static_selectorELNS0_4arch9wavefront6targetE0EEEvSP_,comdat
	.protected	_ZN7rocprim17ROCPRIM_400000_NS6detail17trampoline_kernelINS0_14default_configENS1_29binary_search_config_selectorIibEEZNS1_14transform_implILb0ES3_S5_N6thrust23THRUST_200600_302600_NS6detail15normal_iteratorINS8_10device_ptrIiEEEENSA_INSB_IbEEEEZNS1_13binary_searchIS3_S5_SD_SD_SF_NS1_16binary_search_opENS9_16wrapped_functionINS0_4lessIvEEbEEEE10hipError_tPvRmT1_T2_T3_mmT4_T5_P12ihipStream_tbEUlRKiE_EESM_SQ_SR_mSS_SV_bEUlT_E_NS1_11comp_targetILNS1_3genE10ELNS1_11target_archE1200ELNS1_3gpuE4ELNS1_3repE0EEENS1_30default_config_static_selectorELNS0_4arch9wavefront6targetE0EEEvSP_ ; -- Begin function _ZN7rocprim17ROCPRIM_400000_NS6detail17trampoline_kernelINS0_14default_configENS1_29binary_search_config_selectorIibEEZNS1_14transform_implILb0ES3_S5_N6thrust23THRUST_200600_302600_NS6detail15normal_iteratorINS8_10device_ptrIiEEEENSA_INSB_IbEEEEZNS1_13binary_searchIS3_S5_SD_SD_SF_NS1_16binary_search_opENS9_16wrapped_functionINS0_4lessIvEEbEEEE10hipError_tPvRmT1_T2_T3_mmT4_T5_P12ihipStream_tbEUlRKiE_EESM_SQ_SR_mSS_SV_bEUlT_E_NS1_11comp_targetILNS1_3genE10ELNS1_11target_archE1200ELNS1_3gpuE4ELNS1_3repE0EEENS1_30default_config_static_selectorELNS0_4arch9wavefront6targetE0EEEvSP_
	.globl	_ZN7rocprim17ROCPRIM_400000_NS6detail17trampoline_kernelINS0_14default_configENS1_29binary_search_config_selectorIibEEZNS1_14transform_implILb0ES3_S5_N6thrust23THRUST_200600_302600_NS6detail15normal_iteratorINS8_10device_ptrIiEEEENSA_INSB_IbEEEEZNS1_13binary_searchIS3_S5_SD_SD_SF_NS1_16binary_search_opENS9_16wrapped_functionINS0_4lessIvEEbEEEE10hipError_tPvRmT1_T2_T3_mmT4_T5_P12ihipStream_tbEUlRKiE_EESM_SQ_SR_mSS_SV_bEUlT_E_NS1_11comp_targetILNS1_3genE10ELNS1_11target_archE1200ELNS1_3gpuE4ELNS1_3repE0EEENS1_30default_config_static_selectorELNS0_4arch9wavefront6targetE0EEEvSP_
	.p2align	8
	.type	_ZN7rocprim17ROCPRIM_400000_NS6detail17trampoline_kernelINS0_14default_configENS1_29binary_search_config_selectorIibEEZNS1_14transform_implILb0ES3_S5_N6thrust23THRUST_200600_302600_NS6detail15normal_iteratorINS8_10device_ptrIiEEEENSA_INSB_IbEEEEZNS1_13binary_searchIS3_S5_SD_SD_SF_NS1_16binary_search_opENS9_16wrapped_functionINS0_4lessIvEEbEEEE10hipError_tPvRmT1_T2_T3_mmT4_T5_P12ihipStream_tbEUlRKiE_EESM_SQ_SR_mSS_SV_bEUlT_E_NS1_11comp_targetILNS1_3genE10ELNS1_11target_archE1200ELNS1_3gpuE4ELNS1_3repE0EEENS1_30default_config_static_selectorELNS0_4arch9wavefront6targetE0EEEvSP_,@function
_ZN7rocprim17ROCPRIM_400000_NS6detail17trampoline_kernelINS0_14default_configENS1_29binary_search_config_selectorIibEEZNS1_14transform_implILb0ES3_S5_N6thrust23THRUST_200600_302600_NS6detail15normal_iteratorINS8_10device_ptrIiEEEENSA_INSB_IbEEEEZNS1_13binary_searchIS3_S5_SD_SD_SF_NS1_16binary_search_opENS9_16wrapped_functionINS0_4lessIvEEbEEEE10hipError_tPvRmT1_T2_T3_mmT4_T5_P12ihipStream_tbEUlRKiE_EESM_SQ_SR_mSS_SV_bEUlT_E_NS1_11comp_targetILNS1_3genE10ELNS1_11target_archE1200ELNS1_3gpuE4ELNS1_3repE0EEENS1_30default_config_static_selectorELNS0_4arch9wavefront6targetE0EEEvSP_: ; @_ZN7rocprim17ROCPRIM_400000_NS6detail17trampoline_kernelINS0_14default_configENS1_29binary_search_config_selectorIibEEZNS1_14transform_implILb0ES3_S5_N6thrust23THRUST_200600_302600_NS6detail15normal_iteratorINS8_10device_ptrIiEEEENSA_INSB_IbEEEEZNS1_13binary_searchIS3_S5_SD_SD_SF_NS1_16binary_search_opENS9_16wrapped_functionINS0_4lessIvEEbEEEE10hipError_tPvRmT1_T2_T3_mmT4_T5_P12ihipStream_tbEUlRKiE_EESM_SQ_SR_mSS_SV_bEUlT_E_NS1_11comp_targetILNS1_3genE10ELNS1_11target_archE1200ELNS1_3gpuE4ELNS1_3repE0EEENS1_30default_config_static_selectorELNS0_4arch9wavefront6targetE0EEEvSP_
; %bb.0:
	.section	.rodata,"a",@progbits
	.p2align	6, 0x0
	.amdhsa_kernel _ZN7rocprim17ROCPRIM_400000_NS6detail17trampoline_kernelINS0_14default_configENS1_29binary_search_config_selectorIibEEZNS1_14transform_implILb0ES3_S5_N6thrust23THRUST_200600_302600_NS6detail15normal_iteratorINS8_10device_ptrIiEEEENSA_INSB_IbEEEEZNS1_13binary_searchIS3_S5_SD_SD_SF_NS1_16binary_search_opENS9_16wrapped_functionINS0_4lessIvEEbEEEE10hipError_tPvRmT1_T2_T3_mmT4_T5_P12ihipStream_tbEUlRKiE_EESM_SQ_SR_mSS_SV_bEUlT_E_NS1_11comp_targetILNS1_3genE10ELNS1_11target_archE1200ELNS1_3gpuE4ELNS1_3repE0EEENS1_30default_config_static_selectorELNS0_4arch9wavefront6targetE0EEEvSP_
		.amdhsa_group_segment_fixed_size 0
		.amdhsa_private_segment_fixed_size 0
		.amdhsa_kernarg_size 56
		.amdhsa_user_sgpr_count 6
		.amdhsa_user_sgpr_private_segment_buffer 1
		.amdhsa_user_sgpr_dispatch_ptr 0
		.amdhsa_user_sgpr_queue_ptr 0
		.amdhsa_user_sgpr_kernarg_segment_ptr 1
		.amdhsa_user_sgpr_dispatch_id 0
		.amdhsa_user_sgpr_flat_scratch_init 0
		.amdhsa_user_sgpr_private_segment_size 0
		.amdhsa_wavefront_size32 1
		.amdhsa_uses_dynamic_stack 0
		.amdhsa_system_sgpr_private_segment_wavefront_offset 0
		.amdhsa_system_sgpr_workgroup_id_x 1
		.amdhsa_system_sgpr_workgroup_id_y 0
		.amdhsa_system_sgpr_workgroup_id_z 0
		.amdhsa_system_sgpr_workgroup_info 0
		.amdhsa_system_vgpr_workitem_id 0
		.amdhsa_next_free_vgpr 1
		.amdhsa_next_free_sgpr 1
		.amdhsa_reserve_vcc 0
		.amdhsa_reserve_flat_scratch 0
		.amdhsa_float_round_mode_32 0
		.amdhsa_float_round_mode_16_64 0
		.amdhsa_float_denorm_mode_32 3
		.amdhsa_float_denorm_mode_16_64 3
		.amdhsa_dx10_clamp 1
		.amdhsa_ieee_mode 1
		.amdhsa_fp16_overflow 0
		.amdhsa_workgroup_processor_mode 1
		.amdhsa_memory_ordered 1
		.amdhsa_forward_progress 1
		.amdhsa_shared_vgpr_count 0
		.amdhsa_exception_fp_ieee_invalid_op 0
		.amdhsa_exception_fp_denorm_src 0
		.amdhsa_exception_fp_ieee_div_zero 0
		.amdhsa_exception_fp_ieee_overflow 0
		.amdhsa_exception_fp_ieee_underflow 0
		.amdhsa_exception_fp_ieee_inexact 0
		.amdhsa_exception_int_div_zero 0
	.end_amdhsa_kernel
	.section	.text._ZN7rocprim17ROCPRIM_400000_NS6detail17trampoline_kernelINS0_14default_configENS1_29binary_search_config_selectorIibEEZNS1_14transform_implILb0ES3_S5_N6thrust23THRUST_200600_302600_NS6detail15normal_iteratorINS8_10device_ptrIiEEEENSA_INSB_IbEEEEZNS1_13binary_searchIS3_S5_SD_SD_SF_NS1_16binary_search_opENS9_16wrapped_functionINS0_4lessIvEEbEEEE10hipError_tPvRmT1_T2_T3_mmT4_T5_P12ihipStream_tbEUlRKiE_EESM_SQ_SR_mSS_SV_bEUlT_E_NS1_11comp_targetILNS1_3genE10ELNS1_11target_archE1200ELNS1_3gpuE4ELNS1_3repE0EEENS1_30default_config_static_selectorELNS0_4arch9wavefront6targetE0EEEvSP_,"axG",@progbits,_ZN7rocprim17ROCPRIM_400000_NS6detail17trampoline_kernelINS0_14default_configENS1_29binary_search_config_selectorIibEEZNS1_14transform_implILb0ES3_S5_N6thrust23THRUST_200600_302600_NS6detail15normal_iteratorINS8_10device_ptrIiEEEENSA_INSB_IbEEEEZNS1_13binary_searchIS3_S5_SD_SD_SF_NS1_16binary_search_opENS9_16wrapped_functionINS0_4lessIvEEbEEEE10hipError_tPvRmT1_T2_T3_mmT4_T5_P12ihipStream_tbEUlRKiE_EESM_SQ_SR_mSS_SV_bEUlT_E_NS1_11comp_targetILNS1_3genE10ELNS1_11target_archE1200ELNS1_3gpuE4ELNS1_3repE0EEENS1_30default_config_static_selectorELNS0_4arch9wavefront6targetE0EEEvSP_,comdat
.Lfunc_end740:
	.size	_ZN7rocprim17ROCPRIM_400000_NS6detail17trampoline_kernelINS0_14default_configENS1_29binary_search_config_selectorIibEEZNS1_14transform_implILb0ES3_S5_N6thrust23THRUST_200600_302600_NS6detail15normal_iteratorINS8_10device_ptrIiEEEENSA_INSB_IbEEEEZNS1_13binary_searchIS3_S5_SD_SD_SF_NS1_16binary_search_opENS9_16wrapped_functionINS0_4lessIvEEbEEEE10hipError_tPvRmT1_T2_T3_mmT4_T5_P12ihipStream_tbEUlRKiE_EESM_SQ_SR_mSS_SV_bEUlT_E_NS1_11comp_targetILNS1_3genE10ELNS1_11target_archE1200ELNS1_3gpuE4ELNS1_3repE0EEENS1_30default_config_static_selectorELNS0_4arch9wavefront6targetE0EEEvSP_, .Lfunc_end740-_ZN7rocprim17ROCPRIM_400000_NS6detail17trampoline_kernelINS0_14default_configENS1_29binary_search_config_selectorIibEEZNS1_14transform_implILb0ES3_S5_N6thrust23THRUST_200600_302600_NS6detail15normal_iteratorINS8_10device_ptrIiEEEENSA_INSB_IbEEEEZNS1_13binary_searchIS3_S5_SD_SD_SF_NS1_16binary_search_opENS9_16wrapped_functionINS0_4lessIvEEbEEEE10hipError_tPvRmT1_T2_T3_mmT4_T5_P12ihipStream_tbEUlRKiE_EESM_SQ_SR_mSS_SV_bEUlT_E_NS1_11comp_targetILNS1_3genE10ELNS1_11target_archE1200ELNS1_3gpuE4ELNS1_3repE0EEENS1_30default_config_static_selectorELNS0_4arch9wavefront6targetE0EEEvSP_
                                        ; -- End function
	.set _ZN7rocprim17ROCPRIM_400000_NS6detail17trampoline_kernelINS0_14default_configENS1_29binary_search_config_selectorIibEEZNS1_14transform_implILb0ES3_S5_N6thrust23THRUST_200600_302600_NS6detail15normal_iteratorINS8_10device_ptrIiEEEENSA_INSB_IbEEEEZNS1_13binary_searchIS3_S5_SD_SD_SF_NS1_16binary_search_opENS9_16wrapped_functionINS0_4lessIvEEbEEEE10hipError_tPvRmT1_T2_T3_mmT4_T5_P12ihipStream_tbEUlRKiE_EESM_SQ_SR_mSS_SV_bEUlT_E_NS1_11comp_targetILNS1_3genE10ELNS1_11target_archE1200ELNS1_3gpuE4ELNS1_3repE0EEENS1_30default_config_static_selectorELNS0_4arch9wavefront6targetE0EEEvSP_.num_vgpr, 0
	.set _ZN7rocprim17ROCPRIM_400000_NS6detail17trampoline_kernelINS0_14default_configENS1_29binary_search_config_selectorIibEEZNS1_14transform_implILb0ES3_S5_N6thrust23THRUST_200600_302600_NS6detail15normal_iteratorINS8_10device_ptrIiEEEENSA_INSB_IbEEEEZNS1_13binary_searchIS3_S5_SD_SD_SF_NS1_16binary_search_opENS9_16wrapped_functionINS0_4lessIvEEbEEEE10hipError_tPvRmT1_T2_T3_mmT4_T5_P12ihipStream_tbEUlRKiE_EESM_SQ_SR_mSS_SV_bEUlT_E_NS1_11comp_targetILNS1_3genE10ELNS1_11target_archE1200ELNS1_3gpuE4ELNS1_3repE0EEENS1_30default_config_static_selectorELNS0_4arch9wavefront6targetE0EEEvSP_.num_agpr, 0
	.set _ZN7rocprim17ROCPRIM_400000_NS6detail17trampoline_kernelINS0_14default_configENS1_29binary_search_config_selectorIibEEZNS1_14transform_implILb0ES3_S5_N6thrust23THRUST_200600_302600_NS6detail15normal_iteratorINS8_10device_ptrIiEEEENSA_INSB_IbEEEEZNS1_13binary_searchIS3_S5_SD_SD_SF_NS1_16binary_search_opENS9_16wrapped_functionINS0_4lessIvEEbEEEE10hipError_tPvRmT1_T2_T3_mmT4_T5_P12ihipStream_tbEUlRKiE_EESM_SQ_SR_mSS_SV_bEUlT_E_NS1_11comp_targetILNS1_3genE10ELNS1_11target_archE1200ELNS1_3gpuE4ELNS1_3repE0EEENS1_30default_config_static_selectorELNS0_4arch9wavefront6targetE0EEEvSP_.numbered_sgpr, 0
	.set _ZN7rocprim17ROCPRIM_400000_NS6detail17trampoline_kernelINS0_14default_configENS1_29binary_search_config_selectorIibEEZNS1_14transform_implILb0ES3_S5_N6thrust23THRUST_200600_302600_NS6detail15normal_iteratorINS8_10device_ptrIiEEEENSA_INSB_IbEEEEZNS1_13binary_searchIS3_S5_SD_SD_SF_NS1_16binary_search_opENS9_16wrapped_functionINS0_4lessIvEEbEEEE10hipError_tPvRmT1_T2_T3_mmT4_T5_P12ihipStream_tbEUlRKiE_EESM_SQ_SR_mSS_SV_bEUlT_E_NS1_11comp_targetILNS1_3genE10ELNS1_11target_archE1200ELNS1_3gpuE4ELNS1_3repE0EEENS1_30default_config_static_selectorELNS0_4arch9wavefront6targetE0EEEvSP_.num_named_barrier, 0
	.set _ZN7rocprim17ROCPRIM_400000_NS6detail17trampoline_kernelINS0_14default_configENS1_29binary_search_config_selectorIibEEZNS1_14transform_implILb0ES3_S5_N6thrust23THRUST_200600_302600_NS6detail15normal_iteratorINS8_10device_ptrIiEEEENSA_INSB_IbEEEEZNS1_13binary_searchIS3_S5_SD_SD_SF_NS1_16binary_search_opENS9_16wrapped_functionINS0_4lessIvEEbEEEE10hipError_tPvRmT1_T2_T3_mmT4_T5_P12ihipStream_tbEUlRKiE_EESM_SQ_SR_mSS_SV_bEUlT_E_NS1_11comp_targetILNS1_3genE10ELNS1_11target_archE1200ELNS1_3gpuE4ELNS1_3repE0EEENS1_30default_config_static_selectorELNS0_4arch9wavefront6targetE0EEEvSP_.private_seg_size, 0
	.set _ZN7rocprim17ROCPRIM_400000_NS6detail17trampoline_kernelINS0_14default_configENS1_29binary_search_config_selectorIibEEZNS1_14transform_implILb0ES3_S5_N6thrust23THRUST_200600_302600_NS6detail15normal_iteratorINS8_10device_ptrIiEEEENSA_INSB_IbEEEEZNS1_13binary_searchIS3_S5_SD_SD_SF_NS1_16binary_search_opENS9_16wrapped_functionINS0_4lessIvEEbEEEE10hipError_tPvRmT1_T2_T3_mmT4_T5_P12ihipStream_tbEUlRKiE_EESM_SQ_SR_mSS_SV_bEUlT_E_NS1_11comp_targetILNS1_3genE10ELNS1_11target_archE1200ELNS1_3gpuE4ELNS1_3repE0EEENS1_30default_config_static_selectorELNS0_4arch9wavefront6targetE0EEEvSP_.uses_vcc, 0
	.set _ZN7rocprim17ROCPRIM_400000_NS6detail17trampoline_kernelINS0_14default_configENS1_29binary_search_config_selectorIibEEZNS1_14transform_implILb0ES3_S5_N6thrust23THRUST_200600_302600_NS6detail15normal_iteratorINS8_10device_ptrIiEEEENSA_INSB_IbEEEEZNS1_13binary_searchIS3_S5_SD_SD_SF_NS1_16binary_search_opENS9_16wrapped_functionINS0_4lessIvEEbEEEE10hipError_tPvRmT1_T2_T3_mmT4_T5_P12ihipStream_tbEUlRKiE_EESM_SQ_SR_mSS_SV_bEUlT_E_NS1_11comp_targetILNS1_3genE10ELNS1_11target_archE1200ELNS1_3gpuE4ELNS1_3repE0EEENS1_30default_config_static_selectorELNS0_4arch9wavefront6targetE0EEEvSP_.uses_flat_scratch, 0
	.set _ZN7rocprim17ROCPRIM_400000_NS6detail17trampoline_kernelINS0_14default_configENS1_29binary_search_config_selectorIibEEZNS1_14transform_implILb0ES3_S5_N6thrust23THRUST_200600_302600_NS6detail15normal_iteratorINS8_10device_ptrIiEEEENSA_INSB_IbEEEEZNS1_13binary_searchIS3_S5_SD_SD_SF_NS1_16binary_search_opENS9_16wrapped_functionINS0_4lessIvEEbEEEE10hipError_tPvRmT1_T2_T3_mmT4_T5_P12ihipStream_tbEUlRKiE_EESM_SQ_SR_mSS_SV_bEUlT_E_NS1_11comp_targetILNS1_3genE10ELNS1_11target_archE1200ELNS1_3gpuE4ELNS1_3repE0EEENS1_30default_config_static_selectorELNS0_4arch9wavefront6targetE0EEEvSP_.has_dyn_sized_stack, 0
	.set _ZN7rocprim17ROCPRIM_400000_NS6detail17trampoline_kernelINS0_14default_configENS1_29binary_search_config_selectorIibEEZNS1_14transform_implILb0ES3_S5_N6thrust23THRUST_200600_302600_NS6detail15normal_iteratorINS8_10device_ptrIiEEEENSA_INSB_IbEEEEZNS1_13binary_searchIS3_S5_SD_SD_SF_NS1_16binary_search_opENS9_16wrapped_functionINS0_4lessIvEEbEEEE10hipError_tPvRmT1_T2_T3_mmT4_T5_P12ihipStream_tbEUlRKiE_EESM_SQ_SR_mSS_SV_bEUlT_E_NS1_11comp_targetILNS1_3genE10ELNS1_11target_archE1200ELNS1_3gpuE4ELNS1_3repE0EEENS1_30default_config_static_selectorELNS0_4arch9wavefront6targetE0EEEvSP_.has_recursion, 0
	.set _ZN7rocprim17ROCPRIM_400000_NS6detail17trampoline_kernelINS0_14default_configENS1_29binary_search_config_selectorIibEEZNS1_14transform_implILb0ES3_S5_N6thrust23THRUST_200600_302600_NS6detail15normal_iteratorINS8_10device_ptrIiEEEENSA_INSB_IbEEEEZNS1_13binary_searchIS3_S5_SD_SD_SF_NS1_16binary_search_opENS9_16wrapped_functionINS0_4lessIvEEbEEEE10hipError_tPvRmT1_T2_T3_mmT4_T5_P12ihipStream_tbEUlRKiE_EESM_SQ_SR_mSS_SV_bEUlT_E_NS1_11comp_targetILNS1_3genE10ELNS1_11target_archE1200ELNS1_3gpuE4ELNS1_3repE0EEENS1_30default_config_static_selectorELNS0_4arch9wavefront6targetE0EEEvSP_.has_indirect_call, 0
	.section	.AMDGPU.csdata,"",@progbits
; Kernel info:
; codeLenInByte = 0
; TotalNumSgprs: 0
; NumVgprs: 0
; ScratchSize: 0
; MemoryBound: 0
; FloatMode: 240
; IeeeMode: 1
; LDSByteSize: 0 bytes/workgroup (compile time only)
; SGPRBlocks: 0
; VGPRBlocks: 0
; NumSGPRsForWavesPerEU: 1
; NumVGPRsForWavesPerEU: 1
; Occupancy: 16
; WaveLimiterHint : 0
; COMPUTE_PGM_RSRC2:SCRATCH_EN: 0
; COMPUTE_PGM_RSRC2:USER_SGPR: 6
; COMPUTE_PGM_RSRC2:TRAP_HANDLER: 0
; COMPUTE_PGM_RSRC2:TGID_X_EN: 1
; COMPUTE_PGM_RSRC2:TGID_Y_EN: 0
; COMPUTE_PGM_RSRC2:TGID_Z_EN: 0
; COMPUTE_PGM_RSRC2:TIDIG_COMP_CNT: 0
	.section	.text._ZN7rocprim17ROCPRIM_400000_NS6detail17trampoline_kernelINS0_14default_configENS1_29binary_search_config_selectorIibEEZNS1_14transform_implILb0ES3_S5_N6thrust23THRUST_200600_302600_NS6detail15normal_iteratorINS8_10device_ptrIiEEEENSA_INSB_IbEEEEZNS1_13binary_searchIS3_S5_SD_SD_SF_NS1_16binary_search_opENS9_16wrapped_functionINS0_4lessIvEEbEEEE10hipError_tPvRmT1_T2_T3_mmT4_T5_P12ihipStream_tbEUlRKiE_EESM_SQ_SR_mSS_SV_bEUlT_E_NS1_11comp_targetILNS1_3genE9ELNS1_11target_archE1100ELNS1_3gpuE3ELNS1_3repE0EEENS1_30default_config_static_selectorELNS0_4arch9wavefront6targetE0EEEvSP_,"axG",@progbits,_ZN7rocprim17ROCPRIM_400000_NS6detail17trampoline_kernelINS0_14default_configENS1_29binary_search_config_selectorIibEEZNS1_14transform_implILb0ES3_S5_N6thrust23THRUST_200600_302600_NS6detail15normal_iteratorINS8_10device_ptrIiEEEENSA_INSB_IbEEEEZNS1_13binary_searchIS3_S5_SD_SD_SF_NS1_16binary_search_opENS9_16wrapped_functionINS0_4lessIvEEbEEEE10hipError_tPvRmT1_T2_T3_mmT4_T5_P12ihipStream_tbEUlRKiE_EESM_SQ_SR_mSS_SV_bEUlT_E_NS1_11comp_targetILNS1_3genE9ELNS1_11target_archE1100ELNS1_3gpuE3ELNS1_3repE0EEENS1_30default_config_static_selectorELNS0_4arch9wavefront6targetE0EEEvSP_,comdat
	.protected	_ZN7rocprim17ROCPRIM_400000_NS6detail17trampoline_kernelINS0_14default_configENS1_29binary_search_config_selectorIibEEZNS1_14transform_implILb0ES3_S5_N6thrust23THRUST_200600_302600_NS6detail15normal_iteratorINS8_10device_ptrIiEEEENSA_INSB_IbEEEEZNS1_13binary_searchIS3_S5_SD_SD_SF_NS1_16binary_search_opENS9_16wrapped_functionINS0_4lessIvEEbEEEE10hipError_tPvRmT1_T2_T3_mmT4_T5_P12ihipStream_tbEUlRKiE_EESM_SQ_SR_mSS_SV_bEUlT_E_NS1_11comp_targetILNS1_3genE9ELNS1_11target_archE1100ELNS1_3gpuE3ELNS1_3repE0EEENS1_30default_config_static_selectorELNS0_4arch9wavefront6targetE0EEEvSP_ ; -- Begin function _ZN7rocprim17ROCPRIM_400000_NS6detail17trampoline_kernelINS0_14default_configENS1_29binary_search_config_selectorIibEEZNS1_14transform_implILb0ES3_S5_N6thrust23THRUST_200600_302600_NS6detail15normal_iteratorINS8_10device_ptrIiEEEENSA_INSB_IbEEEEZNS1_13binary_searchIS3_S5_SD_SD_SF_NS1_16binary_search_opENS9_16wrapped_functionINS0_4lessIvEEbEEEE10hipError_tPvRmT1_T2_T3_mmT4_T5_P12ihipStream_tbEUlRKiE_EESM_SQ_SR_mSS_SV_bEUlT_E_NS1_11comp_targetILNS1_3genE9ELNS1_11target_archE1100ELNS1_3gpuE3ELNS1_3repE0EEENS1_30default_config_static_selectorELNS0_4arch9wavefront6targetE0EEEvSP_
	.globl	_ZN7rocprim17ROCPRIM_400000_NS6detail17trampoline_kernelINS0_14default_configENS1_29binary_search_config_selectorIibEEZNS1_14transform_implILb0ES3_S5_N6thrust23THRUST_200600_302600_NS6detail15normal_iteratorINS8_10device_ptrIiEEEENSA_INSB_IbEEEEZNS1_13binary_searchIS3_S5_SD_SD_SF_NS1_16binary_search_opENS9_16wrapped_functionINS0_4lessIvEEbEEEE10hipError_tPvRmT1_T2_T3_mmT4_T5_P12ihipStream_tbEUlRKiE_EESM_SQ_SR_mSS_SV_bEUlT_E_NS1_11comp_targetILNS1_3genE9ELNS1_11target_archE1100ELNS1_3gpuE3ELNS1_3repE0EEENS1_30default_config_static_selectorELNS0_4arch9wavefront6targetE0EEEvSP_
	.p2align	8
	.type	_ZN7rocprim17ROCPRIM_400000_NS6detail17trampoline_kernelINS0_14default_configENS1_29binary_search_config_selectorIibEEZNS1_14transform_implILb0ES3_S5_N6thrust23THRUST_200600_302600_NS6detail15normal_iteratorINS8_10device_ptrIiEEEENSA_INSB_IbEEEEZNS1_13binary_searchIS3_S5_SD_SD_SF_NS1_16binary_search_opENS9_16wrapped_functionINS0_4lessIvEEbEEEE10hipError_tPvRmT1_T2_T3_mmT4_T5_P12ihipStream_tbEUlRKiE_EESM_SQ_SR_mSS_SV_bEUlT_E_NS1_11comp_targetILNS1_3genE9ELNS1_11target_archE1100ELNS1_3gpuE3ELNS1_3repE0EEENS1_30default_config_static_selectorELNS0_4arch9wavefront6targetE0EEEvSP_,@function
_ZN7rocprim17ROCPRIM_400000_NS6detail17trampoline_kernelINS0_14default_configENS1_29binary_search_config_selectorIibEEZNS1_14transform_implILb0ES3_S5_N6thrust23THRUST_200600_302600_NS6detail15normal_iteratorINS8_10device_ptrIiEEEENSA_INSB_IbEEEEZNS1_13binary_searchIS3_S5_SD_SD_SF_NS1_16binary_search_opENS9_16wrapped_functionINS0_4lessIvEEbEEEE10hipError_tPvRmT1_T2_T3_mmT4_T5_P12ihipStream_tbEUlRKiE_EESM_SQ_SR_mSS_SV_bEUlT_E_NS1_11comp_targetILNS1_3genE9ELNS1_11target_archE1100ELNS1_3gpuE3ELNS1_3repE0EEENS1_30default_config_static_selectorELNS0_4arch9wavefront6targetE0EEEvSP_: ; @_ZN7rocprim17ROCPRIM_400000_NS6detail17trampoline_kernelINS0_14default_configENS1_29binary_search_config_selectorIibEEZNS1_14transform_implILb0ES3_S5_N6thrust23THRUST_200600_302600_NS6detail15normal_iteratorINS8_10device_ptrIiEEEENSA_INSB_IbEEEEZNS1_13binary_searchIS3_S5_SD_SD_SF_NS1_16binary_search_opENS9_16wrapped_functionINS0_4lessIvEEbEEEE10hipError_tPvRmT1_T2_T3_mmT4_T5_P12ihipStream_tbEUlRKiE_EESM_SQ_SR_mSS_SV_bEUlT_E_NS1_11comp_targetILNS1_3genE9ELNS1_11target_archE1100ELNS1_3gpuE3ELNS1_3repE0EEENS1_30default_config_static_selectorELNS0_4arch9wavefront6targetE0EEEvSP_
; %bb.0:
	.section	.rodata,"a",@progbits
	.p2align	6, 0x0
	.amdhsa_kernel _ZN7rocprim17ROCPRIM_400000_NS6detail17trampoline_kernelINS0_14default_configENS1_29binary_search_config_selectorIibEEZNS1_14transform_implILb0ES3_S5_N6thrust23THRUST_200600_302600_NS6detail15normal_iteratorINS8_10device_ptrIiEEEENSA_INSB_IbEEEEZNS1_13binary_searchIS3_S5_SD_SD_SF_NS1_16binary_search_opENS9_16wrapped_functionINS0_4lessIvEEbEEEE10hipError_tPvRmT1_T2_T3_mmT4_T5_P12ihipStream_tbEUlRKiE_EESM_SQ_SR_mSS_SV_bEUlT_E_NS1_11comp_targetILNS1_3genE9ELNS1_11target_archE1100ELNS1_3gpuE3ELNS1_3repE0EEENS1_30default_config_static_selectorELNS0_4arch9wavefront6targetE0EEEvSP_
		.amdhsa_group_segment_fixed_size 0
		.amdhsa_private_segment_fixed_size 0
		.amdhsa_kernarg_size 56
		.amdhsa_user_sgpr_count 6
		.amdhsa_user_sgpr_private_segment_buffer 1
		.amdhsa_user_sgpr_dispatch_ptr 0
		.amdhsa_user_sgpr_queue_ptr 0
		.amdhsa_user_sgpr_kernarg_segment_ptr 1
		.amdhsa_user_sgpr_dispatch_id 0
		.amdhsa_user_sgpr_flat_scratch_init 0
		.amdhsa_user_sgpr_private_segment_size 0
		.amdhsa_wavefront_size32 1
		.amdhsa_uses_dynamic_stack 0
		.amdhsa_system_sgpr_private_segment_wavefront_offset 0
		.amdhsa_system_sgpr_workgroup_id_x 1
		.amdhsa_system_sgpr_workgroup_id_y 0
		.amdhsa_system_sgpr_workgroup_id_z 0
		.amdhsa_system_sgpr_workgroup_info 0
		.amdhsa_system_vgpr_workitem_id 0
		.amdhsa_next_free_vgpr 1
		.amdhsa_next_free_sgpr 1
		.amdhsa_reserve_vcc 0
		.amdhsa_reserve_flat_scratch 0
		.amdhsa_float_round_mode_32 0
		.amdhsa_float_round_mode_16_64 0
		.amdhsa_float_denorm_mode_32 3
		.amdhsa_float_denorm_mode_16_64 3
		.amdhsa_dx10_clamp 1
		.amdhsa_ieee_mode 1
		.amdhsa_fp16_overflow 0
		.amdhsa_workgroup_processor_mode 1
		.amdhsa_memory_ordered 1
		.amdhsa_forward_progress 1
		.amdhsa_shared_vgpr_count 0
		.amdhsa_exception_fp_ieee_invalid_op 0
		.amdhsa_exception_fp_denorm_src 0
		.amdhsa_exception_fp_ieee_div_zero 0
		.amdhsa_exception_fp_ieee_overflow 0
		.amdhsa_exception_fp_ieee_underflow 0
		.amdhsa_exception_fp_ieee_inexact 0
		.amdhsa_exception_int_div_zero 0
	.end_amdhsa_kernel
	.section	.text._ZN7rocprim17ROCPRIM_400000_NS6detail17trampoline_kernelINS0_14default_configENS1_29binary_search_config_selectorIibEEZNS1_14transform_implILb0ES3_S5_N6thrust23THRUST_200600_302600_NS6detail15normal_iteratorINS8_10device_ptrIiEEEENSA_INSB_IbEEEEZNS1_13binary_searchIS3_S5_SD_SD_SF_NS1_16binary_search_opENS9_16wrapped_functionINS0_4lessIvEEbEEEE10hipError_tPvRmT1_T2_T3_mmT4_T5_P12ihipStream_tbEUlRKiE_EESM_SQ_SR_mSS_SV_bEUlT_E_NS1_11comp_targetILNS1_3genE9ELNS1_11target_archE1100ELNS1_3gpuE3ELNS1_3repE0EEENS1_30default_config_static_selectorELNS0_4arch9wavefront6targetE0EEEvSP_,"axG",@progbits,_ZN7rocprim17ROCPRIM_400000_NS6detail17trampoline_kernelINS0_14default_configENS1_29binary_search_config_selectorIibEEZNS1_14transform_implILb0ES3_S5_N6thrust23THRUST_200600_302600_NS6detail15normal_iteratorINS8_10device_ptrIiEEEENSA_INSB_IbEEEEZNS1_13binary_searchIS3_S5_SD_SD_SF_NS1_16binary_search_opENS9_16wrapped_functionINS0_4lessIvEEbEEEE10hipError_tPvRmT1_T2_T3_mmT4_T5_P12ihipStream_tbEUlRKiE_EESM_SQ_SR_mSS_SV_bEUlT_E_NS1_11comp_targetILNS1_3genE9ELNS1_11target_archE1100ELNS1_3gpuE3ELNS1_3repE0EEENS1_30default_config_static_selectorELNS0_4arch9wavefront6targetE0EEEvSP_,comdat
.Lfunc_end741:
	.size	_ZN7rocprim17ROCPRIM_400000_NS6detail17trampoline_kernelINS0_14default_configENS1_29binary_search_config_selectorIibEEZNS1_14transform_implILb0ES3_S5_N6thrust23THRUST_200600_302600_NS6detail15normal_iteratorINS8_10device_ptrIiEEEENSA_INSB_IbEEEEZNS1_13binary_searchIS3_S5_SD_SD_SF_NS1_16binary_search_opENS9_16wrapped_functionINS0_4lessIvEEbEEEE10hipError_tPvRmT1_T2_T3_mmT4_T5_P12ihipStream_tbEUlRKiE_EESM_SQ_SR_mSS_SV_bEUlT_E_NS1_11comp_targetILNS1_3genE9ELNS1_11target_archE1100ELNS1_3gpuE3ELNS1_3repE0EEENS1_30default_config_static_selectorELNS0_4arch9wavefront6targetE0EEEvSP_, .Lfunc_end741-_ZN7rocprim17ROCPRIM_400000_NS6detail17trampoline_kernelINS0_14default_configENS1_29binary_search_config_selectorIibEEZNS1_14transform_implILb0ES3_S5_N6thrust23THRUST_200600_302600_NS6detail15normal_iteratorINS8_10device_ptrIiEEEENSA_INSB_IbEEEEZNS1_13binary_searchIS3_S5_SD_SD_SF_NS1_16binary_search_opENS9_16wrapped_functionINS0_4lessIvEEbEEEE10hipError_tPvRmT1_T2_T3_mmT4_T5_P12ihipStream_tbEUlRKiE_EESM_SQ_SR_mSS_SV_bEUlT_E_NS1_11comp_targetILNS1_3genE9ELNS1_11target_archE1100ELNS1_3gpuE3ELNS1_3repE0EEENS1_30default_config_static_selectorELNS0_4arch9wavefront6targetE0EEEvSP_
                                        ; -- End function
	.set _ZN7rocprim17ROCPRIM_400000_NS6detail17trampoline_kernelINS0_14default_configENS1_29binary_search_config_selectorIibEEZNS1_14transform_implILb0ES3_S5_N6thrust23THRUST_200600_302600_NS6detail15normal_iteratorINS8_10device_ptrIiEEEENSA_INSB_IbEEEEZNS1_13binary_searchIS3_S5_SD_SD_SF_NS1_16binary_search_opENS9_16wrapped_functionINS0_4lessIvEEbEEEE10hipError_tPvRmT1_T2_T3_mmT4_T5_P12ihipStream_tbEUlRKiE_EESM_SQ_SR_mSS_SV_bEUlT_E_NS1_11comp_targetILNS1_3genE9ELNS1_11target_archE1100ELNS1_3gpuE3ELNS1_3repE0EEENS1_30default_config_static_selectorELNS0_4arch9wavefront6targetE0EEEvSP_.num_vgpr, 0
	.set _ZN7rocprim17ROCPRIM_400000_NS6detail17trampoline_kernelINS0_14default_configENS1_29binary_search_config_selectorIibEEZNS1_14transform_implILb0ES3_S5_N6thrust23THRUST_200600_302600_NS6detail15normal_iteratorINS8_10device_ptrIiEEEENSA_INSB_IbEEEEZNS1_13binary_searchIS3_S5_SD_SD_SF_NS1_16binary_search_opENS9_16wrapped_functionINS0_4lessIvEEbEEEE10hipError_tPvRmT1_T2_T3_mmT4_T5_P12ihipStream_tbEUlRKiE_EESM_SQ_SR_mSS_SV_bEUlT_E_NS1_11comp_targetILNS1_3genE9ELNS1_11target_archE1100ELNS1_3gpuE3ELNS1_3repE0EEENS1_30default_config_static_selectorELNS0_4arch9wavefront6targetE0EEEvSP_.num_agpr, 0
	.set _ZN7rocprim17ROCPRIM_400000_NS6detail17trampoline_kernelINS0_14default_configENS1_29binary_search_config_selectorIibEEZNS1_14transform_implILb0ES3_S5_N6thrust23THRUST_200600_302600_NS6detail15normal_iteratorINS8_10device_ptrIiEEEENSA_INSB_IbEEEEZNS1_13binary_searchIS3_S5_SD_SD_SF_NS1_16binary_search_opENS9_16wrapped_functionINS0_4lessIvEEbEEEE10hipError_tPvRmT1_T2_T3_mmT4_T5_P12ihipStream_tbEUlRKiE_EESM_SQ_SR_mSS_SV_bEUlT_E_NS1_11comp_targetILNS1_3genE9ELNS1_11target_archE1100ELNS1_3gpuE3ELNS1_3repE0EEENS1_30default_config_static_selectorELNS0_4arch9wavefront6targetE0EEEvSP_.numbered_sgpr, 0
	.set _ZN7rocprim17ROCPRIM_400000_NS6detail17trampoline_kernelINS0_14default_configENS1_29binary_search_config_selectorIibEEZNS1_14transform_implILb0ES3_S5_N6thrust23THRUST_200600_302600_NS6detail15normal_iteratorINS8_10device_ptrIiEEEENSA_INSB_IbEEEEZNS1_13binary_searchIS3_S5_SD_SD_SF_NS1_16binary_search_opENS9_16wrapped_functionINS0_4lessIvEEbEEEE10hipError_tPvRmT1_T2_T3_mmT4_T5_P12ihipStream_tbEUlRKiE_EESM_SQ_SR_mSS_SV_bEUlT_E_NS1_11comp_targetILNS1_3genE9ELNS1_11target_archE1100ELNS1_3gpuE3ELNS1_3repE0EEENS1_30default_config_static_selectorELNS0_4arch9wavefront6targetE0EEEvSP_.num_named_barrier, 0
	.set _ZN7rocprim17ROCPRIM_400000_NS6detail17trampoline_kernelINS0_14default_configENS1_29binary_search_config_selectorIibEEZNS1_14transform_implILb0ES3_S5_N6thrust23THRUST_200600_302600_NS6detail15normal_iteratorINS8_10device_ptrIiEEEENSA_INSB_IbEEEEZNS1_13binary_searchIS3_S5_SD_SD_SF_NS1_16binary_search_opENS9_16wrapped_functionINS0_4lessIvEEbEEEE10hipError_tPvRmT1_T2_T3_mmT4_T5_P12ihipStream_tbEUlRKiE_EESM_SQ_SR_mSS_SV_bEUlT_E_NS1_11comp_targetILNS1_3genE9ELNS1_11target_archE1100ELNS1_3gpuE3ELNS1_3repE0EEENS1_30default_config_static_selectorELNS0_4arch9wavefront6targetE0EEEvSP_.private_seg_size, 0
	.set _ZN7rocprim17ROCPRIM_400000_NS6detail17trampoline_kernelINS0_14default_configENS1_29binary_search_config_selectorIibEEZNS1_14transform_implILb0ES3_S5_N6thrust23THRUST_200600_302600_NS6detail15normal_iteratorINS8_10device_ptrIiEEEENSA_INSB_IbEEEEZNS1_13binary_searchIS3_S5_SD_SD_SF_NS1_16binary_search_opENS9_16wrapped_functionINS0_4lessIvEEbEEEE10hipError_tPvRmT1_T2_T3_mmT4_T5_P12ihipStream_tbEUlRKiE_EESM_SQ_SR_mSS_SV_bEUlT_E_NS1_11comp_targetILNS1_3genE9ELNS1_11target_archE1100ELNS1_3gpuE3ELNS1_3repE0EEENS1_30default_config_static_selectorELNS0_4arch9wavefront6targetE0EEEvSP_.uses_vcc, 0
	.set _ZN7rocprim17ROCPRIM_400000_NS6detail17trampoline_kernelINS0_14default_configENS1_29binary_search_config_selectorIibEEZNS1_14transform_implILb0ES3_S5_N6thrust23THRUST_200600_302600_NS6detail15normal_iteratorINS8_10device_ptrIiEEEENSA_INSB_IbEEEEZNS1_13binary_searchIS3_S5_SD_SD_SF_NS1_16binary_search_opENS9_16wrapped_functionINS0_4lessIvEEbEEEE10hipError_tPvRmT1_T2_T3_mmT4_T5_P12ihipStream_tbEUlRKiE_EESM_SQ_SR_mSS_SV_bEUlT_E_NS1_11comp_targetILNS1_3genE9ELNS1_11target_archE1100ELNS1_3gpuE3ELNS1_3repE0EEENS1_30default_config_static_selectorELNS0_4arch9wavefront6targetE0EEEvSP_.uses_flat_scratch, 0
	.set _ZN7rocprim17ROCPRIM_400000_NS6detail17trampoline_kernelINS0_14default_configENS1_29binary_search_config_selectorIibEEZNS1_14transform_implILb0ES3_S5_N6thrust23THRUST_200600_302600_NS6detail15normal_iteratorINS8_10device_ptrIiEEEENSA_INSB_IbEEEEZNS1_13binary_searchIS3_S5_SD_SD_SF_NS1_16binary_search_opENS9_16wrapped_functionINS0_4lessIvEEbEEEE10hipError_tPvRmT1_T2_T3_mmT4_T5_P12ihipStream_tbEUlRKiE_EESM_SQ_SR_mSS_SV_bEUlT_E_NS1_11comp_targetILNS1_3genE9ELNS1_11target_archE1100ELNS1_3gpuE3ELNS1_3repE0EEENS1_30default_config_static_selectorELNS0_4arch9wavefront6targetE0EEEvSP_.has_dyn_sized_stack, 0
	.set _ZN7rocprim17ROCPRIM_400000_NS6detail17trampoline_kernelINS0_14default_configENS1_29binary_search_config_selectorIibEEZNS1_14transform_implILb0ES3_S5_N6thrust23THRUST_200600_302600_NS6detail15normal_iteratorINS8_10device_ptrIiEEEENSA_INSB_IbEEEEZNS1_13binary_searchIS3_S5_SD_SD_SF_NS1_16binary_search_opENS9_16wrapped_functionINS0_4lessIvEEbEEEE10hipError_tPvRmT1_T2_T3_mmT4_T5_P12ihipStream_tbEUlRKiE_EESM_SQ_SR_mSS_SV_bEUlT_E_NS1_11comp_targetILNS1_3genE9ELNS1_11target_archE1100ELNS1_3gpuE3ELNS1_3repE0EEENS1_30default_config_static_selectorELNS0_4arch9wavefront6targetE0EEEvSP_.has_recursion, 0
	.set _ZN7rocprim17ROCPRIM_400000_NS6detail17trampoline_kernelINS0_14default_configENS1_29binary_search_config_selectorIibEEZNS1_14transform_implILb0ES3_S5_N6thrust23THRUST_200600_302600_NS6detail15normal_iteratorINS8_10device_ptrIiEEEENSA_INSB_IbEEEEZNS1_13binary_searchIS3_S5_SD_SD_SF_NS1_16binary_search_opENS9_16wrapped_functionINS0_4lessIvEEbEEEE10hipError_tPvRmT1_T2_T3_mmT4_T5_P12ihipStream_tbEUlRKiE_EESM_SQ_SR_mSS_SV_bEUlT_E_NS1_11comp_targetILNS1_3genE9ELNS1_11target_archE1100ELNS1_3gpuE3ELNS1_3repE0EEENS1_30default_config_static_selectorELNS0_4arch9wavefront6targetE0EEEvSP_.has_indirect_call, 0
	.section	.AMDGPU.csdata,"",@progbits
; Kernel info:
; codeLenInByte = 0
; TotalNumSgprs: 0
; NumVgprs: 0
; ScratchSize: 0
; MemoryBound: 0
; FloatMode: 240
; IeeeMode: 1
; LDSByteSize: 0 bytes/workgroup (compile time only)
; SGPRBlocks: 0
; VGPRBlocks: 0
; NumSGPRsForWavesPerEU: 1
; NumVGPRsForWavesPerEU: 1
; Occupancy: 16
; WaveLimiterHint : 0
; COMPUTE_PGM_RSRC2:SCRATCH_EN: 0
; COMPUTE_PGM_RSRC2:USER_SGPR: 6
; COMPUTE_PGM_RSRC2:TRAP_HANDLER: 0
; COMPUTE_PGM_RSRC2:TGID_X_EN: 1
; COMPUTE_PGM_RSRC2:TGID_Y_EN: 0
; COMPUTE_PGM_RSRC2:TGID_Z_EN: 0
; COMPUTE_PGM_RSRC2:TIDIG_COMP_CNT: 0
	.section	.text._ZN7rocprim17ROCPRIM_400000_NS6detail17trampoline_kernelINS0_14default_configENS1_29binary_search_config_selectorIibEEZNS1_14transform_implILb0ES3_S5_N6thrust23THRUST_200600_302600_NS6detail15normal_iteratorINS8_10device_ptrIiEEEENSA_INSB_IbEEEEZNS1_13binary_searchIS3_S5_SD_SD_SF_NS1_16binary_search_opENS9_16wrapped_functionINS0_4lessIvEEbEEEE10hipError_tPvRmT1_T2_T3_mmT4_T5_P12ihipStream_tbEUlRKiE_EESM_SQ_SR_mSS_SV_bEUlT_E_NS1_11comp_targetILNS1_3genE8ELNS1_11target_archE1030ELNS1_3gpuE2ELNS1_3repE0EEENS1_30default_config_static_selectorELNS0_4arch9wavefront6targetE0EEEvSP_,"axG",@progbits,_ZN7rocprim17ROCPRIM_400000_NS6detail17trampoline_kernelINS0_14default_configENS1_29binary_search_config_selectorIibEEZNS1_14transform_implILb0ES3_S5_N6thrust23THRUST_200600_302600_NS6detail15normal_iteratorINS8_10device_ptrIiEEEENSA_INSB_IbEEEEZNS1_13binary_searchIS3_S5_SD_SD_SF_NS1_16binary_search_opENS9_16wrapped_functionINS0_4lessIvEEbEEEE10hipError_tPvRmT1_T2_T3_mmT4_T5_P12ihipStream_tbEUlRKiE_EESM_SQ_SR_mSS_SV_bEUlT_E_NS1_11comp_targetILNS1_3genE8ELNS1_11target_archE1030ELNS1_3gpuE2ELNS1_3repE0EEENS1_30default_config_static_selectorELNS0_4arch9wavefront6targetE0EEEvSP_,comdat
	.protected	_ZN7rocprim17ROCPRIM_400000_NS6detail17trampoline_kernelINS0_14default_configENS1_29binary_search_config_selectorIibEEZNS1_14transform_implILb0ES3_S5_N6thrust23THRUST_200600_302600_NS6detail15normal_iteratorINS8_10device_ptrIiEEEENSA_INSB_IbEEEEZNS1_13binary_searchIS3_S5_SD_SD_SF_NS1_16binary_search_opENS9_16wrapped_functionINS0_4lessIvEEbEEEE10hipError_tPvRmT1_T2_T3_mmT4_T5_P12ihipStream_tbEUlRKiE_EESM_SQ_SR_mSS_SV_bEUlT_E_NS1_11comp_targetILNS1_3genE8ELNS1_11target_archE1030ELNS1_3gpuE2ELNS1_3repE0EEENS1_30default_config_static_selectorELNS0_4arch9wavefront6targetE0EEEvSP_ ; -- Begin function _ZN7rocprim17ROCPRIM_400000_NS6detail17trampoline_kernelINS0_14default_configENS1_29binary_search_config_selectorIibEEZNS1_14transform_implILb0ES3_S5_N6thrust23THRUST_200600_302600_NS6detail15normal_iteratorINS8_10device_ptrIiEEEENSA_INSB_IbEEEEZNS1_13binary_searchIS3_S5_SD_SD_SF_NS1_16binary_search_opENS9_16wrapped_functionINS0_4lessIvEEbEEEE10hipError_tPvRmT1_T2_T3_mmT4_T5_P12ihipStream_tbEUlRKiE_EESM_SQ_SR_mSS_SV_bEUlT_E_NS1_11comp_targetILNS1_3genE8ELNS1_11target_archE1030ELNS1_3gpuE2ELNS1_3repE0EEENS1_30default_config_static_selectorELNS0_4arch9wavefront6targetE0EEEvSP_
	.globl	_ZN7rocprim17ROCPRIM_400000_NS6detail17trampoline_kernelINS0_14default_configENS1_29binary_search_config_selectorIibEEZNS1_14transform_implILb0ES3_S5_N6thrust23THRUST_200600_302600_NS6detail15normal_iteratorINS8_10device_ptrIiEEEENSA_INSB_IbEEEEZNS1_13binary_searchIS3_S5_SD_SD_SF_NS1_16binary_search_opENS9_16wrapped_functionINS0_4lessIvEEbEEEE10hipError_tPvRmT1_T2_T3_mmT4_T5_P12ihipStream_tbEUlRKiE_EESM_SQ_SR_mSS_SV_bEUlT_E_NS1_11comp_targetILNS1_3genE8ELNS1_11target_archE1030ELNS1_3gpuE2ELNS1_3repE0EEENS1_30default_config_static_selectorELNS0_4arch9wavefront6targetE0EEEvSP_
	.p2align	8
	.type	_ZN7rocprim17ROCPRIM_400000_NS6detail17trampoline_kernelINS0_14default_configENS1_29binary_search_config_selectorIibEEZNS1_14transform_implILb0ES3_S5_N6thrust23THRUST_200600_302600_NS6detail15normal_iteratorINS8_10device_ptrIiEEEENSA_INSB_IbEEEEZNS1_13binary_searchIS3_S5_SD_SD_SF_NS1_16binary_search_opENS9_16wrapped_functionINS0_4lessIvEEbEEEE10hipError_tPvRmT1_T2_T3_mmT4_T5_P12ihipStream_tbEUlRKiE_EESM_SQ_SR_mSS_SV_bEUlT_E_NS1_11comp_targetILNS1_3genE8ELNS1_11target_archE1030ELNS1_3gpuE2ELNS1_3repE0EEENS1_30default_config_static_selectorELNS0_4arch9wavefront6targetE0EEEvSP_,@function
_ZN7rocprim17ROCPRIM_400000_NS6detail17trampoline_kernelINS0_14default_configENS1_29binary_search_config_selectorIibEEZNS1_14transform_implILb0ES3_S5_N6thrust23THRUST_200600_302600_NS6detail15normal_iteratorINS8_10device_ptrIiEEEENSA_INSB_IbEEEEZNS1_13binary_searchIS3_S5_SD_SD_SF_NS1_16binary_search_opENS9_16wrapped_functionINS0_4lessIvEEbEEEE10hipError_tPvRmT1_T2_T3_mmT4_T5_P12ihipStream_tbEUlRKiE_EESM_SQ_SR_mSS_SV_bEUlT_E_NS1_11comp_targetILNS1_3genE8ELNS1_11target_archE1030ELNS1_3gpuE2ELNS1_3repE0EEENS1_30default_config_static_selectorELNS0_4arch9wavefront6targetE0EEEvSP_: ; @_ZN7rocprim17ROCPRIM_400000_NS6detail17trampoline_kernelINS0_14default_configENS1_29binary_search_config_selectorIibEEZNS1_14transform_implILb0ES3_S5_N6thrust23THRUST_200600_302600_NS6detail15normal_iteratorINS8_10device_ptrIiEEEENSA_INSB_IbEEEEZNS1_13binary_searchIS3_S5_SD_SD_SF_NS1_16binary_search_opENS9_16wrapped_functionINS0_4lessIvEEbEEEE10hipError_tPvRmT1_T2_T3_mmT4_T5_P12ihipStream_tbEUlRKiE_EESM_SQ_SR_mSS_SV_bEUlT_E_NS1_11comp_targetILNS1_3genE8ELNS1_11target_archE1030ELNS1_3gpuE2ELNS1_3repE0EEENS1_30default_config_static_selectorELNS0_4arch9wavefront6targetE0EEEvSP_
; %bb.0:
	s_clause 0x3
	s_load_dwordx4 s[0:3], s[4:5], 0x0
	s_load_dword s16, s[4:5], 0x38
	s_load_dwordx2 s[14:15], s[4:5], 0x28
	s_load_dwordx4 s[8:11], s[4:5], 0x18
	s_waitcnt lgkmcnt(0)
	s_lshl_b64 s[12:13], s[2:3], 2
	s_add_u32 s0, s0, s12
	s_addc_u32 s7, s1, s13
	s_add_i32 s16, s16, -1
	s_lshl_b32 s12, s6, 8
	s_mov_b32 s13, 0
	s_cmp_lg_u32 s6, s16
	s_mov_b32 s16, -1
	s_cbranch_scc0 .LBB742_6
; %bb.1:
	v_lshlrev_b32_e32 v1, 2, v0
	s_lshl_b64 s[16:17], s[12:13], 2
	v_mov_b32_e32 v5, 0
	s_add_u32 s1, s0, s16
	s_addc_u32 s6, s7, s17
	v_add_co_u32 v1, s1, s1, v1
	v_add_co_ci_u32_e64 v2, null, s6, 0, s1
	s_cmp_eq_u64 s[14:15], 0
	flat_load_dword v6, v[1:2]
	v_mov_b32_e32 v1, 0
	v_mov_b32_e32 v2, 0
	s_cbranch_scc1 .LBB742_5
; %bb.2:
	v_mov_b32_e32 v3, s14
	v_mov_b32_e32 v4, s15
	s_mov_b32 s1, 0
	s_inst_prefetch 0x1
	.p2align	6
.LBB742_3:                              ; =>This Inner Loop Header: Depth=1
	v_sub_co_u32 v7, vcc_lo, v3, v1
	v_sub_co_ci_u32_e64 v8, null, v4, v2, vcc_lo
	v_lshrrev_b64 v[9:10], 1, v[7:8]
	v_lshrrev_b64 v[7:8], 6, v[7:8]
	v_add_co_u32 v9, vcc_lo, v9, v1
	v_add_co_ci_u32_e64 v10, null, v10, v2, vcc_lo
	v_add_co_u32 v7, vcc_lo, v9, v7
	v_add_co_ci_u32_e64 v8, null, v10, v8, vcc_lo
	v_lshlrev_b64 v[9:10], 2, v[7:8]
	v_add_co_u32 v9, vcc_lo, s10, v9
	v_add_co_ci_u32_e64 v10, null, s11, v10, vcc_lo
	global_load_dword v9, v[9:10], off
	v_add_co_u32 v10, vcc_lo, v7, 1
	v_add_co_ci_u32_e64 v11, null, 0, v8, vcc_lo
	s_waitcnt vmcnt(0) lgkmcnt(0)
	v_cmp_lt_i32_e32 vcc_lo, v9, v6
	v_cndmask_b32_e32 v4, v8, v4, vcc_lo
	v_cndmask_b32_e32 v3, v7, v3, vcc_lo
	;; [unrolled: 1-line block ×4, first 2 shown]
	v_cmp_ge_u64_e32 vcc_lo, v[1:2], v[3:4]
	s_or_b32 s1, vcc_lo, s1
	s_andn2_b32 exec_lo, exec_lo, s1
	s_cbranch_execnz .LBB742_3
; %bb.4:
	s_inst_prefetch 0x2
	s_or_b32 exec_lo, exec_lo, s1
.LBB742_5:
	v_cmp_eq_u64_e64 s1, s[14:15], v[1:2]
	v_cmp_ne_u64_e64 s6, s[14:15], v[1:2]
	s_branch .LBB742_14
.LBB742_6:
	s_mov_b32 s6, s13
	s_mov_b32 s1, s13
                                        ; implicit-def: $vgpr6
                                        ; implicit-def: $vgpr1_vgpr2
                                        ; implicit-def: $vgpr5
	s_and_b32 vcc_lo, exec_lo, s16
	s_cbranch_vccz .LBB742_14
; %bb.7:
	s_load_dword s4, s[4:5], 0x10
                                        ; implicit-def: $vgpr6
                                        ; implicit-def: $vgpr1_vgpr2
	s_waitcnt lgkmcnt(0)
	s_sub_i32 s4, s4, s12
	v_cmp_gt_u32_e32 vcc_lo, s4, v0
	s_and_saveexec_b32 s4, vcc_lo
                                        ; implicit-def: $vgpr5
	s_cbranch_execz .LBB742_13
; %bb.8:
	v_lshlrev_b32_e32 v1, 2, v0
	s_lshl_b64 s[16:17], s[12:13], 2
	v_mov_b32_e32 v5, 0
	s_add_u32 s0, s0, s16
	s_addc_u32 s5, s7, s17
	v_add_co_u32 v1, s0, s0, v1
	v_add_co_ci_u32_e64 v2, null, s5, 0, s0
	s_cmp_eq_u64 s[14:15], 0
	s_waitcnt vmcnt(0)
	flat_load_dword v6, v[1:2]
	v_mov_b32_e32 v1, 0
	v_mov_b32_e32 v2, 0
	s_cbranch_scc1 .LBB742_12
; %bb.9:
	v_mov_b32_e32 v3, s14
	v_mov_b32_e32 v4, s15
	s_mov_b32 s0, 0
	s_inst_prefetch 0x1
	.p2align	6
.LBB742_10:                             ; =>This Inner Loop Header: Depth=1
	v_sub_co_u32 v7, vcc_lo, v3, v1
	v_sub_co_ci_u32_e64 v8, null, v4, v2, vcc_lo
	v_lshrrev_b64 v[9:10], 1, v[7:8]
	v_lshrrev_b64 v[7:8], 6, v[7:8]
	v_add_co_u32 v9, vcc_lo, v9, v1
	v_add_co_ci_u32_e64 v10, null, v10, v2, vcc_lo
	v_add_co_u32 v7, vcc_lo, v9, v7
	v_add_co_ci_u32_e64 v8, null, v10, v8, vcc_lo
	v_lshlrev_b64 v[9:10], 2, v[7:8]
	v_add_co_u32 v9, vcc_lo, s10, v9
	v_add_co_ci_u32_e64 v10, null, s11, v10, vcc_lo
	global_load_dword v9, v[9:10], off
	v_add_co_u32 v10, vcc_lo, v7, 1
	v_add_co_ci_u32_e64 v11, null, 0, v8, vcc_lo
	s_waitcnt vmcnt(0) lgkmcnt(0)
	v_cmp_lt_i32_e32 vcc_lo, v9, v6
	v_cndmask_b32_e32 v4, v8, v4, vcc_lo
	v_cndmask_b32_e32 v3, v7, v3, vcc_lo
	;; [unrolled: 1-line block ×4, first 2 shown]
	v_cmp_ge_u64_e32 vcc_lo, v[1:2], v[3:4]
	s_or_b32 s0, vcc_lo, s0
	s_andn2_b32 exec_lo, exec_lo, s0
	s_cbranch_execnz .LBB742_10
; %bb.11:
	s_inst_prefetch 0x2
	s_or_b32 exec_lo, exec_lo, s0
.LBB742_12:
	v_cmp_eq_u64_e32 vcc_lo, s[14:15], v[1:2]
	v_cmp_ne_u64_e64 s0, s[14:15], v[1:2]
	s_andn2_b32 s1, s1, exec_lo
	s_andn2_b32 s5, s6, exec_lo
	s_and_b32 s6, vcc_lo, exec_lo
	s_and_b32 s0, s0, exec_lo
	s_or_b32 s1, s1, s6
	s_or_b32 s6, s5, s0
.LBB742_13:
	s_or_b32 exec_lo, exec_lo, s4
.LBB742_14:
	s_mov_b32 s0, 0
	s_and_saveexec_b32 s4, s6
	s_cbranch_execnz .LBB742_17
; %bb.15:
	s_or_b32 exec_lo, exec_lo, s4
	s_and_saveexec_b32 s4, s1
	s_cbranch_execnz .LBB742_18
.LBB742_16:
	s_endpgm
.LBB742_17:
	v_lshlrev_b64 v[1:2], 2, v[1:2]
	s_or_b32 s1, s1, exec_lo
	v_add_co_u32 v1, vcc_lo, s10, v1
	v_add_co_ci_u32_e64 v2, null, s11, v2, vcc_lo
	global_load_dword v1, v[1:2], off
	s_waitcnt vmcnt(0) lgkmcnt(0)
	v_cmp_ge_i32_e32 vcc_lo, v6, v1
	s_and_b32 s0, vcc_lo, exec_lo
	s_or_b32 exec_lo, exec_lo, s4
	s_and_saveexec_b32 s4, s1
	s_cbranch_execz .LBB742_16
.LBB742_18:
	s_add_u32 s1, s8, s2
	s_addc_u32 s2, s9, s3
	v_cndmask_b32_e64 v2, 0, 1, s0
	s_add_u32 s0, s1, s12
	s_addc_u32 s1, s2, 0
	v_add_co_u32 v0, vcc_lo, s0, v0
	v_add_co_ci_u32_e64 v1, null, s1, v5, vcc_lo
	flat_store_byte v[0:1], v2
	s_endpgm
	.section	.rodata,"a",@progbits
	.p2align	6, 0x0
	.amdhsa_kernel _ZN7rocprim17ROCPRIM_400000_NS6detail17trampoline_kernelINS0_14default_configENS1_29binary_search_config_selectorIibEEZNS1_14transform_implILb0ES3_S5_N6thrust23THRUST_200600_302600_NS6detail15normal_iteratorINS8_10device_ptrIiEEEENSA_INSB_IbEEEEZNS1_13binary_searchIS3_S5_SD_SD_SF_NS1_16binary_search_opENS9_16wrapped_functionINS0_4lessIvEEbEEEE10hipError_tPvRmT1_T2_T3_mmT4_T5_P12ihipStream_tbEUlRKiE_EESM_SQ_SR_mSS_SV_bEUlT_E_NS1_11comp_targetILNS1_3genE8ELNS1_11target_archE1030ELNS1_3gpuE2ELNS1_3repE0EEENS1_30default_config_static_selectorELNS0_4arch9wavefront6targetE0EEEvSP_
		.amdhsa_group_segment_fixed_size 0
		.amdhsa_private_segment_fixed_size 0
		.amdhsa_kernarg_size 312
		.amdhsa_user_sgpr_count 6
		.amdhsa_user_sgpr_private_segment_buffer 1
		.amdhsa_user_sgpr_dispatch_ptr 0
		.amdhsa_user_sgpr_queue_ptr 0
		.amdhsa_user_sgpr_kernarg_segment_ptr 1
		.amdhsa_user_sgpr_dispatch_id 0
		.amdhsa_user_sgpr_flat_scratch_init 0
		.amdhsa_user_sgpr_private_segment_size 0
		.amdhsa_wavefront_size32 1
		.amdhsa_uses_dynamic_stack 0
		.amdhsa_system_sgpr_private_segment_wavefront_offset 0
		.amdhsa_system_sgpr_workgroup_id_x 1
		.amdhsa_system_sgpr_workgroup_id_y 0
		.amdhsa_system_sgpr_workgroup_id_z 0
		.amdhsa_system_sgpr_workgroup_info 0
		.amdhsa_system_vgpr_workitem_id 0
		.amdhsa_next_free_vgpr 12
		.amdhsa_next_free_sgpr 18
		.amdhsa_reserve_vcc 1
		.amdhsa_reserve_flat_scratch 0
		.amdhsa_float_round_mode_32 0
		.amdhsa_float_round_mode_16_64 0
		.amdhsa_float_denorm_mode_32 3
		.amdhsa_float_denorm_mode_16_64 3
		.amdhsa_dx10_clamp 1
		.amdhsa_ieee_mode 1
		.amdhsa_fp16_overflow 0
		.amdhsa_workgroup_processor_mode 1
		.amdhsa_memory_ordered 1
		.amdhsa_forward_progress 1
		.amdhsa_shared_vgpr_count 0
		.amdhsa_exception_fp_ieee_invalid_op 0
		.amdhsa_exception_fp_denorm_src 0
		.amdhsa_exception_fp_ieee_div_zero 0
		.amdhsa_exception_fp_ieee_overflow 0
		.amdhsa_exception_fp_ieee_underflow 0
		.amdhsa_exception_fp_ieee_inexact 0
		.amdhsa_exception_int_div_zero 0
	.end_amdhsa_kernel
	.section	.text._ZN7rocprim17ROCPRIM_400000_NS6detail17trampoline_kernelINS0_14default_configENS1_29binary_search_config_selectorIibEEZNS1_14transform_implILb0ES3_S5_N6thrust23THRUST_200600_302600_NS6detail15normal_iteratorINS8_10device_ptrIiEEEENSA_INSB_IbEEEEZNS1_13binary_searchIS3_S5_SD_SD_SF_NS1_16binary_search_opENS9_16wrapped_functionINS0_4lessIvEEbEEEE10hipError_tPvRmT1_T2_T3_mmT4_T5_P12ihipStream_tbEUlRKiE_EESM_SQ_SR_mSS_SV_bEUlT_E_NS1_11comp_targetILNS1_3genE8ELNS1_11target_archE1030ELNS1_3gpuE2ELNS1_3repE0EEENS1_30default_config_static_selectorELNS0_4arch9wavefront6targetE0EEEvSP_,"axG",@progbits,_ZN7rocprim17ROCPRIM_400000_NS6detail17trampoline_kernelINS0_14default_configENS1_29binary_search_config_selectorIibEEZNS1_14transform_implILb0ES3_S5_N6thrust23THRUST_200600_302600_NS6detail15normal_iteratorINS8_10device_ptrIiEEEENSA_INSB_IbEEEEZNS1_13binary_searchIS3_S5_SD_SD_SF_NS1_16binary_search_opENS9_16wrapped_functionINS0_4lessIvEEbEEEE10hipError_tPvRmT1_T2_T3_mmT4_T5_P12ihipStream_tbEUlRKiE_EESM_SQ_SR_mSS_SV_bEUlT_E_NS1_11comp_targetILNS1_3genE8ELNS1_11target_archE1030ELNS1_3gpuE2ELNS1_3repE0EEENS1_30default_config_static_selectorELNS0_4arch9wavefront6targetE0EEEvSP_,comdat
.Lfunc_end742:
	.size	_ZN7rocprim17ROCPRIM_400000_NS6detail17trampoline_kernelINS0_14default_configENS1_29binary_search_config_selectorIibEEZNS1_14transform_implILb0ES3_S5_N6thrust23THRUST_200600_302600_NS6detail15normal_iteratorINS8_10device_ptrIiEEEENSA_INSB_IbEEEEZNS1_13binary_searchIS3_S5_SD_SD_SF_NS1_16binary_search_opENS9_16wrapped_functionINS0_4lessIvEEbEEEE10hipError_tPvRmT1_T2_T3_mmT4_T5_P12ihipStream_tbEUlRKiE_EESM_SQ_SR_mSS_SV_bEUlT_E_NS1_11comp_targetILNS1_3genE8ELNS1_11target_archE1030ELNS1_3gpuE2ELNS1_3repE0EEENS1_30default_config_static_selectorELNS0_4arch9wavefront6targetE0EEEvSP_, .Lfunc_end742-_ZN7rocprim17ROCPRIM_400000_NS6detail17trampoline_kernelINS0_14default_configENS1_29binary_search_config_selectorIibEEZNS1_14transform_implILb0ES3_S5_N6thrust23THRUST_200600_302600_NS6detail15normal_iteratorINS8_10device_ptrIiEEEENSA_INSB_IbEEEEZNS1_13binary_searchIS3_S5_SD_SD_SF_NS1_16binary_search_opENS9_16wrapped_functionINS0_4lessIvEEbEEEE10hipError_tPvRmT1_T2_T3_mmT4_T5_P12ihipStream_tbEUlRKiE_EESM_SQ_SR_mSS_SV_bEUlT_E_NS1_11comp_targetILNS1_3genE8ELNS1_11target_archE1030ELNS1_3gpuE2ELNS1_3repE0EEENS1_30default_config_static_selectorELNS0_4arch9wavefront6targetE0EEEvSP_
                                        ; -- End function
	.set _ZN7rocprim17ROCPRIM_400000_NS6detail17trampoline_kernelINS0_14default_configENS1_29binary_search_config_selectorIibEEZNS1_14transform_implILb0ES3_S5_N6thrust23THRUST_200600_302600_NS6detail15normal_iteratorINS8_10device_ptrIiEEEENSA_INSB_IbEEEEZNS1_13binary_searchIS3_S5_SD_SD_SF_NS1_16binary_search_opENS9_16wrapped_functionINS0_4lessIvEEbEEEE10hipError_tPvRmT1_T2_T3_mmT4_T5_P12ihipStream_tbEUlRKiE_EESM_SQ_SR_mSS_SV_bEUlT_E_NS1_11comp_targetILNS1_3genE8ELNS1_11target_archE1030ELNS1_3gpuE2ELNS1_3repE0EEENS1_30default_config_static_selectorELNS0_4arch9wavefront6targetE0EEEvSP_.num_vgpr, 12
	.set _ZN7rocprim17ROCPRIM_400000_NS6detail17trampoline_kernelINS0_14default_configENS1_29binary_search_config_selectorIibEEZNS1_14transform_implILb0ES3_S5_N6thrust23THRUST_200600_302600_NS6detail15normal_iteratorINS8_10device_ptrIiEEEENSA_INSB_IbEEEEZNS1_13binary_searchIS3_S5_SD_SD_SF_NS1_16binary_search_opENS9_16wrapped_functionINS0_4lessIvEEbEEEE10hipError_tPvRmT1_T2_T3_mmT4_T5_P12ihipStream_tbEUlRKiE_EESM_SQ_SR_mSS_SV_bEUlT_E_NS1_11comp_targetILNS1_3genE8ELNS1_11target_archE1030ELNS1_3gpuE2ELNS1_3repE0EEENS1_30default_config_static_selectorELNS0_4arch9wavefront6targetE0EEEvSP_.num_agpr, 0
	.set _ZN7rocprim17ROCPRIM_400000_NS6detail17trampoline_kernelINS0_14default_configENS1_29binary_search_config_selectorIibEEZNS1_14transform_implILb0ES3_S5_N6thrust23THRUST_200600_302600_NS6detail15normal_iteratorINS8_10device_ptrIiEEEENSA_INSB_IbEEEEZNS1_13binary_searchIS3_S5_SD_SD_SF_NS1_16binary_search_opENS9_16wrapped_functionINS0_4lessIvEEbEEEE10hipError_tPvRmT1_T2_T3_mmT4_T5_P12ihipStream_tbEUlRKiE_EESM_SQ_SR_mSS_SV_bEUlT_E_NS1_11comp_targetILNS1_3genE8ELNS1_11target_archE1030ELNS1_3gpuE2ELNS1_3repE0EEENS1_30default_config_static_selectorELNS0_4arch9wavefront6targetE0EEEvSP_.numbered_sgpr, 18
	.set _ZN7rocprim17ROCPRIM_400000_NS6detail17trampoline_kernelINS0_14default_configENS1_29binary_search_config_selectorIibEEZNS1_14transform_implILb0ES3_S5_N6thrust23THRUST_200600_302600_NS6detail15normal_iteratorINS8_10device_ptrIiEEEENSA_INSB_IbEEEEZNS1_13binary_searchIS3_S5_SD_SD_SF_NS1_16binary_search_opENS9_16wrapped_functionINS0_4lessIvEEbEEEE10hipError_tPvRmT1_T2_T3_mmT4_T5_P12ihipStream_tbEUlRKiE_EESM_SQ_SR_mSS_SV_bEUlT_E_NS1_11comp_targetILNS1_3genE8ELNS1_11target_archE1030ELNS1_3gpuE2ELNS1_3repE0EEENS1_30default_config_static_selectorELNS0_4arch9wavefront6targetE0EEEvSP_.num_named_barrier, 0
	.set _ZN7rocprim17ROCPRIM_400000_NS6detail17trampoline_kernelINS0_14default_configENS1_29binary_search_config_selectorIibEEZNS1_14transform_implILb0ES3_S5_N6thrust23THRUST_200600_302600_NS6detail15normal_iteratorINS8_10device_ptrIiEEEENSA_INSB_IbEEEEZNS1_13binary_searchIS3_S5_SD_SD_SF_NS1_16binary_search_opENS9_16wrapped_functionINS0_4lessIvEEbEEEE10hipError_tPvRmT1_T2_T3_mmT4_T5_P12ihipStream_tbEUlRKiE_EESM_SQ_SR_mSS_SV_bEUlT_E_NS1_11comp_targetILNS1_3genE8ELNS1_11target_archE1030ELNS1_3gpuE2ELNS1_3repE0EEENS1_30default_config_static_selectorELNS0_4arch9wavefront6targetE0EEEvSP_.private_seg_size, 0
	.set _ZN7rocprim17ROCPRIM_400000_NS6detail17trampoline_kernelINS0_14default_configENS1_29binary_search_config_selectorIibEEZNS1_14transform_implILb0ES3_S5_N6thrust23THRUST_200600_302600_NS6detail15normal_iteratorINS8_10device_ptrIiEEEENSA_INSB_IbEEEEZNS1_13binary_searchIS3_S5_SD_SD_SF_NS1_16binary_search_opENS9_16wrapped_functionINS0_4lessIvEEbEEEE10hipError_tPvRmT1_T2_T3_mmT4_T5_P12ihipStream_tbEUlRKiE_EESM_SQ_SR_mSS_SV_bEUlT_E_NS1_11comp_targetILNS1_3genE8ELNS1_11target_archE1030ELNS1_3gpuE2ELNS1_3repE0EEENS1_30default_config_static_selectorELNS0_4arch9wavefront6targetE0EEEvSP_.uses_vcc, 1
	.set _ZN7rocprim17ROCPRIM_400000_NS6detail17trampoline_kernelINS0_14default_configENS1_29binary_search_config_selectorIibEEZNS1_14transform_implILb0ES3_S5_N6thrust23THRUST_200600_302600_NS6detail15normal_iteratorINS8_10device_ptrIiEEEENSA_INSB_IbEEEEZNS1_13binary_searchIS3_S5_SD_SD_SF_NS1_16binary_search_opENS9_16wrapped_functionINS0_4lessIvEEbEEEE10hipError_tPvRmT1_T2_T3_mmT4_T5_P12ihipStream_tbEUlRKiE_EESM_SQ_SR_mSS_SV_bEUlT_E_NS1_11comp_targetILNS1_3genE8ELNS1_11target_archE1030ELNS1_3gpuE2ELNS1_3repE0EEENS1_30default_config_static_selectorELNS0_4arch9wavefront6targetE0EEEvSP_.uses_flat_scratch, 0
	.set _ZN7rocprim17ROCPRIM_400000_NS6detail17trampoline_kernelINS0_14default_configENS1_29binary_search_config_selectorIibEEZNS1_14transform_implILb0ES3_S5_N6thrust23THRUST_200600_302600_NS6detail15normal_iteratorINS8_10device_ptrIiEEEENSA_INSB_IbEEEEZNS1_13binary_searchIS3_S5_SD_SD_SF_NS1_16binary_search_opENS9_16wrapped_functionINS0_4lessIvEEbEEEE10hipError_tPvRmT1_T2_T3_mmT4_T5_P12ihipStream_tbEUlRKiE_EESM_SQ_SR_mSS_SV_bEUlT_E_NS1_11comp_targetILNS1_3genE8ELNS1_11target_archE1030ELNS1_3gpuE2ELNS1_3repE0EEENS1_30default_config_static_selectorELNS0_4arch9wavefront6targetE0EEEvSP_.has_dyn_sized_stack, 0
	.set _ZN7rocprim17ROCPRIM_400000_NS6detail17trampoline_kernelINS0_14default_configENS1_29binary_search_config_selectorIibEEZNS1_14transform_implILb0ES3_S5_N6thrust23THRUST_200600_302600_NS6detail15normal_iteratorINS8_10device_ptrIiEEEENSA_INSB_IbEEEEZNS1_13binary_searchIS3_S5_SD_SD_SF_NS1_16binary_search_opENS9_16wrapped_functionINS0_4lessIvEEbEEEE10hipError_tPvRmT1_T2_T3_mmT4_T5_P12ihipStream_tbEUlRKiE_EESM_SQ_SR_mSS_SV_bEUlT_E_NS1_11comp_targetILNS1_3genE8ELNS1_11target_archE1030ELNS1_3gpuE2ELNS1_3repE0EEENS1_30default_config_static_selectorELNS0_4arch9wavefront6targetE0EEEvSP_.has_recursion, 0
	.set _ZN7rocprim17ROCPRIM_400000_NS6detail17trampoline_kernelINS0_14default_configENS1_29binary_search_config_selectorIibEEZNS1_14transform_implILb0ES3_S5_N6thrust23THRUST_200600_302600_NS6detail15normal_iteratorINS8_10device_ptrIiEEEENSA_INSB_IbEEEEZNS1_13binary_searchIS3_S5_SD_SD_SF_NS1_16binary_search_opENS9_16wrapped_functionINS0_4lessIvEEbEEEE10hipError_tPvRmT1_T2_T3_mmT4_T5_P12ihipStream_tbEUlRKiE_EESM_SQ_SR_mSS_SV_bEUlT_E_NS1_11comp_targetILNS1_3genE8ELNS1_11target_archE1030ELNS1_3gpuE2ELNS1_3repE0EEENS1_30default_config_static_selectorELNS0_4arch9wavefront6targetE0EEEvSP_.has_indirect_call, 0
	.section	.AMDGPU.csdata,"",@progbits
; Kernel info:
; codeLenInByte = 852
; TotalNumSgprs: 20
; NumVgprs: 12
; ScratchSize: 0
; MemoryBound: 0
; FloatMode: 240
; IeeeMode: 1
; LDSByteSize: 0 bytes/workgroup (compile time only)
; SGPRBlocks: 0
; VGPRBlocks: 1
; NumSGPRsForWavesPerEU: 20
; NumVGPRsForWavesPerEU: 12
; Occupancy: 16
; WaveLimiterHint : 0
; COMPUTE_PGM_RSRC2:SCRATCH_EN: 0
; COMPUTE_PGM_RSRC2:USER_SGPR: 6
; COMPUTE_PGM_RSRC2:TRAP_HANDLER: 0
; COMPUTE_PGM_RSRC2:TGID_X_EN: 1
; COMPUTE_PGM_RSRC2:TGID_Y_EN: 0
; COMPUTE_PGM_RSRC2:TGID_Z_EN: 0
; COMPUTE_PGM_RSRC2:TIDIG_COMP_CNT: 0
	.section	.text._ZN7rocprim17ROCPRIM_400000_NS6detail17trampoline_kernelINS0_14default_configENS1_22reduce_config_selectorIN6thrust23THRUST_200600_302600_NS5tupleIblNS6_9null_typeES8_S8_S8_S8_S8_S8_S8_EEEEZNS1_11reduce_implILb1ES3_NS6_12zip_iteratorINS7_INS6_11hip_rocprim26transform_input_iterator_tIbNSD_35transform_pair_of_input_iterators_tIbNS6_6detail15normal_iteratorINS6_10device_ptrIKbEEEESL_NS6_8equal_toIbEEEENSG_9not_fun_tINSD_8identityEEEEENSD_19counting_iterator_tIlEES8_S8_S8_S8_S8_S8_S8_S8_EEEEPS9_S9_NSD_9__find_if7functorIS9_EEEE10hipError_tPvRmT1_T2_T3_mT4_P12ihipStream_tbEUlT_E0_NS1_11comp_targetILNS1_3genE0ELNS1_11target_archE4294967295ELNS1_3gpuE0ELNS1_3repE0EEENS1_30default_config_static_selectorELNS0_4arch9wavefront6targetE0EEEvS14_,"axG",@progbits,_ZN7rocprim17ROCPRIM_400000_NS6detail17trampoline_kernelINS0_14default_configENS1_22reduce_config_selectorIN6thrust23THRUST_200600_302600_NS5tupleIblNS6_9null_typeES8_S8_S8_S8_S8_S8_S8_EEEEZNS1_11reduce_implILb1ES3_NS6_12zip_iteratorINS7_INS6_11hip_rocprim26transform_input_iterator_tIbNSD_35transform_pair_of_input_iterators_tIbNS6_6detail15normal_iteratorINS6_10device_ptrIKbEEEESL_NS6_8equal_toIbEEEENSG_9not_fun_tINSD_8identityEEEEENSD_19counting_iterator_tIlEES8_S8_S8_S8_S8_S8_S8_S8_EEEEPS9_S9_NSD_9__find_if7functorIS9_EEEE10hipError_tPvRmT1_T2_T3_mT4_P12ihipStream_tbEUlT_E0_NS1_11comp_targetILNS1_3genE0ELNS1_11target_archE4294967295ELNS1_3gpuE0ELNS1_3repE0EEENS1_30default_config_static_selectorELNS0_4arch9wavefront6targetE0EEEvS14_,comdat
	.protected	_ZN7rocprim17ROCPRIM_400000_NS6detail17trampoline_kernelINS0_14default_configENS1_22reduce_config_selectorIN6thrust23THRUST_200600_302600_NS5tupleIblNS6_9null_typeES8_S8_S8_S8_S8_S8_S8_EEEEZNS1_11reduce_implILb1ES3_NS6_12zip_iteratorINS7_INS6_11hip_rocprim26transform_input_iterator_tIbNSD_35transform_pair_of_input_iterators_tIbNS6_6detail15normal_iteratorINS6_10device_ptrIKbEEEESL_NS6_8equal_toIbEEEENSG_9not_fun_tINSD_8identityEEEEENSD_19counting_iterator_tIlEES8_S8_S8_S8_S8_S8_S8_S8_EEEEPS9_S9_NSD_9__find_if7functorIS9_EEEE10hipError_tPvRmT1_T2_T3_mT4_P12ihipStream_tbEUlT_E0_NS1_11comp_targetILNS1_3genE0ELNS1_11target_archE4294967295ELNS1_3gpuE0ELNS1_3repE0EEENS1_30default_config_static_selectorELNS0_4arch9wavefront6targetE0EEEvS14_ ; -- Begin function _ZN7rocprim17ROCPRIM_400000_NS6detail17trampoline_kernelINS0_14default_configENS1_22reduce_config_selectorIN6thrust23THRUST_200600_302600_NS5tupleIblNS6_9null_typeES8_S8_S8_S8_S8_S8_S8_EEEEZNS1_11reduce_implILb1ES3_NS6_12zip_iteratorINS7_INS6_11hip_rocprim26transform_input_iterator_tIbNSD_35transform_pair_of_input_iterators_tIbNS6_6detail15normal_iteratorINS6_10device_ptrIKbEEEESL_NS6_8equal_toIbEEEENSG_9not_fun_tINSD_8identityEEEEENSD_19counting_iterator_tIlEES8_S8_S8_S8_S8_S8_S8_S8_EEEEPS9_S9_NSD_9__find_if7functorIS9_EEEE10hipError_tPvRmT1_T2_T3_mT4_P12ihipStream_tbEUlT_E0_NS1_11comp_targetILNS1_3genE0ELNS1_11target_archE4294967295ELNS1_3gpuE0ELNS1_3repE0EEENS1_30default_config_static_selectorELNS0_4arch9wavefront6targetE0EEEvS14_
	.globl	_ZN7rocprim17ROCPRIM_400000_NS6detail17trampoline_kernelINS0_14default_configENS1_22reduce_config_selectorIN6thrust23THRUST_200600_302600_NS5tupleIblNS6_9null_typeES8_S8_S8_S8_S8_S8_S8_EEEEZNS1_11reduce_implILb1ES3_NS6_12zip_iteratorINS7_INS6_11hip_rocprim26transform_input_iterator_tIbNSD_35transform_pair_of_input_iterators_tIbNS6_6detail15normal_iteratorINS6_10device_ptrIKbEEEESL_NS6_8equal_toIbEEEENSG_9not_fun_tINSD_8identityEEEEENSD_19counting_iterator_tIlEES8_S8_S8_S8_S8_S8_S8_S8_EEEEPS9_S9_NSD_9__find_if7functorIS9_EEEE10hipError_tPvRmT1_T2_T3_mT4_P12ihipStream_tbEUlT_E0_NS1_11comp_targetILNS1_3genE0ELNS1_11target_archE4294967295ELNS1_3gpuE0ELNS1_3repE0EEENS1_30default_config_static_selectorELNS0_4arch9wavefront6targetE0EEEvS14_
	.p2align	8
	.type	_ZN7rocprim17ROCPRIM_400000_NS6detail17trampoline_kernelINS0_14default_configENS1_22reduce_config_selectorIN6thrust23THRUST_200600_302600_NS5tupleIblNS6_9null_typeES8_S8_S8_S8_S8_S8_S8_EEEEZNS1_11reduce_implILb1ES3_NS6_12zip_iteratorINS7_INS6_11hip_rocprim26transform_input_iterator_tIbNSD_35transform_pair_of_input_iterators_tIbNS6_6detail15normal_iteratorINS6_10device_ptrIKbEEEESL_NS6_8equal_toIbEEEENSG_9not_fun_tINSD_8identityEEEEENSD_19counting_iterator_tIlEES8_S8_S8_S8_S8_S8_S8_S8_EEEEPS9_S9_NSD_9__find_if7functorIS9_EEEE10hipError_tPvRmT1_T2_T3_mT4_P12ihipStream_tbEUlT_E0_NS1_11comp_targetILNS1_3genE0ELNS1_11target_archE4294967295ELNS1_3gpuE0ELNS1_3repE0EEENS1_30default_config_static_selectorELNS0_4arch9wavefront6targetE0EEEvS14_,@function
_ZN7rocprim17ROCPRIM_400000_NS6detail17trampoline_kernelINS0_14default_configENS1_22reduce_config_selectorIN6thrust23THRUST_200600_302600_NS5tupleIblNS6_9null_typeES8_S8_S8_S8_S8_S8_S8_EEEEZNS1_11reduce_implILb1ES3_NS6_12zip_iteratorINS7_INS6_11hip_rocprim26transform_input_iterator_tIbNSD_35transform_pair_of_input_iterators_tIbNS6_6detail15normal_iteratorINS6_10device_ptrIKbEEEESL_NS6_8equal_toIbEEEENSG_9not_fun_tINSD_8identityEEEEENSD_19counting_iterator_tIlEES8_S8_S8_S8_S8_S8_S8_S8_EEEEPS9_S9_NSD_9__find_if7functorIS9_EEEE10hipError_tPvRmT1_T2_T3_mT4_P12ihipStream_tbEUlT_E0_NS1_11comp_targetILNS1_3genE0ELNS1_11target_archE4294967295ELNS1_3gpuE0ELNS1_3repE0EEENS1_30default_config_static_selectorELNS0_4arch9wavefront6targetE0EEEvS14_: ; @_ZN7rocprim17ROCPRIM_400000_NS6detail17trampoline_kernelINS0_14default_configENS1_22reduce_config_selectorIN6thrust23THRUST_200600_302600_NS5tupleIblNS6_9null_typeES8_S8_S8_S8_S8_S8_S8_EEEEZNS1_11reduce_implILb1ES3_NS6_12zip_iteratorINS7_INS6_11hip_rocprim26transform_input_iterator_tIbNSD_35transform_pair_of_input_iterators_tIbNS6_6detail15normal_iteratorINS6_10device_ptrIKbEEEESL_NS6_8equal_toIbEEEENSG_9not_fun_tINSD_8identityEEEEENSD_19counting_iterator_tIlEES8_S8_S8_S8_S8_S8_S8_S8_EEEEPS9_S9_NSD_9__find_if7functorIS9_EEEE10hipError_tPvRmT1_T2_T3_mT4_P12ihipStream_tbEUlT_E0_NS1_11comp_targetILNS1_3genE0ELNS1_11target_archE4294967295ELNS1_3gpuE0ELNS1_3repE0EEENS1_30default_config_static_selectorELNS0_4arch9wavefront6targetE0EEEvS14_
; %bb.0:
	.section	.rodata,"a",@progbits
	.p2align	6, 0x0
	.amdhsa_kernel _ZN7rocprim17ROCPRIM_400000_NS6detail17trampoline_kernelINS0_14default_configENS1_22reduce_config_selectorIN6thrust23THRUST_200600_302600_NS5tupleIblNS6_9null_typeES8_S8_S8_S8_S8_S8_S8_EEEEZNS1_11reduce_implILb1ES3_NS6_12zip_iteratorINS7_INS6_11hip_rocprim26transform_input_iterator_tIbNSD_35transform_pair_of_input_iterators_tIbNS6_6detail15normal_iteratorINS6_10device_ptrIKbEEEESL_NS6_8equal_toIbEEEENSG_9not_fun_tINSD_8identityEEEEENSD_19counting_iterator_tIlEES8_S8_S8_S8_S8_S8_S8_S8_EEEEPS9_S9_NSD_9__find_if7functorIS9_EEEE10hipError_tPvRmT1_T2_T3_mT4_P12ihipStream_tbEUlT_E0_NS1_11comp_targetILNS1_3genE0ELNS1_11target_archE4294967295ELNS1_3gpuE0ELNS1_3repE0EEENS1_30default_config_static_selectorELNS0_4arch9wavefront6targetE0EEEvS14_
		.amdhsa_group_segment_fixed_size 0
		.amdhsa_private_segment_fixed_size 0
		.amdhsa_kernarg_size 104
		.amdhsa_user_sgpr_count 6
		.amdhsa_user_sgpr_private_segment_buffer 1
		.amdhsa_user_sgpr_dispatch_ptr 0
		.amdhsa_user_sgpr_queue_ptr 0
		.amdhsa_user_sgpr_kernarg_segment_ptr 1
		.amdhsa_user_sgpr_dispatch_id 0
		.amdhsa_user_sgpr_flat_scratch_init 0
		.amdhsa_user_sgpr_private_segment_size 0
		.amdhsa_wavefront_size32 1
		.amdhsa_uses_dynamic_stack 0
		.amdhsa_system_sgpr_private_segment_wavefront_offset 0
		.amdhsa_system_sgpr_workgroup_id_x 1
		.amdhsa_system_sgpr_workgroup_id_y 0
		.amdhsa_system_sgpr_workgroup_id_z 0
		.amdhsa_system_sgpr_workgroup_info 0
		.amdhsa_system_vgpr_workitem_id 0
		.amdhsa_next_free_vgpr 1
		.amdhsa_next_free_sgpr 1
		.amdhsa_reserve_vcc 0
		.amdhsa_reserve_flat_scratch 0
		.amdhsa_float_round_mode_32 0
		.amdhsa_float_round_mode_16_64 0
		.amdhsa_float_denorm_mode_32 3
		.amdhsa_float_denorm_mode_16_64 3
		.amdhsa_dx10_clamp 1
		.amdhsa_ieee_mode 1
		.amdhsa_fp16_overflow 0
		.amdhsa_workgroup_processor_mode 1
		.amdhsa_memory_ordered 1
		.amdhsa_forward_progress 1
		.amdhsa_shared_vgpr_count 0
		.amdhsa_exception_fp_ieee_invalid_op 0
		.amdhsa_exception_fp_denorm_src 0
		.amdhsa_exception_fp_ieee_div_zero 0
		.amdhsa_exception_fp_ieee_overflow 0
		.amdhsa_exception_fp_ieee_underflow 0
		.amdhsa_exception_fp_ieee_inexact 0
		.amdhsa_exception_int_div_zero 0
	.end_amdhsa_kernel
	.section	.text._ZN7rocprim17ROCPRIM_400000_NS6detail17trampoline_kernelINS0_14default_configENS1_22reduce_config_selectorIN6thrust23THRUST_200600_302600_NS5tupleIblNS6_9null_typeES8_S8_S8_S8_S8_S8_S8_EEEEZNS1_11reduce_implILb1ES3_NS6_12zip_iteratorINS7_INS6_11hip_rocprim26transform_input_iterator_tIbNSD_35transform_pair_of_input_iterators_tIbNS6_6detail15normal_iteratorINS6_10device_ptrIKbEEEESL_NS6_8equal_toIbEEEENSG_9not_fun_tINSD_8identityEEEEENSD_19counting_iterator_tIlEES8_S8_S8_S8_S8_S8_S8_S8_EEEEPS9_S9_NSD_9__find_if7functorIS9_EEEE10hipError_tPvRmT1_T2_T3_mT4_P12ihipStream_tbEUlT_E0_NS1_11comp_targetILNS1_3genE0ELNS1_11target_archE4294967295ELNS1_3gpuE0ELNS1_3repE0EEENS1_30default_config_static_selectorELNS0_4arch9wavefront6targetE0EEEvS14_,"axG",@progbits,_ZN7rocprim17ROCPRIM_400000_NS6detail17trampoline_kernelINS0_14default_configENS1_22reduce_config_selectorIN6thrust23THRUST_200600_302600_NS5tupleIblNS6_9null_typeES8_S8_S8_S8_S8_S8_S8_EEEEZNS1_11reduce_implILb1ES3_NS6_12zip_iteratorINS7_INS6_11hip_rocprim26transform_input_iterator_tIbNSD_35transform_pair_of_input_iterators_tIbNS6_6detail15normal_iteratorINS6_10device_ptrIKbEEEESL_NS6_8equal_toIbEEEENSG_9not_fun_tINSD_8identityEEEEENSD_19counting_iterator_tIlEES8_S8_S8_S8_S8_S8_S8_S8_EEEEPS9_S9_NSD_9__find_if7functorIS9_EEEE10hipError_tPvRmT1_T2_T3_mT4_P12ihipStream_tbEUlT_E0_NS1_11comp_targetILNS1_3genE0ELNS1_11target_archE4294967295ELNS1_3gpuE0ELNS1_3repE0EEENS1_30default_config_static_selectorELNS0_4arch9wavefront6targetE0EEEvS14_,comdat
.Lfunc_end743:
	.size	_ZN7rocprim17ROCPRIM_400000_NS6detail17trampoline_kernelINS0_14default_configENS1_22reduce_config_selectorIN6thrust23THRUST_200600_302600_NS5tupleIblNS6_9null_typeES8_S8_S8_S8_S8_S8_S8_EEEEZNS1_11reduce_implILb1ES3_NS6_12zip_iteratorINS7_INS6_11hip_rocprim26transform_input_iterator_tIbNSD_35transform_pair_of_input_iterators_tIbNS6_6detail15normal_iteratorINS6_10device_ptrIKbEEEESL_NS6_8equal_toIbEEEENSG_9not_fun_tINSD_8identityEEEEENSD_19counting_iterator_tIlEES8_S8_S8_S8_S8_S8_S8_S8_EEEEPS9_S9_NSD_9__find_if7functorIS9_EEEE10hipError_tPvRmT1_T2_T3_mT4_P12ihipStream_tbEUlT_E0_NS1_11comp_targetILNS1_3genE0ELNS1_11target_archE4294967295ELNS1_3gpuE0ELNS1_3repE0EEENS1_30default_config_static_selectorELNS0_4arch9wavefront6targetE0EEEvS14_, .Lfunc_end743-_ZN7rocprim17ROCPRIM_400000_NS6detail17trampoline_kernelINS0_14default_configENS1_22reduce_config_selectorIN6thrust23THRUST_200600_302600_NS5tupleIblNS6_9null_typeES8_S8_S8_S8_S8_S8_S8_EEEEZNS1_11reduce_implILb1ES3_NS6_12zip_iteratorINS7_INS6_11hip_rocprim26transform_input_iterator_tIbNSD_35transform_pair_of_input_iterators_tIbNS6_6detail15normal_iteratorINS6_10device_ptrIKbEEEESL_NS6_8equal_toIbEEEENSG_9not_fun_tINSD_8identityEEEEENSD_19counting_iterator_tIlEES8_S8_S8_S8_S8_S8_S8_S8_EEEEPS9_S9_NSD_9__find_if7functorIS9_EEEE10hipError_tPvRmT1_T2_T3_mT4_P12ihipStream_tbEUlT_E0_NS1_11comp_targetILNS1_3genE0ELNS1_11target_archE4294967295ELNS1_3gpuE0ELNS1_3repE0EEENS1_30default_config_static_selectorELNS0_4arch9wavefront6targetE0EEEvS14_
                                        ; -- End function
	.set _ZN7rocprim17ROCPRIM_400000_NS6detail17trampoline_kernelINS0_14default_configENS1_22reduce_config_selectorIN6thrust23THRUST_200600_302600_NS5tupleIblNS6_9null_typeES8_S8_S8_S8_S8_S8_S8_EEEEZNS1_11reduce_implILb1ES3_NS6_12zip_iteratorINS7_INS6_11hip_rocprim26transform_input_iterator_tIbNSD_35transform_pair_of_input_iterators_tIbNS6_6detail15normal_iteratorINS6_10device_ptrIKbEEEESL_NS6_8equal_toIbEEEENSG_9not_fun_tINSD_8identityEEEEENSD_19counting_iterator_tIlEES8_S8_S8_S8_S8_S8_S8_S8_EEEEPS9_S9_NSD_9__find_if7functorIS9_EEEE10hipError_tPvRmT1_T2_T3_mT4_P12ihipStream_tbEUlT_E0_NS1_11comp_targetILNS1_3genE0ELNS1_11target_archE4294967295ELNS1_3gpuE0ELNS1_3repE0EEENS1_30default_config_static_selectorELNS0_4arch9wavefront6targetE0EEEvS14_.num_vgpr, 0
	.set _ZN7rocprim17ROCPRIM_400000_NS6detail17trampoline_kernelINS0_14default_configENS1_22reduce_config_selectorIN6thrust23THRUST_200600_302600_NS5tupleIblNS6_9null_typeES8_S8_S8_S8_S8_S8_S8_EEEEZNS1_11reduce_implILb1ES3_NS6_12zip_iteratorINS7_INS6_11hip_rocprim26transform_input_iterator_tIbNSD_35transform_pair_of_input_iterators_tIbNS6_6detail15normal_iteratorINS6_10device_ptrIKbEEEESL_NS6_8equal_toIbEEEENSG_9not_fun_tINSD_8identityEEEEENSD_19counting_iterator_tIlEES8_S8_S8_S8_S8_S8_S8_S8_EEEEPS9_S9_NSD_9__find_if7functorIS9_EEEE10hipError_tPvRmT1_T2_T3_mT4_P12ihipStream_tbEUlT_E0_NS1_11comp_targetILNS1_3genE0ELNS1_11target_archE4294967295ELNS1_3gpuE0ELNS1_3repE0EEENS1_30default_config_static_selectorELNS0_4arch9wavefront6targetE0EEEvS14_.num_agpr, 0
	.set _ZN7rocprim17ROCPRIM_400000_NS6detail17trampoline_kernelINS0_14default_configENS1_22reduce_config_selectorIN6thrust23THRUST_200600_302600_NS5tupleIblNS6_9null_typeES8_S8_S8_S8_S8_S8_S8_EEEEZNS1_11reduce_implILb1ES3_NS6_12zip_iteratorINS7_INS6_11hip_rocprim26transform_input_iterator_tIbNSD_35transform_pair_of_input_iterators_tIbNS6_6detail15normal_iteratorINS6_10device_ptrIKbEEEESL_NS6_8equal_toIbEEEENSG_9not_fun_tINSD_8identityEEEEENSD_19counting_iterator_tIlEES8_S8_S8_S8_S8_S8_S8_S8_EEEEPS9_S9_NSD_9__find_if7functorIS9_EEEE10hipError_tPvRmT1_T2_T3_mT4_P12ihipStream_tbEUlT_E0_NS1_11comp_targetILNS1_3genE0ELNS1_11target_archE4294967295ELNS1_3gpuE0ELNS1_3repE0EEENS1_30default_config_static_selectorELNS0_4arch9wavefront6targetE0EEEvS14_.numbered_sgpr, 0
	.set _ZN7rocprim17ROCPRIM_400000_NS6detail17trampoline_kernelINS0_14default_configENS1_22reduce_config_selectorIN6thrust23THRUST_200600_302600_NS5tupleIblNS6_9null_typeES8_S8_S8_S8_S8_S8_S8_EEEEZNS1_11reduce_implILb1ES3_NS6_12zip_iteratorINS7_INS6_11hip_rocprim26transform_input_iterator_tIbNSD_35transform_pair_of_input_iterators_tIbNS6_6detail15normal_iteratorINS6_10device_ptrIKbEEEESL_NS6_8equal_toIbEEEENSG_9not_fun_tINSD_8identityEEEEENSD_19counting_iterator_tIlEES8_S8_S8_S8_S8_S8_S8_S8_EEEEPS9_S9_NSD_9__find_if7functorIS9_EEEE10hipError_tPvRmT1_T2_T3_mT4_P12ihipStream_tbEUlT_E0_NS1_11comp_targetILNS1_3genE0ELNS1_11target_archE4294967295ELNS1_3gpuE0ELNS1_3repE0EEENS1_30default_config_static_selectorELNS0_4arch9wavefront6targetE0EEEvS14_.num_named_barrier, 0
	.set _ZN7rocprim17ROCPRIM_400000_NS6detail17trampoline_kernelINS0_14default_configENS1_22reduce_config_selectorIN6thrust23THRUST_200600_302600_NS5tupleIblNS6_9null_typeES8_S8_S8_S8_S8_S8_S8_EEEEZNS1_11reduce_implILb1ES3_NS6_12zip_iteratorINS7_INS6_11hip_rocprim26transform_input_iterator_tIbNSD_35transform_pair_of_input_iterators_tIbNS6_6detail15normal_iteratorINS6_10device_ptrIKbEEEESL_NS6_8equal_toIbEEEENSG_9not_fun_tINSD_8identityEEEEENSD_19counting_iterator_tIlEES8_S8_S8_S8_S8_S8_S8_S8_EEEEPS9_S9_NSD_9__find_if7functorIS9_EEEE10hipError_tPvRmT1_T2_T3_mT4_P12ihipStream_tbEUlT_E0_NS1_11comp_targetILNS1_3genE0ELNS1_11target_archE4294967295ELNS1_3gpuE0ELNS1_3repE0EEENS1_30default_config_static_selectorELNS0_4arch9wavefront6targetE0EEEvS14_.private_seg_size, 0
	.set _ZN7rocprim17ROCPRIM_400000_NS6detail17trampoline_kernelINS0_14default_configENS1_22reduce_config_selectorIN6thrust23THRUST_200600_302600_NS5tupleIblNS6_9null_typeES8_S8_S8_S8_S8_S8_S8_EEEEZNS1_11reduce_implILb1ES3_NS6_12zip_iteratorINS7_INS6_11hip_rocprim26transform_input_iterator_tIbNSD_35transform_pair_of_input_iterators_tIbNS6_6detail15normal_iteratorINS6_10device_ptrIKbEEEESL_NS6_8equal_toIbEEEENSG_9not_fun_tINSD_8identityEEEEENSD_19counting_iterator_tIlEES8_S8_S8_S8_S8_S8_S8_S8_EEEEPS9_S9_NSD_9__find_if7functorIS9_EEEE10hipError_tPvRmT1_T2_T3_mT4_P12ihipStream_tbEUlT_E0_NS1_11comp_targetILNS1_3genE0ELNS1_11target_archE4294967295ELNS1_3gpuE0ELNS1_3repE0EEENS1_30default_config_static_selectorELNS0_4arch9wavefront6targetE0EEEvS14_.uses_vcc, 0
	.set _ZN7rocprim17ROCPRIM_400000_NS6detail17trampoline_kernelINS0_14default_configENS1_22reduce_config_selectorIN6thrust23THRUST_200600_302600_NS5tupleIblNS6_9null_typeES8_S8_S8_S8_S8_S8_S8_EEEEZNS1_11reduce_implILb1ES3_NS6_12zip_iteratorINS7_INS6_11hip_rocprim26transform_input_iterator_tIbNSD_35transform_pair_of_input_iterators_tIbNS6_6detail15normal_iteratorINS6_10device_ptrIKbEEEESL_NS6_8equal_toIbEEEENSG_9not_fun_tINSD_8identityEEEEENSD_19counting_iterator_tIlEES8_S8_S8_S8_S8_S8_S8_S8_EEEEPS9_S9_NSD_9__find_if7functorIS9_EEEE10hipError_tPvRmT1_T2_T3_mT4_P12ihipStream_tbEUlT_E0_NS1_11comp_targetILNS1_3genE0ELNS1_11target_archE4294967295ELNS1_3gpuE0ELNS1_3repE0EEENS1_30default_config_static_selectorELNS0_4arch9wavefront6targetE0EEEvS14_.uses_flat_scratch, 0
	.set _ZN7rocprim17ROCPRIM_400000_NS6detail17trampoline_kernelINS0_14default_configENS1_22reduce_config_selectorIN6thrust23THRUST_200600_302600_NS5tupleIblNS6_9null_typeES8_S8_S8_S8_S8_S8_S8_EEEEZNS1_11reduce_implILb1ES3_NS6_12zip_iteratorINS7_INS6_11hip_rocprim26transform_input_iterator_tIbNSD_35transform_pair_of_input_iterators_tIbNS6_6detail15normal_iteratorINS6_10device_ptrIKbEEEESL_NS6_8equal_toIbEEEENSG_9not_fun_tINSD_8identityEEEEENSD_19counting_iterator_tIlEES8_S8_S8_S8_S8_S8_S8_S8_EEEEPS9_S9_NSD_9__find_if7functorIS9_EEEE10hipError_tPvRmT1_T2_T3_mT4_P12ihipStream_tbEUlT_E0_NS1_11comp_targetILNS1_3genE0ELNS1_11target_archE4294967295ELNS1_3gpuE0ELNS1_3repE0EEENS1_30default_config_static_selectorELNS0_4arch9wavefront6targetE0EEEvS14_.has_dyn_sized_stack, 0
	.set _ZN7rocprim17ROCPRIM_400000_NS6detail17trampoline_kernelINS0_14default_configENS1_22reduce_config_selectorIN6thrust23THRUST_200600_302600_NS5tupleIblNS6_9null_typeES8_S8_S8_S8_S8_S8_S8_EEEEZNS1_11reduce_implILb1ES3_NS6_12zip_iteratorINS7_INS6_11hip_rocprim26transform_input_iterator_tIbNSD_35transform_pair_of_input_iterators_tIbNS6_6detail15normal_iteratorINS6_10device_ptrIKbEEEESL_NS6_8equal_toIbEEEENSG_9not_fun_tINSD_8identityEEEEENSD_19counting_iterator_tIlEES8_S8_S8_S8_S8_S8_S8_S8_EEEEPS9_S9_NSD_9__find_if7functorIS9_EEEE10hipError_tPvRmT1_T2_T3_mT4_P12ihipStream_tbEUlT_E0_NS1_11comp_targetILNS1_3genE0ELNS1_11target_archE4294967295ELNS1_3gpuE0ELNS1_3repE0EEENS1_30default_config_static_selectorELNS0_4arch9wavefront6targetE0EEEvS14_.has_recursion, 0
	.set _ZN7rocprim17ROCPRIM_400000_NS6detail17trampoline_kernelINS0_14default_configENS1_22reduce_config_selectorIN6thrust23THRUST_200600_302600_NS5tupleIblNS6_9null_typeES8_S8_S8_S8_S8_S8_S8_EEEEZNS1_11reduce_implILb1ES3_NS6_12zip_iteratorINS7_INS6_11hip_rocprim26transform_input_iterator_tIbNSD_35transform_pair_of_input_iterators_tIbNS6_6detail15normal_iteratorINS6_10device_ptrIKbEEEESL_NS6_8equal_toIbEEEENSG_9not_fun_tINSD_8identityEEEEENSD_19counting_iterator_tIlEES8_S8_S8_S8_S8_S8_S8_S8_EEEEPS9_S9_NSD_9__find_if7functorIS9_EEEE10hipError_tPvRmT1_T2_T3_mT4_P12ihipStream_tbEUlT_E0_NS1_11comp_targetILNS1_3genE0ELNS1_11target_archE4294967295ELNS1_3gpuE0ELNS1_3repE0EEENS1_30default_config_static_selectorELNS0_4arch9wavefront6targetE0EEEvS14_.has_indirect_call, 0
	.section	.AMDGPU.csdata,"",@progbits
; Kernel info:
; codeLenInByte = 0
; TotalNumSgprs: 0
; NumVgprs: 0
; ScratchSize: 0
; MemoryBound: 0
; FloatMode: 240
; IeeeMode: 1
; LDSByteSize: 0 bytes/workgroup (compile time only)
; SGPRBlocks: 0
; VGPRBlocks: 0
; NumSGPRsForWavesPerEU: 1
; NumVGPRsForWavesPerEU: 1
; Occupancy: 16
; WaveLimiterHint : 0
; COMPUTE_PGM_RSRC2:SCRATCH_EN: 0
; COMPUTE_PGM_RSRC2:USER_SGPR: 6
; COMPUTE_PGM_RSRC2:TRAP_HANDLER: 0
; COMPUTE_PGM_RSRC2:TGID_X_EN: 1
; COMPUTE_PGM_RSRC2:TGID_Y_EN: 0
; COMPUTE_PGM_RSRC2:TGID_Z_EN: 0
; COMPUTE_PGM_RSRC2:TIDIG_COMP_CNT: 0
	.section	.text._ZN7rocprim17ROCPRIM_400000_NS6detail17trampoline_kernelINS0_14default_configENS1_22reduce_config_selectorIN6thrust23THRUST_200600_302600_NS5tupleIblNS6_9null_typeES8_S8_S8_S8_S8_S8_S8_EEEEZNS1_11reduce_implILb1ES3_NS6_12zip_iteratorINS7_INS6_11hip_rocprim26transform_input_iterator_tIbNSD_35transform_pair_of_input_iterators_tIbNS6_6detail15normal_iteratorINS6_10device_ptrIKbEEEESL_NS6_8equal_toIbEEEENSG_9not_fun_tINSD_8identityEEEEENSD_19counting_iterator_tIlEES8_S8_S8_S8_S8_S8_S8_S8_EEEEPS9_S9_NSD_9__find_if7functorIS9_EEEE10hipError_tPvRmT1_T2_T3_mT4_P12ihipStream_tbEUlT_E0_NS1_11comp_targetILNS1_3genE5ELNS1_11target_archE942ELNS1_3gpuE9ELNS1_3repE0EEENS1_30default_config_static_selectorELNS0_4arch9wavefront6targetE0EEEvS14_,"axG",@progbits,_ZN7rocprim17ROCPRIM_400000_NS6detail17trampoline_kernelINS0_14default_configENS1_22reduce_config_selectorIN6thrust23THRUST_200600_302600_NS5tupleIblNS6_9null_typeES8_S8_S8_S8_S8_S8_S8_EEEEZNS1_11reduce_implILb1ES3_NS6_12zip_iteratorINS7_INS6_11hip_rocprim26transform_input_iterator_tIbNSD_35transform_pair_of_input_iterators_tIbNS6_6detail15normal_iteratorINS6_10device_ptrIKbEEEESL_NS6_8equal_toIbEEEENSG_9not_fun_tINSD_8identityEEEEENSD_19counting_iterator_tIlEES8_S8_S8_S8_S8_S8_S8_S8_EEEEPS9_S9_NSD_9__find_if7functorIS9_EEEE10hipError_tPvRmT1_T2_T3_mT4_P12ihipStream_tbEUlT_E0_NS1_11comp_targetILNS1_3genE5ELNS1_11target_archE942ELNS1_3gpuE9ELNS1_3repE0EEENS1_30default_config_static_selectorELNS0_4arch9wavefront6targetE0EEEvS14_,comdat
	.protected	_ZN7rocprim17ROCPRIM_400000_NS6detail17trampoline_kernelINS0_14default_configENS1_22reduce_config_selectorIN6thrust23THRUST_200600_302600_NS5tupleIblNS6_9null_typeES8_S8_S8_S8_S8_S8_S8_EEEEZNS1_11reduce_implILb1ES3_NS6_12zip_iteratorINS7_INS6_11hip_rocprim26transform_input_iterator_tIbNSD_35transform_pair_of_input_iterators_tIbNS6_6detail15normal_iteratorINS6_10device_ptrIKbEEEESL_NS6_8equal_toIbEEEENSG_9not_fun_tINSD_8identityEEEEENSD_19counting_iterator_tIlEES8_S8_S8_S8_S8_S8_S8_S8_EEEEPS9_S9_NSD_9__find_if7functorIS9_EEEE10hipError_tPvRmT1_T2_T3_mT4_P12ihipStream_tbEUlT_E0_NS1_11comp_targetILNS1_3genE5ELNS1_11target_archE942ELNS1_3gpuE9ELNS1_3repE0EEENS1_30default_config_static_selectorELNS0_4arch9wavefront6targetE0EEEvS14_ ; -- Begin function _ZN7rocprim17ROCPRIM_400000_NS6detail17trampoline_kernelINS0_14default_configENS1_22reduce_config_selectorIN6thrust23THRUST_200600_302600_NS5tupleIblNS6_9null_typeES8_S8_S8_S8_S8_S8_S8_EEEEZNS1_11reduce_implILb1ES3_NS6_12zip_iteratorINS7_INS6_11hip_rocprim26transform_input_iterator_tIbNSD_35transform_pair_of_input_iterators_tIbNS6_6detail15normal_iteratorINS6_10device_ptrIKbEEEESL_NS6_8equal_toIbEEEENSG_9not_fun_tINSD_8identityEEEEENSD_19counting_iterator_tIlEES8_S8_S8_S8_S8_S8_S8_S8_EEEEPS9_S9_NSD_9__find_if7functorIS9_EEEE10hipError_tPvRmT1_T2_T3_mT4_P12ihipStream_tbEUlT_E0_NS1_11comp_targetILNS1_3genE5ELNS1_11target_archE942ELNS1_3gpuE9ELNS1_3repE0EEENS1_30default_config_static_selectorELNS0_4arch9wavefront6targetE0EEEvS14_
	.globl	_ZN7rocprim17ROCPRIM_400000_NS6detail17trampoline_kernelINS0_14default_configENS1_22reduce_config_selectorIN6thrust23THRUST_200600_302600_NS5tupleIblNS6_9null_typeES8_S8_S8_S8_S8_S8_S8_EEEEZNS1_11reduce_implILb1ES3_NS6_12zip_iteratorINS7_INS6_11hip_rocprim26transform_input_iterator_tIbNSD_35transform_pair_of_input_iterators_tIbNS6_6detail15normal_iteratorINS6_10device_ptrIKbEEEESL_NS6_8equal_toIbEEEENSG_9not_fun_tINSD_8identityEEEEENSD_19counting_iterator_tIlEES8_S8_S8_S8_S8_S8_S8_S8_EEEEPS9_S9_NSD_9__find_if7functorIS9_EEEE10hipError_tPvRmT1_T2_T3_mT4_P12ihipStream_tbEUlT_E0_NS1_11comp_targetILNS1_3genE5ELNS1_11target_archE942ELNS1_3gpuE9ELNS1_3repE0EEENS1_30default_config_static_selectorELNS0_4arch9wavefront6targetE0EEEvS14_
	.p2align	8
	.type	_ZN7rocprim17ROCPRIM_400000_NS6detail17trampoline_kernelINS0_14default_configENS1_22reduce_config_selectorIN6thrust23THRUST_200600_302600_NS5tupleIblNS6_9null_typeES8_S8_S8_S8_S8_S8_S8_EEEEZNS1_11reduce_implILb1ES3_NS6_12zip_iteratorINS7_INS6_11hip_rocprim26transform_input_iterator_tIbNSD_35transform_pair_of_input_iterators_tIbNS6_6detail15normal_iteratorINS6_10device_ptrIKbEEEESL_NS6_8equal_toIbEEEENSG_9not_fun_tINSD_8identityEEEEENSD_19counting_iterator_tIlEES8_S8_S8_S8_S8_S8_S8_S8_EEEEPS9_S9_NSD_9__find_if7functorIS9_EEEE10hipError_tPvRmT1_T2_T3_mT4_P12ihipStream_tbEUlT_E0_NS1_11comp_targetILNS1_3genE5ELNS1_11target_archE942ELNS1_3gpuE9ELNS1_3repE0EEENS1_30default_config_static_selectorELNS0_4arch9wavefront6targetE0EEEvS14_,@function
_ZN7rocprim17ROCPRIM_400000_NS6detail17trampoline_kernelINS0_14default_configENS1_22reduce_config_selectorIN6thrust23THRUST_200600_302600_NS5tupleIblNS6_9null_typeES8_S8_S8_S8_S8_S8_S8_EEEEZNS1_11reduce_implILb1ES3_NS6_12zip_iteratorINS7_INS6_11hip_rocprim26transform_input_iterator_tIbNSD_35transform_pair_of_input_iterators_tIbNS6_6detail15normal_iteratorINS6_10device_ptrIKbEEEESL_NS6_8equal_toIbEEEENSG_9not_fun_tINSD_8identityEEEEENSD_19counting_iterator_tIlEES8_S8_S8_S8_S8_S8_S8_S8_EEEEPS9_S9_NSD_9__find_if7functorIS9_EEEE10hipError_tPvRmT1_T2_T3_mT4_P12ihipStream_tbEUlT_E0_NS1_11comp_targetILNS1_3genE5ELNS1_11target_archE942ELNS1_3gpuE9ELNS1_3repE0EEENS1_30default_config_static_selectorELNS0_4arch9wavefront6targetE0EEEvS14_: ; @_ZN7rocprim17ROCPRIM_400000_NS6detail17trampoline_kernelINS0_14default_configENS1_22reduce_config_selectorIN6thrust23THRUST_200600_302600_NS5tupleIblNS6_9null_typeES8_S8_S8_S8_S8_S8_S8_EEEEZNS1_11reduce_implILb1ES3_NS6_12zip_iteratorINS7_INS6_11hip_rocprim26transform_input_iterator_tIbNSD_35transform_pair_of_input_iterators_tIbNS6_6detail15normal_iteratorINS6_10device_ptrIKbEEEESL_NS6_8equal_toIbEEEENSG_9not_fun_tINSD_8identityEEEEENSD_19counting_iterator_tIlEES8_S8_S8_S8_S8_S8_S8_S8_EEEEPS9_S9_NSD_9__find_if7functorIS9_EEEE10hipError_tPvRmT1_T2_T3_mT4_P12ihipStream_tbEUlT_E0_NS1_11comp_targetILNS1_3genE5ELNS1_11target_archE942ELNS1_3gpuE9ELNS1_3repE0EEENS1_30default_config_static_selectorELNS0_4arch9wavefront6targetE0EEEvS14_
; %bb.0:
	.section	.rodata,"a",@progbits
	.p2align	6, 0x0
	.amdhsa_kernel _ZN7rocprim17ROCPRIM_400000_NS6detail17trampoline_kernelINS0_14default_configENS1_22reduce_config_selectorIN6thrust23THRUST_200600_302600_NS5tupleIblNS6_9null_typeES8_S8_S8_S8_S8_S8_S8_EEEEZNS1_11reduce_implILb1ES3_NS6_12zip_iteratorINS7_INS6_11hip_rocprim26transform_input_iterator_tIbNSD_35transform_pair_of_input_iterators_tIbNS6_6detail15normal_iteratorINS6_10device_ptrIKbEEEESL_NS6_8equal_toIbEEEENSG_9not_fun_tINSD_8identityEEEEENSD_19counting_iterator_tIlEES8_S8_S8_S8_S8_S8_S8_S8_EEEEPS9_S9_NSD_9__find_if7functorIS9_EEEE10hipError_tPvRmT1_T2_T3_mT4_P12ihipStream_tbEUlT_E0_NS1_11comp_targetILNS1_3genE5ELNS1_11target_archE942ELNS1_3gpuE9ELNS1_3repE0EEENS1_30default_config_static_selectorELNS0_4arch9wavefront6targetE0EEEvS14_
		.amdhsa_group_segment_fixed_size 0
		.amdhsa_private_segment_fixed_size 0
		.amdhsa_kernarg_size 104
		.amdhsa_user_sgpr_count 6
		.amdhsa_user_sgpr_private_segment_buffer 1
		.amdhsa_user_sgpr_dispatch_ptr 0
		.amdhsa_user_sgpr_queue_ptr 0
		.amdhsa_user_sgpr_kernarg_segment_ptr 1
		.amdhsa_user_sgpr_dispatch_id 0
		.amdhsa_user_sgpr_flat_scratch_init 0
		.amdhsa_user_sgpr_private_segment_size 0
		.amdhsa_wavefront_size32 1
		.amdhsa_uses_dynamic_stack 0
		.amdhsa_system_sgpr_private_segment_wavefront_offset 0
		.amdhsa_system_sgpr_workgroup_id_x 1
		.amdhsa_system_sgpr_workgroup_id_y 0
		.amdhsa_system_sgpr_workgroup_id_z 0
		.amdhsa_system_sgpr_workgroup_info 0
		.amdhsa_system_vgpr_workitem_id 0
		.amdhsa_next_free_vgpr 1
		.amdhsa_next_free_sgpr 1
		.amdhsa_reserve_vcc 0
		.amdhsa_reserve_flat_scratch 0
		.amdhsa_float_round_mode_32 0
		.amdhsa_float_round_mode_16_64 0
		.amdhsa_float_denorm_mode_32 3
		.amdhsa_float_denorm_mode_16_64 3
		.amdhsa_dx10_clamp 1
		.amdhsa_ieee_mode 1
		.amdhsa_fp16_overflow 0
		.amdhsa_workgroup_processor_mode 1
		.amdhsa_memory_ordered 1
		.amdhsa_forward_progress 1
		.amdhsa_shared_vgpr_count 0
		.amdhsa_exception_fp_ieee_invalid_op 0
		.amdhsa_exception_fp_denorm_src 0
		.amdhsa_exception_fp_ieee_div_zero 0
		.amdhsa_exception_fp_ieee_overflow 0
		.amdhsa_exception_fp_ieee_underflow 0
		.amdhsa_exception_fp_ieee_inexact 0
		.amdhsa_exception_int_div_zero 0
	.end_amdhsa_kernel
	.section	.text._ZN7rocprim17ROCPRIM_400000_NS6detail17trampoline_kernelINS0_14default_configENS1_22reduce_config_selectorIN6thrust23THRUST_200600_302600_NS5tupleIblNS6_9null_typeES8_S8_S8_S8_S8_S8_S8_EEEEZNS1_11reduce_implILb1ES3_NS6_12zip_iteratorINS7_INS6_11hip_rocprim26transform_input_iterator_tIbNSD_35transform_pair_of_input_iterators_tIbNS6_6detail15normal_iteratorINS6_10device_ptrIKbEEEESL_NS6_8equal_toIbEEEENSG_9not_fun_tINSD_8identityEEEEENSD_19counting_iterator_tIlEES8_S8_S8_S8_S8_S8_S8_S8_EEEEPS9_S9_NSD_9__find_if7functorIS9_EEEE10hipError_tPvRmT1_T2_T3_mT4_P12ihipStream_tbEUlT_E0_NS1_11comp_targetILNS1_3genE5ELNS1_11target_archE942ELNS1_3gpuE9ELNS1_3repE0EEENS1_30default_config_static_selectorELNS0_4arch9wavefront6targetE0EEEvS14_,"axG",@progbits,_ZN7rocprim17ROCPRIM_400000_NS6detail17trampoline_kernelINS0_14default_configENS1_22reduce_config_selectorIN6thrust23THRUST_200600_302600_NS5tupleIblNS6_9null_typeES8_S8_S8_S8_S8_S8_S8_EEEEZNS1_11reduce_implILb1ES3_NS6_12zip_iteratorINS7_INS6_11hip_rocprim26transform_input_iterator_tIbNSD_35transform_pair_of_input_iterators_tIbNS6_6detail15normal_iteratorINS6_10device_ptrIKbEEEESL_NS6_8equal_toIbEEEENSG_9not_fun_tINSD_8identityEEEEENSD_19counting_iterator_tIlEES8_S8_S8_S8_S8_S8_S8_S8_EEEEPS9_S9_NSD_9__find_if7functorIS9_EEEE10hipError_tPvRmT1_T2_T3_mT4_P12ihipStream_tbEUlT_E0_NS1_11comp_targetILNS1_3genE5ELNS1_11target_archE942ELNS1_3gpuE9ELNS1_3repE0EEENS1_30default_config_static_selectorELNS0_4arch9wavefront6targetE0EEEvS14_,comdat
.Lfunc_end744:
	.size	_ZN7rocprim17ROCPRIM_400000_NS6detail17trampoline_kernelINS0_14default_configENS1_22reduce_config_selectorIN6thrust23THRUST_200600_302600_NS5tupleIblNS6_9null_typeES8_S8_S8_S8_S8_S8_S8_EEEEZNS1_11reduce_implILb1ES3_NS6_12zip_iteratorINS7_INS6_11hip_rocprim26transform_input_iterator_tIbNSD_35transform_pair_of_input_iterators_tIbNS6_6detail15normal_iteratorINS6_10device_ptrIKbEEEESL_NS6_8equal_toIbEEEENSG_9not_fun_tINSD_8identityEEEEENSD_19counting_iterator_tIlEES8_S8_S8_S8_S8_S8_S8_S8_EEEEPS9_S9_NSD_9__find_if7functorIS9_EEEE10hipError_tPvRmT1_T2_T3_mT4_P12ihipStream_tbEUlT_E0_NS1_11comp_targetILNS1_3genE5ELNS1_11target_archE942ELNS1_3gpuE9ELNS1_3repE0EEENS1_30default_config_static_selectorELNS0_4arch9wavefront6targetE0EEEvS14_, .Lfunc_end744-_ZN7rocprim17ROCPRIM_400000_NS6detail17trampoline_kernelINS0_14default_configENS1_22reduce_config_selectorIN6thrust23THRUST_200600_302600_NS5tupleIblNS6_9null_typeES8_S8_S8_S8_S8_S8_S8_EEEEZNS1_11reduce_implILb1ES3_NS6_12zip_iteratorINS7_INS6_11hip_rocprim26transform_input_iterator_tIbNSD_35transform_pair_of_input_iterators_tIbNS6_6detail15normal_iteratorINS6_10device_ptrIKbEEEESL_NS6_8equal_toIbEEEENSG_9not_fun_tINSD_8identityEEEEENSD_19counting_iterator_tIlEES8_S8_S8_S8_S8_S8_S8_S8_EEEEPS9_S9_NSD_9__find_if7functorIS9_EEEE10hipError_tPvRmT1_T2_T3_mT4_P12ihipStream_tbEUlT_E0_NS1_11comp_targetILNS1_3genE5ELNS1_11target_archE942ELNS1_3gpuE9ELNS1_3repE0EEENS1_30default_config_static_selectorELNS0_4arch9wavefront6targetE0EEEvS14_
                                        ; -- End function
	.set _ZN7rocprim17ROCPRIM_400000_NS6detail17trampoline_kernelINS0_14default_configENS1_22reduce_config_selectorIN6thrust23THRUST_200600_302600_NS5tupleIblNS6_9null_typeES8_S8_S8_S8_S8_S8_S8_EEEEZNS1_11reduce_implILb1ES3_NS6_12zip_iteratorINS7_INS6_11hip_rocprim26transform_input_iterator_tIbNSD_35transform_pair_of_input_iterators_tIbNS6_6detail15normal_iteratorINS6_10device_ptrIKbEEEESL_NS6_8equal_toIbEEEENSG_9not_fun_tINSD_8identityEEEEENSD_19counting_iterator_tIlEES8_S8_S8_S8_S8_S8_S8_S8_EEEEPS9_S9_NSD_9__find_if7functorIS9_EEEE10hipError_tPvRmT1_T2_T3_mT4_P12ihipStream_tbEUlT_E0_NS1_11comp_targetILNS1_3genE5ELNS1_11target_archE942ELNS1_3gpuE9ELNS1_3repE0EEENS1_30default_config_static_selectorELNS0_4arch9wavefront6targetE0EEEvS14_.num_vgpr, 0
	.set _ZN7rocprim17ROCPRIM_400000_NS6detail17trampoline_kernelINS0_14default_configENS1_22reduce_config_selectorIN6thrust23THRUST_200600_302600_NS5tupleIblNS6_9null_typeES8_S8_S8_S8_S8_S8_S8_EEEEZNS1_11reduce_implILb1ES3_NS6_12zip_iteratorINS7_INS6_11hip_rocprim26transform_input_iterator_tIbNSD_35transform_pair_of_input_iterators_tIbNS6_6detail15normal_iteratorINS6_10device_ptrIKbEEEESL_NS6_8equal_toIbEEEENSG_9not_fun_tINSD_8identityEEEEENSD_19counting_iterator_tIlEES8_S8_S8_S8_S8_S8_S8_S8_EEEEPS9_S9_NSD_9__find_if7functorIS9_EEEE10hipError_tPvRmT1_T2_T3_mT4_P12ihipStream_tbEUlT_E0_NS1_11comp_targetILNS1_3genE5ELNS1_11target_archE942ELNS1_3gpuE9ELNS1_3repE0EEENS1_30default_config_static_selectorELNS0_4arch9wavefront6targetE0EEEvS14_.num_agpr, 0
	.set _ZN7rocprim17ROCPRIM_400000_NS6detail17trampoline_kernelINS0_14default_configENS1_22reduce_config_selectorIN6thrust23THRUST_200600_302600_NS5tupleIblNS6_9null_typeES8_S8_S8_S8_S8_S8_S8_EEEEZNS1_11reduce_implILb1ES3_NS6_12zip_iteratorINS7_INS6_11hip_rocprim26transform_input_iterator_tIbNSD_35transform_pair_of_input_iterators_tIbNS6_6detail15normal_iteratorINS6_10device_ptrIKbEEEESL_NS6_8equal_toIbEEEENSG_9not_fun_tINSD_8identityEEEEENSD_19counting_iterator_tIlEES8_S8_S8_S8_S8_S8_S8_S8_EEEEPS9_S9_NSD_9__find_if7functorIS9_EEEE10hipError_tPvRmT1_T2_T3_mT4_P12ihipStream_tbEUlT_E0_NS1_11comp_targetILNS1_3genE5ELNS1_11target_archE942ELNS1_3gpuE9ELNS1_3repE0EEENS1_30default_config_static_selectorELNS0_4arch9wavefront6targetE0EEEvS14_.numbered_sgpr, 0
	.set _ZN7rocprim17ROCPRIM_400000_NS6detail17trampoline_kernelINS0_14default_configENS1_22reduce_config_selectorIN6thrust23THRUST_200600_302600_NS5tupleIblNS6_9null_typeES8_S8_S8_S8_S8_S8_S8_EEEEZNS1_11reduce_implILb1ES3_NS6_12zip_iteratorINS7_INS6_11hip_rocprim26transform_input_iterator_tIbNSD_35transform_pair_of_input_iterators_tIbNS6_6detail15normal_iteratorINS6_10device_ptrIKbEEEESL_NS6_8equal_toIbEEEENSG_9not_fun_tINSD_8identityEEEEENSD_19counting_iterator_tIlEES8_S8_S8_S8_S8_S8_S8_S8_EEEEPS9_S9_NSD_9__find_if7functorIS9_EEEE10hipError_tPvRmT1_T2_T3_mT4_P12ihipStream_tbEUlT_E0_NS1_11comp_targetILNS1_3genE5ELNS1_11target_archE942ELNS1_3gpuE9ELNS1_3repE0EEENS1_30default_config_static_selectorELNS0_4arch9wavefront6targetE0EEEvS14_.num_named_barrier, 0
	.set _ZN7rocprim17ROCPRIM_400000_NS6detail17trampoline_kernelINS0_14default_configENS1_22reduce_config_selectorIN6thrust23THRUST_200600_302600_NS5tupleIblNS6_9null_typeES8_S8_S8_S8_S8_S8_S8_EEEEZNS1_11reduce_implILb1ES3_NS6_12zip_iteratorINS7_INS6_11hip_rocprim26transform_input_iterator_tIbNSD_35transform_pair_of_input_iterators_tIbNS6_6detail15normal_iteratorINS6_10device_ptrIKbEEEESL_NS6_8equal_toIbEEEENSG_9not_fun_tINSD_8identityEEEEENSD_19counting_iterator_tIlEES8_S8_S8_S8_S8_S8_S8_S8_EEEEPS9_S9_NSD_9__find_if7functorIS9_EEEE10hipError_tPvRmT1_T2_T3_mT4_P12ihipStream_tbEUlT_E0_NS1_11comp_targetILNS1_3genE5ELNS1_11target_archE942ELNS1_3gpuE9ELNS1_3repE0EEENS1_30default_config_static_selectorELNS0_4arch9wavefront6targetE0EEEvS14_.private_seg_size, 0
	.set _ZN7rocprim17ROCPRIM_400000_NS6detail17trampoline_kernelINS0_14default_configENS1_22reduce_config_selectorIN6thrust23THRUST_200600_302600_NS5tupleIblNS6_9null_typeES8_S8_S8_S8_S8_S8_S8_EEEEZNS1_11reduce_implILb1ES3_NS6_12zip_iteratorINS7_INS6_11hip_rocprim26transform_input_iterator_tIbNSD_35transform_pair_of_input_iterators_tIbNS6_6detail15normal_iteratorINS6_10device_ptrIKbEEEESL_NS6_8equal_toIbEEEENSG_9not_fun_tINSD_8identityEEEEENSD_19counting_iterator_tIlEES8_S8_S8_S8_S8_S8_S8_S8_EEEEPS9_S9_NSD_9__find_if7functorIS9_EEEE10hipError_tPvRmT1_T2_T3_mT4_P12ihipStream_tbEUlT_E0_NS1_11comp_targetILNS1_3genE5ELNS1_11target_archE942ELNS1_3gpuE9ELNS1_3repE0EEENS1_30default_config_static_selectorELNS0_4arch9wavefront6targetE0EEEvS14_.uses_vcc, 0
	.set _ZN7rocprim17ROCPRIM_400000_NS6detail17trampoline_kernelINS0_14default_configENS1_22reduce_config_selectorIN6thrust23THRUST_200600_302600_NS5tupleIblNS6_9null_typeES8_S8_S8_S8_S8_S8_S8_EEEEZNS1_11reduce_implILb1ES3_NS6_12zip_iteratorINS7_INS6_11hip_rocprim26transform_input_iterator_tIbNSD_35transform_pair_of_input_iterators_tIbNS6_6detail15normal_iteratorINS6_10device_ptrIKbEEEESL_NS6_8equal_toIbEEEENSG_9not_fun_tINSD_8identityEEEEENSD_19counting_iterator_tIlEES8_S8_S8_S8_S8_S8_S8_S8_EEEEPS9_S9_NSD_9__find_if7functorIS9_EEEE10hipError_tPvRmT1_T2_T3_mT4_P12ihipStream_tbEUlT_E0_NS1_11comp_targetILNS1_3genE5ELNS1_11target_archE942ELNS1_3gpuE9ELNS1_3repE0EEENS1_30default_config_static_selectorELNS0_4arch9wavefront6targetE0EEEvS14_.uses_flat_scratch, 0
	.set _ZN7rocprim17ROCPRIM_400000_NS6detail17trampoline_kernelINS0_14default_configENS1_22reduce_config_selectorIN6thrust23THRUST_200600_302600_NS5tupleIblNS6_9null_typeES8_S8_S8_S8_S8_S8_S8_EEEEZNS1_11reduce_implILb1ES3_NS6_12zip_iteratorINS7_INS6_11hip_rocprim26transform_input_iterator_tIbNSD_35transform_pair_of_input_iterators_tIbNS6_6detail15normal_iteratorINS6_10device_ptrIKbEEEESL_NS6_8equal_toIbEEEENSG_9not_fun_tINSD_8identityEEEEENSD_19counting_iterator_tIlEES8_S8_S8_S8_S8_S8_S8_S8_EEEEPS9_S9_NSD_9__find_if7functorIS9_EEEE10hipError_tPvRmT1_T2_T3_mT4_P12ihipStream_tbEUlT_E0_NS1_11comp_targetILNS1_3genE5ELNS1_11target_archE942ELNS1_3gpuE9ELNS1_3repE0EEENS1_30default_config_static_selectorELNS0_4arch9wavefront6targetE0EEEvS14_.has_dyn_sized_stack, 0
	.set _ZN7rocprim17ROCPRIM_400000_NS6detail17trampoline_kernelINS0_14default_configENS1_22reduce_config_selectorIN6thrust23THRUST_200600_302600_NS5tupleIblNS6_9null_typeES8_S8_S8_S8_S8_S8_S8_EEEEZNS1_11reduce_implILb1ES3_NS6_12zip_iteratorINS7_INS6_11hip_rocprim26transform_input_iterator_tIbNSD_35transform_pair_of_input_iterators_tIbNS6_6detail15normal_iteratorINS6_10device_ptrIKbEEEESL_NS6_8equal_toIbEEEENSG_9not_fun_tINSD_8identityEEEEENSD_19counting_iterator_tIlEES8_S8_S8_S8_S8_S8_S8_S8_EEEEPS9_S9_NSD_9__find_if7functorIS9_EEEE10hipError_tPvRmT1_T2_T3_mT4_P12ihipStream_tbEUlT_E0_NS1_11comp_targetILNS1_3genE5ELNS1_11target_archE942ELNS1_3gpuE9ELNS1_3repE0EEENS1_30default_config_static_selectorELNS0_4arch9wavefront6targetE0EEEvS14_.has_recursion, 0
	.set _ZN7rocprim17ROCPRIM_400000_NS6detail17trampoline_kernelINS0_14default_configENS1_22reduce_config_selectorIN6thrust23THRUST_200600_302600_NS5tupleIblNS6_9null_typeES8_S8_S8_S8_S8_S8_S8_EEEEZNS1_11reduce_implILb1ES3_NS6_12zip_iteratorINS7_INS6_11hip_rocprim26transform_input_iterator_tIbNSD_35transform_pair_of_input_iterators_tIbNS6_6detail15normal_iteratorINS6_10device_ptrIKbEEEESL_NS6_8equal_toIbEEEENSG_9not_fun_tINSD_8identityEEEEENSD_19counting_iterator_tIlEES8_S8_S8_S8_S8_S8_S8_S8_EEEEPS9_S9_NSD_9__find_if7functorIS9_EEEE10hipError_tPvRmT1_T2_T3_mT4_P12ihipStream_tbEUlT_E0_NS1_11comp_targetILNS1_3genE5ELNS1_11target_archE942ELNS1_3gpuE9ELNS1_3repE0EEENS1_30default_config_static_selectorELNS0_4arch9wavefront6targetE0EEEvS14_.has_indirect_call, 0
	.section	.AMDGPU.csdata,"",@progbits
; Kernel info:
; codeLenInByte = 0
; TotalNumSgprs: 0
; NumVgprs: 0
; ScratchSize: 0
; MemoryBound: 0
; FloatMode: 240
; IeeeMode: 1
; LDSByteSize: 0 bytes/workgroup (compile time only)
; SGPRBlocks: 0
; VGPRBlocks: 0
; NumSGPRsForWavesPerEU: 1
; NumVGPRsForWavesPerEU: 1
; Occupancy: 16
; WaveLimiterHint : 0
; COMPUTE_PGM_RSRC2:SCRATCH_EN: 0
; COMPUTE_PGM_RSRC2:USER_SGPR: 6
; COMPUTE_PGM_RSRC2:TRAP_HANDLER: 0
; COMPUTE_PGM_RSRC2:TGID_X_EN: 1
; COMPUTE_PGM_RSRC2:TGID_Y_EN: 0
; COMPUTE_PGM_RSRC2:TGID_Z_EN: 0
; COMPUTE_PGM_RSRC2:TIDIG_COMP_CNT: 0
	.section	.text._ZN7rocprim17ROCPRIM_400000_NS6detail17trampoline_kernelINS0_14default_configENS1_22reduce_config_selectorIN6thrust23THRUST_200600_302600_NS5tupleIblNS6_9null_typeES8_S8_S8_S8_S8_S8_S8_EEEEZNS1_11reduce_implILb1ES3_NS6_12zip_iteratorINS7_INS6_11hip_rocprim26transform_input_iterator_tIbNSD_35transform_pair_of_input_iterators_tIbNS6_6detail15normal_iteratorINS6_10device_ptrIKbEEEESL_NS6_8equal_toIbEEEENSG_9not_fun_tINSD_8identityEEEEENSD_19counting_iterator_tIlEES8_S8_S8_S8_S8_S8_S8_S8_EEEEPS9_S9_NSD_9__find_if7functorIS9_EEEE10hipError_tPvRmT1_T2_T3_mT4_P12ihipStream_tbEUlT_E0_NS1_11comp_targetILNS1_3genE4ELNS1_11target_archE910ELNS1_3gpuE8ELNS1_3repE0EEENS1_30default_config_static_selectorELNS0_4arch9wavefront6targetE0EEEvS14_,"axG",@progbits,_ZN7rocprim17ROCPRIM_400000_NS6detail17trampoline_kernelINS0_14default_configENS1_22reduce_config_selectorIN6thrust23THRUST_200600_302600_NS5tupleIblNS6_9null_typeES8_S8_S8_S8_S8_S8_S8_EEEEZNS1_11reduce_implILb1ES3_NS6_12zip_iteratorINS7_INS6_11hip_rocprim26transform_input_iterator_tIbNSD_35transform_pair_of_input_iterators_tIbNS6_6detail15normal_iteratorINS6_10device_ptrIKbEEEESL_NS6_8equal_toIbEEEENSG_9not_fun_tINSD_8identityEEEEENSD_19counting_iterator_tIlEES8_S8_S8_S8_S8_S8_S8_S8_EEEEPS9_S9_NSD_9__find_if7functorIS9_EEEE10hipError_tPvRmT1_T2_T3_mT4_P12ihipStream_tbEUlT_E0_NS1_11comp_targetILNS1_3genE4ELNS1_11target_archE910ELNS1_3gpuE8ELNS1_3repE0EEENS1_30default_config_static_selectorELNS0_4arch9wavefront6targetE0EEEvS14_,comdat
	.protected	_ZN7rocprim17ROCPRIM_400000_NS6detail17trampoline_kernelINS0_14default_configENS1_22reduce_config_selectorIN6thrust23THRUST_200600_302600_NS5tupleIblNS6_9null_typeES8_S8_S8_S8_S8_S8_S8_EEEEZNS1_11reduce_implILb1ES3_NS6_12zip_iteratorINS7_INS6_11hip_rocprim26transform_input_iterator_tIbNSD_35transform_pair_of_input_iterators_tIbNS6_6detail15normal_iteratorINS6_10device_ptrIKbEEEESL_NS6_8equal_toIbEEEENSG_9not_fun_tINSD_8identityEEEEENSD_19counting_iterator_tIlEES8_S8_S8_S8_S8_S8_S8_S8_EEEEPS9_S9_NSD_9__find_if7functorIS9_EEEE10hipError_tPvRmT1_T2_T3_mT4_P12ihipStream_tbEUlT_E0_NS1_11comp_targetILNS1_3genE4ELNS1_11target_archE910ELNS1_3gpuE8ELNS1_3repE0EEENS1_30default_config_static_selectorELNS0_4arch9wavefront6targetE0EEEvS14_ ; -- Begin function _ZN7rocprim17ROCPRIM_400000_NS6detail17trampoline_kernelINS0_14default_configENS1_22reduce_config_selectorIN6thrust23THRUST_200600_302600_NS5tupleIblNS6_9null_typeES8_S8_S8_S8_S8_S8_S8_EEEEZNS1_11reduce_implILb1ES3_NS6_12zip_iteratorINS7_INS6_11hip_rocprim26transform_input_iterator_tIbNSD_35transform_pair_of_input_iterators_tIbNS6_6detail15normal_iteratorINS6_10device_ptrIKbEEEESL_NS6_8equal_toIbEEEENSG_9not_fun_tINSD_8identityEEEEENSD_19counting_iterator_tIlEES8_S8_S8_S8_S8_S8_S8_S8_EEEEPS9_S9_NSD_9__find_if7functorIS9_EEEE10hipError_tPvRmT1_T2_T3_mT4_P12ihipStream_tbEUlT_E0_NS1_11comp_targetILNS1_3genE4ELNS1_11target_archE910ELNS1_3gpuE8ELNS1_3repE0EEENS1_30default_config_static_selectorELNS0_4arch9wavefront6targetE0EEEvS14_
	.globl	_ZN7rocprim17ROCPRIM_400000_NS6detail17trampoline_kernelINS0_14default_configENS1_22reduce_config_selectorIN6thrust23THRUST_200600_302600_NS5tupleIblNS6_9null_typeES8_S8_S8_S8_S8_S8_S8_EEEEZNS1_11reduce_implILb1ES3_NS6_12zip_iteratorINS7_INS6_11hip_rocprim26transform_input_iterator_tIbNSD_35transform_pair_of_input_iterators_tIbNS6_6detail15normal_iteratorINS6_10device_ptrIKbEEEESL_NS6_8equal_toIbEEEENSG_9not_fun_tINSD_8identityEEEEENSD_19counting_iterator_tIlEES8_S8_S8_S8_S8_S8_S8_S8_EEEEPS9_S9_NSD_9__find_if7functorIS9_EEEE10hipError_tPvRmT1_T2_T3_mT4_P12ihipStream_tbEUlT_E0_NS1_11comp_targetILNS1_3genE4ELNS1_11target_archE910ELNS1_3gpuE8ELNS1_3repE0EEENS1_30default_config_static_selectorELNS0_4arch9wavefront6targetE0EEEvS14_
	.p2align	8
	.type	_ZN7rocprim17ROCPRIM_400000_NS6detail17trampoline_kernelINS0_14default_configENS1_22reduce_config_selectorIN6thrust23THRUST_200600_302600_NS5tupleIblNS6_9null_typeES8_S8_S8_S8_S8_S8_S8_EEEEZNS1_11reduce_implILb1ES3_NS6_12zip_iteratorINS7_INS6_11hip_rocprim26transform_input_iterator_tIbNSD_35transform_pair_of_input_iterators_tIbNS6_6detail15normal_iteratorINS6_10device_ptrIKbEEEESL_NS6_8equal_toIbEEEENSG_9not_fun_tINSD_8identityEEEEENSD_19counting_iterator_tIlEES8_S8_S8_S8_S8_S8_S8_S8_EEEEPS9_S9_NSD_9__find_if7functorIS9_EEEE10hipError_tPvRmT1_T2_T3_mT4_P12ihipStream_tbEUlT_E0_NS1_11comp_targetILNS1_3genE4ELNS1_11target_archE910ELNS1_3gpuE8ELNS1_3repE0EEENS1_30default_config_static_selectorELNS0_4arch9wavefront6targetE0EEEvS14_,@function
_ZN7rocprim17ROCPRIM_400000_NS6detail17trampoline_kernelINS0_14default_configENS1_22reduce_config_selectorIN6thrust23THRUST_200600_302600_NS5tupleIblNS6_9null_typeES8_S8_S8_S8_S8_S8_S8_EEEEZNS1_11reduce_implILb1ES3_NS6_12zip_iteratorINS7_INS6_11hip_rocprim26transform_input_iterator_tIbNSD_35transform_pair_of_input_iterators_tIbNS6_6detail15normal_iteratorINS6_10device_ptrIKbEEEESL_NS6_8equal_toIbEEEENSG_9not_fun_tINSD_8identityEEEEENSD_19counting_iterator_tIlEES8_S8_S8_S8_S8_S8_S8_S8_EEEEPS9_S9_NSD_9__find_if7functorIS9_EEEE10hipError_tPvRmT1_T2_T3_mT4_P12ihipStream_tbEUlT_E0_NS1_11comp_targetILNS1_3genE4ELNS1_11target_archE910ELNS1_3gpuE8ELNS1_3repE0EEENS1_30default_config_static_selectorELNS0_4arch9wavefront6targetE0EEEvS14_: ; @_ZN7rocprim17ROCPRIM_400000_NS6detail17trampoline_kernelINS0_14default_configENS1_22reduce_config_selectorIN6thrust23THRUST_200600_302600_NS5tupleIblNS6_9null_typeES8_S8_S8_S8_S8_S8_S8_EEEEZNS1_11reduce_implILb1ES3_NS6_12zip_iteratorINS7_INS6_11hip_rocprim26transform_input_iterator_tIbNSD_35transform_pair_of_input_iterators_tIbNS6_6detail15normal_iteratorINS6_10device_ptrIKbEEEESL_NS6_8equal_toIbEEEENSG_9not_fun_tINSD_8identityEEEEENSD_19counting_iterator_tIlEES8_S8_S8_S8_S8_S8_S8_S8_EEEEPS9_S9_NSD_9__find_if7functorIS9_EEEE10hipError_tPvRmT1_T2_T3_mT4_P12ihipStream_tbEUlT_E0_NS1_11comp_targetILNS1_3genE4ELNS1_11target_archE910ELNS1_3gpuE8ELNS1_3repE0EEENS1_30default_config_static_selectorELNS0_4arch9wavefront6targetE0EEEvS14_
; %bb.0:
	.section	.rodata,"a",@progbits
	.p2align	6, 0x0
	.amdhsa_kernel _ZN7rocprim17ROCPRIM_400000_NS6detail17trampoline_kernelINS0_14default_configENS1_22reduce_config_selectorIN6thrust23THRUST_200600_302600_NS5tupleIblNS6_9null_typeES8_S8_S8_S8_S8_S8_S8_EEEEZNS1_11reduce_implILb1ES3_NS6_12zip_iteratorINS7_INS6_11hip_rocprim26transform_input_iterator_tIbNSD_35transform_pair_of_input_iterators_tIbNS6_6detail15normal_iteratorINS6_10device_ptrIKbEEEESL_NS6_8equal_toIbEEEENSG_9not_fun_tINSD_8identityEEEEENSD_19counting_iterator_tIlEES8_S8_S8_S8_S8_S8_S8_S8_EEEEPS9_S9_NSD_9__find_if7functorIS9_EEEE10hipError_tPvRmT1_T2_T3_mT4_P12ihipStream_tbEUlT_E0_NS1_11comp_targetILNS1_3genE4ELNS1_11target_archE910ELNS1_3gpuE8ELNS1_3repE0EEENS1_30default_config_static_selectorELNS0_4arch9wavefront6targetE0EEEvS14_
		.amdhsa_group_segment_fixed_size 0
		.amdhsa_private_segment_fixed_size 0
		.amdhsa_kernarg_size 104
		.amdhsa_user_sgpr_count 6
		.amdhsa_user_sgpr_private_segment_buffer 1
		.amdhsa_user_sgpr_dispatch_ptr 0
		.amdhsa_user_sgpr_queue_ptr 0
		.amdhsa_user_sgpr_kernarg_segment_ptr 1
		.amdhsa_user_sgpr_dispatch_id 0
		.amdhsa_user_sgpr_flat_scratch_init 0
		.amdhsa_user_sgpr_private_segment_size 0
		.amdhsa_wavefront_size32 1
		.amdhsa_uses_dynamic_stack 0
		.amdhsa_system_sgpr_private_segment_wavefront_offset 0
		.amdhsa_system_sgpr_workgroup_id_x 1
		.amdhsa_system_sgpr_workgroup_id_y 0
		.amdhsa_system_sgpr_workgroup_id_z 0
		.amdhsa_system_sgpr_workgroup_info 0
		.amdhsa_system_vgpr_workitem_id 0
		.amdhsa_next_free_vgpr 1
		.amdhsa_next_free_sgpr 1
		.amdhsa_reserve_vcc 0
		.amdhsa_reserve_flat_scratch 0
		.amdhsa_float_round_mode_32 0
		.amdhsa_float_round_mode_16_64 0
		.amdhsa_float_denorm_mode_32 3
		.amdhsa_float_denorm_mode_16_64 3
		.amdhsa_dx10_clamp 1
		.amdhsa_ieee_mode 1
		.amdhsa_fp16_overflow 0
		.amdhsa_workgroup_processor_mode 1
		.amdhsa_memory_ordered 1
		.amdhsa_forward_progress 1
		.amdhsa_shared_vgpr_count 0
		.amdhsa_exception_fp_ieee_invalid_op 0
		.amdhsa_exception_fp_denorm_src 0
		.amdhsa_exception_fp_ieee_div_zero 0
		.amdhsa_exception_fp_ieee_overflow 0
		.amdhsa_exception_fp_ieee_underflow 0
		.amdhsa_exception_fp_ieee_inexact 0
		.amdhsa_exception_int_div_zero 0
	.end_amdhsa_kernel
	.section	.text._ZN7rocprim17ROCPRIM_400000_NS6detail17trampoline_kernelINS0_14default_configENS1_22reduce_config_selectorIN6thrust23THRUST_200600_302600_NS5tupleIblNS6_9null_typeES8_S8_S8_S8_S8_S8_S8_EEEEZNS1_11reduce_implILb1ES3_NS6_12zip_iteratorINS7_INS6_11hip_rocprim26transform_input_iterator_tIbNSD_35transform_pair_of_input_iterators_tIbNS6_6detail15normal_iteratorINS6_10device_ptrIKbEEEESL_NS6_8equal_toIbEEEENSG_9not_fun_tINSD_8identityEEEEENSD_19counting_iterator_tIlEES8_S8_S8_S8_S8_S8_S8_S8_EEEEPS9_S9_NSD_9__find_if7functorIS9_EEEE10hipError_tPvRmT1_T2_T3_mT4_P12ihipStream_tbEUlT_E0_NS1_11comp_targetILNS1_3genE4ELNS1_11target_archE910ELNS1_3gpuE8ELNS1_3repE0EEENS1_30default_config_static_selectorELNS0_4arch9wavefront6targetE0EEEvS14_,"axG",@progbits,_ZN7rocprim17ROCPRIM_400000_NS6detail17trampoline_kernelINS0_14default_configENS1_22reduce_config_selectorIN6thrust23THRUST_200600_302600_NS5tupleIblNS6_9null_typeES8_S8_S8_S8_S8_S8_S8_EEEEZNS1_11reduce_implILb1ES3_NS6_12zip_iteratorINS7_INS6_11hip_rocprim26transform_input_iterator_tIbNSD_35transform_pair_of_input_iterators_tIbNS6_6detail15normal_iteratorINS6_10device_ptrIKbEEEESL_NS6_8equal_toIbEEEENSG_9not_fun_tINSD_8identityEEEEENSD_19counting_iterator_tIlEES8_S8_S8_S8_S8_S8_S8_S8_EEEEPS9_S9_NSD_9__find_if7functorIS9_EEEE10hipError_tPvRmT1_T2_T3_mT4_P12ihipStream_tbEUlT_E0_NS1_11comp_targetILNS1_3genE4ELNS1_11target_archE910ELNS1_3gpuE8ELNS1_3repE0EEENS1_30default_config_static_selectorELNS0_4arch9wavefront6targetE0EEEvS14_,comdat
.Lfunc_end745:
	.size	_ZN7rocprim17ROCPRIM_400000_NS6detail17trampoline_kernelINS0_14default_configENS1_22reduce_config_selectorIN6thrust23THRUST_200600_302600_NS5tupleIblNS6_9null_typeES8_S8_S8_S8_S8_S8_S8_EEEEZNS1_11reduce_implILb1ES3_NS6_12zip_iteratorINS7_INS6_11hip_rocprim26transform_input_iterator_tIbNSD_35transform_pair_of_input_iterators_tIbNS6_6detail15normal_iteratorINS6_10device_ptrIKbEEEESL_NS6_8equal_toIbEEEENSG_9not_fun_tINSD_8identityEEEEENSD_19counting_iterator_tIlEES8_S8_S8_S8_S8_S8_S8_S8_EEEEPS9_S9_NSD_9__find_if7functorIS9_EEEE10hipError_tPvRmT1_T2_T3_mT4_P12ihipStream_tbEUlT_E0_NS1_11comp_targetILNS1_3genE4ELNS1_11target_archE910ELNS1_3gpuE8ELNS1_3repE0EEENS1_30default_config_static_selectorELNS0_4arch9wavefront6targetE0EEEvS14_, .Lfunc_end745-_ZN7rocprim17ROCPRIM_400000_NS6detail17trampoline_kernelINS0_14default_configENS1_22reduce_config_selectorIN6thrust23THRUST_200600_302600_NS5tupleIblNS6_9null_typeES8_S8_S8_S8_S8_S8_S8_EEEEZNS1_11reduce_implILb1ES3_NS6_12zip_iteratorINS7_INS6_11hip_rocprim26transform_input_iterator_tIbNSD_35transform_pair_of_input_iterators_tIbNS6_6detail15normal_iteratorINS6_10device_ptrIKbEEEESL_NS6_8equal_toIbEEEENSG_9not_fun_tINSD_8identityEEEEENSD_19counting_iterator_tIlEES8_S8_S8_S8_S8_S8_S8_S8_EEEEPS9_S9_NSD_9__find_if7functorIS9_EEEE10hipError_tPvRmT1_T2_T3_mT4_P12ihipStream_tbEUlT_E0_NS1_11comp_targetILNS1_3genE4ELNS1_11target_archE910ELNS1_3gpuE8ELNS1_3repE0EEENS1_30default_config_static_selectorELNS0_4arch9wavefront6targetE0EEEvS14_
                                        ; -- End function
	.set _ZN7rocprim17ROCPRIM_400000_NS6detail17trampoline_kernelINS0_14default_configENS1_22reduce_config_selectorIN6thrust23THRUST_200600_302600_NS5tupleIblNS6_9null_typeES8_S8_S8_S8_S8_S8_S8_EEEEZNS1_11reduce_implILb1ES3_NS6_12zip_iteratorINS7_INS6_11hip_rocprim26transform_input_iterator_tIbNSD_35transform_pair_of_input_iterators_tIbNS6_6detail15normal_iteratorINS6_10device_ptrIKbEEEESL_NS6_8equal_toIbEEEENSG_9not_fun_tINSD_8identityEEEEENSD_19counting_iterator_tIlEES8_S8_S8_S8_S8_S8_S8_S8_EEEEPS9_S9_NSD_9__find_if7functorIS9_EEEE10hipError_tPvRmT1_T2_T3_mT4_P12ihipStream_tbEUlT_E0_NS1_11comp_targetILNS1_3genE4ELNS1_11target_archE910ELNS1_3gpuE8ELNS1_3repE0EEENS1_30default_config_static_selectorELNS0_4arch9wavefront6targetE0EEEvS14_.num_vgpr, 0
	.set _ZN7rocprim17ROCPRIM_400000_NS6detail17trampoline_kernelINS0_14default_configENS1_22reduce_config_selectorIN6thrust23THRUST_200600_302600_NS5tupleIblNS6_9null_typeES8_S8_S8_S8_S8_S8_S8_EEEEZNS1_11reduce_implILb1ES3_NS6_12zip_iteratorINS7_INS6_11hip_rocprim26transform_input_iterator_tIbNSD_35transform_pair_of_input_iterators_tIbNS6_6detail15normal_iteratorINS6_10device_ptrIKbEEEESL_NS6_8equal_toIbEEEENSG_9not_fun_tINSD_8identityEEEEENSD_19counting_iterator_tIlEES8_S8_S8_S8_S8_S8_S8_S8_EEEEPS9_S9_NSD_9__find_if7functorIS9_EEEE10hipError_tPvRmT1_T2_T3_mT4_P12ihipStream_tbEUlT_E0_NS1_11comp_targetILNS1_3genE4ELNS1_11target_archE910ELNS1_3gpuE8ELNS1_3repE0EEENS1_30default_config_static_selectorELNS0_4arch9wavefront6targetE0EEEvS14_.num_agpr, 0
	.set _ZN7rocprim17ROCPRIM_400000_NS6detail17trampoline_kernelINS0_14default_configENS1_22reduce_config_selectorIN6thrust23THRUST_200600_302600_NS5tupleIblNS6_9null_typeES8_S8_S8_S8_S8_S8_S8_EEEEZNS1_11reduce_implILb1ES3_NS6_12zip_iteratorINS7_INS6_11hip_rocprim26transform_input_iterator_tIbNSD_35transform_pair_of_input_iterators_tIbNS6_6detail15normal_iteratorINS6_10device_ptrIKbEEEESL_NS6_8equal_toIbEEEENSG_9not_fun_tINSD_8identityEEEEENSD_19counting_iterator_tIlEES8_S8_S8_S8_S8_S8_S8_S8_EEEEPS9_S9_NSD_9__find_if7functorIS9_EEEE10hipError_tPvRmT1_T2_T3_mT4_P12ihipStream_tbEUlT_E0_NS1_11comp_targetILNS1_3genE4ELNS1_11target_archE910ELNS1_3gpuE8ELNS1_3repE0EEENS1_30default_config_static_selectorELNS0_4arch9wavefront6targetE0EEEvS14_.numbered_sgpr, 0
	.set _ZN7rocprim17ROCPRIM_400000_NS6detail17trampoline_kernelINS0_14default_configENS1_22reduce_config_selectorIN6thrust23THRUST_200600_302600_NS5tupleIblNS6_9null_typeES8_S8_S8_S8_S8_S8_S8_EEEEZNS1_11reduce_implILb1ES3_NS6_12zip_iteratorINS7_INS6_11hip_rocprim26transform_input_iterator_tIbNSD_35transform_pair_of_input_iterators_tIbNS6_6detail15normal_iteratorINS6_10device_ptrIKbEEEESL_NS6_8equal_toIbEEEENSG_9not_fun_tINSD_8identityEEEEENSD_19counting_iterator_tIlEES8_S8_S8_S8_S8_S8_S8_S8_EEEEPS9_S9_NSD_9__find_if7functorIS9_EEEE10hipError_tPvRmT1_T2_T3_mT4_P12ihipStream_tbEUlT_E0_NS1_11comp_targetILNS1_3genE4ELNS1_11target_archE910ELNS1_3gpuE8ELNS1_3repE0EEENS1_30default_config_static_selectorELNS0_4arch9wavefront6targetE0EEEvS14_.num_named_barrier, 0
	.set _ZN7rocprim17ROCPRIM_400000_NS6detail17trampoline_kernelINS0_14default_configENS1_22reduce_config_selectorIN6thrust23THRUST_200600_302600_NS5tupleIblNS6_9null_typeES8_S8_S8_S8_S8_S8_S8_EEEEZNS1_11reduce_implILb1ES3_NS6_12zip_iteratorINS7_INS6_11hip_rocprim26transform_input_iterator_tIbNSD_35transform_pair_of_input_iterators_tIbNS6_6detail15normal_iteratorINS6_10device_ptrIKbEEEESL_NS6_8equal_toIbEEEENSG_9not_fun_tINSD_8identityEEEEENSD_19counting_iterator_tIlEES8_S8_S8_S8_S8_S8_S8_S8_EEEEPS9_S9_NSD_9__find_if7functorIS9_EEEE10hipError_tPvRmT1_T2_T3_mT4_P12ihipStream_tbEUlT_E0_NS1_11comp_targetILNS1_3genE4ELNS1_11target_archE910ELNS1_3gpuE8ELNS1_3repE0EEENS1_30default_config_static_selectorELNS0_4arch9wavefront6targetE0EEEvS14_.private_seg_size, 0
	.set _ZN7rocprim17ROCPRIM_400000_NS6detail17trampoline_kernelINS0_14default_configENS1_22reduce_config_selectorIN6thrust23THRUST_200600_302600_NS5tupleIblNS6_9null_typeES8_S8_S8_S8_S8_S8_S8_EEEEZNS1_11reduce_implILb1ES3_NS6_12zip_iteratorINS7_INS6_11hip_rocprim26transform_input_iterator_tIbNSD_35transform_pair_of_input_iterators_tIbNS6_6detail15normal_iteratorINS6_10device_ptrIKbEEEESL_NS6_8equal_toIbEEEENSG_9not_fun_tINSD_8identityEEEEENSD_19counting_iterator_tIlEES8_S8_S8_S8_S8_S8_S8_S8_EEEEPS9_S9_NSD_9__find_if7functorIS9_EEEE10hipError_tPvRmT1_T2_T3_mT4_P12ihipStream_tbEUlT_E0_NS1_11comp_targetILNS1_3genE4ELNS1_11target_archE910ELNS1_3gpuE8ELNS1_3repE0EEENS1_30default_config_static_selectorELNS0_4arch9wavefront6targetE0EEEvS14_.uses_vcc, 0
	.set _ZN7rocprim17ROCPRIM_400000_NS6detail17trampoline_kernelINS0_14default_configENS1_22reduce_config_selectorIN6thrust23THRUST_200600_302600_NS5tupleIblNS6_9null_typeES8_S8_S8_S8_S8_S8_S8_EEEEZNS1_11reduce_implILb1ES3_NS6_12zip_iteratorINS7_INS6_11hip_rocprim26transform_input_iterator_tIbNSD_35transform_pair_of_input_iterators_tIbNS6_6detail15normal_iteratorINS6_10device_ptrIKbEEEESL_NS6_8equal_toIbEEEENSG_9not_fun_tINSD_8identityEEEEENSD_19counting_iterator_tIlEES8_S8_S8_S8_S8_S8_S8_S8_EEEEPS9_S9_NSD_9__find_if7functorIS9_EEEE10hipError_tPvRmT1_T2_T3_mT4_P12ihipStream_tbEUlT_E0_NS1_11comp_targetILNS1_3genE4ELNS1_11target_archE910ELNS1_3gpuE8ELNS1_3repE0EEENS1_30default_config_static_selectorELNS0_4arch9wavefront6targetE0EEEvS14_.uses_flat_scratch, 0
	.set _ZN7rocprim17ROCPRIM_400000_NS6detail17trampoline_kernelINS0_14default_configENS1_22reduce_config_selectorIN6thrust23THRUST_200600_302600_NS5tupleIblNS6_9null_typeES8_S8_S8_S8_S8_S8_S8_EEEEZNS1_11reduce_implILb1ES3_NS6_12zip_iteratorINS7_INS6_11hip_rocprim26transform_input_iterator_tIbNSD_35transform_pair_of_input_iterators_tIbNS6_6detail15normal_iteratorINS6_10device_ptrIKbEEEESL_NS6_8equal_toIbEEEENSG_9not_fun_tINSD_8identityEEEEENSD_19counting_iterator_tIlEES8_S8_S8_S8_S8_S8_S8_S8_EEEEPS9_S9_NSD_9__find_if7functorIS9_EEEE10hipError_tPvRmT1_T2_T3_mT4_P12ihipStream_tbEUlT_E0_NS1_11comp_targetILNS1_3genE4ELNS1_11target_archE910ELNS1_3gpuE8ELNS1_3repE0EEENS1_30default_config_static_selectorELNS0_4arch9wavefront6targetE0EEEvS14_.has_dyn_sized_stack, 0
	.set _ZN7rocprim17ROCPRIM_400000_NS6detail17trampoline_kernelINS0_14default_configENS1_22reduce_config_selectorIN6thrust23THRUST_200600_302600_NS5tupleIblNS6_9null_typeES8_S8_S8_S8_S8_S8_S8_EEEEZNS1_11reduce_implILb1ES3_NS6_12zip_iteratorINS7_INS6_11hip_rocprim26transform_input_iterator_tIbNSD_35transform_pair_of_input_iterators_tIbNS6_6detail15normal_iteratorINS6_10device_ptrIKbEEEESL_NS6_8equal_toIbEEEENSG_9not_fun_tINSD_8identityEEEEENSD_19counting_iterator_tIlEES8_S8_S8_S8_S8_S8_S8_S8_EEEEPS9_S9_NSD_9__find_if7functorIS9_EEEE10hipError_tPvRmT1_T2_T3_mT4_P12ihipStream_tbEUlT_E0_NS1_11comp_targetILNS1_3genE4ELNS1_11target_archE910ELNS1_3gpuE8ELNS1_3repE0EEENS1_30default_config_static_selectorELNS0_4arch9wavefront6targetE0EEEvS14_.has_recursion, 0
	.set _ZN7rocprim17ROCPRIM_400000_NS6detail17trampoline_kernelINS0_14default_configENS1_22reduce_config_selectorIN6thrust23THRUST_200600_302600_NS5tupleIblNS6_9null_typeES8_S8_S8_S8_S8_S8_S8_EEEEZNS1_11reduce_implILb1ES3_NS6_12zip_iteratorINS7_INS6_11hip_rocprim26transform_input_iterator_tIbNSD_35transform_pair_of_input_iterators_tIbNS6_6detail15normal_iteratorINS6_10device_ptrIKbEEEESL_NS6_8equal_toIbEEEENSG_9not_fun_tINSD_8identityEEEEENSD_19counting_iterator_tIlEES8_S8_S8_S8_S8_S8_S8_S8_EEEEPS9_S9_NSD_9__find_if7functorIS9_EEEE10hipError_tPvRmT1_T2_T3_mT4_P12ihipStream_tbEUlT_E0_NS1_11comp_targetILNS1_3genE4ELNS1_11target_archE910ELNS1_3gpuE8ELNS1_3repE0EEENS1_30default_config_static_selectorELNS0_4arch9wavefront6targetE0EEEvS14_.has_indirect_call, 0
	.section	.AMDGPU.csdata,"",@progbits
; Kernel info:
; codeLenInByte = 0
; TotalNumSgprs: 0
; NumVgprs: 0
; ScratchSize: 0
; MemoryBound: 0
; FloatMode: 240
; IeeeMode: 1
; LDSByteSize: 0 bytes/workgroup (compile time only)
; SGPRBlocks: 0
; VGPRBlocks: 0
; NumSGPRsForWavesPerEU: 1
; NumVGPRsForWavesPerEU: 1
; Occupancy: 16
; WaveLimiterHint : 0
; COMPUTE_PGM_RSRC2:SCRATCH_EN: 0
; COMPUTE_PGM_RSRC2:USER_SGPR: 6
; COMPUTE_PGM_RSRC2:TRAP_HANDLER: 0
; COMPUTE_PGM_RSRC2:TGID_X_EN: 1
; COMPUTE_PGM_RSRC2:TGID_Y_EN: 0
; COMPUTE_PGM_RSRC2:TGID_Z_EN: 0
; COMPUTE_PGM_RSRC2:TIDIG_COMP_CNT: 0
	.section	.text._ZN7rocprim17ROCPRIM_400000_NS6detail17trampoline_kernelINS0_14default_configENS1_22reduce_config_selectorIN6thrust23THRUST_200600_302600_NS5tupleIblNS6_9null_typeES8_S8_S8_S8_S8_S8_S8_EEEEZNS1_11reduce_implILb1ES3_NS6_12zip_iteratorINS7_INS6_11hip_rocprim26transform_input_iterator_tIbNSD_35transform_pair_of_input_iterators_tIbNS6_6detail15normal_iteratorINS6_10device_ptrIKbEEEESL_NS6_8equal_toIbEEEENSG_9not_fun_tINSD_8identityEEEEENSD_19counting_iterator_tIlEES8_S8_S8_S8_S8_S8_S8_S8_EEEEPS9_S9_NSD_9__find_if7functorIS9_EEEE10hipError_tPvRmT1_T2_T3_mT4_P12ihipStream_tbEUlT_E0_NS1_11comp_targetILNS1_3genE3ELNS1_11target_archE908ELNS1_3gpuE7ELNS1_3repE0EEENS1_30default_config_static_selectorELNS0_4arch9wavefront6targetE0EEEvS14_,"axG",@progbits,_ZN7rocprim17ROCPRIM_400000_NS6detail17trampoline_kernelINS0_14default_configENS1_22reduce_config_selectorIN6thrust23THRUST_200600_302600_NS5tupleIblNS6_9null_typeES8_S8_S8_S8_S8_S8_S8_EEEEZNS1_11reduce_implILb1ES3_NS6_12zip_iteratorINS7_INS6_11hip_rocprim26transform_input_iterator_tIbNSD_35transform_pair_of_input_iterators_tIbNS6_6detail15normal_iteratorINS6_10device_ptrIKbEEEESL_NS6_8equal_toIbEEEENSG_9not_fun_tINSD_8identityEEEEENSD_19counting_iterator_tIlEES8_S8_S8_S8_S8_S8_S8_S8_EEEEPS9_S9_NSD_9__find_if7functorIS9_EEEE10hipError_tPvRmT1_T2_T3_mT4_P12ihipStream_tbEUlT_E0_NS1_11comp_targetILNS1_3genE3ELNS1_11target_archE908ELNS1_3gpuE7ELNS1_3repE0EEENS1_30default_config_static_selectorELNS0_4arch9wavefront6targetE0EEEvS14_,comdat
	.protected	_ZN7rocprim17ROCPRIM_400000_NS6detail17trampoline_kernelINS0_14default_configENS1_22reduce_config_selectorIN6thrust23THRUST_200600_302600_NS5tupleIblNS6_9null_typeES8_S8_S8_S8_S8_S8_S8_EEEEZNS1_11reduce_implILb1ES3_NS6_12zip_iteratorINS7_INS6_11hip_rocprim26transform_input_iterator_tIbNSD_35transform_pair_of_input_iterators_tIbNS6_6detail15normal_iteratorINS6_10device_ptrIKbEEEESL_NS6_8equal_toIbEEEENSG_9not_fun_tINSD_8identityEEEEENSD_19counting_iterator_tIlEES8_S8_S8_S8_S8_S8_S8_S8_EEEEPS9_S9_NSD_9__find_if7functorIS9_EEEE10hipError_tPvRmT1_T2_T3_mT4_P12ihipStream_tbEUlT_E0_NS1_11comp_targetILNS1_3genE3ELNS1_11target_archE908ELNS1_3gpuE7ELNS1_3repE0EEENS1_30default_config_static_selectorELNS0_4arch9wavefront6targetE0EEEvS14_ ; -- Begin function _ZN7rocprim17ROCPRIM_400000_NS6detail17trampoline_kernelINS0_14default_configENS1_22reduce_config_selectorIN6thrust23THRUST_200600_302600_NS5tupleIblNS6_9null_typeES8_S8_S8_S8_S8_S8_S8_EEEEZNS1_11reduce_implILb1ES3_NS6_12zip_iteratorINS7_INS6_11hip_rocprim26transform_input_iterator_tIbNSD_35transform_pair_of_input_iterators_tIbNS6_6detail15normal_iteratorINS6_10device_ptrIKbEEEESL_NS6_8equal_toIbEEEENSG_9not_fun_tINSD_8identityEEEEENSD_19counting_iterator_tIlEES8_S8_S8_S8_S8_S8_S8_S8_EEEEPS9_S9_NSD_9__find_if7functorIS9_EEEE10hipError_tPvRmT1_T2_T3_mT4_P12ihipStream_tbEUlT_E0_NS1_11comp_targetILNS1_3genE3ELNS1_11target_archE908ELNS1_3gpuE7ELNS1_3repE0EEENS1_30default_config_static_selectorELNS0_4arch9wavefront6targetE0EEEvS14_
	.globl	_ZN7rocprim17ROCPRIM_400000_NS6detail17trampoline_kernelINS0_14default_configENS1_22reduce_config_selectorIN6thrust23THRUST_200600_302600_NS5tupleIblNS6_9null_typeES8_S8_S8_S8_S8_S8_S8_EEEEZNS1_11reduce_implILb1ES3_NS6_12zip_iteratorINS7_INS6_11hip_rocprim26transform_input_iterator_tIbNSD_35transform_pair_of_input_iterators_tIbNS6_6detail15normal_iteratorINS6_10device_ptrIKbEEEESL_NS6_8equal_toIbEEEENSG_9not_fun_tINSD_8identityEEEEENSD_19counting_iterator_tIlEES8_S8_S8_S8_S8_S8_S8_S8_EEEEPS9_S9_NSD_9__find_if7functorIS9_EEEE10hipError_tPvRmT1_T2_T3_mT4_P12ihipStream_tbEUlT_E0_NS1_11comp_targetILNS1_3genE3ELNS1_11target_archE908ELNS1_3gpuE7ELNS1_3repE0EEENS1_30default_config_static_selectorELNS0_4arch9wavefront6targetE0EEEvS14_
	.p2align	8
	.type	_ZN7rocprim17ROCPRIM_400000_NS6detail17trampoline_kernelINS0_14default_configENS1_22reduce_config_selectorIN6thrust23THRUST_200600_302600_NS5tupleIblNS6_9null_typeES8_S8_S8_S8_S8_S8_S8_EEEEZNS1_11reduce_implILb1ES3_NS6_12zip_iteratorINS7_INS6_11hip_rocprim26transform_input_iterator_tIbNSD_35transform_pair_of_input_iterators_tIbNS6_6detail15normal_iteratorINS6_10device_ptrIKbEEEESL_NS6_8equal_toIbEEEENSG_9not_fun_tINSD_8identityEEEEENSD_19counting_iterator_tIlEES8_S8_S8_S8_S8_S8_S8_S8_EEEEPS9_S9_NSD_9__find_if7functorIS9_EEEE10hipError_tPvRmT1_T2_T3_mT4_P12ihipStream_tbEUlT_E0_NS1_11comp_targetILNS1_3genE3ELNS1_11target_archE908ELNS1_3gpuE7ELNS1_3repE0EEENS1_30default_config_static_selectorELNS0_4arch9wavefront6targetE0EEEvS14_,@function
_ZN7rocprim17ROCPRIM_400000_NS6detail17trampoline_kernelINS0_14default_configENS1_22reduce_config_selectorIN6thrust23THRUST_200600_302600_NS5tupleIblNS6_9null_typeES8_S8_S8_S8_S8_S8_S8_EEEEZNS1_11reduce_implILb1ES3_NS6_12zip_iteratorINS7_INS6_11hip_rocprim26transform_input_iterator_tIbNSD_35transform_pair_of_input_iterators_tIbNS6_6detail15normal_iteratorINS6_10device_ptrIKbEEEESL_NS6_8equal_toIbEEEENSG_9not_fun_tINSD_8identityEEEEENSD_19counting_iterator_tIlEES8_S8_S8_S8_S8_S8_S8_S8_EEEEPS9_S9_NSD_9__find_if7functorIS9_EEEE10hipError_tPvRmT1_T2_T3_mT4_P12ihipStream_tbEUlT_E0_NS1_11comp_targetILNS1_3genE3ELNS1_11target_archE908ELNS1_3gpuE7ELNS1_3repE0EEENS1_30default_config_static_selectorELNS0_4arch9wavefront6targetE0EEEvS14_: ; @_ZN7rocprim17ROCPRIM_400000_NS6detail17trampoline_kernelINS0_14default_configENS1_22reduce_config_selectorIN6thrust23THRUST_200600_302600_NS5tupleIblNS6_9null_typeES8_S8_S8_S8_S8_S8_S8_EEEEZNS1_11reduce_implILb1ES3_NS6_12zip_iteratorINS7_INS6_11hip_rocprim26transform_input_iterator_tIbNSD_35transform_pair_of_input_iterators_tIbNS6_6detail15normal_iteratorINS6_10device_ptrIKbEEEESL_NS6_8equal_toIbEEEENSG_9not_fun_tINSD_8identityEEEEENSD_19counting_iterator_tIlEES8_S8_S8_S8_S8_S8_S8_S8_EEEEPS9_S9_NSD_9__find_if7functorIS9_EEEE10hipError_tPvRmT1_T2_T3_mT4_P12ihipStream_tbEUlT_E0_NS1_11comp_targetILNS1_3genE3ELNS1_11target_archE908ELNS1_3gpuE7ELNS1_3repE0EEENS1_30default_config_static_selectorELNS0_4arch9wavefront6targetE0EEEvS14_
; %bb.0:
	.section	.rodata,"a",@progbits
	.p2align	6, 0x0
	.amdhsa_kernel _ZN7rocprim17ROCPRIM_400000_NS6detail17trampoline_kernelINS0_14default_configENS1_22reduce_config_selectorIN6thrust23THRUST_200600_302600_NS5tupleIblNS6_9null_typeES8_S8_S8_S8_S8_S8_S8_EEEEZNS1_11reduce_implILb1ES3_NS6_12zip_iteratorINS7_INS6_11hip_rocprim26transform_input_iterator_tIbNSD_35transform_pair_of_input_iterators_tIbNS6_6detail15normal_iteratorINS6_10device_ptrIKbEEEESL_NS6_8equal_toIbEEEENSG_9not_fun_tINSD_8identityEEEEENSD_19counting_iterator_tIlEES8_S8_S8_S8_S8_S8_S8_S8_EEEEPS9_S9_NSD_9__find_if7functorIS9_EEEE10hipError_tPvRmT1_T2_T3_mT4_P12ihipStream_tbEUlT_E0_NS1_11comp_targetILNS1_3genE3ELNS1_11target_archE908ELNS1_3gpuE7ELNS1_3repE0EEENS1_30default_config_static_selectorELNS0_4arch9wavefront6targetE0EEEvS14_
		.amdhsa_group_segment_fixed_size 0
		.amdhsa_private_segment_fixed_size 0
		.amdhsa_kernarg_size 104
		.amdhsa_user_sgpr_count 6
		.amdhsa_user_sgpr_private_segment_buffer 1
		.amdhsa_user_sgpr_dispatch_ptr 0
		.amdhsa_user_sgpr_queue_ptr 0
		.amdhsa_user_sgpr_kernarg_segment_ptr 1
		.amdhsa_user_sgpr_dispatch_id 0
		.amdhsa_user_sgpr_flat_scratch_init 0
		.amdhsa_user_sgpr_private_segment_size 0
		.amdhsa_wavefront_size32 1
		.amdhsa_uses_dynamic_stack 0
		.amdhsa_system_sgpr_private_segment_wavefront_offset 0
		.amdhsa_system_sgpr_workgroup_id_x 1
		.amdhsa_system_sgpr_workgroup_id_y 0
		.amdhsa_system_sgpr_workgroup_id_z 0
		.amdhsa_system_sgpr_workgroup_info 0
		.amdhsa_system_vgpr_workitem_id 0
		.amdhsa_next_free_vgpr 1
		.amdhsa_next_free_sgpr 1
		.amdhsa_reserve_vcc 0
		.amdhsa_reserve_flat_scratch 0
		.amdhsa_float_round_mode_32 0
		.amdhsa_float_round_mode_16_64 0
		.amdhsa_float_denorm_mode_32 3
		.amdhsa_float_denorm_mode_16_64 3
		.amdhsa_dx10_clamp 1
		.amdhsa_ieee_mode 1
		.amdhsa_fp16_overflow 0
		.amdhsa_workgroup_processor_mode 1
		.amdhsa_memory_ordered 1
		.amdhsa_forward_progress 1
		.amdhsa_shared_vgpr_count 0
		.amdhsa_exception_fp_ieee_invalid_op 0
		.amdhsa_exception_fp_denorm_src 0
		.amdhsa_exception_fp_ieee_div_zero 0
		.amdhsa_exception_fp_ieee_overflow 0
		.amdhsa_exception_fp_ieee_underflow 0
		.amdhsa_exception_fp_ieee_inexact 0
		.amdhsa_exception_int_div_zero 0
	.end_amdhsa_kernel
	.section	.text._ZN7rocprim17ROCPRIM_400000_NS6detail17trampoline_kernelINS0_14default_configENS1_22reduce_config_selectorIN6thrust23THRUST_200600_302600_NS5tupleIblNS6_9null_typeES8_S8_S8_S8_S8_S8_S8_EEEEZNS1_11reduce_implILb1ES3_NS6_12zip_iteratorINS7_INS6_11hip_rocprim26transform_input_iterator_tIbNSD_35transform_pair_of_input_iterators_tIbNS6_6detail15normal_iteratorINS6_10device_ptrIKbEEEESL_NS6_8equal_toIbEEEENSG_9not_fun_tINSD_8identityEEEEENSD_19counting_iterator_tIlEES8_S8_S8_S8_S8_S8_S8_S8_EEEEPS9_S9_NSD_9__find_if7functorIS9_EEEE10hipError_tPvRmT1_T2_T3_mT4_P12ihipStream_tbEUlT_E0_NS1_11comp_targetILNS1_3genE3ELNS1_11target_archE908ELNS1_3gpuE7ELNS1_3repE0EEENS1_30default_config_static_selectorELNS0_4arch9wavefront6targetE0EEEvS14_,"axG",@progbits,_ZN7rocprim17ROCPRIM_400000_NS6detail17trampoline_kernelINS0_14default_configENS1_22reduce_config_selectorIN6thrust23THRUST_200600_302600_NS5tupleIblNS6_9null_typeES8_S8_S8_S8_S8_S8_S8_EEEEZNS1_11reduce_implILb1ES3_NS6_12zip_iteratorINS7_INS6_11hip_rocprim26transform_input_iterator_tIbNSD_35transform_pair_of_input_iterators_tIbNS6_6detail15normal_iteratorINS6_10device_ptrIKbEEEESL_NS6_8equal_toIbEEEENSG_9not_fun_tINSD_8identityEEEEENSD_19counting_iterator_tIlEES8_S8_S8_S8_S8_S8_S8_S8_EEEEPS9_S9_NSD_9__find_if7functorIS9_EEEE10hipError_tPvRmT1_T2_T3_mT4_P12ihipStream_tbEUlT_E0_NS1_11comp_targetILNS1_3genE3ELNS1_11target_archE908ELNS1_3gpuE7ELNS1_3repE0EEENS1_30default_config_static_selectorELNS0_4arch9wavefront6targetE0EEEvS14_,comdat
.Lfunc_end746:
	.size	_ZN7rocprim17ROCPRIM_400000_NS6detail17trampoline_kernelINS0_14default_configENS1_22reduce_config_selectorIN6thrust23THRUST_200600_302600_NS5tupleIblNS6_9null_typeES8_S8_S8_S8_S8_S8_S8_EEEEZNS1_11reduce_implILb1ES3_NS6_12zip_iteratorINS7_INS6_11hip_rocprim26transform_input_iterator_tIbNSD_35transform_pair_of_input_iterators_tIbNS6_6detail15normal_iteratorINS6_10device_ptrIKbEEEESL_NS6_8equal_toIbEEEENSG_9not_fun_tINSD_8identityEEEEENSD_19counting_iterator_tIlEES8_S8_S8_S8_S8_S8_S8_S8_EEEEPS9_S9_NSD_9__find_if7functorIS9_EEEE10hipError_tPvRmT1_T2_T3_mT4_P12ihipStream_tbEUlT_E0_NS1_11comp_targetILNS1_3genE3ELNS1_11target_archE908ELNS1_3gpuE7ELNS1_3repE0EEENS1_30default_config_static_selectorELNS0_4arch9wavefront6targetE0EEEvS14_, .Lfunc_end746-_ZN7rocprim17ROCPRIM_400000_NS6detail17trampoline_kernelINS0_14default_configENS1_22reduce_config_selectorIN6thrust23THRUST_200600_302600_NS5tupleIblNS6_9null_typeES8_S8_S8_S8_S8_S8_S8_EEEEZNS1_11reduce_implILb1ES3_NS6_12zip_iteratorINS7_INS6_11hip_rocprim26transform_input_iterator_tIbNSD_35transform_pair_of_input_iterators_tIbNS6_6detail15normal_iteratorINS6_10device_ptrIKbEEEESL_NS6_8equal_toIbEEEENSG_9not_fun_tINSD_8identityEEEEENSD_19counting_iterator_tIlEES8_S8_S8_S8_S8_S8_S8_S8_EEEEPS9_S9_NSD_9__find_if7functorIS9_EEEE10hipError_tPvRmT1_T2_T3_mT4_P12ihipStream_tbEUlT_E0_NS1_11comp_targetILNS1_3genE3ELNS1_11target_archE908ELNS1_3gpuE7ELNS1_3repE0EEENS1_30default_config_static_selectorELNS0_4arch9wavefront6targetE0EEEvS14_
                                        ; -- End function
	.set _ZN7rocprim17ROCPRIM_400000_NS6detail17trampoline_kernelINS0_14default_configENS1_22reduce_config_selectorIN6thrust23THRUST_200600_302600_NS5tupleIblNS6_9null_typeES8_S8_S8_S8_S8_S8_S8_EEEEZNS1_11reduce_implILb1ES3_NS6_12zip_iteratorINS7_INS6_11hip_rocprim26transform_input_iterator_tIbNSD_35transform_pair_of_input_iterators_tIbNS6_6detail15normal_iteratorINS6_10device_ptrIKbEEEESL_NS6_8equal_toIbEEEENSG_9not_fun_tINSD_8identityEEEEENSD_19counting_iterator_tIlEES8_S8_S8_S8_S8_S8_S8_S8_EEEEPS9_S9_NSD_9__find_if7functorIS9_EEEE10hipError_tPvRmT1_T2_T3_mT4_P12ihipStream_tbEUlT_E0_NS1_11comp_targetILNS1_3genE3ELNS1_11target_archE908ELNS1_3gpuE7ELNS1_3repE0EEENS1_30default_config_static_selectorELNS0_4arch9wavefront6targetE0EEEvS14_.num_vgpr, 0
	.set _ZN7rocprim17ROCPRIM_400000_NS6detail17trampoline_kernelINS0_14default_configENS1_22reduce_config_selectorIN6thrust23THRUST_200600_302600_NS5tupleIblNS6_9null_typeES8_S8_S8_S8_S8_S8_S8_EEEEZNS1_11reduce_implILb1ES3_NS6_12zip_iteratorINS7_INS6_11hip_rocprim26transform_input_iterator_tIbNSD_35transform_pair_of_input_iterators_tIbNS6_6detail15normal_iteratorINS6_10device_ptrIKbEEEESL_NS6_8equal_toIbEEEENSG_9not_fun_tINSD_8identityEEEEENSD_19counting_iterator_tIlEES8_S8_S8_S8_S8_S8_S8_S8_EEEEPS9_S9_NSD_9__find_if7functorIS9_EEEE10hipError_tPvRmT1_T2_T3_mT4_P12ihipStream_tbEUlT_E0_NS1_11comp_targetILNS1_3genE3ELNS1_11target_archE908ELNS1_3gpuE7ELNS1_3repE0EEENS1_30default_config_static_selectorELNS0_4arch9wavefront6targetE0EEEvS14_.num_agpr, 0
	.set _ZN7rocprim17ROCPRIM_400000_NS6detail17trampoline_kernelINS0_14default_configENS1_22reduce_config_selectorIN6thrust23THRUST_200600_302600_NS5tupleIblNS6_9null_typeES8_S8_S8_S8_S8_S8_S8_EEEEZNS1_11reduce_implILb1ES3_NS6_12zip_iteratorINS7_INS6_11hip_rocprim26transform_input_iterator_tIbNSD_35transform_pair_of_input_iterators_tIbNS6_6detail15normal_iteratorINS6_10device_ptrIKbEEEESL_NS6_8equal_toIbEEEENSG_9not_fun_tINSD_8identityEEEEENSD_19counting_iterator_tIlEES8_S8_S8_S8_S8_S8_S8_S8_EEEEPS9_S9_NSD_9__find_if7functorIS9_EEEE10hipError_tPvRmT1_T2_T3_mT4_P12ihipStream_tbEUlT_E0_NS1_11comp_targetILNS1_3genE3ELNS1_11target_archE908ELNS1_3gpuE7ELNS1_3repE0EEENS1_30default_config_static_selectorELNS0_4arch9wavefront6targetE0EEEvS14_.numbered_sgpr, 0
	.set _ZN7rocprim17ROCPRIM_400000_NS6detail17trampoline_kernelINS0_14default_configENS1_22reduce_config_selectorIN6thrust23THRUST_200600_302600_NS5tupleIblNS6_9null_typeES8_S8_S8_S8_S8_S8_S8_EEEEZNS1_11reduce_implILb1ES3_NS6_12zip_iteratorINS7_INS6_11hip_rocprim26transform_input_iterator_tIbNSD_35transform_pair_of_input_iterators_tIbNS6_6detail15normal_iteratorINS6_10device_ptrIKbEEEESL_NS6_8equal_toIbEEEENSG_9not_fun_tINSD_8identityEEEEENSD_19counting_iterator_tIlEES8_S8_S8_S8_S8_S8_S8_S8_EEEEPS9_S9_NSD_9__find_if7functorIS9_EEEE10hipError_tPvRmT1_T2_T3_mT4_P12ihipStream_tbEUlT_E0_NS1_11comp_targetILNS1_3genE3ELNS1_11target_archE908ELNS1_3gpuE7ELNS1_3repE0EEENS1_30default_config_static_selectorELNS0_4arch9wavefront6targetE0EEEvS14_.num_named_barrier, 0
	.set _ZN7rocprim17ROCPRIM_400000_NS6detail17trampoline_kernelINS0_14default_configENS1_22reduce_config_selectorIN6thrust23THRUST_200600_302600_NS5tupleIblNS6_9null_typeES8_S8_S8_S8_S8_S8_S8_EEEEZNS1_11reduce_implILb1ES3_NS6_12zip_iteratorINS7_INS6_11hip_rocprim26transform_input_iterator_tIbNSD_35transform_pair_of_input_iterators_tIbNS6_6detail15normal_iteratorINS6_10device_ptrIKbEEEESL_NS6_8equal_toIbEEEENSG_9not_fun_tINSD_8identityEEEEENSD_19counting_iterator_tIlEES8_S8_S8_S8_S8_S8_S8_S8_EEEEPS9_S9_NSD_9__find_if7functorIS9_EEEE10hipError_tPvRmT1_T2_T3_mT4_P12ihipStream_tbEUlT_E0_NS1_11comp_targetILNS1_3genE3ELNS1_11target_archE908ELNS1_3gpuE7ELNS1_3repE0EEENS1_30default_config_static_selectorELNS0_4arch9wavefront6targetE0EEEvS14_.private_seg_size, 0
	.set _ZN7rocprim17ROCPRIM_400000_NS6detail17trampoline_kernelINS0_14default_configENS1_22reduce_config_selectorIN6thrust23THRUST_200600_302600_NS5tupleIblNS6_9null_typeES8_S8_S8_S8_S8_S8_S8_EEEEZNS1_11reduce_implILb1ES3_NS6_12zip_iteratorINS7_INS6_11hip_rocprim26transform_input_iterator_tIbNSD_35transform_pair_of_input_iterators_tIbNS6_6detail15normal_iteratorINS6_10device_ptrIKbEEEESL_NS6_8equal_toIbEEEENSG_9not_fun_tINSD_8identityEEEEENSD_19counting_iterator_tIlEES8_S8_S8_S8_S8_S8_S8_S8_EEEEPS9_S9_NSD_9__find_if7functorIS9_EEEE10hipError_tPvRmT1_T2_T3_mT4_P12ihipStream_tbEUlT_E0_NS1_11comp_targetILNS1_3genE3ELNS1_11target_archE908ELNS1_3gpuE7ELNS1_3repE0EEENS1_30default_config_static_selectorELNS0_4arch9wavefront6targetE0EEEvS14_.uses_vcc, 0
	.set _ZN7rocprim17ROCPRIM_400000_NS6detail17trampoline_kernelINS0_14default_configENS1_22reduce_config_selectorIN6thrust23THRUST_200600_302600_NS5tupleIblNS6_9null_typeES8_S8_S8_S8_S8_S8_S8_EEEEZNS1_11reduce_implILb1ES3_NS6_12zip_iteratorINS7_INS6_11hip_rocprim26transform_input_iterator_tIbNSD_35transform_pair_of_input_iterators_tIbNS6_6detail15normal_iteratorINS6_10device_ptrIKbEEEESL_NS6_8equal_toIbEEEENSG_9not_fun_tINSD_8identityEEEEENSD_19counting_iterator_tIlEES8_S8_S8_S8_S8_S8_S8_S8_EEEEPS9_S9_NSD_9__find_if7functorIS9_EEEE10hipError_tPvRmT1_T2_T3_mT4_P12ihipStream_tbEUlT_E0_NS1_11comp_targetILNS1_3genE3ELNS1_11target_archE908ELNS1_3gpuE7ELNS1_3repE0EEENS1_30default_config_static_selectorELNS0_4arch9wavefront6targetE0EEEvS14_.uses_flat_scratch, 0
	.set _ZN7rocprim17ROCPRIM_400000_NS6detail17trampoline_kernelINS0_14default_configENS1_22reduce_config_selectorIN6thrust23THRUST_200600_302600_NS5tupleIblNS6_9null_typeES8_S8_S8_S8_S8_S8_S8_EEEEZNS1_11reduce_implILb1ES3_NS6_12zip_iteratorINS7_INS6_11hip_rocprim26transform_input_iterator_tIbNSD_35transform_pair_of_input_iterators_tIbNS6_6detail15normal_iteratorINS6_10device_ptrIKbEEEESL_NS6_8equal_toIbEEEENSG_9not_fun_tINSD_8identityEEEEENSD_19counting_iterator_tIlEES8_S8_S8_S8_S8_S8_S8_S8_EEEEPS9_S9_NSD_9__find_if7functorIS9_EEEE10hipError_tPvRmT1_T2_T3_mT4_P12ihipStream_tbEUlT_E0_NS1_11comp_targetILNS1_3genE3ELNS1_11target_archE908ELNS1_3gpuE7ELNS1_3repE0EEENS1_30default_config_static_selectorELNS0_4arch9wavefront6targetE0EEEvS14_.has_dyn_sized_stack, 0
	.set _ZN7rocprim17ROCPRIM_400000_NS6detail17trampoline_kernelINS0_14default_configENS1_22reduce_config_selectorIN6thrust23THRUST_200600_302600_NS5tupleIblNS6_9null_typeES8_S8_S8_S8_S8_S8_S8_EEEEZNS1_11reduce_implILb1ES3_NS6_12zip_iteratorINS7_INS6_11hip_rocprim26transform_input_iterator_tIbNSD_35transform_pair_of_input_iterators_tIbNS6_6detail15normal_iteratorINS6_10device_ptrIKbEEEESL_NS6_8equal_toIbEEEENSG_9not_fun_tINSD_8identityEEEEENSD_19counting_iterator_tIlEES8_S8_S8_S8_S8_S8_S8_S8_EEEEPS9_S9_NSD_9__find_if7functorIS9_EEEE10hipError_tPvRmT1_T2_T3_mT4_P12ihipStream_tbEUlT_E0_NS1_11comp_targetILNS1_3genE3ELNS1_11target_archE908ELNS1_3gpuE7ELNS1_3repE0EEENS1_30default_config_static_selectorELNS0_4arch9wavefront6targetE0EEEvS14_.has_recursion, 0
	.set _ZN7rocprim17ROCPRIM_400000_NS6detail17trampoline_kernelINS0_14default_configENS1_22reduce_config_selectorIN6thrust23THRUST_200600_302600_NS5tupleIblNS6_9null_typeES8_S8_S8_S8_S8_S8_S8_EEEEZNS1_11reduce_implILb1ES3_NS6_12zip_iteratorINS7_INS6_11hip_rocprim26transform_input_iterator_tIbNSD_35transform_pair_of_input_iterators_tIbNS6_6detail15normal_iteratorINS6_10device_ptrIKbEEEESL_NS6_8equal_toIbEEEENSG_9not_fun_tINSD_8identityEEEEENSD_19counting_iterator_tIlEES8_S8_S8_S8_S8_S8_S8_S8_EEEEPS9_S9_NSD_9__find_if7functorIS9_EEEE10hipError_tPvRmT1_T2_T3_mT4_P12ihipStream_tbEUlT_E0_NS1_11comp_targetILNS1_3genE3ELNS1_11target_archE908ELNS1_3gpuE7ELNS1_3repE0EEENS1_30default_config_static_selectorELNS0_4arch9wavefront6targetE0EEEvS14_.has_indirect_call, 0
	.section	.AMDGPU.csdata,"",@progbits
; Kernel info:
; codeLenInByte = 0
; TotalNumSgprs: 0
; NumVgprs: 0
; ScratchSize: 0
; MemoryBound: 0
; FloatMode: 240
; IeeeMode: 1
; LDSByteSize: 0 bytes/workgroup (compile time only)
; SGPRBlocks: 0
; VGPRBlocks: 0
; NumSGPRsForWavesPerEU: 1
; NumVGPRsForWavesPerEU: 1
; Occupancy: 16
; WaveLimiterHint : 0
; COMPUTE_PGM_RSRC2:SCRATCH_EN: 0
; COMPUTE_PGM_RSRC2:USER_SGPR: 6
; COMPUTE_PGM_RSRC2:TRAP_HANDLER: 0
; COMPUTE_PGM_RSRC2:TGID_X_EN: 1
; COMPUTE_PGM_RSRC2:TGID_Y_EN: 0
; COMPUTE_PGM_RSRC2:TGID_Z_EN: 0
; COMPUTE_PGM_RSRC2:TIDIG_COMP_CNT: 0
	.section	.text._ZN7rocprim17ROCPRIM_400000_NS6detail17trampoline_kernelINS0_14default_configENS1_22reduce_config_selectorIN6thrust23THRUST_200600_302600_NS5tupleIblNS6_9null_typeES8_S8_S8_S8_S8_S8_S8_EEEEZNS1_11reduce_implILb1ES3_NS6_12zip_iteratorINS7_INS6_11hip_rocprim26transform_input_iterator_tIbNSD_35transform_pair_of_input_iterators_tIbNS6_6detail15normal_iteratorINS6_10device_ptrIKbEEEESL_NS6_8equal_toIbEEEENSG_9not_fun_tINSD_8identityEEEEENSD_19counting_iterator_tIlEES8_S8_S8_S8_S8_S8_S8_S8_EEEEPS9_S9_NSD_9__find_if7functorIS9_EEEE10hipError_tPvRmT1_T2_T3_mT4_P12ihipStream_tbEUlT_E0_NS1_11comp_targetILNS1_3genE2ELNS1_11target_archE906ELNS1_3gpuE6ELNS1_3repE0EEENS1_30default_config_static_selectorELNS0_4arch9wavefront6targetE0EEEvS14_,"axG",@progbits,_ZN7rocprim17ROCPRIM_400000_NS6detail17trampoline_kernelINS0_14default_configENS1_22reduce_config_selectorIN6thrust23THRUST_200600_302600_NS5tupleIblNS6_9null_typeES8_S8_S8_S8_S8_S8_S8_EEEEZNS1_11reduce_implILb1ES3_NS6_12zip_iteratorINS7_INS6_11hip_rocprim26transform_input_iterator_tIbNSD_35transform_pair_of_input_iterators_tIbNS6_6detail15normal_iteratorINS6_10device_ptrIKbEEEESL_NS6_8equal_toIbEEEENSG_9not_fun_tINSD_8identityEEEEENSD_19counting_iterator_tIlEES8_S8_S8_S8_S8_S8_S8_S8_EEEEPS9_S9_NSD_9__find_if7functorIS9_EEEE10hipError_tPvRmT1_T2_T3_mT4_P12ihipStream_tbEUlT_E0_NS1_11comp_targetILNS1_3genE2ELNS1_11target_archE906ELNS1_3gpuE6ELNS1_3repE0EEENS1_30default_config_static_selectorELNS0_4arch9wavefront6targetE0EEEvS14_,comdat
	.protected	_ZN7rocprim17ROCPRIM_400000_NS6detail17trampoline_kernelINS0_14default_configENS1_22reduce_config_selectorIN6thrust23THRUST_200600_302600_NS5tupleIblNS6_9null_typeES8_S8_S8_S8_S8_S8_S8_EEEEZNS1_11reduce_implILb1ES3_NS6_12zip_iteratorINS7_INS6_11hip_rocprim26transform_input_iterator_tIbNSD_35transform_pair_of_input_iterators_tIbNS6_6detail15normal_iteratorINS6_10device_ptrIKbEEEESL_NS6_8equal_toIbEEEENSG_9not_fun_tINSD_8identityEEEEENSD_19counting_iterator_tIlEES8_S8_S8_S8_S8_S8_S8_S8_EEEEPS9_S9_NSD_9__find_if7functorIS9_EEEE10hipError_tPvRmT1_T2_T3_mT4_P12ihipStream_tbEUlT_E0_NS1_11comp_targetILNS1_3genE2ELNS1_11target_archE906ELNS1_3gpuE6ELNS1_3repE0EEENS1_30default_config_static_selectorELNS0_4arch9wavefront6targetE0EEEvS14_ ; -- Begin function _ZN7rocprim17ROCPRIM_400000_NS6detail17trampoline_kernelINS0_14default_configENS1_22reduce_config_selectorIN6thrust23THRUST_200600_302600_NS5tupleIblNS6_9null_typeES8_S8_S8_S8_S8_S8_S8_EEEEZNS1_11reduce_implILb1ES3_NS6_12zip_iteratorINS7_INS6_11hip_rocprim26transform_input_iterator_tIbNSD_35transform_pair_of_input_iterators_tIbNS6_6detail15normal_iteratorINS6_10device_ptrIKbEEEESL_NS6_8equal_toIbEEEENSG_9not_fun_tINSD_8identityEEEEENSD_19counting_iterator_tIlEES8_S8_S8_S8_S8_S8_S8_S8_EEEEPS9_S9_NSD_9__find_if7functorIS9_EEEE10hipError_tPvRmT1_T2_T3_mT4_P12ihipStream_tbEUlT_E0_NS1_11comp_targetILNS1_3genE2ELNS1_11target_archE906ELNS1_3gpuE6ELNS1_3repE0EEENS1_30default_config_static_selectorELNS0_4arch9wavefront6targetE0EEEvS14_
	.globl	_ZN7rocprim17ROCPRIM_400000_NS6detail17trampoline_kernelINS0_14default_configENS1_22reduce_config_selectorIN6thrust23THRUST_200600_302600_NS5tupleIblNS6_9null_typeES8_S8_S8_S8_S8_S8_S8_EEEEZNS1_11reduce_implILb1ES3_NS6_12zip_iteratorINS7_INS6_11hip_rocprim26transform_input_iterator_tIbNSD_35transform_pair_of_input_iterators_tIbNS6_6detail15normal_iteratorINS6_10device_ptrIKbEEEESL_NS6_8equal_toIbEEEENSG_9not_fun_tINSD_8identityEEEEENSD_19counting_iterator_tIlEES8_S8_S8_S8_S8_S8_S8_S8_EEEEPS9_S9_NSD_9__find_if7functorIS9_EEEE10hipError_tPvRmT1_T2_T3_mT4_P12ihipStream_tbEUlT_E0_NS1_11comp_targetILNS1_3genE2ELNS1_11target_archE906ELNS1_3gpuE6ELNS1_3repE0EEENS1_30default_config_static_selectorELNS0_4arch9wavefront6targetE0EEEvS14_
	.p2align	8
	.type	_ZN7rocprim17ROCPRIM_400000_NS6detail17trampoline_kernelINS0_14default_configENS1_22reduce_config_selectorIN6thrust23THRUST_200600_302600_NS5tupleIblNS6_9null_typeES8_S8_S8_S8_S8_S8_S8_EEEEZNS1_11reduce_implILb1ES3_NS6_12zip_iteratorINS7_INS6_11hip_rocprim26transform_input_iterator_tIbNSD_35transform_pair_of_input_iterators_tIbNS6_6detail15normal_iteratorINS6_10device_ptrIKbEEEESL_NS6_8equal_toIbEEEENSG_9not_fun_tINSD_8identityEEEEENSD_19counting_iterator_tIlEES8_S8_S8_S8_S8_S8_S8_S8_EEEEPS9_S9_NSD_9__find_if7functorIS9_EEEE10hipError_tPvRmT1_T2_T3_mT4_P12ihipStream_tbEUlT_E0_NS1_11comp_targetILNS1_3genE2ELNS1_11target_archE906ELNS1_3gpuE6ELNS1_3repE0EEENS1_30default_config_static_selectorELNS0_4arch9wavefront6targetE0EEEvS14_,@function
_ZN7rocprim17ROCPRIM_400000_NS6detail17trampoline_kernelINS0_14default_configENS1_22reduce_config_selectorIN6thrust23THRUST_200600_302600_NS5tupleIblNS6_9null_typeES8_S8_S8_S8_S8_S8_S8_EEEEZNS1_11reduce_implILb1ES3_NS6_12zip_iteratorINS7_INS6_11hip_rocprim26transform_input_iterator_tIbNSD_35transform_pair_of_input_iterators_tIbNS6_6detail15normal_iteratorINS6_10device_ptrIKbEEEESL_NS6_8equal_toIbEEEENSG_9not_fun_tINSD_8identityEEEEENSD_19counting_iterator_tIlEES8_S8_S8_S8_S8_S8_S8_S8_EEEEPS9_S9_NSD_9__find_if7functorIS9_EEEE10hipError_tPvRmT1_T2_T3_mT4_P12ihipStream_tbEUlT_E0_NS1_11comp_targetILNS1_3genE2ELNS1_11target_archE906ELNS1_3gpuE6ELNS1_3repE0EEENS1_30default_config_static_selectorELNS0_4arch9wavefront6targetE0EEEvS14_: ; @_ZN7rocprim17ROCPRIM_400000_NS6detail17trampoline_kernelINS0_14default_configENS1_22reduce_config_selectorIN6thrust23THRUST_200600_302600_NS5tupleIblNS6_9null_typeES8_S8_S8_S8_S8_S8_S8_EEEEZNS1_11reduce_implILb1ES3_NS6_12zip_iteratorINS7_INS6_11hip_rocprim26transform_input_iterator_tIbNSD_35transform_pair_of_input_iterators_tIbNS6_6detail15normal_iteratorINS6_10device_ptrIKbEEEESL_NS6_8equal_toIbEEEENSG_9not_fun_tINSD_8identityEEEEENSD_19counting_iterator_tIlEES8_S8_S8_S8_S8_S8_S8_S8_EEEEPS9_S9_NSD_9__find_if7functorIS9_EEEE10hipError_tPvRmT1_T2_T3_mT4_P12ihipStream_tbEUlT_E0_NS1_11comp_targetILNS1_3genE2ELNS1_11target_archE906ELNS1_3gpuE6ELNS1_3repE0EEENS1_30default_config_static_selectorELNS0_4arch9wavefront6targetE0EEEvS14_
; %bb.0:
	.section	.rodata,"a",@progbits
	.p2align	6, 0x0
	.amdhsa_kernel _ZN7rocprim17ROCPRIM_400000_NS6detail17trampoline_kernelINS0_14default_configENS1_22reduce_config_selectorIN6thrust23THRUST_200600_302600_NS5tupleIblNS6_9null_typeES8_S8_S8_S8_S8_S8_S8_EEEEZNS1_11reduce_implILb1ES3_NS6_12zip_iteratorINS7_INS6_11hip_rocprim26transform_input_iterator_tIbNSD_35transform_pair_of_input_iterators_tIbNS6_6detail15normal_iteratorINS6_10device_ptrIKbEEEESL_NS6_8equal_toIbEEEENSG_9not_fun_tINSD_8identityEEEEENSD_19counting_iterator_tIlEES8_S8_S8_S8_S8_S8_S8_S8_EEEEPS9_S9_NSD_9__find_if7functorIS9_EEEE10hipError_tPvRmT1_T2_T3_mT4_P12ihipStream_tbEUlT_E0_NS1_11comp_targetILNS1_3genE2ELNS1_11target_archE906ELNS1_3gpuE6ELNS1_3repE0EEENS1_30default_config_static_selectorELNS0_4arch9wavefront6targetE0EEEvS14_
		.amdhsa_group_segment_fixed_size 0
		.amdhsa_private_segment_fixed_size 0
		.amdhsa_kernarg_size 104
		.amdhsa_user_sgpr_count 6
		.amdhsa_user_sgpr_private_segment_buffer 1
		.amdhsa_user_sgpr_dispatch_ptr 0
		.amdhsa_user_sgpr_queue_ptr 0
		.amdhsa_user_sgpr_kernarg_segment_ptr 1
		.amdhsa_user_sgpr_dispatch_id 0
		.amdhsa_user_sgpr_flat_scratch_init 0
		.amdhsa_user_sgpr_private_segment_size 0
		.amdhsa_wavefront_size32 1
		.amdhsa_uses_dynamic_stack 0
		.amdhsa_system_sgpr_private_segment_wavefront_offset 0
		.amdhsa_system_sgpr_workgroup_id_x 1
		.amdhsa_system_sgpr_workgroup_id_y 0
		.amdhsa_system_sgpr_workgroup_id_z 0
		.amdhsa_system_sgpr_workgroup_info 0
		.amdhsa_system_vgpr_workitem_id 0
		.amdhsa_next_free_vgpr 1
		.amdhsa_next_free_sgpr 1
		.amdhsa_reserve_vcc 0
		.amdhsa_reserve_flat_scratch 0
		.amdhsa_float_round_mode_32 0
		.amdhsa_float_round_mode_16_64 0
		.amdhsa_float_denorm_mode_32 3
		.amdhsa_float_denorm_mode_16_64 3
		.amdhsa_dx10_clamp 1
		.amdhsa_ieee_mode 1
		.amdhsa_fp16_overflow 0
		.amdhsa_workgroup_processor_mode 1
		.amdhsa_memory_ordered 1
		.amdhsa_forward_progress 1
		.amdhsa_shared_vgpr_count 0
		.amdhsa_exception_fp_ieee_invalid_op 0
		.amdhsa_exception_fp_denorm_src 0
		.amdhsa_exception_fp_ieee_div_zero 0
		.amdhsa_exception_fp_ieee_overflow 0
		.amdhsa_exception_fp_ieee_underflow 0
		.amdhsa_exception_fp_ieee_inexact 0
		.amdhsa_exception_int_div_zero 0
	.end_amdhsa_kernel
	.section	.text._ZN7rocprim17ROCPRIM_400000_NS6detail17trampoline_kernelINS0_14default_configENS1_22reduce_config_selectorIN6thrust23THRUST_200600_302600_NS5tupleIblNS6_9null_typeES8_S8_S8_S8_S8_S8_S8_EEEEZNS1_11reduce_implILb1ES3_NS6_12zip_iteratorINS7_INS6_11hip_rocprim26transform_input_iterator_tIbNSD_35transform_pair_of_input_iterators_tIbNS6_6detail15normal_iteratorINS6_10device_ptrIKbEEEESL_NS6_8equal_toIbEEEENSG_9not_fun_tINSD_8identityEEEEENSD_19counting_iterator_tIlEES8_S8_S8_S8_S8_S8_S8_S8_EEEEPS9_S9_NSD_9__find_if7functorIS9_EEEE10hipError_tPvRmT1_T2_T3_mT4_P12ihipStream_tbEUlT_E0_NS1_11comp_targetILNS1_3genE2ELNS1_11target_archE906ELNS1_3gpuE6ELNS1_3repE0EEENS1_30default_config_static_selectorELNS0_4arch9wavefront6targetE0EEEvS14_,"axG",@progbits,_ZN7rocprim17ROCPRIM_400000_NS6detail17trampoline_kernelINS0_14default_configENS1_22reduce_config_selectorIN6thrust23THRUST_200600_302600_NS5tupleIblNS6_9null_typeES8_S8_S8_S8_S8_S8_S8_EEEEZNS1_11reduce_implILb1ES3_NS6_12zip_iteratorINS7_INS6_11hip_rocprim26transform_input_iterator_tIbNSD_35transform_pair_of_input_iterators_tIbNS6_6detail15normal_iteratorINS6_10device_ptrIKbEEEESL_NS6_8equal_toIbEEEENSG_9not_fun_tINSD_8identityEEEEENSD_19counting_iterator_tIlEES8_S8_S8_S8_S8_S8_S8_S8_EEEEPS9_S9_NSD_9__find_if7functorIS9_EEEE10hipError_tPvRmT1_T2_T3_mT4_P12ihipStream_tbEUlT_E0_NS1_11comp_targetILNS1_3genE2ELNS1_11target_archE906ELNS1_3gpuE6ELNS1_3repE0EEENS1_30default_config_static_selectorELNS0_4arch9wavefront6targetE0EEEvS14_,comdat
.Lfunc_end747:
	.size	_ZN7rocprim17ROCPRIM_400000_NS6detail17trampoline_kernelINS0_14default_configENS1_22reduce_config_selectorIN6thrust23THRUST_200600_302600_NS5tupleIblNS6_9null_typeES8_S8_S8_S8_S8_S8_S8_EEEEZNS1_11reduce_implILb1ES3_NS6_12zip_iteratorINS7_INS6_11hip_rocprim26transform_input_iterator_tIbNSD_35transform_pair_of_input_iterators_tIbNS6_6detail15normal_iteratorINS6_10device_ptrIKbEEEESL_NS6_8equal_toIbEEEENSG_9not_fun_tINSD_8identityEEEEENSD_19counting_iterator_tIlEES8_S8_S8_S8_S8_S8_S8_S8_EEEEPS9_S9_NSD_9__find_if7functorIS9_EEEE10hipError_tPvRmT1_T2_T3_mT4_P12ihipStream_tbEUlT_E0_NS1_11comp_targetILNS1_3genE2ELNS1_11target_archE906ELNS1_3gpuE6ELNS1_3repE0EEENS1_30default_config_static_selectorELNS0_4arch9wavefront6targetE0EEEvS14_, .Lfunc_end747-_ZN7rocprim17ROCPRIM_400000_NS6detail17trampoline_kernelINS0_14default_configENS1_22reduce_config_selectorIN6thrust23THRUST_200600_302600_NS5tupleIblNS6_9null_typeES8_S8_S8_S8_S8_S8_S8_EEEEZNS1_11reduce_implILb1ES3_NS6_12zip_iteratorINS7_INS6_11hip_rocprim26transform_input_iterator_tIbNSD_35transform_pair_of_input_iterators_tIbNS6_6detail15normal_iteratorINS6_10device_ptrIKbEEEESL_NS6_8equal_toIbEEEENSG_9not_fun_tINSD_8identityEEEEENSD_19counting_iterator_tIlEES8_S8_S8_S8_S8_S8_S8_S8_EEEEPS9_S9_NSD_9__find_if7functorIS9_EEEE10hipError_tPvRmT1_T2_T3_mT4_P12ihipStream_tbEUlT_E0_NS1_11comp_targetILNS1_3genE2ELNS1_11target_archE906ELNS1_3gpuE6ELNS1_3repE0EEENS1_30default_config_static_selectorELNS0_4arch9wavefront6targetE0EEEvS14_
                                        ; -- End function
	.set _ZN7rocprim17ROCPRIM_400000_NS6detail17trampoline_kernelINS0_14default_configENS1_22reduce_config_selectorIN6thrust23THRUST_200600_302600_NS5tupleIblNS6_9null_typeES8_S8_S8_S8_S8_S8_S8_EEEEZNS1_11reduce_implILb1ES3_NS6_12zip_iteratorINS7_INS6_11hip_rocprim26transform_input_iterator_tIbNSD_35transform_pair_of_input_iterators_tIbNS6_6detail15normal_iteratorINS6_10device_ptrIKbEEEESL_NS6_8equal_toIbEEEENSG_9not_fun_tINSD_8identityEEEEENSD_19counting_iterator_tIlEES8_S8_S8_S8_S8_S8_S8_S8_EEEEPS9_S9_NSD_9__find_if7functorIS9_EEEE10hipError_tPvRmT1_T2_T3_mT4_P12ihipStream_tbEUlT_E0_NS1_11comp_targetILNS1_3genE2ELNS1_11target_archE906ELNS1_3gpuE6ELNS1_3repE0EEENS1_30default_config_static_selectorELNS0_4arch9wavefront6targetE0EEEvS14_.num_vgpr, 0
	.set _ZN7rocprim17ROCPRIM_400000_NS6detail17trampoline_kernelINS0_14default_configENS1_22reduce_config_selectorIN6thrust23THRUST_200600_302600_NS5tupleIblNS6_9null_typeES8_S8_S8_S8_S8_S8_S8_EEEEZNS1_11reduce_implILb1ES3_NS6_12zip_iteratorINS7_INS6_11hip_rocprim26transform_input_iterator_tIbNSD_35transform_pair_of_input_iterators_tIbNS6_6detail15normal_iteratorINS6_10device_ptrIKbEEEESL_NS6_8equal_toIbEEEENSG_9not_fun_tINSD_8identityEEEEENSD_19counting_iterator_tIlEES8_S8_S8_S8_S8_S8_S8_S8_EEEEPS9_S9_NSD_9__find_if7functorIS9_EEEE10hipError_tPvRmT1_T2_T3_mT4_P12ihipStream_tbEUlT_E0_NS1_11comp_targetILNS1_3genE2ELNS1_11target_archE906ELNS1_3gpuE6ELNS1_3repE0EEENS1_30default_config_static_selectorELNS0_4arch9wavefront6targetE0EEEvS14_.num_agpr, 0
	.set _ZN7rocprim17ROCPRIM_400000_NS6detail17trampoline_kernelINS0_14default_configENS1_22reduce_config_selectorIN6thrust23THRUST_200600_302600_NS5tupleIblNS6_9null_typeES8_S8_S8_S8_S8_S8_S8_EEEEZNS1_11reduce_implILb1ES3_NS6_12zip_iteratorINS7_INS6_11hip_rocprim26transform_input_iterator_tIbNSD_35transform_pair_of_input_iterators_tIbNS6_6detail15normal_iteratorINS6_10device_ptrIKbEEEESL_NS6_8equal_toIbEEEENSG_9not_fun_tINSD_8identityEEEEENSD_19counting_iterator_tIlEES8_S8_S8_S8_S8_S8_S8_S8_EEEEPS9_S9_NSD_9__find_if7functorIS9_EEEE10hipError_tPvRmT1_T2_T3_mT4_P12ihipStream_tbEUlT_E0_NS1_11comp_targetILNS1_3genE2ELNS1_11target_archE906ELNS1_3gpuE6ELNS1_3repE0EEENS1_30default_config_static_selectorELNS0_4arch9wavefront6targetE0EEEvS14_.numbered_sgpr, 0
	.set _ZN7rocprim17ROCPRIM_400000_NS6detail17trampoline_kernelINS0_14default_configENS1_22reduce_config_selectorIN6thrust23THRUST_200600_302600_NS5tupleIblNS6_9null_typeES8_S8_S8_S8_S8_S8_S8_EEEEZNS1_11reduce_implILb1ES3_NS6_12zip_iteratorINS7_INS6_11hip_rocprim26transform_input_iterator_tIbNSD_35transform_pair_of_input_iterators_tIbNS6_6detail15normal_iteratorINS6_10device_ptrIKbEEEESL_NS6_8equal_toIbEEEENSG_9not_fun_tINSD_8identityEEEEENSD_19counting_iterator_tIlEES8_S8_S8_S8_S8_S8_S8_S8_EEEEPS9_S9_NSD_9__find_if7functorIS9_EEEE10hipError_tPvRmT1_T2_T3_mT4_P12ihipStream_tbEUlT_E0_NS1_11comp_targetILNS1_3genE2ELNS1_11target_archE906ELNS1_3gpuE6ELNS1_3repE0EEENS1_30default_config_static_selectorELNS0_4arch9wavefront6targetE0EEEvS14_.num_named_barrier, 0
	.set _ZN7rocprim17ROCPRIM_400000_NS6detail17trampoline_kernelINS0_14default_configENS1_22reduce_config_selectorIN6thrust23THRUST_200600_302600_NS5tupleIblNS6_9null_typeES8_S8_S8_S8_S8_S8_S8_EEEEZNS1_11reduce_implILb1ES3_NS6_12zip_iteratorINS7_INS6_11hip_rocprim26transform_input_iterator_tIbNSD_35transform_pair_of_input_iterators_tIbNS6_6detail15normal_iteratorINS6_10device_ptrIKbEEEESL_NS6_8equal_toIbEEEENSG_9not_fun_tINSD_8identityEEEEENSD_19counting_iterator_tIlEES8_S8_S8_S8_S8_S8_S8_S8_EEEEPS9_S9_NSD_9__find_if7functorIS9_EEEE10hipError_tPvRmT1_T2_T3_mT4_P12ihipStream_tbEUlT_E0_NS1_11comp_targetILNS1_3genE2ELNS1_11target_archE906ELNS1_3gpuE6ELNS1_3repE0EEENS1_30default_config_static_selectorELNS0_4arch9wavefront6targetE0EEEvS14_.private_seg_size, 0
	.set _ZN7rocprim17ROCPRIM_400000_NS6detail17trampoline_kernelINS0_14default_configENS1_22reduce_config_selectorIN6thrust23THRUST_200600_302600_NS5tupleIblNS6_9null_typeES8_S8_S8_S8_S8_S8_S8_EEEEZNS1_11reduce_implILb1ES3_NS6_12zip_iteratorINS7_INS6_11hip_rocprim26transform_input_iterator_tIbNSD_35transform_pair_of_input_iterators_tIbNS6_6detail15normal_iteratorINS6_10device_ptrIKbEEEESL_NS6_8equal_toIbEEEENSG_9not_fun_tINSD_8identityEEEEENSD_19counting_iterator_tIlEES8_S8_S8_S8_S8_S8_S8_S8_EEEEPS9_S9_NSD_9__find_if7functorIS9_EEEE10hipError_tPvRmT1_T2_T3_mT4_P12ihipStream_tbEUlT_E0_NS1_11comp_targetILNS1_3genE2ELNS1_11target_archE906ELNS1_3gpuE6ELNS1_3repE0EEENS1_30default_config_static_selectorELNS0_4arch9wavefront6targetE0EEEvS14_.uses_vcc, 0
	.set _ZN7rocprim17ROCPRIM_400000_NS6detail17trampoline_kernelINS0_14default_configENS1_22reduce_config_selectorIN6thrust23THRUST_200600_302600_NS5tupleIblNS6_9null_typeES8_S8_S8_S8_S8_S8_S8_EEEEZNS1_11reduce_implILb1ES3_NS6_12zip_iteratorINS7_INS6_11hip_rocprim26transform_input_iterator_tIbNSD_35transform_pair_of_input_iterators_tIbNS6_6detail15normal_iteratorINS6_10device_ptrIKbEEEESL_NS6_8equal_toIbEEEENSG_9not_fun_tINSD_8identityEEEEENSD_19counting_iterator_tIlEES8_S8_S8_S8_S8_S8_S8_S8_EEEEPS9_S9_NSD_9__find_if7functorIS9_EEEE10hipError_tPvRmT1_T2_T3_mT4_P12ihipStream_tbEUlT_E0_NS1_11comp_targetILNS1_3genE2ELNS1_11target_archE906ELNS1_3gpuE6ELNS1_3repE0EEENS1_30default_config_static_selectorELNS0_4arch9wavefront6targetE0EEEvS14_.uses_flat_scratch, 0
	.set _ZN7rocprim17ROCPRIM_400000_NS6detail17trampoline_kernelINS0_14default_configENS1_22reduce_config_selectorIN6thrust23THRUST_200600_302600_NS5tupleIblNS6_9null_typeES8_S8_S8_S8_S8_S8_S8_EEEEZNS1_11reduce_implILb1ES3_NS6_12zip_iteratorINS7_INS6_11hip_rocprim26transform_input_iterator_tIbNSD_35transform_pair_of_input_iterators_tIbNS6_6detail15normal_iteratorINS6_10device_ptrIKbEEEESL_NS6_8equal_toIbEEEENSG_9not_fun_tINSD_8identityEEEEENSD_19counting_iterator_tIlEES8_S8_S8_S8_S8_S8_S8_S8_EEEEPS9_S9_NSD_9__find_if7functorIS9_EEEE10hipError_tPvRmT1_T2_T3_mT4_P12ihipStream_tbEUlT_E0_NS1_11comp_targetILNS1_3genE2ELNS1_11target_archE906ELNS1_3gpuE6ELNS1_3repE0EEENS1_30default_config_static_selectorELNS0_4arch9wavefront6targetE0EEEvS14_.has_dyn_sized_stack, 0
	.set _ZN7rocprim17ROCPRIM_400000_NS6detail17trampoline_kernelINS0_14default_configENS1_22reduce_config_selectorIN6thrust23THRUST_200600_302600_NS5tupleIblNS6_9null_typeES8_S8_S8_S8_S8_S8_S8_EEEEZNS1_11reduce_implILb1ES3_NS6_12zip_iteratorINS7_INS6_11hip_rocprim26transform_input_iterator_tIbNSD_35transform_pair_of_input_iterators_tIbNS6_6detail15normal_iteratorINS6_10device_ptrIKbEEEESL_NS6_8equal_toIbEEEENSG_9not_fun_tINSD_8identityEEEEENSD_19counting_iterator_tIlEES8_S8_S8_S8_S8_S8_S8_S8_EEEEPS9_S9_NSD_9__find_if7functorIS9_EEEE10hipError_tPvRmT1_T2_T3_mT4_P12ihipStream_tbEUlT_E0_NS1_11comp_targetILNS1_3genE2ELNS1_11target_archE906ELNS1_3gpuE6ELNS1_3repE0EEENS1_30default_config_static_selectorELNS0_4arch9wavefront6targetE0EEEvS14_.has_recursion, 0
	.set _ZN7rocprim17ROCPRIM_400000_NS6detail17trampoline_kernelINS0_14default_configENS1_22reduce_config_selectorIN6thrust23THRUST_200600_302600_NS5tupleIblNS6_9null_typeES8_S8_S8_S8_S8_S8_S8_EEEEZNS1_11reduce_implILb1ES3_NS6_12zip_iteratorINS7_INS6_11hip_rocprim26transform_input_iterator_tIbNSD_35transform_pair_of_input_iterators_tIbNS6_6detail15normal_iteratorINS6_10device_ptrIKbEEEESL_NS6_8equal_toIbEEEENSG_9not_fun_tINSD_8identityEEEEENSD_19counting_iterator_tIlEES8_S8_S8_S8_S8_S8_S8_S8_EEEEPS9_S9_NSD_9__find_if7functorIS9_EEEE10hipError_tPvRmT1_T2_T3_mT4_P12ihipStream_tbEUlT_E0_NS1_11comp_targetILNS1_3genE2ELNS1_11target_archE906ELNS1_3gpuE6ELNS1_3repE0EEENS1_30default_config_static_selectorELNS0_4arch9wavefront6targetE0EEEvS14_.has_indirect_call, 0
	.section	.AMDGPU.csdata,"",@progbits
; Kernel info:
; codeLenInByte = 0
; TotalNumSgprs: 0
; NumVgprs: 0
; ScratchSize: 0
; MemoryBound: 0
; FloatMode: 240
; IeeeMode: 1
; LDSByteSize: 0 bytes/workgroup (compile time only)
; SGPRBlocks: 0
; VGPRBlocks: 0
; NumSGPRsForWavesPerEU: 1
; NumVGPRsForWavesPerEU: 1
; Occupancy: 16
; WaveLimiterHint : 0
; COMPUTE_PGM_RSRC2:SCRATCH_EN: 0
; COMPUTE_PGM_RSRC2:USER_SGPR: 6
; COMPUTE_PGM_RSRC2:TRAP_HANDLER: 0
; COMPUTE_PGM_RSRC2:TGID_X_EN: 1
; COMPUTE_PGM_RSRC2:TGID_Y_EN: 0
; COMPUTE_PGM_RSRC2:TGID_Z_EN: 0
; COMPUTE_PGM_RSRC2:TIDIG_COMP_CNT: 0
	.section	.text._ZN7rocprim17ROCPRIM_400000_NS6detail17trampoline_kernelINS0_14default_configENS1_22reduce_config_selectorIN6thrust23THRUST_200600_302600_NS5tupleIblNS6_9null_typeES8_S8_S8_S8_S8_S8_S8_EEEEZNS1_11reduce_implILb1ES3_NS6_12zip_iteratorINS7_INS6_11hip_rocprim26transform_input_iterator_tIbNSD_35transform_pair_of_input_iterators_tIbNS6_6detail15normal_iteratorINS6_10device_ptrIKbEEEESL_NS6_8equal_toIbEEEENSG_9not_fun_tINSD_8identityEEEEENSD_19counting_iterator_tIlEES8_S8_S8_S8_S8_S8_S8_S8_EEEEPS9_S9_NSD_9__find_if7functorIS9_EEEE10hipError_tPvRmT1_T2_T3_mT4_P12ihipStream_tbEUlT_E0_NS1_11comp_targetILNS1_3genE10ELNS1_11target_archE1201ELNS1_3gpuE5ELNS1_3repE0EEENS1_30default_config_static_selectorELNS0_4arch9wavefront6targetE0EEEvS14_,"axG",@progbits,_ZN7rocprim17ROCPRIM_400000_NS6detail17trampoline_kernelINS0_14default_configENS1_22reduce_config_selectorIN6thrust23THRUST_200600_302600_NS5tupleIblNS6_9null_typeES8_S8_S8_S8_S8_S8_S8_EEEEZNS1_11reduce_implILb1ES3_NS6_12zip_iteratorINS7_INS6_11hip_rocprim26transform_input_iterator_tIbNSD_35transform_pair_of_input_iterators_tIbNS6_6detail15normal_iteratorINS6_10device_ptrIKbEEEESL_NS6_8equal_toIbEEEENSG_9not_fun_tINSD_8identityEEEEENSD_19counting_iterator_tIlEES8_S8_S8_S8_S8_S8_S8_S8_EEEEPS9_S9_NSD_9__find_if7functorIS9_EEEE10hipError_tPvRmT1_T2_T3_mT4_P12ihipStream_tbEUlT_E0_NS1_11comp_targetILNS1_3genE10ELNS1_11target_archE1201ELNS1_3gpuE5ELNS1_3repE0EEENS1_30default_config_static_selectorELNS0_4arch9wavefront6targetE0EEEvS14_,comdat
	.protected	_ZN7rocprim17ROCPRIM_400000_NS6detail17trampoline_kernelINS0_14default_configENS1_22reduce_config_selectorIN6thrust23THRUST_200600_302600_NS5tupleIblNS6_9null_typeES8_S8_S8_S8_S8_S8_S8_EEEEZNS1_11reduce_implILb1ES3_NS6_12zip_iteratorINS7_INS6_11hip_rocprim26transform_input_iterator_tIbNSD_35transform_pair_of_input_iterators_tIbNS6_6detail15normal_iteratorINS6_10device_ptrIKbEEEESL_NS6_8equal_toIbEEEENSG_9not_fun_tINSD_8identityEEEEENSD_19counting_iterator_tIlEES8_S8_S8_S8_S8_S8_S8_S8_EEEEPS9_S9_NSD_9__find_if7functorIS9_EEEE10hipError_tPvRmT1_T2_T3_mT4_P12ihipStream_tbEUlT_E0_NS1_11comp_targetILNS1_3genE10ELNS1_11target_archE1201ELNS1_3gpuE5ELNS1_3repE0EEENS1_30default_config_static_selectorELNS0_4arch9wavefront6targetE0EEEvS14_ ; -- Begin function _ZN7rocprim17ROCPRIM_400000_NS6detail17trampoline_kernelINS0_14default_configENS1_22reduce_config_selectorIN6thrust23THRUST_200600_302600_NS5tupleIblNS6_9null_typeES8_S8_S8_S8_S8_S8_S8_EEEEZNS1_11reduce_implILb1ES3_NS6_12zip_iteratorINS7_INS6_11hip_rocprim26transform_input_iterator_tIbNSD_35transform_pair_of_input_iterators_tIbNS6_6detail15normal_iteratorINS6_10device_ptrIKbEEEESL_NS6_8equal_toIbEEEENSG_9not_fun_tINSD_8identityEEEEENSD_19counting_iterator_tIlEES8_S8_S8_S8_S8_S8_S8_S8_EEEEPS9_S9_NSD_9__find_if7functorIS9_EEEE10hipError_tPvRmT1_T2_T3_mT4_P12ihipStream_tbEUlT_E0_NS1_11comp_targetILNS1_3genE10ELNS1_11target_archE1201ELNS1_3gpuE5ELNS1_3repE0EEENS1_30default_config_static_selectorELNS0_4arch9wavefront6targetE0EEEvS14_
	.globl	_ZN7rocprim17ROCPRIM_400000_NS6detail17trampoline_kernelINS0_14default_configENS1_22reduce_config_selectorIN6thrust23THRUST_200600_302600_NS5tupleIblNS6_9null_typeES8_S8_S8_S8_S8_S8_S8_EEEEZNS1_11reduce_implILb1ES3_NS6_12zip_iteratorINS7_INS6_11hip_rocprim26transform_input_iterator_tIbNSD_35transform_pair_of_input_iterators_tIbNS6_6detail15normal_iteratorINS6_10device_ptrIKbEEEESL_NS6_8equal_toIbEEEENSG_9not_fun_tINSD_8identityEEEEENSD_19counting_iterator_tIlEES8_S8_S8_S8_S8_S8_S8_S8_EEEEPS9_S9_NSD_9__find_if7functorIS9_EEEE10hipError_tPvRmT1_T2_T3_mT4_P12ihipStream_tbEUlT_E0_NS1_11comp_targetILNS1_3genE10ELNS1_11target_archE1201ELNS1_3gpuE5ELNS1_3repE0EEENS1_30default_config_static_selectorELNS0_4arch9wavefront6targetE0EEEvS14_
	.p2align	8
	.type	_ZN7rocprim17ROCPRIM_400000_NS6detail17trampoline_kernelINS0_14default_configENS1_22reduce_config_selectorIN6thrust23THRUST_200600_302600_NS5tupleIblNS6_9null_typeES8_S8_S8_S8_S8_S8_S8_EEEEZNS1_11reduce_implILb1ES3_NS6_12zip_iteratorINS7_INS6_11hip_rocprim26transform_input_iterator_tIbNSD_35transform_pair_of_input_iterators_tIbNS6_6detail15normal_iteratorINS6_10device_ptrIKbEEEESL_NS6_8equal_toIbEEEENSG_9not_fun_tINSD_8identityEEEEENSD_19counting_iterator_tIlEES8_S8_S8_S8_S8_S8_S8_S8_EEEEPS9_S9_NSD_9__find_if7functorIS9_EEEE10hipError_tPvRmT1_T2_T3_mT4_P12ihipStream_tbEUlT_E0_NS1_11comp_targetILNS1_3genE10ELNS1_11target_archE1201ELNS1_3gpuE5ELNS1_3repE0EEENS1_30default_config_static_selectorELNS0_4arch9wavefront6targetE0EEEvS14_,@function
_ZN7rocprim17ROCPRIM_400000_NS6detail17trampoline_kernelINS0_14default_configENS1_22reduce_config_selectorIN6thrust23THRUST_200600_302600_NS5tupleIblNS6_9null_typeES8_S8_S8_S8_S8_S8_S8_EEEEZNS1_11reduce_implILb1ES3_NS6_12zip_iteratorINS7_INS6_11hip_rocprim26transform_input_iterator_tIbNSD_35transform_pair_of_input_iterators_tIbNS6_6detail15normal_iteratorINS6_10device_ptrIKbEEEESL_NS6_8equal_toIbEEEENSG_9not_fun_tINSD_8identityEEEEENSD_19counting_iterator_tIlEES8_S8_S8_S8_S8_S8_S8_S8_EEEEPS9_S9_NSD_9__find_if7functorIS9_EEEE10hipError_tPvRmT1_T2_T3_mT4_P12ihipStream_tbEUlT_E0_NS1_11comp_targetILNS1_3genE10ELNS1_11target_archE1201ELNS1_3gpuE5ELNS1_3repE0EEENS1_30default_config_static_selectorELNS0_4arch9wavefront6targetE0EEEvS14_: ; @_ZN7rocprim17ROCPRIM_400000_NS6detail17trampoline_kernelINS0_14default_configENS1_22reduce_config_selectorIN6thrust23THRUST_200600_302600_NS5tupleIblNS6_9null_typeES8_S8_S8_S8_S8_S8_S8_EEEEZNS1_11reduce_implILb1ES3_NS6_12zip_iteratorINS7_INS6_11hip_rocprim26transform_input_iterator_tIbNSD_35transform_pair_of_input_iterators_tIbNS6_6detail15normal_iteratorINS6_10device_ptrIKbEEEESL_NS6_8equal_toIbEEEENSG_9not_fun_tINSD_8identityEEEEENSD_19counting_iterator_tIlEES8_S8_S8_S8_S8_S8_S8_S8_EEEEPS9_S9_NSD_9__find_if7functorIS9_EEEE10hipError_tPvRmT1_T2_T3_mT4_P12ihipStream_tbEUlT_E0_NS1_11comp_targetILNS1_3genE10ELNS1_11target_archE1201ELNS1_3gpuE5ELNS1_3repE0EEENS1_30default_config_static_selectorELNS0_4arch9wavefront6targetE0EEEvS14_
; %bb.0:
	.section	.rodata,"a",@progbits
	.p2align	6, 0x0
	.amdhsa_kernel _ZN7rocprim17ROCPRIM_400000_NS6detail17trampoline_kernelINS0_14default_configENS1_22reduce_config_selectorIN6thrust23THRUST_200600_302600_NS5tupleIblNS6_9null_typeES8_S8_S8_S8_S8_S8_S8_EEEEZNS1_11reduce_implILb1ES3_NS6_12zip_iteratorINS7_INS6_11hip_rocprim26transform_input_iterator_tIbNSD_35transform_pair_of_input_iterators_tIbNS6_6detail15normal_iteratorINS6_10device_ptrIKbEEEESL_NS6_8equal_toIbEEEENSG_9not_fun_tINSD_8identityEEEEENSD_19counting_iterator_tIlEES8_S8_S8_S8_S8_S8_S8_S8_EEEEPS9_S9_NSD_9__find_if7functorIS9_EEEE10hipError_tPvRmT1_T2_T3_mT4_P12ihipStream_tbEUlT_E0_NS1_11comp_targetILNS1_3genE10ELNS1_11target_archE1201ELNS1_3gpuE5ELNS1_3repE0EEENS1_30default_config_static_selectorELNS0_4arch9wavefront6targetE0EEEvS14_
		.amdhsa_group_segment_fixed_size 0
		.amdhsa_private_segment_fixed_size 0
		.amdhsa_kernarg_size 104
		.amdhsa_user_sgpr_count 6
		.amdhsa_user_sgpr_private_segment_buffer 1
		.amdhsa_user_sgpr_dispatch_ptr 0
		.amdhsa_user_sgpr_queue_ptr 0
		.amdhsa_user_sgpr_kernarg_segment_ptr 1
		.amdhsa_user_sgpr_dispatch_id 0
		.amdhsa_user_sgpr_flat_scratch_init 0
		.amdhsa_user_sgpr_private_segment_size 0
		.amdhsa_wavefront_size32 1
		.amdhsa_uses_dynamic_stack 0
		.amdhsa_system_sgpr_private_segment_wavefront_offset 0
		.amdhsa_system_sgpr_workgroup_id_x 1
		.amdhsa_system_sgpr_workgroup_id_y 0
		.amdhsa_system_sgpr_workgroup_id_z 0
		.amdhsa_system_sgpr_workgroup_info 0
		.amdhsa_system_vgpr_workitem_id 0
		.amdhsa_next_free_vgpr 1
		.amdhsa_next_free_sgpr 1
		.amdhsa_reserve_vcc 0
		.amdhsa_reserve_flat_scratch 0
		.amdhsa_float_round_mode_32 0
		.amdhsa_float_round_mode_16_64 0
		.amdhsa_float_denorm_mode_32 3
		.amdhsa_float_denorm_mode_16_64 3
		.amdhsa_dx10_clamp 1
		.amdhsa_ieee_mode 1
		.amdhsa_fp16_overflow 0
		.amdhsa_workgroup_processor_mode 1
		.amdhsa_memory_ordered 1
		.amdhsa_forward_progress 1
		.amdhsa_shared_vgpr_count 0
		.amdhsa_exception_fp_ieee_invalid_op 0
		.amdhsa_exception_fp_denorm_src 0
		.amdhsa_exception_fp_ieee_div_zero 0
		.amdhsa_exception_fp_ieee_overflow 0
		.amdhsa_exception_fp_ieee_underflow 0
		.amdhsa_exception_fp_ieee_inexact 0
		.amdhsa_exception_int_div_zero 0
	.end_amdhsa_kernel
	.section	.text._ZN7rocprim17ROCPRIM_400000_NS6detail17trampoline_kernelINS0_14default_configENS1_22reduce_config_selectorIN6thrust23THRUST_200600_302600_NS5tupleIblNS6_9null_typeES8_S8_S8_S8_S8_S8_S8_EEEEZNS1_11reduce_implILb1ES3_NS6_12zip_iteratorINS7_INS6_11hip_rocprim26transform_input_iterator_tIbNSD_35transform_pair_of_input_iterators_tIbNS6_6detail15normal_iteratorINS6_10device_ptrIKbEEEESL_NS6_8equal_toIbEEEENSG_9not_fun_tINSD_8identityEEEEENSD_19counting_iterator_tIlEES8_S8_S8_S8_S8_S8_S8_S8_EEEEPS9_S9_NSD_9__find_if7functorIS9_EEEE10hipError_tPvRmT1_T2_T3_mT4_P12ihipStream_tbEUlT_E0_NS1_11comp_targetILNS1_3genE10ELNS1_11target_archE1201ELNS1_3gpuE5ELNS1_3repE0EEENS1_30default_config_static_selectorELNS0_4arch9wavefront6targetE0EEEvS14_,"axG",@progbits,_ZN7rocprim17ROCPRIM_400000_NS6detail17trampoline_kernelINS0_14default_configENS1_22reduce_config_selectorIN6thrust23THRUST_200600_302600_NS5tupleIblNS6_9null_typeES8_S8_S8_S8_S8_S8_S8_EEEEZNS1_11reduce_implILb1ES3_NS6_12zip_iteratorINS7_INS6_11hip_rocprim26transform_input_iterator_tIbNSD_35transform_pair_of_input_iterators_tIbNS6_6detail15normal_iteratorINS6_10device_ptrIKbEEEESL_NS6_8equal_toIbEEEENSG_9not_fun_tINSD_8identityEEEEENSD_19counting_iterator_tIlEES8_S8_S8_S8_S8_S8_S8_S8_EEEEPS9_S9_NSD_9__find_if7functorIS9_EEEE10hipError_tPvRmT1_T2_T3_mT4_P12ihipStream_tbEUlT_E0_NS1_11comp_targetILNS1_3genE10ELNS1_11target_archE1201ELNS1_3gpuE5ELNS1_3repE0EEENS1_30default_config_static_selectorELNS0_4arch9wavefront6targetE0EEEvS14_,comdat
.Lfunc_end748:
	.size	_ZN7rocprim17ROCPRIM_400000_NS6detail17trampoline_kernelINS0_14default_configENS1_22reduce_config_selectorIN6thrust23THRUST_200600_302600_NS5tupleIblNS6_9null_typeES8_S8_S8_S8_S8_S8_S8_EEEEZNS1_11reduce_implILb1ES3_NS6_12zip_iteratorINS7_INS6_11hip_rocprim26transform_input_iterator_tIbNSD_35transform_pair_of_input_iterators_tIbNS6_6detail15normal_iteratorINS6_10device_ptrIKbEEEESL_NS6_8equal_toIbEEEENSG_9not_fun_tINSD_8identityEEEEENSD_19counting_iterator_tIlEES8_S8_S8_S8_S8_S8_S8_S8_EEEEPS9_S9_NSD_9__find_if7functorIS9_EEEE10hipError_tPvRmT1_T2_T3_mT4_P12ihipStream_tbEUlT_E0_NS1_11comp_targetILNS1_3genE10ELNS1_11target_archE1201ELNS1_3gpuE5ELNS1_3repE0EEENS1_30default_config_static_selectorELNS0_4arch9wavefront6targetE0EEEvS14_, .Lfunc_end748-_ZN7rocprim17ROCPRIM_400000_NS6detail17trampoline_kernelINS0_14default_configENS1_22reduce_config_selectorIN6thrust23THRUST_200600_302600_NS5tupleIblNS6_9null_typeES8_S8_S8_S8_S8_S8_S8_EEEEZNS1_11reduce_implILb1ES3_NS6_12zip_iteratorINS7_INS6_11hip_rocprim26transform_input_iterator_tIbNSD_35transform_pair_of_input_iterators_tIbNS6_6detail15normal_iteratorINS6_10device_ptrIKbEEEESL_NS6_8equal_toIbEEEENSG_9not_fun_tINSD_8identityEEEEENSD_19counting_iterator_tIlEES8_S8_S8_S8_S8_S8_S8_S8_EEEEPS9_S9_NSD_9__find_if7functorIS9_EEEE10hipError_tPvRmT1_T2_T3_mT4_P12ihipStream_tbEUlT_E0_NS1_11comp_targetILNS1_3genE10ELNS1_11target_archE1201ELNS1_3gpuE5ELNS1_3repE0EEENS1_30default_config_static_selectorELNS0_4arch9wavefront6targetE0EEEvS14_
                                        ; -- End function
	.set _ZN7rocprim17ROCPRIM_400000_NS6detail17trampoline_kernelINS0_14default_configENS1_22reduce_config_selectorIN6thrust23THRUST_200600_302600_NS5tupleIblNS6_9null_typeES8_S8_S8_S8_S8_S8_S8_EEEEZNS1_11reduce_implILb1ES3_NS6_12zip_iteratorINS7_INS6_11hip_rocprim26transform_input_iterator_tIbNSD_35transform_pair_of_input_iterators_tIbNS6_6detail15normal_iteratorINS6_10device_ptrIKbEEEESL_NS6_8equal_toIbEEEENSG_9not_fun_tINSD_8identityEEEEENSD_19counting_iterator_tIlEES8_S8_S8_S8_S8_S8_S8_S8_EEEEPS9_S9_NSD_9__find_if7functorIS9_EEEE10hipError_tPvRmT1_T2_T3_mT4_P12ihipStream_tbEUlT_E0_NS1_11comp_targetILNS1_3genE10ELNS1_11target_archE1201ELNS1_3gpuE5ELNS1_3repE0EEENS1_30default_config_static_selectorELNS0_4arch9wavefront6targetE0EEEvS14_.num_vgpr, 0
	.set _ZN7rocprim17ROCPRIM_400000_NS6detail17trampoline_kernelINS0_14default_configENS1_22reduce_config_selectorIN6thrust23THRUST_200600_302600_NS5tupleIblNS6_9null_typeES8_S8_S8_S8_S8_S8_S8_EEEEZNS1_11reduce_implILb1ES3_NS6_12zip_iteratorINS7_INS6_11hip_rocprim26transform_input_iterator_tIbNSD_35transform_pair_of_input_iterators_tIbNS6_6detail15normal_iteratorINS6_10device_ptrIKbEEEESL_NS6_8equal_toIbEEEENSG_9not_fun_tINSD_8identityEEEEENSD_19counting_iterator_tIlEES8_S8_S8_S8_S8_S8_S8_S8_EEEEPS9_S9_NSD_9__find_if7functorIS9_EEEE10hipError_tPvRmT1_T2_T3_mT4_P12ihipStream_tbEUlT_E0_NS1_11comp_targetILNS1_3genE10ELNS1_11target_archE1201ELNS1_3gpuE5ELNS1_3repE0EEENS1_30default_config_static_selectorELNS0_4arch9wavefront6targetE0EEEvS14_.num_agpr, 0
	.set _ZN7rocprim17ROCPRIM_400000_NS6detail17trampoline_kernelINS0_14default_configENS1_22reduce_config_selectorIN6thrust23THRUST_200600_302600_NS5tupleIblNS6_9null_typeES8_S8_S8_S8_S8_S8_S8_EEEEZNS1_11reduce_implILb1ES3_NS6_12zip_iteratorINS7_INS6_11hip_rocprim26transform_input_iterator_tIbNSD_35transform_pair_of_input_iterators_tIbNS6_6detail15normal_iteratorINS6_10device_ptrIKbEEEESL_NS6_8equal_toIbEEEENSG_9not_fun_tINSD_8identityEEEEENSD_19counting_iterator_tIlEES8_S8_S8_S8_S8_S8_S8_S8_EEEEPS9_S9_NSD_9__find_if7functorIS9_EEEE10hipError_tPvRmT1_T2_T3_mT4_P12ihipStream_tbEUlT_E0_NS1_11comp_targetILNS1_3genE10ELNS1_11target_archE1201ELNS1_3gpuE5ELNS1_3repE0EEENS1_30default_config_static_selectorELNS0_4arch9wavefront6targetE0EEEvS14_.numbered_sgpr, 0
	.set _ZN7rocprim17ROCPRIM_400000_NS6detail17trampoline_kernelINS0_14default_configENS1_22reduce_config_selectorIN6thrust23THRUST_200600_302600_NS5tupleIblNS6_9null_typeES8_S8_S8_S8_S8_S8_S8_EEEEZNS1_11reduce_implILb1ES3_NS6_12zip_iteratorINS7_INS6_11hip_rocprim26transform_input_iterator_tIbNSD_35transform_pair_of_input_iterators_tIbNS6_6detail15normal_iteratorINS6_10device_ptrIKbEEEESL_NS6_8equal_toIbEEEENSG_9not_fun_tINSD_8identityEEEEENSD_19counting_iterator_tIlEES8_S8_S8_S8_S8_S8_S8_S8_EEEEPS9_S9_NSD_9__find_if7functorIS9_EEEE10hipError_tPvRmT1_T2_T3_mT4_P12ihipStream_tbEUlT_E0_NS1_11comp_targetILNS1_3genE10ELNS1_11target_archE1201ELNS1_3gpuE5ELNS1_3repE0EEENS1_30default_config_static_selectorELNS0_4arch9wavefront6targetE0EEEvS14_.num_named_barrier, 0
	.set _ZN7rocprim17ROCPRIM_400000_NS6detail17trampoline_kernelINS0_14default_configENS1_22reduce_config_selectorIN6thrust23THRUST_200600_302600_NS5tupleIblNS6_9null_typeES8_S8_S8_S8_S8_S8_S8_EEEEZNS1_11reduce_implILb1ES3_NS6_12zip_iteratorINS7_INS6_11hip_rocprim26transform_input_iterator_tIbNSD_35transform_pair_of_input_iterators_tIbNS6_6detail15normal_iteratorINS6_10device_ptrIKbEEEESL_NS6_8equal_toIbEEEENSG_9not_fun_tINSD_8identityEEEEENSD_19counting_iterator_tIlEES8_S8_S8_S8_S8_S8_S8_S8_EEEEPS9_S9_NSD_9__find_if7functorIS9_EEEE10hipError_tPvRmT1_T2_T3_mT4_P12ihipStream_tbEUlT_E0_NS1_11comp_targetILNS1_3genE10ELNS1_11target_archE1201ELNS1_3gpuE5ELNS1_3repE0EEENS1_30default_config_static_selectorELNS0_4arch9wavefront6targetE0EEEvS14_.private_seg_size, 0
	.set _ZN7rocprim17ROCPRIM_400000_NS6detail17trampoline_kernelINS0_14default_configENS1_22reduce_config_selectorIN6thrust23THRUST_200600_302600_NS5tupleIblNS6_9null_typeES8_S8_S8_S8_S8_S8_S8_EEEEZNS1_11reduce_implILb1ES3_NS6_12zip_iteratorINS7_INS6_11hip_rocprim26transform_input_iterator_tIbNSD_35transform_pair_of_input_iterators_tIbNS6_6detail15normal_iteratorINS6_10device_ptrIKbEEEESL_NS6_8equal_toIbEEEENSG_9not_fun_tINSD_8identityEEEEENSD_19counting_iterator_tIlEES8_S8_S8_S8_S8_S8_S8_S8_EEEEPS9_S9_NSD_9__find_if7functorIS9_EEEE10hipError_tPvRmT1_T2_T3_mT4_P12ihipStream_tbEUlT_E0_NS1_11comp_targetILNS1_3genE10ELNS1_11target_archE1201ELNS1_3gpuE5ELNS1_3repE0EEENS1_30default_config_static_selectorELNS0_4arch9wavefront6targetE0EEEvS14_.uses_vcc, 0
	.set _ZN7rocprim17ROCPRIM_400000_NS6detail17trampoline_kernelINS0_14default_configENS1_22reduce_config_selectorIN6thrust23THRUST_200600_302600_NS5tupleIblNS6_9null_typeES8_S8_S8_S8_S8_S8_S8_EEEEZNS1_11reduce_implILb1ES3_NS6_12zip_iteratorINS7_INS6_11hip_rocprim26transform_input_iterator_tIbNSD_35transform_pair_of_input_iterators_tIbNS6_6detail15normal_iteratorINS6_10device_ptrIKbEEEESL_NS6_8equal_toIbEEEENSG_9not_fun_tINSD_8identityEEEEENSD_19counting_iterator_tIlEES8_S8_S8_S8_S8_S8_S8_S8_EEEEPS9_S9_NSD_9__find_if7functorIS9_EEEE10hipError_tPvRmT1_T2_T3_mT4_P12ihipStream_tbEUlT_E0_NS1_11comp_targetILNS1_3genE10ELNS1_11target_archE1201ELNS1_3gpuE5ELNS1_3repE0EEENS1_30default_config_static_selectorELNS0_4arch9wavefront6targetE0EEEvS14_.uses_flat_scratch, 0
	.set _ZN7rocprim17ROCPRIM_400000_NS6detail17trampoline_kernelINS0_14default_configENS1_22reduce_config_selectorIN6thrust23THRUST_200600_302600_NS5tupleIblNS6_9null_typeES8_S8_S8_S8_S8_S8_S8_EEEEZNS1_11reduce_implILb1ES3_NS6_12zip_iteratorINS7_INS6_11hip_rocprim26transform_input_iterator_tIbNSD_35transform_pair_of_input_iterators_tIbNS6_6detail15normal_iteratorINS6_10device_ptrIKbEEEESL_NS6_8equal_toIbEEEENSG_9not_fun_tINSD_8identityEEEEENSD_19counting_iterator_tIlEES8_S8_S8_S8_S8_S8_S8_S8_EEEEPS9_S9_NSD_9__find_if7functorIS9_EEEE10hipError_tPvRmT1_T2_T3_mT4_P12ihipStream_tbEUlT_E0_NS1_11comp_targetILNS1_3genE10ELNS1_11target_archE1201ELNS1_3gpuE5ELNS1_3repE0EEENS1_30default_config_static_selectorELNS0_4arch9wavefront6targetE0EEEvS14_.has_dyn_sized_stack, 0
	.set _ZN7rocprim17ROCPRIM_400000_NS6detail17trampoline_kernelINS0_14default_configENS1_22reduce_config_selectorIN6thrust23THRUST_200600_302600_NS5tupleIblNS6_9null_typeES8_S8_S8_S8_S8_S8_S8_EEEEZNS1_11reduce_implILb1ES3_NS6_12zip_iteratorINS7_INS6_11hip_rocprim26transform_input_iterator_tIbNSD_35transform_pair_of_input_iterators_tIbNS6_6detail15normal_iteratorINS6_10device_ptrIKbEEEESL_NS6_8equal_toIbEEEENSG_9not_fun_tINSD_8identityEEEEENSD_19counting_iterator_tIlEES8_S8_S8_S8_S8_S8_S8_S8_EEEEPS9_S9_NSD_9__find_if7functorIS9_EEEE10hipError_tPvRmT1_T2_T3_mT4_P12ihipStream_tbEUlT_E0_NS1_11comp_targetILNS1_3genE10ELNS1_11target_archE1201ELNS1_3gpuE5ELNS1_3repE0EEENS1_30default_config_static_selectorELNS0_4arch9wavefront6targetE0EEEvS14_.has_recursion, 0
	.set _ZN7rocprim17ROCPRIM_400000_NS6detail17trampoline_kernelINS0_14default_configENS1_22reduce_config_selectorIN6thrust23THRUST_200600_302600_NS5tupleIblNS6_9null_typeES8_S8_S8_S8_S8_S8_S8_EEEEZNS1_11reduce_implILb1ES3_NS6_12zip_iteratorINS7_INS6_11hip_rocprim26transform_input_iterator_tIbNSD_35transform_pair_of_input_iterators_tIbNS6_6detail15normal_iteratorINS6_10device_ptrIKbEEEESL_NS6_8equal_toIbEEEENSG_9not_fun_tINSD_8identityEEEEENSD_19counting_iterator_tIlEES8_S8_S8_S8_S8_S8_S8_S8_EEEEPS9_S9_NSD_9__find_if7functorIS9_EEEE10hipError_tPvRmT1_T2_T3_mT4_P12ihipStream_tbEUlT_E0_NS1_11comp_targetILNS1_3genE10ELNS1_11target_archE1201ELNS1_3gpuE5ELNS1_3repE0EEENS1_30default_config_static_selectorELNS0_4arch9wavefront6targetE0EEEvS14_.has_indirect_call, 0
	.section	.AMDGPU.csdata,"",@progbits
; Kernel info:
; codeLenInByte = 0
; TotalNumSgprs: 0
; NumVgprs: 0
; ScratchSize: 0
; MemoryBound: 0
; FloatMode: 240
; IeeeMode: 1
; LDSByteSize: 0 bytes/workgroup (compile time only)
; SGPRBlocks: 0
; VGPRBlocks: 0
; NumSGPRsForWavesPerEU: 1
; NumVGPRsForWavesPerEU: 1
; Occupancy: 16
; WaveLimiterHint : 0
; COMPUTE_PGM_RSRC2:SCRATCH_EN: 0
; COMPUTE_PGM_RSRC2:USER_SGPR: 6
; COMPUTE_PGM_RSRC2:TRAP_HANDLER: 0
; COMPUTE_PGM_RSRC2:TGID_X_EN: 1
; COMPUTE_PGM_RSRC2:TGID_Y_EN: 0
; COMPUTE_PGM_RSRC2:TGID_Z_EN: 0
; COMPUTE_PGM_RSRC2:TIDIG_COMP_CNT: 0
	.section	.text._ZN7rocprim17ROCPRIM_400000_NS6detail17trampoline_kernelINS0_14default_configENS1_22reduce_config_selectorIN6thrust23THRUST_200600_302600_NS5tupleIblNS6_9null_typeES8_S8_S8_S8_S8_S8_S8_EEEEZNS1_11reduce_implILb1ES3_NS6_12zip_iteratorINS7_INS6_11hip_rocprim26transform_input_iterator_tIbNSD_35transform_pair_of_input_iterators_tIbNS6_6detail15normal_iteratorINS6_10device_ptrIKbEEEESL_NS6_8equal_toIbEEEENSG_9not_fun_tINSD_8identityEEEEENSD_19counting_iterator_tIlEES8_S8_S8_S8_S8_S8_S8_S8_EEEEPS9_S9_NSD_9__find_if7functorIS9_EEEE10hipError_tPvRmT1_T2_T3_mT4_P12ihipStream_tbEUlT_E0_NS1_11comp_targetILNS1_3genE10ELNS1_11target_archE1200ELNS1_3gpuE4ELNS1_3repE0EEENS1_30default_config_static_selectorELNS0_4arch9wavefront6targetE0EEEvS14_,"axG",@progbits,_ZN7rocprim17ROCPRIM_400000_NS6detail17trampoline_kernelINS0_14default_configENS1_22reduce_config_selectorIN6thrust23THRUST_200600_302600_NS5tupleIblNS6_9null_typeES8_S8_S8_S8_S8_S8_S8_EEEEZNS1_11reduce_implILb1ES3_NS6_12zip_iteratorINS7_INS6_11hip_rocprim26transform_input_iterator_tIbNSD_35transform_pair_of_input_iterators_tIbNS6_6detail15normal_iteratorINS6_10device_ptrIKbEEEESL_NS6_8equal_toIbEEEENSG_9not_fun_tINSD_8identityEEEEENSD_19counting_iterator_tIlEES8_S8_S8_S8_S8_S8_S8_S8_EEEEPS9_S9_NSD_9__find_if7functorIS9_EEEE10hipError_tPvRmT1_T2_T3_mT4_P12ihipStream_tbEUlT_E0_NS1_11comp_targetILNS1_3genE10ELNS1_11target_archE1200ELNS1_3gpuE4ELNS1_3repE0EEENS1_30default_config_static_selectorELNS0_4arch9wavefront6targetE0EEEvS14_,comdat
	.protected	_ZN7rocprim17ROCPRIM_400000_NS6detail17trampoline_kernelINS0_14default_configENS1_22reduce_config_selectorIN6thrust23THRUST_200600_302600_NS5tupleIblNS6_9null_typeES8_S8_S8_S8_S8_S8_S8_EEEEZNS1_11reduce_implILb1ES3_NS6_12zip_iteratorINS7_INS6_11hip_rocprim26transform_input_iterator_tIbNSD_35transform_pair_of_input_iterators_tIbNS6_6detail15normal_iteratorINS6_10device_ptrIKbEEEESL_NS6_8equal_toIbEEEENSG_9not_fun_tINSD_8identityEEEEENSD_19counting_iterator_tIlEES8_S8_S8_S8_S8_S8_S8_S8_EEEEPS9_S9_NSD_9__find_if7functorIS9_EEEE10hipError_tPvRmT1_T2_T3_mT4_P12ihipStream_tbEUlT_E0_NS1_11comp_targetILNS1_3genE10ELNS1_11target_archE1200ELNS1_3gpuE4ELNS1_3repE0EEENS1_30default_config_static_selectorELNS0_4arch9wavefront6targetE0EEEvS14_ ; -- Begin function _ZN7rocprim17ROCPRIM_400000_NS6detail17trampoline_kernelINS0_14default_configENS1_22reduce_config_selectorIN6thrust23THRUST_200600_302600_NS5tupleIblNS6_9null_typeES8_S8_S8_S8_S8_S8_S8_EEEEZNS1_11reduce_implILb1ES3_NS6_12zip_iteratorINS7_INS6_11hip_rocprim26transform_input_iterator_tIbNSD_35transform_pair_of_input_iterators_tIbNS6_6detail15normal_iteratorINS6_10device_ptrIKbEEEESL_NS6_8equal_toIbEEEENSG_9not_fun_tINSD_8identityEEEEENSD_19counting_iterator_tIlEES8_S8_S8_S8_S8_S8_S8_S8_EEEEPS9_S9_NSD_9__find_if7functorIS9_EEEE10hipError_tPvRmT1_T2_T3_mT4_P12ihipStream_tbEUlT_E0_NS1_11comp_targetILNS1_3genE10ELNS1_11target_archE1200ELNS1_3gpuE4ELNS1_3repE0EEENS1_30default_config_static_selectorELNS0_4arch9wavefront6targetE0EEEvS14_
	.globl	_ZN7rocprim17ROCPRIM_400000_NS6detail17trampoline_kernelINS0_14default_configENS1_22reduce_config_selectorIN6thrust23THRUST_200600_302600_NS5tupleIblNS6_9null_typeES8_S8_S8_S8_S8_S8_S8_EEEEZNS1_11reduce_implILb1ES3_NS6_12zip_iteratorINS7_INS6_11hip_rocprim26transform_input_iterator_tIbNSD_35transform_pair_of_input_iterators_tIbNS6_6detail15normal_iteratorINS6_10device_ptrIKbEEEESL_NS6_8equal_toIbEEEENSG_9not_fun_tINSD_8identityEEEEENSD_19counting_iterator_tIlEES8_S8_S8_S8_S8_S8_S8_S8_EEEEPS9_S9_NSD_9__find_if7functorIS9_EEEE10hipError_tPvRmT1_T2_T3_mT4_P12ihipStream_tbEUlT_E0_NS1_11comp_targetILNS1_3genE10ELNS1_11target_archE1200ELNS1_3gpuE4ELNS1_3repE0EEENS1_30default_config_static_selectorELNS0_4arch9wavefront6targetE0EEEvS14_
	.p2align	8
	.type	_ZN7rocprim17ROCPRIM_400000_NS6detail17trampoline_kernelINS0_14default_configENS1_22reduce_config_selectorIN6thrust23THRUST_200600_302600_NS5tupleIblNS6_9null_typeES8_S8_S8_S8_S8_S8_S8_EEEEZNS1_11reduce_implILb1ES3_NS6_12zip_iteratorINS7_INS6_11hip_rocprim26transform_input_iterator_tIbNSD_35transform_pair_of_input_iterators_tIbNS6_6detail15normal_iteratorINS6_10device_ptrIKbEEEESL_NS6_8equal_toIbEEEENSG_9not_fun_tINSD_8identityEEEEENSD_19counting_iterator_tIlEES8_S8_S8_S8_S8_S8_S8_S8_EEEEPS9_S9_NSD_9__find_if7functorIS9_EEEE10hipError_tPvRmT1_T2_T3_mT4_P12ihipStream_tbEUlT_E0_NS1_11comp_targetILNS1_3genE10ELNS1_11target_archE1200ELNS1_3gpuE4ELNS1_3repE0EEENS1_30default_config_static_selectorELNS0_4arch9wavefront6targetE0EEEvS14_,@function
_ZN7rocprim17ROCPRIM_400000_NS6detail17trampoline_kernelINS0_14default_configENS1_22reduce_config_selectorIN6thrust23THRUST_200600_302600_NS5tupleIblNS6_9null_typeES8_S8_S8_S8_S8_S8_S8_EEEEZNS1_11reduce_implILb1ES3_NS6_12zip_iteratorINS7_INS6_11hip_rocprim26transform_input_iterator_tIbNSD_35transform_pair_of_input_iterators_tIbNS6_6detail15normal_iteratorINS6_10device_ptrIKbEEEESL_NS6_8equal_toIbEEEENSG_9not_fun_tINSD_8identityEEEEENSD_19counting_iterator_tIlEES8_S8_S8_S8_S8_S8_S8_S8_EEEEPS9_S9_NSD_9__find_if7functorIS9_EEEE10hipError_tPvRmT1_T2_T3_mT4_P12ihipStream_tbEUlT_E0_NS1_11comp_targetILNS1_3genE10ELNS1_11target_archE1200ELNS1_3gpuE4ELNS1_3repE0EEENS1_30default_config_static_selectorELNS0_4arch9wavefront6targetE0EEEvS14_: ; @_ZN7rocprim17ROCPRIM_400000_NS6detail17trampoline_kernelINS0_14default_configENS1_22reduce_config_selectorIN6thrust23THRUST_200600_302600_NS5tupleIblNS6_9null_typeES8_S8_S8_S8_S8_S8_S8_EEEEZNS1_11reduce_implILb1ES3_NS6_12zip_iteratorINS7_INS6_11hip_rocprim26transform_input_iterator_tIbNSD_35transform_pair_of_input_iterators_tIbNS6_6detail15normal_iteratorINS6_10device_ptrIKbEEEESL_NS6_8equal_toIbEEEENSG_9not_fun_tINSD_8identityEEEEENSD_19counting_iterator_tIlEES8_S8_S8_S8_S8_S8_S8_S8_EEEEPS9_S9_NSD_9__find_if7functorIS9_EEEE10hipError_tPvRmT1_T2_T3_mT4_P12ihipStream_tbEUlT_E0_NS1_11comp_targetILNS1_3genE10ELNS1_11target_archE1200ELNS1_3gpuE4ELNS1_3repE0EEENS1_30default_config_static_selectorELNS0_4arch9wavefront6targetE0EEEvS14_
; %bb.0:
	.section	.rodata,"a",@progbits
	.p2align	6, 0x0
	.amdhsa_kernel _ZN7rocprim17ROCPRIM_400000_NS6detail17trampoline_kernelINS0_14default_configENS1_22reduce_config_selectorIN6thrust23THRUST_200600_302600_NS5tupleIblNS6_9null_typeES8_S8_S8_S8_S8_S8_S8_EEEEZNS1_11reduce_implILb1ES3_NS6_12zip_iteratorINS7_INS6_11hip_rocprim26transform_input_iterator_tIbNSD_35transform_pair_of_input_iterators_tIbNS6_6detail15normal_iteratorINS6_10device_ptrIKbEEEESL_NS6_8equal_toIbEEEENSG_9not_fun_tINSD_8identityEEEEENSD_19counting_iterator_tIlEES8_S8_S8_S8_S8_S8_S8_S8_EEEEPS9_S9_NSD_9__find_if7functorIS9_EEEE10hipError_tPvRmT1_T2_T3_mT4_P12ihipStream_tbEUlT_E0_NS1_11comp_targetILNS1_3genE10ELNS1_11target_archE1200ELNS1_3gpuE4ELNS1_3repE0EEENS1_30default_config_static_selectorELNS0_4arch9wavefront6targetE0EEEvS14_
		.amdhsa_group_segment_fixed_size 0
		.amdhsa_private_segment_fixed_size 0
		.amdhsa_kernarg_size 104
		.amdhsa_user_sgpr_count 6
		.amdhsa_user_sgpr_private_segment_buffer 1
		.amdhsa_user_sgpr_dispatch_ptr 0
		.amdhsa_user_sgpr_queue_ptr 0
		.amdhsa_user_sgpr_kernarg_segment_ptr 1
		.amdhsa_user_sgpr_dispatch_id 0
		.amdhsa_user_sgpr_flat_scratch_init 0
		.amdhsa_user_sgpr_private_segment_size 0
		.amdhsa_wavefront_size32 1
		.amdhsa_uses_dynamic_stack 0
		.amdhsa_system_sgpr_private_segment_wavefront_offset 0
		.amdhsa_system_sgpr_workgroup_id_x 1
		.amdhsa_system_sgpr_workgroup_id_y 0
		.amdhsa_system_sgpr_workgroup_id_z 0
		.amdhsa_system_sgpr_workgroup_info 0
		.amdhsa_system_vgpr_workitem_id 0
		.amdhsa_next_free_vgpr 1
		.amdhsa_next_free_sgpr 1
		.amdhsa_reserve_vcc 0
		.amdhsa_reserve_flat_scratch 0
		.amdhsa_float_round_mode_32 0
		.amdhsa_float_round_mode_16_64 0
		.amdhsa_float_denorm_mode_32 3
		.amdhsa_float_denorm_mode_16_64 3
		.amdhsa_dx10_clamp 1
		.amdhsa_ieee_mode 1
		.amdhsa_fp16_overflow 0
		.amdhsa_workgroup_processor_mode 1
		.amdhsa_memory_ordered 1
		.amdhsa_forward_progress 1
		.amdhsa_shared_vgpr_count 0
		.amdhsa_exception_fp_ieee_invalid_op 0
		.amdhsa_exception_fp_denorm_src 0
		.amdhsa_exception_fp_ieee_div_zero 0
		.amdhsa_exception_fp_ieee_overflow 0
		.amdhsa_exception_fp_ieee_underflow 0
		.amdhsa_exception_fp_ieee_inexact 0
		.amdhsa_exception_int_div_zero 0
	.end_amdhsa_kernel
	.section	.text._ZN7rocprim17ROCPRIM_400000_NS6detail17trampoline_kernelINS0_14default_configENS1_22reduce_config_selectorIN6thrust23THRUST_200600_302600_NS5tupleIblNS6_9null_typeES8_S8_S8_S8_S8_S8_S8_EEEEZNS1_11reduce_implILb1ES3_NS6_12zip_iteratorINS7_INS6_11hip_rocprim26transform_input_iterator_tIbNSD_35transform_pair_of_input_iterators_tIbNS6_6detail15normal_iteratorINS6_10device_ptrIKbEEEESL_NS6_8equal_toIbEEEENSG_9not_fun_tINSD_8identityEEEEENSD_19counting_iterator_tIlEES8_S8_S8_S8_S8_S8_S8_S8_EEEEPS9_S9_NSD_9__find_if7functorIS9_EEEE10hipError_tPvRmT1_T2_T3_mT4_P12ihipStream_tbEUlT_E0_NS1_11comp_targetILNS1_3genE10ELNS1_11target_archE1200ELNS1_3gpuE4ELNS1_3repE0EEENS1_30default_config_static_selectorELNS0_4arch9wavefront6targetE0EEEvS14_,"axG",@progbits,_ZN7rocprim17ROCPRIM_400000_NS6detail17trampoline_kernelINS0_14default_configENS1_22reduce_config_selectorIN6thrust23THRUST_200600_302600_NS5tupleIblNS6_9null_typeES8_S8_S8_S8_S8_S8_S8_EEEEZNS1_11reduce_implILb1ES3_NS6_12zip_iteratorINS7_INS6_11hip_rocprim26transform_input_iterator_tIbNSD_35transform_pair_of_input_iterators_tIbNS6_6detail15normal_iteratorINS6_10device_ptrIKbEEEESL_NS6_8equal_toIbEEEENSG_9not_fun_tINSD_8identityEEEEENSD_19counting_iterator_tIlEES8_S8_S8_S8_S8_S8_S8_S8_EEEEPS9_S9_NSD_9__find_if7functorIS9_EEEE10hipError_tPvRmT1_T2_T3_mT4_P12ihipStream_tbEUlT_E0_NS1_11comp_targetILNS1_3genE10ELNS1_11target_archE1200ELNS1_3gpuE4ELNS1_3repE0EEENS1_30default_config_static_selectorELNS0_4arch9wavefront6targetE0EEEvS14_,comdat
.Lfunc_end749:
	.size	_ZN7rocprim17ROCPRIM_400000_NS6detail17trampoline_kernelINS0_14default_configENS1_22reduce_config_selectorIN6thrust23THRUST_200600_302600_NS5tupleIblNS6_9null_typeES8_S8_S8_S8_S8_S8_S8_EEEEZNS1_11reduce_implILb1ES3_NS6_12zip_iteratorINS7_INS6_11hip_rocprim26transform_input_iterator_tIbNSD_35transform_pair_of_input_iterators_tIbNS6_6detail15normal_iteratorINS6_10device_ptrIKbEEEESL_NS6_8equal_toIbEEEENSG_9not_fun_tINSD_8identityEEEEENSD_19counting_iterator_tIlEES8_S8_S8_S8_S8_S8_S8_S8_EEEEPS9_S9_NSD_9__find_if7functorIS9_EEEE10hipError_tPvRmT1_T2_T3_mT4_P12ihipStream_tbEUlT_E0_NS1_11comp_targetILNS1_3genE10ELNS1_11target_archE1200ELNS1_3gpuE4ELNS1_3repE0EEENS1_30default_config_static_selectorELNS0_4arch9wavefront6targetE0EEEvS14_, .Lfunc_end749-_ZN7rocprim17ROCPRIM_400000_NS6detail17trampoline_kernelINS0_14default_configENS1_22reduce_config_selectorIN6thrust23THRUST_200600_302600_NS5tupleIblNS6_9null_typeES8_S8_S8_S8_S8_S8_S8_EEEEZNS1_11reduce_implILb1ES3_NS6_12zip_iteratorINS7_INS6_11hip_rocprim26transform_input_iterator_tIbNSD_35transform_pair_of_input_iterators_tIbNS6_6detail15normal_iteratorINS6_10device_ptrIKbEEEESL_NS6_8equal_toIbEEEENSG_9not_fun_tINSD_8identityEEEEENSD_19counting_iterator_tIlEES8_S8_S8_S8_S8_S8_S8_S8_EEEEPS9_S9_NSD_9__find_if7functorIS9_EEEE10hipError_tPvRmT1_T2_T3_mT4_P12ihipStream_tbEUlT_E0_NS1_11comp_targetILNS1_3genE10ELNS1_11target_archE1200ELNS1_3gpuE4ELNS1_3repE0EEENS1_30default_config_static_selectorELNS0_4arch9wavefront6targetE0EEEvS14_
                                        ; -- End function
	.set _ZN7rocprim17ROCPRIM_400000_NS6detail17trampoline_kernelINS0_14default_configENS1_22reduce_config_selectorIN6thrust23THRUST_200600_302600_NS5tupleIblNS6_9null_typeES8_S8_S8_S8_S8_S8_S8_EEEEZNS1_11reduce_implILb1ES3_NS6_12zip_iteratorINS7_INS6_11hip_rocprim26transform_input_iterator_tIbNSD_35transform_pair_of_input_iterators_tIbNS6_6detail15normal_iteratorINS6_10device_ptrIKbEEEESL_NS6_8equal_toIbEEEENSG_9not_fun_tINSD_8identityEEEEENSD_19counting_iterator_tIlEES8_S8_S8_S8_S8_S8_S8_S8_EEEEPS9_S9_NSD_9__find_if7functorIS9_EEEE10hipError_tPvRmT1_T2_T3_mT4_P12ihipStream_tbEUlT_E0_NS1_11comp_targetILNS1_3genE10ELNS1_11target_archE1200ELNS1_3gpuE4ELNS1_3repE0EEENS1_30default_config_static_selectorELNS0_4arch9wavefront6targetE0EEEvS14_.num_vgpr, 0
	.set _ZN7rocprim17ROCPRIM_400000_NS6detail17trampoline_kernelINS0_14default_configENS1_22reduce_config_selectorIN6thrust23THRUST_200600_302600_NS5tupleIblNS6_9null_typeES8_S8_S8_S8_S8_S8_S8_EEEEZNS1_11reduce_implILb1ES3_NS6_12zip_iteratorINS7_INS6_11hip_rocprim26transform_input_iterator_tIbNSD_35transform_pair_of_input_iterators_tIbNS6_6detail15normal_iteratorINS6_10device_ptrIKbEEEESL_NS6_8equal_toIbEEEENSG_9not_fun_tINSD_8identityEEEEENSD_19counting_iterator_tIlEES8_S8_S8_S8_S8_S8_S8_S8_EEEEPS9_S9_NSD_9__find_if7functorIS9_EEEE10hipError_tPvRmT1_T2_T3_mT4_P12ihipStream_tbEUlT_E0_NS1_11comp_targetILNS1_3genE10ELNS1_11target_archE1200ELNS1_3gpuE4ELNS1_3repE0EEENS1_30default_config_static_selectorELNS0_4arch9wavefront6targetE0EEEvS14_.num_agpr, 0
	.set _ZN7rocprim17ROCPRIM_400000_NS6detail17trampoline_kernelINS0_14default_configENS1_22reduce_config_selectorIN6thrust23THRUST_200600_302600_NS5tupleIblNS6_9null_typeES8_S8_S8_S8_S8_S8_S8_EEEEZNS1_11reduce_implILb1ES3_NS6_12zip_iteratorINS7_INS6_11hip_rocprim26transform_input_iterator_tIbNSD_35transform_pair_of_input_iterators_tIbNS6_6detail15normal_iteratorINS6_10device_ptrIKbEEEESL_NS6_8equal_toIbEEEENSG_9not_fun_tINSD_8identityEEEEENSD_19counting_iterator_tIlEES8_S8_S8_S8_S8_S8_S8_S8_EEEEPS9_S9_NSD_9__find_if7functorIS9_EEEE10hipError_tPvRmT1_T2_T3_mT4_P12ihipStream_tbEUlT_E0_NS1_11comp_targetILNS1_3genE10ELNS1_11target_archE1200ELNS1_3gpuE4ELNS1_3repE0EEENS1_30default_config_static_selectorELNS0_4arch9wavefront6targetE0EEEvS14_.numbered_sgpr, 0
	.set _ZN7rocprim17ROCPRIM_400000_NS6detail17trampoline_kernelINS0_14default_configENS1_22reduce_config_selectorIN6thrust23THRUST_200600_302600_NS5tupleIblNS6_9null_typeES8_S8_S8_S8_S8_S8_S8_EEEEZNS1_11reduce_implILb1ES3_NS6_12zip_iteratorINS7_INS6_11hip_rocprim26transform_input_iterator_tIbNSD_35transform_pair_of_input_iterators_tIbNS6_6detail15normal_iteratorINS6_10device_ptrIKbEEEESL_NS6_8equal_toIbEEEENSG_9not_fun_tINSD_8identityEEEEENSD_19counting_iterator_tIlEES8_S8_S8_S8_S8_S8_S8_S8_EEEEPS9_S9_NSD_9__find_if7functorIS9_EEEE10hipError_tPvRmT1_T2_T3_mT4_P12ihipStream_tbEUlT_E0_NS1_11comp_targetILNS1_3genE10ELNS1_11target_archE1200ELNS1_3gpuE4ELNS1_3repE0EEENS1_30default_config_static_selectorELNS0_4arch9wavefront6targetE0EEEvS14_.num_named_barrier, 0
	.set _ZN7rocprim17ROCPRIM_400000_NS6detail17trampoline_kernelINS0_14default_configENS1_22reduce_config_selectorIN6thrust23THRUST_200600_302600_NS5tupleIblNS6_9null_typeES8_S8_S8_S8_S8_S8_S8_EEEEZNS1_11reduce_implILb1ES3_NS6_12zip_iteratorINS7_INS6_11hip_rocprim26transform_input_iterator_tIbNSD_35transform_pair_of_input_iterators_tIbNS6_6detail15normal_iteratorINS6_10device_ptrIKbEEEESL_NS6_8equal_toIbEEEENSG_9not_fun_tINSD_8identityEEEEENSD_19counting_iterator_tIlEES8_S8_S8_S8_S8_S8_S8_S8_EEEEPS9_S9_NSD_9__find_if7functorIS9_EEEE10hipError_tPvRmT1_T2_T3_mT4_P12ihipStream_tbEUlT_E0_NS1_11comp_targetILNS1_3genE10ELNS1_11target_archE1200ELNS1_3gpuE4ELNS1_3repE0EEENS1_30default_config_static_selectorELNS0_4arch9wavefront6targetE0EEEvS14_.private_seg_size, 0
	.set _ZN7rocprim17ROCPRIM_400000_NS6detail17trampoline_kernelINS0_14default_configENS1_22reduce_config_selectorIN6thrust23THRUST_200600_302600_NS5tupleIblNS6_9null_typeES8_S8_S8_S8_S8_S8_S8_EEEEZNS1_11reduce_implILb1ES3_NS6_12zip_iteratorINS7_INS6_11hip_rocprim26transform_input_iterator_tIbNSD_35transform_pair_of_input_iterators_tIbNS6_6detail15normal_iteratorINS6_10device_ptrIKbEEEESL_NS6_8equal_toIbEEEENSG_9not_fun_tINSD_8identityEEEEENSD_19counting_iterator_tIlEES8_S8_S8_S8_S8_S8_S8_S8_EEEEPS9_S9_NSD_9__find_if7functorIS9_EEEE10hipError_tPvRmT1_T2_T3_mT4_P12ihipStream_tbEUlT_E0_NS1_11comp_targetILNS1_3genE10ELNS1_11target_archE1200ELNS1_3gpuE4ELNS1_3repE0EEENS1_30default_config_static_selectorELNS0_4arch9wavefront6targetE0EEEvS14_.uses_vcc, 0
	.set _ZN7rocprim17ROCPRIM_400000_NS6detail17trampoline_kernelINS0_14default_configENS1_22reduce_config_selectorIN6thrust23THRUST_200600_302600_NS5tupleIblNS6_9null_typeES8_S8_S8_S8_S8_S8_S8_EEEEZNS1_11reduce_implILb1ES3_NS6_12zip_iteratorINS7_INS6_11hip_rocprim26transform_input_iterator_tIbNSD_35transform_pair_of_input_iterators_tIbNS6_6detail15normal_iteratorINS6_10device_ptrIKbEEEESL_NS6_8equal_toIbEEEENSG_9not_fun_tINSD_8identityEEEEENSD_19counting_iterator_tIlEES8_S8_S8_S8_S8_S8_S8_S8_EEEEPS9_S9_NSD_9__find_if7functorIS9_EEEE10hipError_tPvRmT1_T2_T3_mT4_P12ihipStream_tbEUlT_E0_NS1_11comp_targetILNS1_3genE10ELNS1_11target_archE1200ELNS1_3gpuE4ELNS1_3repE0EEENS1_30default_config_static_selectorELNS0_4arch9wavefront6targetE0EEEvS14_.uses_flat_scratch, 0
	.set _ZN7rocprim17ROCPRIM_400000_NS6detail17trampoline_kernelINS0_14default_configENS1_22reduce_config_selectorIN6thrust23THRUST_200600_302600_NS5tupleIblNS6_9null_typeES8_S8_S8_S8_S8_S8_S8_EEEEZNS1_11reduce_implILb1ES3_NS6_12zip_iteratorINS7_INS6_11hip_rocprim26transform_input_iterator_tIbNSD_35transform_pair_of_input_iterators_tIbNS6_6detail15normal_iteratorINS6_10device_ptrIKbEEEESL_NS6_8equal_toIbEEEENSG_9not_fun_tINSD_8identityEEEEENSD_19counting_iterator_tIlEES8_S8_S8_S8_S8_S8_S8_S8_EEEEPS9_S9_NSD_9__find_if7functorIS9_EEEE10hipError_tPvRmT1_T2_T3_mT4_P12ihipStream_tbEUlT_E0_NS1_11comp_targetILNS1_3genE10ELNS1_11target_archE1200ELNS1_3gpuE4ELNS1_3repE0EEENS1_30default_config_static_selectorELNS0_4arch9wavefront6targetE0EEEvS14_.has_dyn_sized_stack, 0
	.set _ZN7rocprim17ROCPRIM_400000_NS6detail17trampoline_kernelINS0_14default_configENS1_22reduce_config_selectorIN6thrust23THRUST_200600_302600_NS5tupleIblNS6_9null_typeES8_S8_S8_S8_S8_S8_S8_EEEEZNS1_11reduce_implILb1ES3_NS6_12zip_iteratorINS7_INS6_11hip_rocprim26transform_input_iterator_tIbNSD_35transform_pair_of_input_iterators_tIbNS6_6detail15normal_iteratorINS6_10device_ptrIKbEEEESL_NS6_8equal_toIbEEEENSG_9not_fun_tINSD_8identityEEEEENSD_19counting_iterator_tIlEES8_S8_S8_S8_S8_S8_S8_S8_EEEEPS9_S9_NSD_9__find_if7functorIS9_EEEE10hipError_tPvRmT1_T2_T3_mT4_P12ihipStream_tbEUlT_E0_NS1_11comp_targetILNS1_3genE10ELNS1_11target_archE1200ELNS1_3gpuE4ELNS1_3repE0EEENS1_30default_config_static_selectorELNS0_4arch9wavefront6targetE0EEEvS14_.has_recursion, 0
	.set _ZN7rocprim17ROCPRIM_400000_NS6detail17trampoline_kernelINS0_14default_configENS1_22reduce_config_selectorIN6thrust23THRUST_200600_302600_NS5tupleIblNS6_9null_typeES8_S8_S8_S8_S8_S8_S8_EEEEZNS1_11reduce_implILb1ES3_NS6_12zip_iteratorINS7_INS6_11hip_rocprim26transform_input_iterator_tIbNSD_35transform_pair_of_input_iterators_tIbNS6_6detail15normal_iteratorINS6_10device_ptrIKbEEEESL_NS6_8equal_toIbEEEENSG_9not_fun_tINSD_8identityEEEEENSD_19counting_iterator_tIlEES8_S8_S8_S8_S8_S8_S8_S8_EEEEPS9_S9_NSD_9__find_if7functorIS9_EEEE10hipError_tPvRmT1_T2_T3_mT4_P12ihipStream_tbEUlT_E0_NS1_11comp_targetILNS1_3genE10ELNS1_11target_archE1200ELNS1_3gpuE4ELNS1_3repE0EEENS1_30default_config_static_selectorELNS0_4arch9wavefront6targetE0EEEvS14_.has_indirect_call, 0
	.section	.AMDGPU.csdata,"",@progbits
; Kernel info:
; codeLenInByte = 0
; TotalNumSgprs: 0
; NumVgprs: 0
; ScratchSize: 0
; MemoryBound: 0
; FloatMode: 240
; IeeeMode: 1
; LDSByteSize: 0 bytes/workgroup (compile time only)
; SGPRBlocks: 0
; VGPRBlocks: 0
; NumSGPRsForWavesPerEU: 1
; NumVGPRsForWavesPerEU: 1
; Occupancy: 16
; WaveLimiterHint : 0
; COMPUTE_PGM_RSRC2:SCRATCH_EN: 0
; COMPUTE_PGM_RSRC2:USER_SGPR: 6
; COMPUTE_PGM_RSRC2:TRAP_HANDLER: 0
; COMPUTE_PGM_RSRC2:TGID_X_EN: 1
; COMPUTE_PGM_RSRC2:TGID_Y_EN: 0
; COMPUTE_PGM_RSRC2:TGID_Z_EN: 0
; COMPUTE_PGM_RSRC2:TIDIG_COMP_CNT: 0
	.section	.text._ZN7rocprim17ROCPRIM_400000_NS6detail17trampoline_kernelINS0_14default_configENS1_22reduce_config_selectorIN6thrust23THRUST_200600_302600_NS5tupleIblNS6_9null_typeES8_S8_S8_S8_S8_S8_S8_EEEEZNS1_11reduce_implILb1ES3_NS6_12zip_iteratorINS7_INS6_11hip_rocprim26transform_input_iterator_tIbNSD_35transform_pair_of_input_iterators_tIbNS6_6detail15normal_iteratorINS6_10device_ptrIKbEEEESL_NS6_8equal_toIbEEEENSG_9not_fun_tINSD_8identityEEEEENSD_19counting_iterator_tIlEES8_S8_S8_S8_S8_S8_S8_S8_EEEEPS9_S9_NSD_9__find_if7functorIS9_EEEE10hipError_tPvRmT1_T2_T3_mT4_P12ihipStream_tbEUlT_E0_NS1_11comp_targetILNS1_3genE9ELNS1_11target_archE1100ELNS1_3gpuE3ELNS1_3repE0EEENS1_30default_config_static_selectorELNS0_4arch9wavefront6targetE0EEEvS14_,"axG",@progbits,_ZN7rocprim17ROCPRIM_400000_NS6detail17trampoline_kernelINS0_14default_configENS1_22reduce_config_selectorIN6thrust23THRUST_200600_302600_NS5tupleIblNS6_9null_typeES8_S8_S8_S8_S8_S8_S8_EEEEZNS1_11reduce_implILb1ES3_NS6_12zip_iteratorINS7_INS6_11hip_rocprim26transform_input_iterator_tIbNSD_35transform_pair_of_input_iterators_tIbNS6_6detail15normal_iteratorINS6_10device_ptrIKbEEEESL_NS6_8equal_toIbEEEENSG_9not_fun_tINSD_8identityEEEEENSD_19counting_iterator_tIlEES8_S8_S8_S8_S8_S8_S8_S8_EEEEPS9_S9_NSD_9__find_if7functorIS9_EEEE10hipError_tPvRmT1_T2_T3_mT4_P12ihipStream_tbEUlT_E0_NS1_11comp_targetILNS1_3genE9ELNS1_11target_archE1100ELNS1_3gpuE3ELNS1_3repE0EEENS1_30default_config_static_selectorELNS0_4arch9wavefront6targetE0EEEvS14_,comdat
	.protected	_ZN7rocprim17ROCPRIM_400000_NS6detail17trampoline_kernelINS0_14default_configENS1_22reduce_config_selectorIN6thrust23THRUST_200600_302600_NS5tupleIblNS6_9null_typeES8_S8_S8_S8_S8_S8_S8_EEEEZNS1_11reduce_implILb1ES3_NS6_12zip_iteratorINS7_INS6_11hip_rocprim26transform_input_iterator_tIbNSD_35transform_pair_of_input_iterators_tIbNS6_6detail15normal_iteratorINS6_10device_ptrIKbEEEESL_NS6_8equal_toIbEEEENSG_9not_fun_tINSD_8identityEEEEENSD_19counting_iterator_tIlEES8_S8_S8_S8_S8_S8_S8_S8_EEEEPS9_S9_NSD_9__find_if7functorIS9_EEEE10hipError_tPvRmT1_T2_T3_mT4_P12ihipStream_tbEUlT_E0_NS1_11comp_targetILNS1_3genE9ELNS1_11target_archE1100ELNS1_3gpuE3ELNS1_3repE0EEENS1_30default_config_static_selectorELNS0_4arch9wavefront6targetE0EEEvS14_ ; -- Begin function _ZN7rocprim17ROCPRIM_400000_NS6detail17trampoline_kernelINS0_14default_configENS1_22reduce_config_selectorIN6thrust23THRUST_200600_302600_NS5tupleIblNS6_9null_typeES8_S8_S8_S8_S8_S8_S8_EEEEZNS1_11reduce_implILb1ES3_NS6_12zip_iteratorINS7_INS6_11hip_rocprim26transform_input_iterator_tIbNSD_35transform_pair_of_input_iterators_tIbNS6_6detail15normal_iteratorINS6_10device_ptrIKbEEEESL_NS6_8equal_toIbEEEENSG_9not_fun_tINSD_8identityEEEEENSD_19counting_iterator_tIlEES8_S8_S8_S8_S8_S8_S8_S8_EEEEPS9_S9_NSD_9__find_if7functorIS9_EEEE10hipError_tPvRmT1_T2_T3_mT4_P12ihipStream_tbEUlT_E0_NS1_11comp_targetILNS1_3genE9ELNS1_11target_archE1100ELNS1_3gpuE3ELNS1_3repE0EEENS1_30default_config_static_selectorELNS0_4arch9wavefront6targetE0EEEvS14_
	.globl	_ZN7rocprim17ROCPRIM_400000_NS6detail17trampoline_kernelINS0_14default_configENS1_22reduce_config_selectorIN6thrust23THRUST_200600_302600_NS5tupleIblNS6_9null_typeES8_S8_S8_S8_S8_S8_S8_EEEEZNS1_11reduce_implILb1ES3_NS6_12zip_iteratorINS7_INS6_11hip_rocprim26transform_input_iterator_tIbNSD_35transform_pair_of_input_iterators_tIbNS6_6detail15normal_iteratorINS6_10device_ptrIKbEEEESL_NS6_8equal_toIbEEEENSG_9not_fun_tINSD_8identityEEEEENSD_19counting_iterator_tIlEES8_S8_S8_S8_S8_S8_S8_S8_EEEEPS9_S9_NSD_9__find_if7functorIS9_EEEE10hipError_tPvRmT1_T2_T3_mT4_P12ihipStream_tbEUlT_E0_NS1_11comp_targetILNS1_3genE9ELNS1_11target_archE1100ELNS1_3gpuE3ELNS1_3repE0EEENS1_30default_config_static_selectorELNS0_4arch9wavefront6targetE0EEEvS14_
	.p2align	8
	.type	_ZN7rocprim17ROCPRIM_400000_NS6detail17trampoline_kernelINS0_14default_configENS1_22reduce_config_selectorIN6thrust23THRUST_200600_302600_NS5tupleIblNS6_9null_typeES8_S8_S8_S8_S8_S8_S8_EEEEZNS1_11reduce_implILb1ES3_NS6_12zip_iteratorINS7_INS6_11hip_rocprim26transform_input_iterator_tIbNSD_35transform_pair_of_input_iterators_tIbNS6_6detail15normal_iteratorINS6_10device_ptrIKbEEEESL_NS6_8equal_toIbEEEENSG_9not_fun_tINSD_8identityEEEEENSD_19counting_iterator_tIlEES8_S8_S8_S8_S8_S8_S8_S8_EEEEPS9_S9_NSD_9__find_if7functorIS9_EEEE10hipError_tPvRmT1_T2_T3_mT4_P12ihipStream_tbEUlT_E0_NS1_11comp_targetILNS1_3genE9ELNS1_11target_archE1100ELNS1_3gpuE3ELNS1_3repE0EEENS1_30default_config_static_selectorELNS0_4arch9wavefront6targetE0EEEvS14_,@function
_ZN7rocprim17ROCPRIM_400000_NS6detail17trampoline_kernelINS0_14default_configENS1_22reduce_config_selectorIN6thrust23THRUST_200600_302600_NS5tupleIblNS6_9null_typeES8_S8_S8_S8_S8_S8_S8_EEEEZNS1_11reduce_implILb1ES3_NS6_12zip_iteratorINS7_INS6_11hip_rocprim26transform_input_iterator_tIbNSD_35transform_pair_of_input_iterators_tIbNS6_6detail15normal_iteratorINS6_10device_ptrIKbEEEESL_NS6_8equal_toIbEEEENSG_9not_fun_tINSD_8identityEEEEENSD_19counting_iterator_tIlEES8_S8_S8_S8_S8_S8_S8_S8_EEEEPS9_S9_NSD_9__find_if7functorIS9_EEEE10hipError_tPvRmT1_T2_T3_mT4_P12ihipStream_tbEUlT_E0_NS1_11comp_targetILNS1_3genE9ELNS1_11target_archE1100ELNS1_3gpuE3ELNS1_3repE0EEENS1_30default_config_static_selectorELNS0_4arch9wavefront6targetE0EEEvS14_: ; @_ZN7rocprim17ROCPRIM_400000_NS6detail17trampoline_kernelINS0_14default_configENS1_22reduce_config_selectorIN6thrust23THRUST_200600_302600_NS5tupleIblNS6_9null_typeES8_S8_S8_S8_S8_S8_S8_EEEEZNS1_11reduce_implILb1ES3_NS6_12zip_iteratorINS7_INS6_11hip_rocprim26transform_input_iterator_tIbNSD_35transform_pair_of_input_iterators_tIbNS6_6detail15normal_iteratorINS6_10device_ptrIKbEEEESL_NS6_8equal_toIbEEEENSG_9not_fun_tINSD_8identityEEEEENSD_19counting_iterator_tIlEES8_S8_S8_S8_S8_S8_S8_S8_EEEEPS9_S9_NSD_9__find_if7functorIS9_EEEE10hipError_tPvRmT1_T2_T3_mT4_P12ihipStream_tbEUlT_E0_NS1_11comp_targetILNS1_3genE9ELNS1_11target_archE1100ELNS1_3gpuE3ELNS1_3repE0EEENS1_30default_config_static_selectorELNS0_4arch9wavefront6targetE0EEEvS14_
; %bb.0:
	.section	.rodata,"a",@progbits
	.p2align	6, 0x0
	.amdhsa_kernel _ZN7rocprim17ROCPRIM_400000_NS6detail17trampoline_kernelINS0_14default_configENS1_22reduce_config_selectorIN6thrust23THRUST_200600_302600_NS5tupleIblNS6_9null_typeES8_S8_S8_S8_S8_S8_S8_EEEEZNS1_11reduce_implILb1ES3_NS6_12zip_iteratorINS7_INS6_11hip_rocprim26transform_input_iterator_tIbNSD_35transform_pair_of_input_iterators_tIbNS6_6detail15normal_iteratorINS6_10device_ptrIKbEEEESL_NS6_8equal_toIbEEEENSG_9not_fun_tINSD_8identityEEEEENSD_19counting_iterator_tIlEES8_S8_S8_S8_S8_S8_S8_S8_EEEEPS9_S9_NSD_9__find_if7functorIS9_EEEE10hipError_tPvRmT1_T2_T3_mT4_P12ihipStream_tbEUlT_E0_NS1_11comp_targetILNS1_3genE9ELNS1_11target_archE1100ELNS1_3gpuE3ELNS1_3repE0EEENS1_30default_config_static_selectorELNS0_4arch9wavefront6targetE0EEEvS14_
		.amdhsa_group_segment_fixed_size 0
		.amdhsa_private_segment_fixed_size 0
		.amdhsa_kernarg_size 104
		.amdhsa_user_sgpr_count 6
		.amdhsa_user_sgpr_private_segment_buffer 1
		.amdhsa_user_sgpr_dispatch_ptr 0
		.amdhsa_user_sgpr_queue_ptr 0
		.amdhsa_user_sgpr_kernarg_segment_ptr 1
		.amdhsa_user_sgpr_dispatch_id 0
		.amdhsa_user_sgpr_flat_scratch_init 0
		.amdhsa_user_sgpr_private_segment_size 0
		.amdhsa_wavefront_size32 1
		.amdhsa_uses_dynamic_stack 0
		.amdhsa_system_sgpr_private_segment_wavefront_offset 0
		.amdhsa_system_sgpr_workgroup_id_x 1
		.amdhsa_system_sgpr_workgroup_id_y 0
		.amdhsa_system_sgpr_workgroup_id_z 0
		.amdhsa_system_sgpr_workgroup_info 0
		.amdhsa_system_vgpr_workitem_id 0
		.amdhsa_next_free_vgpr 1
		.amdhsa_next_free_sgpr 1
		.amdhsa_reserve_vcc 0
		.amdhsa_reserve_flat_scratch 0
		.amdhsa_float_round_mode_32 0
		.amdhsa_float_round_mode_16_64 0
		.amdhsa_float_denorm_mode_32 3
		.amdhsa_float_denorm_mode_16_64 3
		.amdhsa_dx10_clamp 1
		.amdhsa_ieee_mode 1
		.amdhsa_fp16_overflow 0
		.amdhsa_workgroup_processor_mode 1
		.amdhsa_memory_ordered 1
		.amdhsa_forward_progress 1
		.amdhsa_shared_vgpr_count 0
		.amdhsa_exception_fp_ieee_invalid_op 0
		.amdhsa_exception_fp_denorm_src 0
		.amdhsa_exception_fp_ieee_div_zero 0
		.amdhsa_exception_fp_ieee_overflow 0
		.amdhsa_exception_fp_ieee_underflow 0
		.amdhsa_exception_fp_ieee_inexact 0
		.amdhsa_exception_int_div_zero 0
	.end_amdhsa_kernel
	.section	.text._ZN7rocprim17ROCPRIM_400000_NS6detail17trampoline_kernelINS0_14default_configENS1_22reduce_config_selectorIN6thrust23THRUST_200600_302600_NS5tupleIblNS6_9null_typeES8_S8_S8_S8_S8_S8_S8_EEEEZNS1_11reduce_implILb1ES3_NS6_12zip_iteratorINS7_INS6_11hip_rocprim26transform_input_iterator_tIbNSD_35transform_pair_of_input_iterators_tIbNS6_6detail15normal_iteratorINS6_10device_ptrIKbEEEESL_NS6_8equal_toIbEEEENSG_9not_fun_tINSD_8identityEEEEENSD_19counting_iterator_tIlEES8_S8_S8_S8_S8_S8_S8_S8_EEEEPS9_S9_NSD_9__find_if7functorIS9_EEEE10hipError_tPvRmT1_T2_T3_mT4_P12ihipStream_tbEUlT_E0_NS1_11comp_targetILNS1_3genE9ELNS1_11target_archE1100ELNS1_3gpuE3ELNS1_3repE0EEENS1_30default_config_static_selectorELNS0_4arch9wavefront6targetE0EEEvS14_,"axG",@progbits,_ZN7rocprim17ROCPRIM_400000_NS6detail17trampoline_kernelINS0_14default_configENS1_22reduce_config_selectorIN6thrust23THRUST_200600_302600_NS5tupleIblNS6_9null_typeES8_S8_S8_S8_S8_S8_S8_EEEEZNS1_11reduce_implILb1ES3_NS6_12zip_iteratorINS7_INS6_11hip_rocprim26transform_input_iterator_tIbNSD_35transform_pair_of_input_iterators_tIbNS6_6detail15normal_iteratorINS6_10device_ptrIKbEEEESL_NS6_8equal_toIbEEEENSG_9not_fun_tINSD_8identityEEEEENSD_19counting_iterator_tIlEES8_S8_S8_S8_S8_S8_S8_S8_EEEEPS9_S9_NSD_9__find_if7functorIS9_EEEE10hipError_tPvRmT1_T2_T3_mT4_P12ihipStream_tbEUlT_E0_NS1_11comp_targetILNS1_3genE9ELNS1_11target_archE1100ELNS1_3gpuE3ELNS1_3repE0EEENS1_30default_config_static_selectorELNS0_4arch9wavefront6targetE0EEEvS14_,comdat
.Lfunc_end750:
	.size	_ZN7rocprim17ROCPRIM_400000_NS6detail17trampoline_kernelINS0_14default_configENS1_22reduce_config_selectorIN6thrust23THRUST_200600_302600_NS5tupleIblNS6_9null_typeES8_S8_S8_S8_S8_S8_S8_EEEEZNS1_11reduce_implILb1ES3_NS6_12zip_iteratorINS7_INS6_11hip_rocprim26transform_input_iterator_tIbNSD_35transform_pair_of_input_iterators_tIbNS6_6detail15normal_iteratorINS6_10device_ptrIKbEEEESL_NS6_8equal_toIbEEEENSG_9not_fun_tINSD_8identityEEEEENSD_19counting_iterator_tIlEES8_S8_S8_S8_S8_S8_S8_S8_EEEEPS9_S9_NSD_9__find_if7functorIS9_EEEE10hipError_tPvRmT1_T2_T3_mT4_P12ihipStream_tbEUlT_E0_NS1_11comp_targetILNS1_3genE9ELNS1_11target_archE1100ELNS1_3gpuE3ELNS1_3repE0EEENS1_30default_config_static_selectorELNS0_4arch9wavefront6targetE0EEEvS14_, .Lfunc_end750-_ZN7rocprim17ROCPRIM_400000_NS6detail17trampoline_kernelINS0_14default_configENS1_22reduce_config_selectorIN6thrust23THRUST_200600_302600_NS5tupleIblNS6_9null_typeES8_S8_S8_S8_S8_S8_S8_EEEEZNS1_11reduce_implILb1ES3_NS6_12zip_iteratorINS7_INS6_11hip_rocprim26transform_input_iterator_tIbNSD_35transform_pair_of_input_iterators_tIbNS6_6detail15normal_iteratorINS6_10device_ptrIKbEEEESL_NS6_8equal_toIbEEEENSG_9not_fun_tINSD_8identityEEEEENSD_19counting_iterator_tIlEES8_S8_S8_S8_S8_S8_S8_S8_EEEEPS9_S9_NSD_9__find_if7functorIS9_EEEE10hipError_tPvRmT1_T2_T3_mT4_P12ihipStream_tbEUlT_E0_NS1_11comp_targetILNS1_3genE9ELNS1_11target_archE1100ELNS1_3gpuE3ELNS1_3repE0EEENS1_30default_config_static_selectorELNS0_4arch9wavefront6targetE0EEEvS14_
                                        ; -- End function
	.set _ZN7rocprim17ROCPRIM_400000_NS6detail17trampoline_kernelINS0_14default_configENS1_22reduce_config_selectorIN6thrust23THRUST_200600_302600_NS5tupleIblNS6_9null_typeES8_S8_S8_S8_S8_S8_S8_EEEEZNS1_11reduce_implILb1ES3_NS6_12zip_iteratorINS7_INS6_11hip_rocprim26transform_input_iterator_tIbNSD_35transform_pair_of_input_iterators_tIbNS6_6detail15normal_iteratorINS6_10device_ptrIKbEEEESL_NS6_8equal_toIbEEEENSG_9not_fun_tINSD_8identityEEEEENSD_19counting_iterator_tIlEES8_S8_S8_S8_S8_S8_S8_S8_EEEEPS9_S9_NSD_9__find_if7functorIS9_EEEE10hipError_tPvRmT1_T2_T3_mT4_P12ihipStream_tbEUlT_E0_NS1_11comp_targetILNS1_3genE9ELNS1_11target_archE1100ELNS1_3gpuE3ELNS1_3repE0EEENS1_30default_config_static_selectorELNS0_4arch9wavefront6targetE0EEEvS14_.num_vgpr, 0
	.set _ZN7rocprim17ROCPRIM_400000_NS6detail17trampoline_kernelINS0_14default_configENS1_22reduce_config_selectorIN6thrust23THRUST_200600_302600_NS5tupleIblNS6_9null_typeES8_S8_S8_S8_S8_S8_S8_EEEEZNS1_11reduce_implILb1ES3_NS6_12zip_iteratorINS7_INS6_11hip_rocprim26transform_input_iterator_tIbNSD_35transform_pair_of_input_iterators_tIbNS6_6detail15normal_iteratorINS6_10device_ptrIKbEEEESL_NS6_8equal_toIbEEEENSG_9not_fun_tINSD_8identityEEEEENSD_19counting_iterator_tIlEES8_S8_S8_S8_S8_S8_S8_S8_EEEEPS9_S9_NSD_9__find_if7functorIS9_EEEE10hipError_tPvRmT1_T2_T3_mT4_P12ihipStream_tbEUlT_E0_NS1_11comp_targetILNS1_3genE9ELNS1_11target_archE1100ELNS1_3gpuE3ELNS1_3repE0EEENS1_30default_config_static_selectorELNS0_4arch9wavefront6targetE0EEEvS14_.num_agpr, 0
	.set _ZN7rocprim17ROCPRIM_400000_NS6detail17trampoline_kernelINS0_14default_configENS1_22reduce_config_selectorIN6thrust23THRUST_200600_302600_NS5tupleIblNS6_9null_typeES8_S8_S8_S8_S8_S8_S8_EEEEZNS1_11reduce_implILb1ES3_NS6_12zip_iteratorINS7_INS6_11hip_rocprim26transform_input_iterator_tIbNSD_35transform_pair_of_input_iterators_tIbNS6_6detail15normal_iteratorINS6_10device_ptrIKbEEEESL_NS6_8equal_toIbEEEENSG_9not_fun_tINSD_8identityEEEEENSD_19counting_iterator_tIlEES8_S8_S8_S8_S8_S8_S8_S8_EEEEPS9_S9_NSD_9__find_if7functorIS9_EEEE10hipError_tPvRmT1_T2_T3_mT4_P12ihipStream_tbEUlT_E0_NS1_11comp_targetILNS1_3genE9ELNS1_11target_archE1100ELNS1_3gpuE3ELNS1_3repE0EEENS1_30default_config_static_selectorELNS0_4arch9wavefront6targetE0EEEvS14_.numbered_sgpr, 0
	.set _ZN7rocprim17ROCPRIM_400000_NS6detail17trampoline_kernelINS0_14default_configENS1_22reduce_config_selectorIN6thrust23THRUST_200600_302600_NS5tupleIblNS6_9null_typeES8_S8_S8_S8_S8_S8_S8_EEEEZNS1_11reduce_implILb1ES3_NS6_12zip_iteratorINS7_INS6_11hip_rocprim26transform_input_iterator_tIbNSD_35transform_pair_of_input_iterators_tIbNS6_6detail15normal_iteratorINS6_10device_ptrIKbEEEESL_NS6_8equal_toIbEEEENSG_9not_fun_tINSD_8identityEEEEENSD_19counting_iterator_tIlEES8_S8_S8_S8_S8_S8_S8_S8_EEEEPS9_S9_NSD_9__find_if7functorIS9_EEEE10hipError_tPvRmT1_T2_T3_mT4_P12ihipStream_tbEUlT_E0_NS1_11comp_targetILNS1_3genE9ELNS1_11target_archE1100ELNS1_3gpuE3ELNS1_3repE0EEENS1_30default_config_static_selectorELNS0_4arch9wavefront6targetE0EEEvS14_.num_named_barrier, 0
	.set _ZN7rocprim17ROCPRIM_400000_NS6detail17trampoline_kernelINS0_14default_configENS1_22reduce_config_selectorIN6thrust23THRUST_200600_302600_NS5tupleIblNS6_9null_typeES8_S8_S8_S8_S8_S8_S8_EEEEZNS1_11reduce_implILb1ES3_NS6_12zip_iteratorINS7_INS6_11hip_rocprim26transform_input_iterator_tIbNSD_35transform_pair_of_input_iterators_tIbNS6_6detail15normal_iteratorINS6_10device_ptrIKbEEEESL_NS6_8equal_toIbEEEENSG_9not_fun_tINSD_8identityEEEEENSD_19counting_iterator_tIlEES8_S8_S8_S8_S8_S8_S8_S8_EEEEPS9_S9_NSD_9__find_if7functorIS9_EEEE10hipError_tPvRmT1_T2_T3_mT4_P12ihipStream_tbEUlT_E0_NS1_11comp_targetILNS1_3genE9ELNS1_11target_archE1100ELNS1_3gpuE3ELNS1_3repE0EEENS1_30default_config_static_selectorELNS0_4arch9wavefront6targetE0EEEvS14_.private_seg_size, 0
	.set _ZN7rocprim17ROCPRIM_400000_NS6detail17trampoline_kernelINS0_14default_configENS1_22reduce_config_selectorIN6thrust23THRUST_200600_302600_NS5tupleIblNS6_9null_typeES8_S8_S8_S8_S8_S8_S8_EEEEZNS1_11reduce_implILb1ES3_NS6_12zip_iteratorINS7_INS6_11hip_rocprim26transform_input_iterator_tIbNSD_35transform_pair_of_input_iterators_tIbNS6_6detail15normal_iteratorINS6_10device_ptrIKbEEEESL_NS6_8equal_toIbEEEENSG_9not_fun_tINSD_8identityEEEEENSD_19counting_iterator_tIlEES8_S8_S8_S8_S8_S8_S8_S8_EEEEPS9_S9_NSD_9__find_if7functorIS9_EEEE10hipError_tPvRmT1_T2_T3_mT4_P12ihipStream_tbEUlT_E0_NS1_11comp_targetILNS1_3genE9ELNS1_11target_archE1100ELNS1_3gpuE3ELNS1_3repE0EEENS1_30default_config_static_selectorELNS0_4arch9wavefront6targetE0EEEvS14_.uses_vcc, 0
	.set _ZN7rocprim17ROCPRIM_400000_NS6detail17trampoline_kernelINS0_14default_configENS1_22reduce_config_selectorIN6thrust23THRUST_200600_302600_NS5tupleIblNS6_9null_typeES8_S8_S8_S8_S8_S8_S8_EEEEZNS1_11reduce_implILb1ES3_NS6_12zip_iteratorINS7_INS6_11hip_rocprim26transform_input_iterator_tIbNSD_35transform_pair_of_input_iterators_tIbNS6_6detail15normal_iteratorINS6_10device_ptrIKbEEEESL_NS6_8equal_toIbEEEENSG_9not_fun_tINSD_8identityEEEEENSD_19counting_iterator_tIlEES8_S8_S8_S8_S8_S8_S8_S8_EEEEPS9_S9_NSD_9__find_if7functorIS9_EEEE10hipError_tPvRmT1_T2_T3_mT4_P12ihipStream_tbEUlT_E0_NS1_11comp_targetILNS1_3genE9ELNS1_11target_archE1100ELNS1_3gpuE3ELNS1_3repE0EEENS1_30default_config_static_selectorELNS0_4arch9wavefront6targetE0EEEvS14_.uses_flat_scratch, 0
	.set _ZN7rocprim17ROCPRIM_400000_NS6detail17trampoline_kernelINS0_14default_configENS1_22reduce_config_selectorIN6thrust23THRUST_200600_302600_NS5tupleIblNS6_9null_typeES8_S8_S8_S8_S8_S8_S8_EEEEZNS1_11reduce_implILb1ES3_NS6_12zip_iteratorINS7_INS6_11hip_rocprim26transform_input_iterator_tIbNSD_35transform_pair_of_input_iterators_tIbNS6_6detail15normal_iteratorINS6_10device_ptrIKbEEEESL_NS6_8equal_toIbEEEENSG_9not_fun_tINSD_8identityEEEEENSD_19counting_iterator_tIlEES8_S8_S8_S8_S8_S8_S8_S8_EEEEPS9_S9_NSD_9__find_if7functorIS9_EEEE10hipError_tPvRmT1_T2_T3_mT4_P12ihipStream_tbEUlT_E0_NS1_11comp_targetILNS1_3genE9ELNS1_11target_archE1100ELNS1_3gpuE3ELNS1_3repE0EEENS1_30default_config_static_selectorELNS0_4arch9wavefront6targetE0EEEvS14_.has_dyn_sized_stack, 0
	.set _ZN7rocprim17ROCPRIM_400000_NS6detail17trampoline_kernelINS0_14default_configENS1_22reduce_config_selectorIN6thrust23THRUST_200600_302600_NS5tupleIblNS6_9null_typeES8_S8_S8_S8_S8_S8_S8_EEEEZNS1_11reduce_implILb1ES3_NS6_12zip_iteratorINS7_INS6_11hip_rocprim26transform_input_iterator_tIbNSD_35transform_pair_of_input_iterators_tIbNS6_6detail15normal_iteratorINS6_10device_ptrIKbEEEESL_NS6_8equal_toIbEEEENSG_9not_fun_tINSD_8identityEEEEENSD_19counting_iterator_tIlEES8_S8_S8_S8_S8_S8_S8_S8_EEEEPS9_S9_NSD_9__find_if7functorIS9_EEEE10hipError_tPvRmT1_T2_T3_mT4_P12ihipStream_tbEUlT_E0_NS1_11comp_targetILNS1_3genE9ELNS1_11target_archE1100ELNS1_3gpuE3ELNS1_3repE0EEENS1_30default_config_static_selectorELNS0_4arch9wavefront6targetE0EEEvS14_.has_recursion, 0
	.set _ZN7rocprim17ROCPRIM_400000_NS6detail17trampoline_kernelINS0_14default_configENS1_22reduce_config_selectorIN6thrust23THRUST_200600_302600_NS5tupleIblNS6_9null_typeES8_S8_S8_S8_S8_S8_S8_EEEEZNS1_11reduce_implILb1ES3_NS6_12zip_iteratorINS7_INS6_11hip_rocprim26transform_input_iterator_tIbNSD_35transform_pair_of_input_iterators_tIbNS6_6detail15normal_iteratorINS6_10device_ptrIKbEEEESL_NS6_8equal_toIbEEEENSG_9not_fun_tINSD_8identityEEEEENSD_19counting_iterator_tIlEES8_S8_S8_S8_S8_S8_S8_S8_EEEEPS9_S9_NSD_9__find_if7functorIS9_EEEE10hipError_tPvRmT1_T2_T3_mT4_P12ihipStream_tbEUlT_E0_NS1_11comp_targetILNS1_3genE9ELNS1_11target_archE1100ELNS1_3gpuE3ELNS1_3repE0EEENS1_30default_config_static_selectorELNS0_4arch9wavefront6targetE0EEEvS14_.has_indirect_call, 0
	.section	.AMDGPU.csdata,"",@progbits
; Kernel info:
; codeLenInByte = 0
; TotalNumSgprs: 0
; NumVgprs: 0
; ScratchSize: 0
; MemoryBound: 0
; FloatMode: 240
; IeeeMode: 1
; LDSByteSize: 0 bytes/workgroup (compile time only)
; SGPRBlocks: 0
; VGPRBlocks: 0
; NumSGPRsForWavesPerEU: 1
; NumVGPRsForWavesPerEU: 1
; Occupancy: 16
; WaveLimiterHint : 0
; COMPUTE_PGM_RSRC2:SCRATCH_EN: 0
; COMPUTE_PGM_RSRC2:USER_SGPR: 6
; COMPUTE_PGM_RSRC2:TRAP_HANDLER: 0
; COMPUTE_PGM_RSRC2:TGID_X_EN: 1
; COMPUTE_PGM_RSRC2:TGID_Y_EN: 0
; COMPUTE_PGM_RSRC2:TGID_Z_EN: 0
; COMPUTE_PGM_RSRC2:TIDIG_COMP_CNT: 0
	.section	.text._ZN7rocprim17ROCPRIM_400000_NS6detail17trampoline_kernelINS0_14default_configENS1_22reduce_config_selectorIN6thrust23THRUST_200600_302600_NS5tupleIblNS6_9null_typeES8_S8_S8_S8_S8_S8_S8_EEEEZNS1_11reduce_implILb1ES3_NS6_12zip_iteratorINS7_INS6_11hip_rocprim26transform_input_iterator_tIbNSD_35transform_pair_of_input_iterators_tIbNS6_6detail15normal_iteratorINS6_10device_ptrIKbEEEESL_NS6_8equal_toIbEEEENSG_9not_fun_tINSD_8identityEEEEENSD_19counting_iterator_tIlEES8_S8_S8_S8_S8_S8_S8_S8_EEEEPS9_S9_NSD_9__find_if7functorIS9_EEEE10hipError_tPvRmT1_T2_T3_mT4_P12ihipStream_tbEUlT_E0_NS1_11comp_targetILNS1_3genE8ELNS1_11target_archE1030ELNS1_3gpuE2ELNS1_3repE0EEENS1_30default_config_static_selectorELNS0_4arch9wavefront6targetE0EEEvS14_,"axG",@progbits,_ZN7rocprim17ROCPRIM_400000_NS6detail17trampoline_kernelINS0_14default_configENS1_22reduce_config_selectorIN6thrust23THRUST_200600_302600_NS5tupleIblNS6_9null_typeES8_S8_S8_S8_S8_S8_S8_EEEEZNS1_11reduce_implILb1ES3_NS6_12zip_iteratorINS7_INS6_11hip_rocprim26transform_input_iterator_tIbNSD_35transform_pair_of_input_iterators_tIbNS6_6detail15normal_iteratorINS6_10device_ptrIKbEEEESL_NS6_8equal_toIbEEEENSG_9not_fun_tINSD_8identityEEEEENSD_19counting_iterator_tIlEES8_S8_S8_S8_S8_S8_S8_S8_EEEEPS9_S9_NSD_9__find_if7functorIS9_EEEE10hipError_tPvRmT1_T2_T3_mT4_P12ihipStream_tbEUlT_E0_NS1_11comp_targetILNS1_3genE8ELNS1_11target_archE1030ELNS1_3gpuE2ELNS1_3repE0EEENS1_30default_config_static_selectorELNS0_4arch9wavefront6targetE0EEEvS14_,comdat
	.protected	_ZN7rocprim17ROCPRIM_400000_NS6detail17trampoline_kernelINS0_14default_configENS1_22reduce_config_selectorIN6thrust23THRUST_200600_302600_NS5tupleIblNS6_9null_typeES8_S8_S8_S8_S8_S8_S8_EEEEZNS1_11reduce_implILb1ES3_NS6_12zip_iteratorINS7_INS6_11hip_rocprim26transform_input_iterator_tIbNSD_35transform_pair_of_input_iterators_tIbNS6_6detail15normal_iteratorINS6_10device_ptrIKbEEEESL_NS6_8equal_toIbEEEENSG_9not_fun_tINSD_8identityEEEEENSD_19counting_iterator_tIlEES8_S8_S8_S8_S8_S8_S8_S8_EEEEPS9_S9_NSD_9__find_if7functorIS9_EEEE10hipError_tPvRmT1_T2_T3_mT4_P12ihipStream_tbEUlT_E0_NS1_11comp_targetILNS1_3genE8ELNS1_11target_archE1030ELNS1_3gpuE2ELNS1_3repE0EEENS1_30default_config_static_selectorELNS0_4arch9wavefront6targetE0EEEvS14_ ; -- Begin function _ZN7rocprim17ROCPRIM_400000_NS6detail17trampoline_kernelINS0_14default_configENS1_22reduce_config_selectorIN6thrust23THRUST_200600_302600_NS5tupleIblNS6_9null_typeES8_S8_S8_S8_S8_S8_S8_EEEEZNS1_11reduce_implILb1ES3_NS6_12zip_iteratorINS7_INS6_11hip_rocprim26transform_input_iterator_tIbNSD_35transform_pair_of_input_iterators_tIbNS6_6detail15normal_iteratorINS6_10device_ptrIKbEEEESL_NS6_8equal_toIbEEEENSG_9not_fun_tINSD_8identityEEEEENSD_19counting_iterator_tIlEES8_S8_S8_S8_S8_S8_S8_S8_EEEEPS9_S9_NSD_9__find_if7functorIS9_EEEE10hipError_tPvRmT1_T2_T3_mT4_P12ihipStream_tbEUlT_E0_NS1_11comp_targetILNS1_3genE8ELNS1_11target_archE1030ELNS1_3gpuE2ELNS1_3repE0EEENS1_30default_config_static_selectorELNS0_4arch9wavefront6targetE0EEEvS14_
	.globl	_ZN7rocprim17ROCPRIM_400000_NS6detail17trampoline_kernelINS0_14default_configENS1_22reduce_config_selectorIN6thrust23THRUST_200600_302600_NS5tupleIblNS6_9null_typeES8_S8_S8_S8_S8_S8_S8_EEEEZNS1_11reduce_implILb1ES3_NS6_12zip_iteratorINS7_INS6_11hip_rocprim26transform_input_iterator_tIbNSD_35transform_pair_of_input_iterators_tIbNS6_6detail15normal_iteratorINS6_10device_ptrIKbEEEESL_NS6_8equal_toIbEEEENSG_9not_fun_tINSD_8identityEEEEENSD_19counting_iterator_tIlEES8_S8_S8_S8_S8_S8_S8_S8_EEEEPS9_S9_NSD_9__find_if7functorIS9_EEEE10hipError_tPvRmT1_T2_T3_mT4_P12ihipStream_tbEUlT_E0_NS1_11comp_targetILNS1_3genE8ELNS1_11target_archE1030ELNS1_3gpuE2ELNS1_3repE0EEENS1_30default_config_static_selectorELNS0_4arch9wavefront6targetE0EEEvS14_
	.p2align	8
	.type	_ZN7rocprim17ROCPRIM_400000_NS6detail17trampoline_kernelINS0_14default_configENS1_22reduce_config_selectorIN6thrust23THRUST_200600_302600_NS5tupleIblNS6_9null_typeES8_S8_S8_S8_S8_S8_S8_EEEEZNS1_11reduce_implILb1ES3_NS6_12zip_iteratorINS7_INS6_11hip_rocprim26transform_input_iterator_tIbNSD_35transform_pair_of_input_iterators_tIbNS6_6detail15normal_iteratorINS6_10device_ptrIKbEEEESL_NS6_8equal_toIbEEEENSG_9not_fun_tINSD_8identityEEEEENSD_19counting_iterator_tIlEES8_S8_S8_S8_S8_S8_S8_S8_EEEEPS9_S9_NSD_9__find_if7functorIS9_EEEE10hipError_tPvRmT1_T2_T3_mT4_P12ihipStream_tbEUlT_E0_NS1_11comp_targetILNS1_3genE8ELNS1_11target_archE1030ELNS1_3gpuE2ELNS1_3repE0EEENS1_30default_config_static_selectorELNS0_4arch9wavefront6targetE0EEEvS14_,@function
_ZN7rocprim17ROCPRIM_400000_NS6detail17trampoline_kernelINS0_14default_configENS1_22reduce_config_selectorIN6thrust23THRUST_200600_302600_NS5tupleIblNS6_9null_typeES8_S8_S8_S8_S8_S8_S8_EEEEZNS1_11reduce_implILb1ES3_NS6_12zip_iteratorINS7_INS6_11hip_rocprim26transform_input_iterator_tIbNSD_35transform_pair_of_input_iterators_tIbNS6_6detail15normal_iteratorINS6_10device_ptrIKbEEEESL_NS6_8equal_toIbEEEENSG_9not_fun_tINSD_8identityEEEEENSD_19counting_iterator_tIlEES8_S8_S8_S8_S8_S8_S8_S8_EEEEPS9_S9_NSD_9__find_if7functorIS9_EEEE10hipError_tPvRmT1_T2_T3_mT4_P12ihipStream_tbEUlT_E0_NS1_11comp_targetILNS1_3genE8ELNS1_11target_archE1030ELNS1_3gpuE2ELNS1_3repE0EEENS1_30default_config_static_selectorELNS0_4arch9wavefront6targetE0EEEvS14_: ; @_ZN7rocprim17ROCPRIM_400000_NS6detail17trampoline_kernelINS0_14default_configENS1_22reduce_config_selectorIN6thrust23THRUST_200600_302600_NS5tupleIblNS6_9null_typeES8_S8_S8_S8_S8_S8_S8_EEEEZNS1_11reduce_implILb1ES3_NS6_12zip_iteratorINS7_INS6_11hip_rocprim26transform_input_iterator_tIbNSD_35transform_pair_of_input_iterators_tIbNS6_6detail15normal_iteratorINS6_10device_ptrIKbEEEESL_NS6_8equal_toIbEEEENSG_9not_fun_tINSD_8identityEEEEENSD_19counting_iterator_tIlEES8_S8_S8_S8_S8_S8_S8_S8_EEEEPS9_S9_NSD_9__find_if7functorIS9_EEEE10hipError_tPvRmT1_T2_T3_mT4_P12ihipStream_tbEUlT_E0_NS1_11comp_targetILNS1_3genE8ELNS1_11target_archE1030ELNS1_3gpuE2ELNS1_3repE0EEENS1_30default_config_static_selectorELNS0_4arch9wavefront6targetE0EEEvS14_
; %bb.0:
	s_clause 0x2
	s_load_dwordx4 s[0:3], s[4:5], 0x0
	s_load_dwordx8 s[8:15], s[4:5], 0x20
	s_load_dwordx4 s[16:19], s[4:5], 0x40
	s_mov_b32 s7, 0
	s_waitcnt lgkmcnt(0)
	s_add_u32 s20, s0, s10
	s_addc_u32 s21, s1, s11
	s_add_u32 s2, s2, s10
	s_addc_u32 s3, s3, s11
	s_lshl_b32 s24, s6, 9
	s_lshr_b64 s[0:1], s[12:13], 9
	s_add_u32 s20, s20, s24
	s_addc_u32 s21, s21, 0
	s_add_u32 s22, s2, s24
	s_addc_u32 s23, s3, 0
	;; [unrolled: 2-line block ×4, first 2 shown]
	s_cmp_lg_u64 s[0:1], s[6:7]
	s_cbranch_scc0 .LBB751_22
; %bb.1:
	s_clause 0x3
	global_load_ubyte v1, v0, s[20:21]
	global_load_ubyte v2, v0, s[22:23]
	global_load_ubyte v3, v0, s[22:23] offset:256
	global_load_ubyte v4, v0, s[20:21] offset:256
	v_add_co_u32 v5, s0, s8, v0
	v_add_co_ci_u32_e64 v6, null, s9, 0, s0
	v_add_co_u32 v7, vcc_lo, 0x100, v5
	v_add_co_ci_u32_e64 v8, null, 0, v6, vcc_lo
	s_waitcnt vmcnt(2)
	v_cmp_ne_u16_e32 vcc_lo, v1, v2
	s_waitcnt vmcnt(0)
	v_cmp_ne_u16_e64 s0, v4, v3
	v_cndmask_b32_e32 v2, v8, v6, vcc_lo
	v_cndmask_b32_e32 v1, v7, v5, vcc_lo
	s_or_b32 s0, vcc_lo, s0
	v_cndmask_b32_e64 v5, 0, 1, s0
	v_mov_b32_dpp v4, v2 quad_perm:[1,0,3,2] row_mask:0xf bank_mask:0xf
	v_mov_b32_dpp v3, v1 quad_perm:[1,0,3,2] row_mask:0xf bank_mask:0xf
	;; [unrolled: 1-line block ×3, first 2 shown]
	v_cmp_lt_i64_e32 vcc_lo, v[1:2], v[3:4]
	v_and_b32_e32 v6, 1, v6
	s_and_b32 vcc_lo, s0, vcc_lo
	v_cndmask_b32_e32 v3, v3, v1, vcc_lo
	v_cndmask_b32_e32 v4, v4, v2, vcc_lo
	v_cmp_eq_u32_e32 vcc_lo, 1, v6
	v_cndmask_b32_e64 v5, v5, 1, vcc_lo
	v_cndmask_b32_e32 v2, v2, v4, vcc_lo
	v_cndmask_b32_e32 v1, v1, v3, vcc_lo
	v_mov_b32_dpp v4, v5 quad_perm:[2,3,0,1] row_mask:0xf bank_mask:0xf
	v_and_b32_e32 v8, 1, v5
	v_mov_b32_dpp v3, v1 quad_perm:[2,3,0,1] row_mask:0xf bank_mask:0xf
	v_and_b32_e32 v6, 1, v4
	v_mov_b32_dpp v4, v2 quad_perm:[2,3,0,1] row_mask:0xf bank_mask:0xf
	v_cmp_eq_u32_e64 s1, 1, v8
	v_cmp_eq_u32_e32 vcc_lo, 1, v6
	v_cmp_lt_i64_e64 s0, v[1:2], v[3:4]
	v_cndmask_b32_e64 v7, v5, 1, vcc_lo
	s_and_b32 s0, s1, s0
	v_cndmask_b32_e64 v3, v3, v1, s0
	v_mov_b32_dpp v8, v7 row_ror:4 row_mask:0xf bank_mask:0xf
	v_cndmask_b32_e64 v4, v4, v2, s0
	v_cndmask_b32_e32 v3, v1, v3, vcc_lo
	v_and_b32_e32 v5, v8, v7
	v_cndmask_b32_e32 v4, v2, v4, vcc_lo
	v_and_b32_e32 v1, 1, v5
	v_mov_b32_dpp v5, v3 row_ror:4 row_mask:0xf bank_mask:0xf
	v_mov_b32_dpp v6, v4 row_ror:4 row_mask:0xf bank_mask:0xf
	v_cmp_eq_u32_e32 vcc_lo, 1, v1
                                        ; implicit-def: $vgpr1_vgpr2
	s_and_saveexec_b32 s0, vcc_lo
	s_xor_b32 s0, exec_lo, s0
; %bb.2:
	v_cmp_lt_i64_e32 vcc_lo, v[3:4], v[5:6]
                                        ; implicit-def: $vgpr8
                                        ; implicit-def: $vgpr7
	v_cndmask_b32_e32 v2, v6, v4, vcc_lo
	v_cndmask_b32_e32 v1, v5, v3, vcc_lo
                                        ; implicit-def: $vgpr3_vgpr4
                                        ; implicit-def: $vgpr5_vgpr6
; %bb.3:
	s_or_saveexec_b32 s0, s0
	v_mov_b32_e32 v9, 1
	s_xor_b32 exec_lo, exec_lo, s0
; %bb.4:
	v_and_b32_e32 v1, 1, v8
	v_cmp_eq_u32_e32 vcc_lo, 1, v1
	v_cndmask_b32_e32 v2, v4, v6, vcc_lo
	v_cndmask_b32_e32 v1, v3, v5, vcc_lo
	v_cndmask_b32_e64 v9, v7, 1, vcc_lo
; %bb.5:
	s_or_b32 exec_lo, exec_lo, s0
	v_mov_b32_dpp v3, v1 row_ror:8 row_mask:0xf bank_mask:0xf
	v_mov_b32_dpp v4, v2 row_ror:8 row_mask:0xf bank_mask:0xf
	v_and_b32_e32 v6, 1, v9
	v_mov_b32_dpp v5, v9 row_ror:8 row_mask:0xf bank_mask:0xf
	v_mbcnt_lo_u32_b32 v8, -1, 0
	v_cmp_lt_i64_e32 vcc_lo, v[1:2], v[3:4]
	v_cmp_eq_u32_e64 s0, 1, v6
	v_and_b32_e32 v5, 1, v5
	s_and_b32 vcc_lo, s0, vcc_lo
	v_cmp_eq_u32_e64 s1, 1, v5
	v_cndmask_b32_e32 v3, v3, v1, vcc_lo
	v_cndmask_b32_e32 v4, v4, v2, vcc_lo
	v_cndmask_b32_e64 v5, v9, 1, s1
	v_cndmask_b32_e64 v1, v1, v3, s1
	;; [unrolled: 1-line block ×3, first 2 shown]
	ds_swizzle_b32 v6, v5 offset:swizzle(BROADCAST,32,15)
	ds_swizzle_b32 v3, v1 offset:swizzle(BROADCAST,32,15)
	;; [unrolled: 1-line block ×3, first 2 shown]
	v_and_b32_e32 v7, 1, v5
	v_cmp_eq_u32_e64 s0, 1, v7
	s_waitcnt lgkmcnt(2)
	v_and_b32_e32 v6, 1, v6
	s_waitcnt lgkmcnt(0)
	v_cmp_lt_i64_e32 vcc_lo, v[1:2], v[3:4]
	v_cmp_eq_u32_e64 s1, 1, v6
	v_mov_b32_e32 v6, 0
	s_and_b32 vcc_lo, s0, vcc_lo
	s_mov_b32 s0, exec_lo
	v_cndmask_b32_e32 v3, v3, v1, vcc_lo
	v_cndmask_b32_e32 v4, v4, v2, vcc_lo
	v_cndmask_b32_e64 v5, v5, 1, s1
	v_cndmask_b32_e64 v1, v1, v3, s1
	;; [unrolled: 1-line block ×3, first 2 shown]
	ds_bpermute_b32 v7, v6, v5 offset:124
	ds_bpermute_b32 v1, v6, v1 offset:124
	;; [unrolled: 1-line block ×3, first 2 shown]
	v_cmpx_eq_u32_e32 0, v8
	s_cbranch_execz .LBB751_7
; %bb.6:
	v_lshrrev_b32_e32 v3, 1, v0
	v_and_b32_e32 v3, 0x70, v3
	s_waitcnt lgkmcnt(2)
	ds_write_b8 v3, v7
	s_waitcnt lgkmcnt(1)
	ds_write_b64 v3, v[1:2] offset:8
.LBB751_7:
	s_or_b32 exec_lo, exec_lo, s0
	s_mov_b32 s0, exec_lo
	s_waitcnt lgkmcnt(0)
	s_barrier
	buffer_gl0_inv
	v_cmpx_gt_u32_e32 32, v0
	s_cbranch_execz .LBB751_21
; %bb.8:
	v_and_b32_e32 v7, 7, v8
	v_lshlrev_b32_e32 v1, 4, v7
	v_cmp_ne_u32_e32 vcc_lo, 7, v7
	ds_read_u8 v10, v1
	ds_read_b64 v[3:4], v1 offset:8
	v_add_co_ci_u32_e64 v2, null, 0, v8, vcc_lo
	v_lshlrev_b32_e32 v2, 2, v2
	s_waitcnt lgkmcnt(1)
	v_and_b32_e32 v1, 0xff, v10
	s_waitcnt lgkmcnt(0)
	ds_bpermute_b32 v5, v2, v3
	ds_bpermute_b32 v6, v2, v4
	;; [unrolled: 1-line block ×3, first 2 shown]
	s_waitcnt lgkmcnt(0)
	v_and_b32_e32 v1, v10, v11
	v_and_b32_e32 v1, 1, v1
	v_cmp_eq_u32_e32 vcc_lo, 1, v1
                                        ; implicit-def: $vgpr1_vgpr2
	s_and_saveexec_b32 s1, vcc_lo
	s_xor_b32 s1, exec_lo, s1
; %bb.9:
	v_cmp_lt_i64_e32 vcc_lo, v[5:6], v[3:4]
                                        ; implicit-def: $vgpr10
                                        ; implicit-def: $vgpr11
	v_cndmask_b32_e32 v2, v4, v6, vcc_lo
	v_cndmask_b32_e32 v1, v3, v5, vcc_lo
                                        ; implicit-def: $vgpr5_vgpr6
                                        ; implicit-def: $vgpr3_vgpr4
; %bb.10:
	s_or_saveexec_b32 s1, s1
	v_mov_b32_e32 v9, 1
	s_xor_b32 exec_lo, exec_lo, s1
; %bb.11:
	v_and_b32_e32 v1, 1, v10
	v_and_b32_e32 v9, 0xff, v11
	v_cmp_eq_u32_e32 vcc_lo, 1, v1
	v_cndmask_b32_e32 v2, v6, v4, vcc_lo
	v_cndmask_b32_e32 v1, v5, v3, vcc_lo
	v_cndmask_b32_e64 v9, v9, 1, vcc_lo
; %bb.12:
	s_or_b32 exec_lo, exec_lo, s1
	v_cmp_gt_u32_e32 vcc_lo, 6, v7
	v_cndmask_b32_e64 v3, 0, 2, vcc_lo
	v_add_lshl_u32 v3, v3, v8, 2
	ds_bpermute_b32 v7, v3, v9
	ds_bpermute_b32 v5, v3, v1
	;; [unrolled: 1-line block ×3, first 2 shown]
	s_waitcnt lgkmcnt(2)
	v_and_b32_e32 v3, v9, v7
	v_and_b32_e32 v3, 1, v3
	v_cmp_eq_u32_e32 vcc_lo, 1, v3
                                        ; implicit-def: $vgpr3_vgpr4
	s_and_saveexec_b32 s1, vcc_lo
	s_xor_b32 s1, exec_lo, s1
	s_cbranch_execz .LBB751_14
; %bb.13:
	s_waitcnt lgkmcnt(0)
	v_cmp_lt_i64_e32 vcc_lo, v[5:6], v[1:2]
                                        ; implicit-def: $vgpr9
                                        ; implicit-def: $vgpr7
	v_cndmask_b32_e32 v4, v2, v6, vcc_lo
	v_cndmask_b32_e32 v3, v1, v5, vcc_lo
                                        ; implicit-def: $vgpr5_vgpr6
                                        ; implicit-def: $vgpr1_vgpr2
.LBB751_14:
	s_or_saveexec_b32 s1, s1
	v_lshlrev_b32_e32 v10, 2, v8
	v_mov_b32_e32 v8, 1
	s_xor_b32 exec_lo, exec_lo, s1
	s_cbranch_execz .LBB751_16
; %bb.15:
	v_and_b32_e32 v3, 1, v9
	v_and_b32_e32 v7, 0xff, v7
	v_cmp_eq_u32_e32 vcc_lo, 1, v3
	s_waitcnt lgkmcnt(0)
	v_cndmask_b32_e32 v4, v6, v2, vcc_lo
	v_cndmask_b32_e32 v3, v5, v1, vcc_lo
	v_cndmask_b32_e64 v8, v7, 1, vcc_lo
.LBB751_16:
	s_or_b32 exec_lo, exec_lo, s1
	v_or_b32_e32 v1, 16, v10
	ds_bpermute_b32 v9, v1, v8
	s_waitcnt lgkmcnt(2)
	ds_bpermute_b32 v5, v1, v3
	s_waitcnt lgkmcnt(2)
	;; [unrolled: 2-line block ×3, first 2 shown]
	v_and_b32_e32 v1, v8, v9
	v_and_b32_e32 v1, 1, v1
	v_cmp_eq_u32_e32 vcc_lo, 1, v1
                                        ; implicit-def: $vgpr1_vgpr2
	s_and_saveexec_b32 s1, vcc_lo
	s_xor_b32 s1, exec_lo, s1
	s_cbranch_execz .LBB751_18
; %bb.17:
	s_waitcnt lgkmcnt(0)
	v_cmp_lt_i64_e32 vcc_lo, v[5:6], v[3:4]
                                        ; implicit-def: $vgpr8
                                        ; implicit-def: $vgpr9
	v_cndmask_b32_e32 v2, v4, v6, vcc_lo
	v_cndmask_b32_e32 v1, v3, v5, vcc_lo
                                        ; implicit-def: $vgpr5_vgpr6
                                        ; implicit-def: $vgpr3_vgpr4
.LBB751_18:
	s_or_saveexec_b32 s1, s1
	v_mov_b32_e32 v7, 1
	s_xor_b32 exec_lo, exec_lo, s1
	s_cbranch_execz .LBB751_20
; %bb.19:
	v_and_b32_e32 v1, 1, v8
	v_cmp_eq_u32_e32 vcc_lo, 1, v1
	s_waitcnt lgkmcnt(0)
	v_cndmask_b32_e32 v2, v6, v4, vcc_lo
	v_cndmask_b32_e32 v1, v5, v3, vcc_lo
	v_cndmask_b32_e64 v7, v9, 1, vcc_lo
.LBB751_20:
	s_or_b32 exec_lo, exec_lo, s1
.LBB751_21:
	s_or_b32 exec_lo, exec_lo, s0
	s_load_dwordx2 s[2:3], s[4:5], 0x58
	s_branch .LBB751_80
.LBB751_22:
                                        ; implicit-def: $vgpr1_vgpr2
                                        ; implicit-def: $vgpr7
	s_load_dwordx2 s[2:3], s[4:5], 0x58
	s_cbranch_execz .LBB751_80
; %bb.23:
	v_mov_b32_e32 v3, 0
	v_mov_b32_e32 v1, 0
	s_waitcnt lgkmcnt(0)
	v_mov_b32_e32 v5, 0
	v_mov_b32_e32 v4, 0
	;; [unrolled: 1-line block ×4, first 2 shown]
	s_sub_i32 s10, s12, s24
	s_mov_b32 s0, exec_lo
	v_cmpx_gt_u32_e64 s10, v0
	s_cbranch_execz .LBB751_25
; %bb.24:
	s_clause 0x1
	global_load_ubyte v6, v0, s[20:21]
	global_load_ubyte v7, v0, s[22:23]
	v_add_co_u32 v1, s1, s8, v0
	v_add_co_ci_u32_e64 v2, null, s9, 0, s1
	s_waitcnt vmcnt(0)
	v_cmp_ne_u16_e32 vcc_lo, v6, v7
	v_cndmask_b32_e64 v6, 0, 1, vcc_lo
.LBB751_25:
	s_or_b32 exec_lo, exec_lo, s0
	v_or_b32_e32 v7, 0x100, v0
	v_cmp_gt_u32_e32 vcc_lo, s10, v7
	s_and_saveexec_b32 s1, vcc_lo
	s_cbranch_execz .LBB751_27
; %bb.26:
	s_clause 0x1
	global_load_ubyte v5, v0, s[20:21] offset:256
	global_load_ubyte v8, v0, s[22:23] offset:256
	v_add_co_u32 v3, s0, s8, v7
	v_add_co_ci_u32_e64 v4, null, s9, 0, s0
	s_waitcnt vmcnt(0)
	v_cmp_ne_u16_e64 s0, v5, v8
	v_cndmask_b32_e64 v5, 0, 1, s0
.LBB751_27:
	s_or_b32 exec_lo, exec_lo, s1
	v_and_b32_e32 v7, 1, v5
	v_cmp_lt_i64_e64 s0, v[3:4], v[1:2]
	v_and_b32_e32 v8, 0xffff, v5
	v_mbcnt_lo_u32_b32 v5, -1, 0
	v_cmp_eq_u32_e64 s1, 1, v7
	v_and_b32_e32 v7, 0xffff, v6
	v_and_b32_e32 v6, 1, v6
	s_and_b32 s0, s1, s0
	v_cmp_ne_u32_e64 s1, 31, v5
	v_cndmask_b32_e64 v9, v2, v4, s0
	v_cndmask_b32_e64 v10, v1, v3, s0
	v_cmp_eq_u32_e64 s0, 1, v6
	v_cndmask_b32_e64 v6, v8, 1, s0
	v_add_co_ci_u32_e64 v8, null, 0, v5, s1
	v_cndmask_b32_e64 v3, v3, v10, s0
	v_cndmask_b32_e64 v4, v4, v9, s0
	v_cndmask_b32_e32 v7, v7, v6, vcc_lo
	v_lshlrev_b32_e32 v6, 2, v8
	s_min_u32 s0, s10, 0x100
	v_cndmask_b32_e32 v1, v1, v3, vcc_lo
	v_cndmask_b32_e32 v2, v2, v4, vcc_lo
	v_add_nc_u32_e32 v9, 1, v5
	ds_bpermute_b32 v8, v6, v7
	s_mov_b32 s1, exec_lo
	ds_bpermute_b32 v3, v6, v1
	ds_bpermute_b32 v4, v6, v2
	v_and_b32_e32 v6, 0xe0, v0
	v_sub_nc_u32_e64 v6, s0, v6 clamp
	v_cmpx_lt_u32_e64 v9, v6
	s_cbranch_execz .LBB751_33
; %bb.28:
	s_waitcnt lgkmcnt(2)
	v_and_b32_e32 v9, v7, v8
	s_mov_b32 s8, exec_lo
	v_cmpx_ne_u32_e32 0, v9
	s_xor_b32 s8, exec_lo, s8
	s_cbranch_execz .LBB751_30
; %bb.29:
	s_waitcnt lgkmcnt(0)
	v_cmp_lt_i64_e32 vcc_lo, v[3:4], v[1:2]
                                        ; implicit-def: $vgpr7
                                        ; implicit-def: $vgpr8
	v_cndmask_b32_e32 v2, v2, v4, vcc_lo
	v_cndmask_b32_e32 v1, v1, v3, vcc_lo
                                        ; implicit-def: $vgpr3_vgpr4
.LBB751_30:
	s_or_saveexec_b32 s8, s8
	v_mov_b32_e32 v9, 1
	s_xor_b32 exec_lo, exec_lo, s8
	s_cbranch_execz .LBB751_32
; %bb.31:
	v_and_b32_e32 v7, 1, v7
	v_cmp_eq_u32_e32 vcc_lo, 1, v7
	v_and_b32_e32 v7, 0xff, v8
	s_waitcnt lgkmcnt(0)
	v_cndmask_b32_e32 v2, v4, v2, vcc_lo
	v_cndmask_b32_e32 v1, v3, v1, vcc_lo
	v_cndmask_b32_e64 v9, v7, 1, vcc_lo
.LBB751_32:
	s_or_b32 exec_lo, exec_lo, s8
	v_mov_b32_e32 v7, v9
.LBB751_33:
	s_or_b32 exec_lo, exec_lo, s1
	v_cmp_gt_u32_e32 vcc_lo, 30, v5
	v_add_nc_u32_e32 v9, 2, v5
	s_mov_b32 s1, exec_lo
	s_waitcnt lgkmcnt(1)
	v_cndmask_b32_e64 v3, 0, 2, vcc_lo
	s_waitcnt lgkmcnt(0)
	v_add_lshl_u32 v4, v3, v5, 2
	ds_bpermute_b32 v8, v4, v7
	ds_bpermute_b32 v3, v4, v1
	ds_bpermute_b32 v4, v4, v2
	v_cmpx_lt_u32_e64 v9, v6
	s_cbranch_execz .LBB751_39
; %bb.34:
	s_waitcnt lgkmcnt(2)
	v_and_b32_e32 v9, v7, v8
	s_mov_b32 s8, exec_lo
	v_and_b32_e32 v9, 1, v9
	v_cmpx_eq_u32_e32 1, v9
	s_xor_b32 s8, exec_lo, s8
	s_cbranch_execz .LBB751_36
; %bb.35:
	s_waitcnt lgkmcnt(0)
	v_cmp_lt_i64_e32 vcc_lo, v[3:4], v[1:2]
                                        ; implicit-def: $vgpr7
                                        ; implicit-def: $vgpr8
	v_cndmask_b32_e32 v2, v2, v4, vcc_lo
	v_cndmask_b32_e32 v1, v1, v3, vcc_lo
                                        ; implicit-def: $vgpr3_vgpr4
.LBB751_36:
	s_or_saveexec_b32 s8, s8
	v_mov_b32_e32 v9, 1
	s_xor_b32 exec_lo, exec_lo, s8
	s_cbranch_execz .LBB751_38
; %bb.37:
	v_and_b32_e32 v7, 1, v7
	v_cmp_eq_u32_e32 vcc_lo, 1, v7
	v_and_b32_e32 v7, 0xff, v8
	s_waitcnt lgkmcnt(0)
	v_cndmask_b32_e32 v2, v4, v2, vcc_lo
	v_cndmask_b32_e32 v1, v3, v1, vcc_lo
	v_cndmask_b32_e64 v9, v7, 1, vcc_lo
.LBB751_38:
	s_or_b32 exec_lo, exec_lo, s8
	v_mov_b32_e32 v7, v9
.LBB751_39:
	s_or_b32 exec_lo, exec_lo, s1
	v_cmp_gt_u32_e32 vcc_lo, 28, v5
	v_add_nc_u32_e32 v9, 4, v5
	s_mov_b32 s1, exec_lo
	s_waitcnt lgkmcnt(1)
	v_cndmask_b32_e64 v3, 0, 4, vcc_lo
	s_waitcnt lgkmcnt(0)
	v_add_lshl_u32 v4, v3, v5, 2
	ds_bpermute_b32 v8, v4, v7
	ds_bpermute_b32 v3, v4, v1
	ds_bpermute_b32 v4, v4, v2
	v_cmpx_lt_u32_e64 v9, v6
	s_cbranch_execz .LBB751_45
; %bb.40:
	s_waitcnt lgkmcnt(2)
	v_and_b32_e32 v9, v7, v8
	s_mov_b32 s8, exec_lo
	v_and_b32_e32 v9, 1, v9
	v_cmpx_eq_u32_e32 1, v9
	s_xor_b32 s8, exec_lo, s8
	s_cbranch_execz .LBB751_42
; %bb.41:
	s_waitcnt lgkmcnt(0)
	v_cmp_lt_i64_e32 vcc_lo, v[3:4], v[1:2]
                                        ; implicit-def: $vgpr7
                                        ; implicit-def: $vgpr8
	v_cndmask_b32_e32 v2, v2, v4, vcc_lo
	v_cndmask_b32_e32 v1, v1, v3, vcc_lo
                                        ; implicit-def: $vgpr3_vgpr4
.LBB751_42:
	s_or_saveexec_b32 s8, s8
	v_mov_b32_e32 v9, 1
	s_xor_b32 exec_lo, exec_lo, s8
	s_cbranch_execz .LBB751_44
; %bb.43:
	v_and_b32_e32 v7, 1, v7
	v_cmp_eq_u32_e32 vcc_lo, 1, v7
	v_and_b32_e32 v7, 0xff, v8
	s_waitcnt lgkmcnt(0)
	v_cndmask_b32_e32 v2, v4, v2, vcc_lo
	v_cndmask_b32_e32 v1, v3, v1, vcc_lo
	v_cndmask_b32_e64 v9, v7, 1, vcc_lo
.LBB751_44:
	s_or_b32 exec_lo, exec_lo, s8
	v_mov_b32_e32 v7, v9
.LBB751_45:
	;; [unrolled: 46-line block ×3, first 2 shown]
	s_or_b32 exec_lo, exec_lo, s1
	s_waitcnt lgkmcnt(2)
	v_lshlrev_b32_e32 v8, 2, v5
	v_add_nc_u32_e32 v10, 16, v5
	s_waitcnt lgkmcnt(0)
	v_or_b32_e32 v4, 64, v8
	v_cmp_lt_u32_e32 vcc_lo, v10, v6
	v_mov_b32_e32 v6, v7
	ds_bpermute_b32 v9, v4, v7
	ds_bpermute_b32 v3, v4, v1
	;; [unrolled: 1-line block ×3, first 2 shown]
	s_and_saveexec_b32 s1, vcc_lo
	s_cbranch_execz .LBB751_57
; %bb.52:
	s_waitcnt lgkmcnt(2)
	v_and_b32_e32 v6, v7, v9
	s_mov_b32 s8, exec_lo
	v_and_b32_e32 v6, 1, v6
	v_cmpx_eq_u32_e32 1, v6
	s_xor_b32 s8, exec_lo, s8
	s_cbranch_execz .LBB751_54
; %bb.53:
	s_waitcnt lgkmcnt(0)
	v_cmp_lt_i64_e32 vcc_lo, v[3:4], v[1:2]
                                        ; implicit-def: $vgpr7
                                        ; implicit-def: $vgpr9
	v_cndmask_b32_e32 v2, v2, v4, vcc_lo
	v_cndmask_b32_e32 v1, v1, v3, vcc_lo
                                        ; implicit-def: $vgpr3_vgpr4
.LBB751_54:
	s_or_saveexec_b32 s8, s8
	v_mov_b32_e32 v6, 1
	s_xor_b32 exec_lo, exec_lo, s8
	s_cbranch_execz .LBB751_56
; %bb.55:
	v_and_b32_e32 v6, 1, v7
	v_cmp_eq_u32_e32 vcc_lo, 1, v6
	v_cndmask_b32_e64 v6, v9, 1, vcc_lo
	s_waitcnt lgkmcnt(0)
	v_cndmask_b32_e32 v2, v4, v2, vcc_lo
	v_cndmask_b32_e32 v1, v3, v1, vcc_lo
.LBB751_56:
	s_or_b32 exec_lo, exec_lo, s8
	v_and_b32_e32 v7, 0xff, v6
.LBB751_57:
	s_or_b32 exec_lo, exec_lo, s1
	s_mov_b32 s1, exec_lo
	v_cmpx_eq_u32_e32 0, v5
	s_cbranch_execz .LBB751_59
; %bb.58:
	s_waitcnt lgkmcnt(1)
	v_lshrrev_b32_e32 v3, 1, v0
	v_and_b32_e32 v3, 0x70, v3
	ds_write_b8 v3, v6 offset:128
	ds_write_b64 v3, v[1:2] offset:136
.LBB751_59:
	s_or_b32 exec_lo, exec_lo, s1
	s_mov_b32 s1, exec_lo
	s_waitcnt lgkmcnt(0)
	s_barrier
	buffer_gl0_inv
	v_cmpx_gt_u32_e32 8, v0
	s_cbranch_execz .LBB751_79
; %bb.60:
	v_lshlrev_b32_e32 v1, 4, v5
	v_and_b32_e32 v6, 7, v5
	s_add_i32 s0, s0, 31
	s_mov_b32 s8, exec_lo
	s_lshr_b32 s0, s0, 5
	ds_read_u8 v9, v1 offset:128
	ds_read_b64 v[1:2], v1 offset:136
	v_cmp_ne_u32_e32 vcc_lo, 7, v6
	v_add_nc_u32_e32 v11, 1, v6
	v_add_co_ci_u32_e64 v3, null, 0, v5, vcc_lo
	v_lshlrev_b32_e32 v4, 2, v3
	s_waitcnt lgkmcnt(1)
	v_and_b32_e32 v7, 0xff, v9
	s_waitcnt lgkmcnt(0)
	ds_bpermute_b32 v3, v4, v1
	ds_bpermute_b32 v10, v4, v7
	;; [unrolled: 1-line block ×3, first 2 shown]
	v_cmpx_gt_u32_e64 s0, v11
	s_cbranch_execz .LBB751_66
; %bb.61:
	s_waitcnt lgkmcnt(1)
	v_and_b32_e32 v7, v7, v10
	s_mov_b32 s9, exec_lo
	v_and_b32_e32 v7, 1, v7
	v_cmpx_eq_u32_e32 1, v7
	s_xor_b32 s9, exec_lo, s9
	s_cbranch_execz .LBB751_63
; %bb.62:
	s_waitcnt lgkmcnt(0)
	v_cmp_lt_i64_e32 vcc_lo, v[3:4], v[1:2]
                                        ; implicit-def: $vgpr9
                                        ; implicit-def: $vgpr10
	v_cndmask_b32_e32 v2, v2, v4, vcc_lo
	v_cndmask_b32_e32 v1, v1, v3, vcc_lo
                                        ; implicit-def: $vgpr3_vgpr4
.LBB751_63:
	s_or_saveexec_b32 s9, s9
	v_mov_b32_e32 v7, 1
	s_xor_b32 exec_lo, exec_lo, s9
	s_cbranch_execz .LBB751_65
; %bb.64:
	v_and_b32_e32 v7, 1, v9
	v_cmp_eq_u32_e32 vcc_lo, 1, v7
	v_and_b32_e32 v7, 0xff, v10
	s_waitcnt lgkmcnt(0)
	v_cndmask_b32_e32 v2, v4, v2, vcc_lo
	v_cndmask_b32_e32 v1, v3, v1, vcc_lo
	v_cndmask_b32_e64 v7, v7, 1, vcc_lo
.LBB751_65:
	s_or_b32 exec_lo, exec_lo, s9
.LBB751_66:
	s_or_b32 exec_lo, exec_lo, s8
	v_cmp_gt_u32_e32 vcc_lo, 6, v6
	v_add_nc_u32_e32 v9, 2, v6
	s_mov_b32 s8, exec_lo
	s_waitcnt lgkmcnt(2)
	v_cndmask_b32_e64 v3, 0, 2, vcc_lo
	s_waitcnt lgkmcnt(0)
	v_add_lshl_u32 v4, v3, v5, 2
	ds_bpermute_b32 v5, v4, v7
	ds_bpermute_b32 v3, v4, v1
	;; [unrolled: 1-line block ×3, first 2 shown]
	v_cmpx_gt_u32_e64 s0, v9
	s_cbranch_execz .LBB751_72
; %bb.67:
	s_waitcnt lgkmcnt(2)
	v_and_b32_e32 v9, v7, v5
	s_mov_b32 s9, exec_lo
	v_and_b32_e32 v9, 1, v9
	v_cmpx_eq_u32_e32 1, v9
	s_xor_b32 s9, exec_lo, s9
	s_cbranch_execz .LBB751_69
; %bb.68:
	s_waitcnt lgkmcnt(0)
	v_cmp_lt_i64_e32 vcc_lo, v[3:4], v[1:2]
                                        ; implicit-def: $vgpr7
                                        ; implicit-def: $vgpr5
	v_cndmask_b32_e32 v2, v2, v4, vcc_lo
	v_cndmask_b32_e32 v1, v1, v3, vcc_lo
                                        ; implicit-def: $vgpr3_vgpr4
.LBB751_69:
	s_or_saveexec_b32 s9, s9
	v_mov_b32_e32 v9, 1
	s_xor_b32 exec_lo, exec_lo, s9
	s_cbranch_execz .LBB751_71
; %bb.70:
	v_and_b32_e32 v7, 1, v7
	v_and_b32_e32 v5, 0xff, v5
	v_cmp_eq_u32_e32 vcc_lo, 1, v7
	s_waitcnt lgkmcnt(0)
	v_cndmask_b32_e32 v2, v4, v2, vcc_lo
	v_cndmask_b32_e32 v1, v3, v1, vcc_lo
	v_cndmask_b32_e64 v9, v5, 1, vcc_lo
.LBB751_71:
	s_or_b32 exec_lo, exec_lo, s9
	v_mov_b32_e32 v7, v9
.LBB751_72:
	s_or_b32 exec_lo, exec_lo, s8
	s_waitcnt lgkmcnt(0)
	v_or_b32_e32 v4, 16, v8
	v_add_nc_u32_e32 v6, 4, v6
	ds_bpermute_b32 v5, v4, v7
	ds_bpermute_b32 v3, v4, v1
	;; [unrolled: 1-line block ×3, first 2 shown]
	v_cmp_gt_u32_e32 vcc_lo, s0, v6
	s_and_saveexec_b32 s0, vcc_lo
	s_cbranch_execz .LBB751_78
; %bb.73:
	s_waitcnt lgkmcnt(2)
	v_and_b32_e32 v6, v7, v5
	s_mov_b32 s8, exec_lo
	v_and_b32_e32 v6, 1, v6
	v_cmpx_eq_u32_e32 1, v6
	s_xor_b32 s8, exec_lo, s8
	s_cbranch_execz .LBB751_75
; %bb.74:
	s_waitcnt lgkmcnt(0)
	v_cmp_lt_i64_e32 vcc_lo, v[3:4], v[1:2]
                                        ; implicit-def: $vgpr7
                                        ; implicit-def: $vgpr5
	v_cndmask_b32_e32 v2, v2, v4, vcc_lo
	v_cndmask_b32_e32 v1, v1, v3, vcc_lo
                                        ; implicit-def: $vgpr3_vgpr4
.LBB751_75:
	s_or_saveexec_b32 s8, s8
	v_mov_b32_e32 v6, 1
	s_xor_b32 exec_lo, exec_lo, s8
	s_cbranch_execz .LBB751_77
; %bb.76:
	v_and_b32_e32 v6, 1, v7
	v_cmp_eq_u32_e32 vcc_lo, 1, v6
	s_waitcnt lgkmcnt(0)
	v_cndmask_b32_e32 v2, v4, v2, vcc_lo
	v_cndmask_b32_e32 v1, v3, v1, vcc_lo
	v_cndmask_b32_e64 v6, v5, 1, vcc_lo
.LBB751_77:
	s_or_b32 exec_lo, exec_lo, s8
	v_mov_b32_e32 v7, v6
.LBB751_78:
	s_or_b32 exec_lo, exec_lo, s0
.LBB751_79:
	s_or_b32 exec_lo, exec_lo, s1
.LBB751_80:
	s_load_dword s0, s[4:5], 0x50
	s_mov_b32 s1, exec_lo
	v_cmpx_eq_u32_e32 0, v0
	s_cbranch_execz .LBB751_82
; %bb.81:
	s_mul_i32 s1, s18, s17
	s_mul_hi_u32 s4, s18, s16
	s_mul_i32 s5, s19, s16
	s_add_i32 s1, s4, s1
	s_mul_i32 s4, s18, s16
	s_add_i32 s5, s1, s5
	v_mov_b32_e32 v0, 0
	s_lshl_b64 s[4:5], s[4:5], 4
	s_add_u32 s1, s14, s4
	s_addc_u32 s8, s15, s5
	s_cmp_eq_u64 s[12:13], 0
	s_cselect_b32 s9, -1, 0
	s_lshl_b64 s[4:5], s[6:7], 4
	s_waitcnt lgkmcnt(0)
	v_cndmask_b32_e64 v3, v7, s0, s9
	v_cndmask_b32_e64 v2, v2, s3, s9
	;; [unrolled: 1-line block ×3, first 2 shown]
	s_add_u32 s0, s1, s4
	s_addc_u32 s1, s8, s5
	global_store_byte v0, v3, s[0:1]
	global_store_dwordx2 v0, v[1:2], s[0:1] offset:8
.LBB751_82:
	s_endpgm
	.section	.rodata,"a",@progbits
	.p2align	6, 0x0
	.amdhsa_kernel _ZN7rocprim17ROCPRIM_400000_NS6detail17trampoline_kernelINS0_14default_configENS1_22reduce_config_selectorIN6thrust23THRUST_200600_302600_NS5tupleIblNS6_9null_typeES8_S8_S8_S8_S8_S8_S8_EEEEZNS1_11reduce_implILb1ES3_NS6_12zip_iteratorINS7_INS6_11hip_rocprim26transform_input_iterator_tIbNSD_35transform_pair_of_input_iterators_tIbNS6_6detail15normal_iteratorINS6_10device_ptrIKbEEEESL_NS6_8equal_toIbEEEENSG_9not_fun_tINSD_8identityEEEEENSD_19counting_iterator_tIlEES8_S8_S8_S8_S8_S8_S8_S8_EEEEPS9_S9_NSD_9__find_if7functorIS9_EEEE10hipError_tPvRmT1_T2_T3_mT4_P12ihipStream_tbEUlT_E0_NS1_11comp_targetILNS1_3genE8ELNS1_11target_archE1030ELNS1_3gpuE2ELNS1_3repE0EEENS1_30default_config_static_selectorELNS0_4arch9wavefront6targetE0EEEvS14_
		.amdhsa_group_segment_fixed_size 256
		.amdhsa_private_segment_fixed_size 0
		.amdhsa_kernarg_size 104
		.amdhsa_user_sgpr_count 6
		.amdhsa_user_sgpr_private_segment_buffer 1
		.amdhsa_user_sgpr_dispatch_ptr 0
		.amdhsa_user_sgpr_queue_ptr 0
		.amdhsa_user_sgpr_kernarg_segment_ptr 1
		.amdhsa_user_sgpr_dispatch_id 0
		.amdhsa_user_sgpr_flat_scratch_init 0
		.amdhsa_user_sgpr_private_segment_size 0
		.amdhsa_wavefront_size32 1
		.amdhsa_uses_dynamic_stack 0
		.amdhsa_system_sgpr_private_segment_wavefront_offset 0
		.amdhsa_system_sgpr_workgroup_id_x 1
		.amdhsa_system_sgpr_workgroup_id_y 0
		.amdhsa_system_sgpr_workgroup_id_z 0
		.amdhsa_system_sgpr_workgroup_info 0
		.amdhsa_system_vgpr_workitem_id 0
		.amdhsa_next_free_vgpr 12
		.amdhsa_next_free_sgpr 25
		.amdhsa_reserve_vcc 1
		.amdhsa_reserve_flat_scratch 0
		.amdhsa_float_round_mode_32 0
		.amdhsa_float_round_mode_16_64 0
		.amdhsa_float_denorm_mode_32 3
		.amdhsa_float_denorm_mode_16_64 3
		.amdhsa_dx10_clamp 1
		.amdhsa_ieee_mode 1
		.amdhsa_fp16_overflow 0
		.amdhsa_workgroup_processor_mode 1
		.amdhsa_memory_ordered 1
		.amdhsa_forward_progress 1
		.amdhsa_shared_vgpr_count 0
		.amdhsa_exception_fp_ieee_invalid_op 0
		.amdhsa_exception_fp_denorm_src 0
		.amdhsa_exception_fp_ieee_div_zero 0
		.amdhsa_exception_fp_ieee_overflow 0
		.amdhsa_exception_fp_ieee_underflow 0
		.amdhsa_exception_fp_ieee_inexact 0
		.amdhsa_exception_int_div_zero 0
	.end_amdhsa_kernel
	.section	.text._ZN7rocprim17ROCPRIM_400000_NS6detail17trampoline_kernelINS0_14default_configENS1_22reduce_config_selectorIN6thrust23THRUST_200600_302600_NS5tupleIblNS6_9null_typeES8_S8_S8_S8_S8_S8_S8_EEEEZNS1_11reduce_implILb1ES3_NS6_12zip_iteratorINS7_INS6_11hip_rocprim26transform_input_iterator_tIbNSD_35transform_pair_of_input_iterators_tIbNS6_6detail15normal_iteratorINS6_10device_ptrIKbEEEESL_NS6_8equal_toIbEEEENSG_9not_fun_tINSD_8identityEEEEENSD_19counting_iterator_tIlEES8_S8_S8_S8_S8_S8_S8_S8_EEEEPS9_S9_NSD_9__find_if7functorIS9_EEEE10hipError_tPvRmT1_T2_T3_mT4_P12ihipStream_tbEUlT_E0_NS1_11comp_targetILNS1_3genE8ELNS1_11target_archE1030ELNS1_3gpuE2ELNS1_3repE0EEENS1_30default_config_static_selectorELNS0_4arch9wavefront6targetE0EEEvS14_,"axG",@progbits,_ZN7rocprim17ROCPRIM_400000_NS6detail17trampoline_kernelINS0_14default_configENS1_22reduce_config_selectorIN6thrust23THRUST_200600_302600_NS5tupleIblNS6_9null_typeES8_S8_S8_S8_S8_S8_S8_EEEEZNS1_11reduce_implILb1ES3_NS6_12zip_iteratorINS7_INS6_11hip_rocprim26transform_input_iterator_tIbNSD_35transform_pair_of_input_iterators_tIbNS6_6detail15normal_iteratorINS6_10device_ptrIKbEEEESL_NS6_8equal_toIbEEEENSG_9not_fun_tINSD_8identityEEEEENSD_19counting_iterator_tIlEES8_S8_S8_S8_S8_S8_S8_S8_EEEEPS9_S9_NSD_9__find_if7functorIS9_EEEE10hipError_tPvRmT1_T2_T3_mT4_P12ihipStream_tbEUlT_E0_NS1_11comp_targetILNS1_3genE8ELNS1_11target_archE1030ELNS1_3gpuE2ELNS1_3repE0EEENS1_30default_config_static_selectorELNS0_4arch9wavefront6targetE0EEEvS14_,comdat
.Lfunc_end751:
	.size	_ZN7rocprim17ROCPRIM_400000_NS6detail17trampoline_kernelINS0_14default_configENS1_22reduce_config_selectorIN6thrust23THRUST_200600_302600_NS5tupleIblNS6_9null_typeES8_S8_S8_S8_S8_S8_S8_EEEEZNS1_11reduce_implILb1ES3_NS6_12zip_iteratorINS7_INS6_11hip_rocprim26transform_input_iterator_tIbNSD_35transform_pair_of_input_iterators_tIbNS6_6detail15normal_iteratorINS6_10device_ptrIKbEEEESL_NS6_8equal_toIbEEEENSG_9not_fun_tINSD_8identityEEEEENSD_19counting_iterator_tIlEES8_S8_S8_S8_S8_S8_S8_S8_EEEEPS9_S9_NSD_9__find_if7functorIS9_EEEE10hipError_tPvRmT1_T2_T3_mT4_P12ihipStream_tbEUlT_E0_NS1_11comp_targetILNS1_3genE8ELNS1_11target_archE1030ELNS1_3gpuE2ELNS1_3repE0EEENS1_30default_config_static_selectorELNS0_4arch9wavefront6targetE0EEEvS14_, .Lfunc_end751-_ZN7rocprim17ROCPRIM_400000_NS6detail17trampoline_kernelINS0_14default_configENS1_22reduce_config_selectorIN6thrust23THRUST_200600_302600_NS5tupleIblNS6_9null_typeES8_S8_S8_S8_S8_S8_S8_EEEEZNS1_11reduce_implILb1ES3_NS6_12zip_iteratorINS7_INS6_11hip_rocprim26transform_input_iterator_tIbNSD_35transform_pair_of_input_iterators_tIbNS6_6detail15normal_iteratorINS6_10device_ptrIKbEEEESL_NS6_8equal_toIbEEEENSG_9not_fun_tINSD_8identityEEEEENSD_19counting_iterator_tIlEES8_S8_S8_S8_S8_S8_S8_S8_EEEEPS9_S9_NSD_9__find_if7functorIS9_EEEE10hipError_tPvRmT1_T2_T3_mT4_P12ihipStream_tbEUlT_E0_NS1_11comp_targetILNS1_3genE8ELNS1_11target_archE1030ELNS1_3gpuE2ELNS1_3repE0EEENS1_30default_config_static_selectorELNS0_4arch9wavefront6targetE0EEEvS14_
                                        ; -- End function
	.set _ZN7rocprim17ROCPRIM_400000_NS6detail17trampoline_kernelINS0_14default_configENS1_22reduce_config_selectorIN6thrust23THRUST_200600_302600_NS5tupleIblNS6_9null_typeES8_S8_S8_S8_S8_S8_S8_EEEEZNS1_11reduce_implILb1ES3_NS6_12zip_iteratorINS7_INS6_11hip_rocprim26transform_input_iterator_tIbNSD_35transform_pair_of_input_iterators_tIbNS6_6detail15normal_iteratorINS6_10device_ptrIKbEEEESL_NS6_8equal_toIbEEEENSG_9not_fun_tINSD_8identityEEEEENSD_19counting_iterator_tIlEES8_S8_S8_S8_S8_S8_S8_S8_EEEEPS9_S9_NSD_9__find_if7functorIS9_EEEE10hipError_tPvRmT1_T2_T3_mT4_P12ihipStream_tbEUlT_E0_NS1_11comp_targetILNS1_3genE8ELNS1_11target_archE1030ELNS1_3gpuE2ELNS1_3repE0EEENS1_30default_config_static_selectorELNS0_4arch9wavefront6targetE0EEEvS14_.num_vgpr, 12
	.set _ZN7rocprim17ROCPRIM_400000_NS6detail17trampoline_kernelINS0_14default_configENS1_22reduce_config_selectorIN6thrust23THRUST_200600_302600_NS5tupleIblNS6_9null_typeES8_S8_S8_S8_S8_S8_S8_EEEEZNS1_11reduce_implILb1ES3_NS6_12zip_iteratorINS7_INS6_11hip_rocprim26transform_input_iterator_tIbNSD_35transform_pair_of_input_iterators_tIbNS6_6detail15normal_iteratorINS6_10device_ptrIKbEEEESL_NS6_8equal_toIbEEEENSG_9not_fun_tINSD_8identityEEEEENSD_19counting_iterator_tIlEES8_S8_S8_S8_S8_S8_S8_S8_EEEEPS9_S9_NSD_9__find_if7functorIS9_EEEE10hipError_tPvRmT1_T2_T3_mT4_P12ihipStream_tbEUlT_E0_NS1_11comp_targetILNS1_3genE8ELNS1_11target_archE1030ELNS1_3gpuE2ELNS1_3repE0EEENS1_30default_config_static_selectorELNS0_4arch9wavefront6targetE0EEEvS14_.num_agpr, 0
	.set _ZN7rocprim17ROCPRIM_400000_NS6detail17trampoline_kernelINS0_14default_configENS1_22reduce_config_selectorIN6thrust23THRUST_200600_302600_NS5tupleIblNS6_9null_typeES8_S8_S8_S8_S8_S8_S8_EEEEZNS1_11reduce_implILb1ES3_NS6_12zip_iteratorINS7_INS6_11hip_rocprim26transform_input_iterator_tIbNSD_35transform_pair_of_input_iterators_tIbNS6_6detail15normal_iteratorINS6_10device_ptrIKbEEEESL_NS6_8equal_toIbEEEENSG_9not_fun_tINSD_8identityEEEEENSD_19counting_iterator_tIlEES8_S8_S8_S8_S8_S8_S8_S8_EEEEPS9_S9_NSD_9__find_if7functorIS9_EEEE10hipError_tPvRmT1_T2_T3_mT4_P12ihipStream_tbEUlT_E0_NS1_11comp_targetILNS1_3genE8ELNS1_11target_archE1030ELNS1_3gpuE2ELNS1_3repE0EEENS1_30default_config_static_selectorELNS0_4arch9wavefront6targetE0EEEvS14_.numbered_sgpr, 25
	.set _ZN7rocprim17ROCPRIM_400000_NS6detail17trampoline_kernelINS0_14default_configENS1_22reduce_config_selectorIN6thrust23THRUST_200600_302600_NS5tupleIblNS6_9null_typeES8_S8_S8_S8_S8_S8_S8_EEEEZNS1_11reduce_implILb1ES3_NS6_12zip_iteratorINS7_INS6_11hip_rocprim26transform_input_iterator_tIbNSD_35transform_pair_of_input_iterators_tIbNS6_6detail15normal_iteratorINS6_10device_ptrIKbEEEESL_NS6_8equal_toIbEEEENSG_9not_fun_tINSD_8identityEEEEENSD_19counting_iterator_tIlEES8_S8_S8_S8_S8_S8_S8_S8_EEEEPS9_S9_NSD_9__find_if7functorIS9_EEEE10hipError_tPvRmT1_T2_T3_mT4_P12ihipStream_tbEUlT_E0_NS1_11comp_targetILNS1_3genE8ELNS1_11target_archE1030ELNS1_3gpuE2ELNS1_3repE0EEENS1_30default_config_static_selectorELNS0_4arch9wavefront6targetE0EEEvS14_.num_named_barrier, 0
	.set _ZN7rocprim17ROCPRIM_400000_NS6detail17trampoline_kernelINS0_14default_configENS1_22reduce_config_selectorIN6thrust23THRUST_200600_302600_NS5tupleIblNS6_9null_typeES8_S8_S8_S8_S8_S8_S8_EEEEZNS1_11reduce_implILb1ES3_NS6_12zip_iteratorINS7_INS6_11hip_rocprim26transform_input_iterator_tIbNSD_35transform_pair_of_input_iterators_tIbNS6_6detail15normal_iteratorINS6_10device_ptrIKbEEEESL_NS6_8equal_toIbEEEENSG_9not_fun_tINSD_8identityEEEEENSD_19counting_iterator_tIlEES8_S8_S8_S8_S8_S8_S8_S8_EEEEPS9_S9_NSD_9__find_if7functorIS9_EEEE10hipError_tPvRmT1_T2_T3_mT4_P12ihipStream_tbEUlT_E0_NS1_11comp_targetILNS1_3genE8ELNS1_11target_archE1030ELNS1_3gpuE2ELNS1_3repE0EEENS1_30default_config_static_selectorELNS0_4arch9wavefront6targetE0EEEvS14_.private_seg_size, 0
	.set _ZN7rocprim17ROCPRIM_400000_NS6detail17trampoline_kernelINS0_14default_configENS1_22reduce_config_selectorIN6thrust23THRUST_200600_302600_NS5tupleIblNS6_9null_typeES8_S8_S8_S8_S8_S8_S8_EEEEZNS1_11reduce_implILb1ES3_NS6_12zip_iteratorINS7_INS6_11hip_rocprim26transform_input_iterator_tIbNSD_35transform_pair_of_input_iterators_tIbNS6_6detail15normal_iteratorINS6_10device_ptrIKbEEEESL_NS6_8equal_toIbEEEENSG_9not_fun_tINSD_8identityEEEEENSD_19counting_iterator_tIlEES8_S8_S8_S8_S8_S8_S8_S8_EEEEPS9_S9_NSD_9__find_if7functorIS9_EEEE10hipError_tPvRmT1_T2_T3_mT4_P12ihipStream_tbEUlT_E0_NS1_11comp_targetILNS1_3genE8ELNS1_11target_archE1030ELNS1_3gpuE2ELNS1_3repE0EEENS1_30default_config_static_selectorELNS0_4arch9wavefront6targetE0EEEvS14_.uses_vcc, 1
	.set _ZN7rocprim17ROCPRIM_400000_NS6detail17trampoline_kernelINS0_14default_configENS1_22reduce_config_selectorIN6thrust23THRUST_200600_302600_NS5tupleIblNS6_9null_typeES8_S8_S8_S8_S8_S8_S8_EEEEZNS1_11reduce_implILb1ES3_NS6_12zip_iteratorINS7_INS6_11hip_rocprim26transform_input_iterator_tIbNSD_35transform_pair_of_input_iterators_tIbNS6_6detail15normal_iteratorINS6_10device_ptrIKbEEEESL_NS6_8equal_toIbEEEENSG_9not_fun_tINSD_8identityEEEEENSD_19counting_iterator_tIlEES8_S8_S8_S8_S8_S8_S8_S8_EEEEPS9_S9_NSD_9__find_if7functorIS9_EEEE10hipError_tPvRmT1_T2_T3_mT4_P12ihipStream_tbEUlT_E0_NS1_11comp_targetILNS1_3genE8ELNS1_11target_archE1030ELNS1_3gpuE2ELNS1_3repE0EEENS1_30default_config_static_selectorELNS0_4arch9wavefront6targetE0EEEvS14_.uses_flat_scratch, 0
	.set _ZN7rocprim17ROCPRIM_400000_NS6detail17trampoline_kernelINS0_14default_configENS1_22reduce_config_selectorIN6thrust23THRUST_200600_302600_NS5tupleIblNS6_9null_typeES8_S8_S8_S8_S8_S8_S8_EEEEZNS1_11reduce_implILb1ES3_NS6_12zip_iteratorINS7_INS6_11hip_rocprim26transform_input_iterator_tIbNSD_35transform_pair_of_input_iterators_tIbNS6_6detail15normal_iteratorINS6_10device_ptrIKbEEEESL_NS6_8equal_toIbEEEENSG_9not_fun_tINSD_8identityEEEEENSD_19counting_iterator_tIlEES8_S8_S8_S8_S8_S8_S8_S8_EEEEPS9_S9_NSD_9__find_if7functorIS9_EEEE10hipError_tPvRmT1_T2_T3_mT4_P12ihipStream_tbEUlT_E0_NS1_11comp_targetILNS1_3genE8ELNS1_11target_archE1030ELNS1_3gpuE2ELNS1_3repE0EEENS1_30default_config_static_selectorELNS0_4arch9wavefront6targetE0EEEvS14_.has_dyn_sized_stack, 0
	.set _ZN7rocprim17ROCPRIM_400000_NS6detail17trampoline_kernelINS0_14default_configENS1_22reduce_config_selectorIN6thrust23THRUST_200600_302600_NS5tupleIblNS6_9null_typeES8_S8_S8_S8_S8_S8_S8_EEEEZNS1_11reduce_implILb1ES3_NS6_12zip_iteratorINS7_INS6_11hip_rocprim26transform_input_iterator_tIbNSD_35transform_pair_of_input_iterators_tIbNS6_6detail15normal_iteratorINS6_10device_ptrIKbEEEESL_NS6_8equal_toIbEEEENSG_9not_fun_tINSD_8identityEEEEENSD_19counting_iterator_tIlEES8_S8_S8_S8_S8_S8_S8_S8_EEEEPS9_S9_NSD_9__find_if7functorIS9_EEEE10hipError_tPvRmT1_T2_T3_mT4_P12ihipStream_tbEUlT_E0_NS1_11comp_targetILNS1_3genE8ELNS1_11target_archE1030ELNS1_3gpuE2ELNS1_3repE0EEENS1_30default_config_static_selectorELNS0_4arch9wavefront6targetE0EEEvS14_.has_recursion, 0
	.set _ZN7rocprim17ROCPRIM_400000_NS6detail17trampoline_kernelINS0_14default_configENS1_22reduce_config_selectorIN6thrust23THRUST_200600_302600_NS5tupleIblNS6_9null_typeES8_S8_S8_S8_S8_S8_S8_EEEEZNS1_11reduce_implILb1ES3_NS6_12zip_iteratorINS7_INS6_11hip_rocprim26transform_input_iterator_tIbNSD_35transform_pair_of_input_iterators_tIbNS6_6detail15normal_iteratorINS6_10device_ptrIKbEEEESL_NS6_8equal_toIbEEEENSG_9not_fun_tINSD_8identityEEEEENSD_19counting_iterator_tIlEES8_S8_S8_S8_S8_S8_S8_S8_EEEEPS9_S9_NSD_9__find_if7functorIS9_EEEE10hipError_tPvRmT1_T2_T3_mT4_P12ihipStream_tbEUlT_E0_NS1_11comp_targetILNS1_3genE8ELNS1_11target_archE1030ELNS1_3gpuE2ELNS1_3repE0EEENS1_30default_config_static_selectorELNS0_4arch9wavefront6targetE0EEEvS14_.has_indirect_call, 0
	.section	.AMDGPU.csdata,"",@progbits
; Kernel info:
; codeLenInByte = 3168
; TotalNumSgprs: 27
; NumVgprs: 12
; ScratchSize: 0
; MemoryBound: 0
; FloatMode: 240
; IeeeMode: 1
; LDSByteSize: 256 bytes/workgroup (compile time only)
; SGPRBlocks: 0
; VGPRBlocks: 1
; NumSGPRsForWavesPerEU: 27
; NumVGPRsForWavesPerEU: 12
; Occupancy: 16
; WaveLimiterHint : 0
; COMPUTE_PGM_RSRC2:SCRATCH_EN: 0
; COMPUTE_PGM_RSRC2:USER_SGPR: 6
; COMPUTE_PGM_RSRC2:TRAP_HANDLER: 0
; COMPUTE_PGM_RSRC2:TGID_X_EN: 1
; COMPUTE_PGM_RSRC2:TGID_Y_EN: 0
; COMPUTE_PGM_RSRC2:TGID_Z_EN: 0
; COMPUTE_PGM_RSRC2:TIDIG_COMP_CNT: 0
	.section	.text._ZN7rocprim17ROCPRIM_400000_NS6detail17trampoline_kernelINS0_14default_configENS1_22reduce_config_selectorIN6thrust23THRUST_200600_302600_NS5tupleIblNS6_9null_typeES8_S8_S8_S8_S8_S8_S8_EEEEZNS1_11reduce_implILb1ES3_NS6_12zip_iteratorINS7_INS6_11hip_rocprim26transform_input_iterator_tIbNSD_35transform_pair_of_input_iterators_tIbNS6_6detail15normal_iteratorINS6_10device_ptrIKbEEEESL_NS6_8equal_toIbEEEENSG_9not_fun_tINSD_8identityEEEEENSD_19counting_iterator_tIlEES8_S8_S8_S8_S8_S8_S8_S8_EEEEPS9_S9_NSD_9__find_if7functorIS9_EEEE10hipError_tPvRmT1_T2_T3_mT4_P12ihipStream_tbEUlT_E1_NS1_11comp_targetILNS1_3genE0ELNS1_11target_archE4294967295ELNS1_3gpuE0ELNS1_3repE0EEENS1_30default_config_static_selectorELNS0_4arch9wavefront6targetE0EEEvS14_,"axG",@progbits,_ZN7rocprim17ROCPRIM_400000_NS6detail17trampoline_kernelINS0_14default_configENS1_22reduce_config_selectorIN6thrust23THRUST_200600_302600_NS5tupleIblNS6_9null_typeES8_S8_S8_S8_S8_S8_S8_EEEEZNS1_11reduce_implILb1ES3_NS6_12zip_iteratorINS7_INS6_11hip_rocprim26transform_input_iterator_tIbNSD_35transform_pair_of_input_iterators_tIbNS6_6detail15normal_iteratorINS6_10device_ptrIKbEEEESL_NS6_8equal_toIbEEEENSG_9not_fun_tINSD_8identityEEEEENSD_19counting_iterator_tIlEES8_S8_S8_S8_S8_S8_S8_S8_EEEEPS9_S9_NSD_9__find_if7functorIS9_EEEE10hipError_tPvRmT1_T2_T3_mT4_P12ihipStream_tbEUlT_E1_NS1_11comp_targetILNS1_3genE0ELNS1_11target_archE4294967295ELNS1_3gpuE0ELNS1_3repE0EEENS1_30default_config_static_selectorELNS0_4arch9wavefront6targetE0EEEvS14_,comdat
	.protected	_ZN7rocprim17ROCPRIM_400000_NS6detail17trampoline_kernelINS0_14default_configENS1_22reduce_config_selectorIN6thrust23THRUST_200600_302600_NS5tupleIblNS6_9null_typeES8_S8_S8_S8_S8_S8_S8_EEEEZNS1_11reduce_implILb1ES3_NS6_12zip_iteratorINS7_INS6_11hip_rocprim26transform_input_iterator_tIbNSD_35transform_pair_of_input_iterators_tIbNS6_6detail15normal_iteratorINS6_10device_ptrIKbEEEESL_NS6_8equal_toIbEEEENSG_9not_fun_tINSD_8identityEEEEENSD_19counting_iterator_tIlEES8_S8_S8_S8_S8_S8_S8_S8_EEEEPS9_S9_NSD_9__find_if7functorIS9_EEEE10hipError_tPvRmT1_T2_T3_mT4_P12ihipStream_tbEUlT_E1_NS1_11comp_targetILNS1_3genE0ELNS1_11target_archE4294967295ELNS1_3gpuE0ELNS1_3repE0EEENS1_30default_config_static_selectorELNS0_4arch9wavefront6targetE0EEEvS14_ ; -- Begin function _ZN7rocprim17ROCPRIM_400000_NS6detail17trampoline_kernelINS0_14default_configENS1_22reduce_config_selectorIN6thrust23THRUST_200600_302600_NS5tupleIblNS6_9null_typeES8_S8_S8_S8_S8_S8_S8_EEEEZNS1_11reduce_implILb1ES3_NS6_12zip_iteratorINS7_INS6_11hip_rocprim26transform_input_iterator_tIbNSD_35transform_pair_of_input_iterators_tIbNS6_6detail15normal_iteratorINS6_10device_ptrIKbEEEESL_NS6_8equal_toIbEEEENSG_9not_fun_tINSD_8identityEEEEENSD_19counting_iterator_tIlEES8_S8_S8_S8_S8_S8_S8_S8_EEEEPS9_S9_NSD_9__find_if7functorIS9_EEEE10hipError_tPvRmT1_T2_T3_mT4_P12ihipStream_tbEUlT_E1_NS1_11comp_targetILNS1_3genE0ELNS1_11target_archE4294967295ELNS1_3gpuE0ELNS1_3repE0EEENS1_30default_config_static_selectorELNS0_4arch9wavefront6targetE0EEEvS14_
	.globl	_ZN7rocprim17ROCPRIM_400000_NS6detail17trampoline_kernelINS0_14default_configENS1_22reduce_config_selectorIN6thrust23THRUST_200600_302600_NS5tupleIblNS6_9null_typeES8_S8_S8_S8_S8_S8_S8_EEEEZNS1_11reduce_implILb1ES3_NS6_12zip_iteratorINS7_INS6_11hip_rocprim26transform_input_iterator_tIbNSD_35transform_pair_of_input_iterators_tIbNS6_6detail15normal_iteratorINS6_10device_ptrIKbEEEESL_NS6_8equal_toIbEEEENSG_9not_fun_tINSD_8identityEEEEENSD_19counting_iterator_tIlEES8_S8_S8_S8_S8_S8_S8_S8_EEEEPS9_S9_NSD_9__find_if7functorIS9_EEEE10hipError_tPvRmT1_T2_T3_mT4_P12ihipStream_tbEUlT_E1_NS1_11comp_targetILNS1_3genE0ELNS1_11target_archE4294967295ELNS1_3gpuE0ELNS1_3repE0EEENS1_30default_config_static_selectorELNS0_4arch9wavefront6targetE0EEEvS14_
	.p2align	8
	.type	_ZN7rocprim17ROCPRIM_400000_NS6detail17trampoline_kernelINS0_14default_configENS1_22reduce_config_selectorIN6thrust23THRUST_200600_302600_NS5tupleIblNS6_9null_typeES8_S8_S8_S8_S8_S8_S8_EEEEZNS1_11reduce_implILb1ES3_NS6_12zip_iteratorINS7_INS6_11hip_rocprim26transform_input_iterator_tIbNSD_35transform_pair_of_input_iterators_tIbNS6_6detail15normal_iteratorINS6_10device_ptrIKbEEEESL_NS6_8equal_toIbEEEENSG_9not_fun_tINSD_8identityEEEEENSD_19counting_iterator_tIlEES8_S8_S8_S8_S8_S8_S8_S8_EEEEPS9_S9_NSD_9__find_if7functorIS9_EEEE10hipError_tPvRmT1_T2_T3_mT4_P12ihipStream_tbEUlT_E1_NS1_11comp_targetILNS1_3genE0ELNS1_11target_archE4294967295ELNS1_3gpuE0ELNS1_3repE0EEENS1_30default_config_static_selectorELNS0_4arch9wavefront6targetE0EEEvS14_,@function
_ZN7rocprim17ROCPRIM_400000_NS6detail17trampoline_kernelINS0_14default_configENS1_22reduce_config_selectorIN6thrust23THRUST_200600_302600_NS5tupleIblNS6_9null_typeES8_S8_S8_S8_S8_S8_S8_EEEEZNS1_11reduce_implILb1ES3_NS6_12zip_iteratorINS7_INS6_11hip_rocprim26transform_input_iterator_tIbNSD_35transform_pair_of_input_iterators_tIbNS6_6detail15normal_iteratorINS6_10device_ptrIKbEEEESL_NS6_8equal_toIbEEEENSG_9not_fun_tINSD_8identityEEEEENSD_19counting_iterator_tIlEES8_S8_S8_S8_S8_S8_S8_S8_EEEEPS9_S9_NSD_9__find_if7functorIS9_EEEE10hipError_tPvRmT1_T2_T3_mT4_P12ihipStream_tbEUlT_E1_NS1_11comp_targetILNS1_3genE0ELNS1_11target_archE4294967295ELNS1_3gpuE0ELNS1_3repE0EEENS1_30default_config_static_selectorELNS0_4arch9wavefront6targetE0EEEvS14_: ; @_ZN7rocprim17ROCPRIM_400000_NS6detail17trampoline_kernelINS0_14default_configENS1_22reduce_config_selectorIN6thrust23THRUST_200600_302600_NS5tupleIblNS6_9null_typeES8_S8_S8_S8_S8_S8_S8_EEEEZNS1_11reduce_implILb1ES3_NS6_12zip_iteratorINS7_INS6_11hip_rocprim26transform_input_iterator_tIbNSD_35transform_pair_of_input_iterators_tIbNS6_6detail15normal_iteratorINS6_10device_ptrIKbEEEESL_NS6_8equal_toIbEEEENSG_9not_fun_tINSD_8identityEEEEENSD_19counting_iterator_tIlEES8_S8_S8_S8_S8_S8_S8_S8_EEEEPS9_S9_NSD_9__find_if7functorIS9_EEEE10hipError_tPvRmT1_T2_T3_mT4_P12ihipStream_tbEUlT_E1_NS1_11comp_targetILNS1_3genE0ELNS1_11target_archE4294967295ELNS1_3gpuE0ELNS1_3repE0EEENS1_30default_config_static_selectorELNS0_4arch9wavefront6targetE0EEEvS14_
; %bb.0:
	.section	.rodata,"a",@progbits
	.p2align	6, 0x0
	.amdhsa_kernel _ZN7rocprim17ROCPRIM_400000_NS6detail17trampoline_kernelINS0_14default_configENS1_22reduce_config_selectorIN6thrust23THRUST_200600_302600_NS5tupleIblNS6_9null_typeES8_S8_S8_S8_S8_S8_S8_EEEEZNS1_11reduce_implILb1ES3_NS6_12zip_iteratorINS7_INS6_11hip_rocprim26transform_input_iterator_tIbNSD_35transform_pair_of_input_iterators_tIbNS6_6detail15normal_iteratorINS6_10device_ptrIKbEEEESL_NS6_8equal_toIbEEEENSG_9not_fun_tINSD_8identityEEEEENSD_19counting_iterator_tIlEES8_S8_S8_S8_S8_S8_S8_S8_EEEEPS9_S9_NSD_9__find_if7functorIS9_EEEE10hipError_tPvRmT1_T2_T3_mT4_P12ihipStream_tbEUlT_E1_NS1_11comp_targetILNS1_3genE0ELNS1_11target_archE4294967295ELNS1_3gpuE0ELNS1_3repE0EEENS1_30default_config_static_selectorELNS0_4arch9wavefront6targetE0EEEvS14_
		.amdhsa_group_segment_fixed_size 0
		.amdhsa_private_segment_fixed_size 0
		.amdhsa_kernarg_size 88
		.amdhsa_user_sgpr_count 6
		.amdhsa_user_sgpr_private_segment_buffer 1
		.amdhsa_user_sgpr_dispatch_ptr 0
		.amdhsa_user_sgpr_queue_ptr 0
		.amdhsa_user_sgpr_kernarg_segment_ptr 1
		.amdhsa_user_sgpr_dispatch_id 0
		.amdhsa_user_sgpr_flat_scratch_init 0
		.amdhsa_user_sgpr_private_segment_size 0
		.amdhsa_wavefront_size32 1
		.amdhsa_uses_dynamic_stack 0
		.amdhsa_system_sgpr_private_segment_wavefront_offset 0
		.amdhsa_system_sgpr_workgroup_id_x 1
		.amdhsa_system_sgpr_workgroup_id_y 0
		.amdhsa_system_sgpr_workgroup_id_z 0
		.amdhsa_system_sgpr_workgroup_info 0
		.amdhsa_system_vgpr_workitem_id 0
		.amdhsa_next_free_vgpr 1
		.amdhsa_next_free_sgpr 1
		.amdhsa_reserve_vcc 0
		.amdhsa_reserve_flat_scratch 0
		.amdhsa_float_round_mode_32 0
		.amdhsa_float_round_mode_16_64 0
		.amdhsa_float_denorm_mode_32 3
		.amdhsa_float_denorm_mode_16_64 3
		.amdhsa_dx10_clamp 1
		.amdhsa_ieee_mode 1
		.amdhsa_fp16_overflow 0
		.amdhsa_workgroup_processor_mode 1
		.amdhsa_memory_ordered 1
		.amdhsa_forward_progress 1
		.amdhsa_shared_vgpr_count 0
		.amdhsa_exception_fp_ieee_invalid_op 0
		.amdhsa_exception_fp_denorm_src 0
		.amdhsa_exception_fp_ieee_div_zero 0
		.amdhsa_exception_fp_ieee_overflow 0
		.amdhsa_exception_fp_ieee_underflow 0
		.amdhsa_exception_fp_ieee_inexact 0
		.amdhsa_exception_int_div_zero 0
	.end_amdhsa_kernel
	.section	.text._ZN7rocprim17ROCPRIM_400000_NS6detail17trampoline_kernelINS0_14default_configENS1_22reduce_config_selectorIN6thrust23THRUST_200600_302600_NS5tupleIblNS6_9null_typeES8_S8_S8_S8_S8_S8_S8_EEEEZNS1_11reduce_implILb1ES3_NS6_12zip_iteratorINS7_INS6_11hip_rocprim26transform_input_iterator_tIbNSD_35transform_pair_of_input_iterators_tIbNS6_6detail15normal_iteratorINS6_10device_ptrIKbEEEESL_NS6_8equal_toIbEEEENSG_9not_fun_tINSD_8identityEEEEENSD_19counting_iterator_tIlEES8_S8_S8_S8_S8_S8_S8_S8_EEEEPS9_S9_NSD_9__find_if7functorIS9_EEEE10hipError_tPvRmT1_T2_T3_mT4_P12ihipStream_tbEUlT_E1_NS1_11comp_targetILNS1_3genE0ELNS1_11target_archE4294967295ELNS1_3gpuE0ELNS1_3repE0EEENS1_30default_config_static_selectorELNS0_4arch9wavefront6targetE0EEEvS14_,"axG",@progbits,_ZN7rocprim17ROCPRIM_400000_NS6detail17trampoline_kernelINS0_14default_configENS1_22reduce_config_selectorIN6thrust23THRUST_200600_302600_NS5tupleIblNS6_9null_typeES8_S8_S8_S8_S8_S8_S8_EEEEZNS1_11reduce_implILb1ES3_NS6_12zip_iteratorINS7_INS6_11hip_rocprim26transform_input_iterator_tIbNSD_35transform_pair_of_input_iterators_tIbNS6_6detail15normal_iteratorINS6_10device_ptrIKbEEEESL_NS6_8equal_toIbEEEENSG_9not_fun_tINSD_8identityEEEEENSD_19counting_iterator_tIlEES8_S8_S8_S8_S8_S8_S8_S8_EEEEPS9_S9_NSD_9__find_if7functorIS9_EEEE10hipError_tPvRmT1_T2_T3_mT4_P12ihipStream_tbEUlT_E1_NS1_11comp_targetILNS1_3genE0ELNS1_11target_archE4294967295ELNS1_3gpuE0ELNS1_3repE0EEENS1_30default_config_static_selectorELNS0_4arch9wavefront6targetE0EEEvS14_,comdat
.Lfunc_end752:
	.size	_ZN7rocprim17ROCPRIM_400000_NS6detail17trampoline_kernelINS0_14default_configENS1_22reduce_config_selectorIN6thrust23THRUST_200600_302600_NS5tupleIblNS6_9null_typeES8_S8_S8_S8_S8_S8_S8_EEEEZNS1_11reduce_implILb1ES3_NS6_12zip_iteratorINS7_INS6_11hip_rocprim26transform_input_iterator_tIbNSD_35transform_pair_of_input_iterators_tIbNS6_6detail15normal_iteratorINS6_10device_ptrIKbEEEESL_NS6_8equal_toIbEEEENSG_9not_fun_tINSD_8identityEEEEENSD_19counting_iterator_tIlEES8_S8_S8_S8_S8_S8_S8_S8_EEEEPS9_S9_NSD_9__find_if7functorIS9_EEEE10hipError_tPvRmT1_T2_T3_mT4_P12ihipStream_tbEUlT_E1_NS1_11comp_targetILNS1_3genE0ELNS1_11target_archE4294967295ELNS1_3gpuE0ELNS1_3repE0EEENS1_30default_config_static_selectorELNS0_4arch9wavefront6targetE0EEEvS14_, .Lfunc_end752-_ZN7rocprim17ROCPRIM_400000_NS6detail17trampoline_kernelINS0_14default_configENS1_22reduce_config_selectorIN6thrust23THRUST_200600_302600_NS5tupleIblNS6_9null_typeES8_S8_S8_S8_S8_S8_S8_EEEEZNS1_11reduce_implILb1ES3_NS6_12zip_iteratorINS7_INS6_11hip_rocprim26transform_input_iterator_tIbNSD_35transform_pair_of_input_iterators_tIbNS6_6detail15normal_iteratorINS6_10device_ptrIKbEEEESL_NS6_8equal_toIbEEEENSG_9not_fun_tINSD_8identityEEEEENSD_19counting_iterator_tIlEES8_S8_S8_S8_S8_S8_S8_S8_EEEEPS9_S9_NSD_9__find_if7functorIS9_EEEE10hipError_tPvRmT1_T2_T3_mT4_P12ihipStream_tbEUlT_E1_NS1_11comp_targetILNS1_3genE0ELNS1_11target_archE4294967295ELNS1_3gpuE0ELNS1_3repE0EEENS1_30default_config_static_selectorELNS0_4arch9wavefront6targetE0EEEvS14_
                                        ; -- End function
	.set _ZN7rocprim17ROCPRIM_400000_NS6detail17trampoline_kernelINS0_14default_configENS1_22reduce_config_selectorIN6thrust23THRUST_200600_302600_NS5tupleIblNS6_9null_typeES8_S8_S8_S8_S8_S8_S8_EEEEZNS1_11reduce_implILb1ES3_NS6_12zip_iteratorINS7_INS6_11hip_rocprim26transform_input_iterator_tIbNSD_35transform_pair_of_input_iterators_tIbNS6_6detail15normal_iteratorINS6_10device_ptrIKbEEEESL_NS6_8equal_toIbEEEENSG_9not_fun_tINSD_8identityEEEEENSD_19counting_iterator_tIlEES8_S8_S8_S8_S8_S8_S8_S8_EEEEPS9_S9_NSD_9__find_if7functorIS9_EEEE10hipError_tPvRmT1_T2_T3_mT4_P12ihipStream_tbEUlT_E1_NS1_11comp_targetILNS1_3genE0ELNS1_11target_archE4294967295ELNS1_3gpuE0ELNS1_3repE0EEENS1_30default_config_static_selectorELNS0_4arch9wavefront6targetE0EEEvS14_.num_vgpr, 0
	.set _ZN7rocprim17ROCPRIM_400000_NS6detail17trampoline_kernelINS0_14default_configENS1_22reduce_config_selectorIN6thrust23THRUST_200600_302600_NS5tupleIblNS6_9null_typeES8_S8_S8_S8_S8_S8_S8_EEEEZNS1_11reduce_implILb1ES3_NS6_12zip_iteratorINS7_INS6_11hip_rocprim26transform_input_iterator_tIbNSD_35transform_pair_of_input_iterators_tIbNS6_6detail15normal_iteratorINS6_10device_ptrIKbEEEESL_NS6_8equal_toIbEEEENSG_9not_fun_tINSD_8identityEEEEENSD_19counting_iterator_tIlEES8_S8_S8_S8_S8_S8_S8_S8_EEEEPS9_S9_NSD_9__find_if7functorIS9_EEEE10hipError_tPvRmT1_T2_T3_mT4_P12ihipStream_tbEUlT_E1_NS1_11comp_targetILNS1_3genE0ELNS1_11target_archE4294967295ELNS1_3gpuE0ELNS1_3repE0EEENS1_30default_config_static_selectorELNS0_4arch9wavefront6targetE0EEEvS14_.num_agpr, 0
	.set _ZN7rocprim17ROCPRIM_400000_NS6detail17trampoline_kernelINS0_14default_configENS1_22reduce_config_selectorIN6thrust23THRUST_200600_302600_NS5tupleIblNS6_9null_typeES8_S8_S8_S8_S8_S8_S8_EEEEZNS1_11reduce_implILb1ES3_NS6_12zip_iteratorINS7_INS6_11hip_rocprim26transform_input_iterator_tIbNSD_35transform_pair_of_input_iterators_tIbNS6_6detail15normal_iteratorINS6_10device_ptrIKbEEEESL_NS6_8equal_toIbEEEENSG_9not_fun_tINSD_8identityEEEEENSD_19counting_iterator_tIlEES8_S8_S8_S8_S8_S8_S8_S8_EEEEPS9_S9_NSD_9__find_if7functorIS9_EEEE10hipError_tPvRmT1_T2_T3_mT4_P12ihipStream_tbEUlT_E1_NS1_11comp_targetILNS1_3genE0ELNS1_11target_archE4294967295ELNS1_3gpuE0ELNS1_3repE0EEENS1_30default_config_static_selectorELNS0_4arch9wavefront6targetE0EEEvS14_.numbered_sgpr, 0
	.set _ZN7rocprim17ROCPRIM_400000_NS6detail17trampoline_kernelINS0_14default_configENS1_22reduce_config_selectorIN6thrust23THRUST_200600_302600_NS5tupleIblNS6_9null_typeES8_S8_S8_S8_S8_S8_S8_EEEEZNS1_11reduce_implILb1ES3_NS6_12zip_iteratorINS7_INS6_11hip_rocprim26transform_input_iterator_tIbNSD_35transform_pair_of_input_iterators_tIbNS6_6detail15normal_iteratorINS6_10device_ptrIKbEEEESL_NS6_8equal_toIbEEEENSG_9not_fun_tINSD_8identityEEEEENSD_19counting_iterator_tIlEES8_S8_S8_S8_S8_S8_S8_S8_EEEEPS9_S9_NSD_9__find_if7functorIS9_EEEE10hipError_tPvRmT1_T2_T3_mT4_P12ihipStream_tbEUlT_E1_NS1_11comp_targetILNS1_3genE0ELNS1_11target_archE4294967295ELNS1_3gpuE0ELNS1_3repE0EEENS1_30default_config_static_selectorELNS0_4arch9wavefront6targetE0EEEvS14_.num_named_barrier, 0
	.set _ZN7rocprim17ROCPRIM_400000_NS6detail17trampoline_kernelINS0_14default_configENS1_22reduce_config_selectorIN6thrust23THRUST_200600_302600_NS5tupleIblNS6_9null_typeES8_S8_S8_S8_S8_S8_S8_EEEEZNS1_11reduce_implILb1ES3_NS6_12zip_iteratorINS7_INS6_11hip_rocprim26transform_input_iterator_tIbNSD_35transform_pair_of_input_iterators_tIbNS6_6detail15normal_iteratorINS6_10device_ptrIKbEEEESL_NS6_8equal_toIbEEEENSG_9not_fun_tINSD_8identityEEEEENSD_19counting_iterator_tIlEES8_S8_S8_S8_S8_S8_S8_S8_EEEEPS9_S9_NSD_9__find_if7functorIS9_EEEE10hipError_tPvRmT1_T2_T3_mT4_P12ihipStream_tbEUlT_E1_NS1_11comp_targetILNS1_3genE0ELNS1_11target_archE4294967295ELNS1_3gpuE0ELNS1_3repE0EEENS1_30default_config_static_selectorELNS0_4arch9wavefront6targetE0EEEvS14_.private_seg_size, 0
	.set _ZN7rocprim17ROCPRIM_400000_NS6detail17trampoline_kernelINS0_14default_configENS1_22reduce_config_selectorIN6thrust23THRUST_200600_302600_NS5tupleIblNS6_9null_typeES8_S8_S8_S8_S8_S8_S8_EEEEZNS1_11reduce_implILb1ES3_NS6_12zip_iteratorINS7_INS6_11hip_rocprim26transform_input_iterator_tIbNSD_35transform_pair_of_input_iterators_tIbNS6_6detail15normal_iteratorINS6_10device_ptrIKbEEEESL_NS6_8equal_toIbEEEENSG_9not_fun_tINSD_8identityEEEEENSD_19counting_iterator_tIlEES8_S8_S8_S8_S8_S8_S8_S8_EEEEPS9_S9_NSD_9__find_if7functorIS9_EEEE10hipError_tPvRmT1_T2_T3_mT4_P12ihipStream_tbEUlT_E1_NS1_11comp_targetILNS1_3genE0ELNS1_11target_archE4294967295ELNS1_3gpuE0ELNS1_3repE0EEENS1_30default_config_static_selectorELNS0_4arch9wavefront6targetE0EEEvS14_.uses_vcc, 0
	.set _ZN7rocprim17ROCPRIM_400000_NS6detail17trampoline_kernelINS0_14default_configENS1_22reduce_config_selectorIN6thrust23THRUST_200600_302600_NS5tupleIblNS6_9null_typeES8_S8_S8_S8_S8_S8_S8_EEEEZNS1_11reduce_implILb1ES3_NS6_12zip_iteratorINS7_INS6_11hip_rocprim26transform_input_iterator_tIbNSD_35transform_pair_of_input_iterators_tIbNS6_6detail15normal_iteratorINS6_10device_ptrIKbEEEESL_NS6_8equal_toIbEEEENSG_9not_fun_tINSD_8identityEEEEENSD_19counting_iterator_tIlEES8_S8_S8_S8_S8_S8_S8_S8_EEEEPS9_S9_NSD_9__find_if7functorIS9_EEEE10hipError_tPvRmT1_T2_T3_mT4_P12ihipStream_tbEUlT_E1_NS1_11comp_targetILNS1_3genE0ELNS1_11target_archE4294967295ELNS1_3gpuE0ELNS1_3repE0EEENS1_30default_config_static_selectorELNS0_4arch9wavefront6targetE0EEEvS14_.uses_flat_scratch, 0
	.set _ZN7rocprim17ROCPRIM_400000_NS6detail17trampoline_kernelINS0_14default_configENS1_22reduce_config_selectorIN6thrust23THRUST_200600_302600_NS5tupleIblNS6_9null_typeES8_S8_S8_S8_S8_S8_S8_EEEEZNS1_11reduce_implILb1ES3_NS6_12zip_iteratorINS7_INS6_11hip_rocprim26transform_input_iterator_tIbNSD_35transform_pair_of_input_iterators_tIbNS6_6detail15normal_iteratorINS6_10device_ptrIKbEEEESL_NS6_8equal_toIbEEEENSG_9not_fun_tINSD_8identityEEEEENSD_19counting_iterator_tIlEES8_S8_S8_S8_S8_S8_S8_S8_EEEEPS9_S9_NSD_9__find_if7functorIS9_EEEE10hipError_tPvRmT1_T2_T3_mT4_P12ihipStream_tbEUlT_E1_NS1_11comp_targetILNS1_3genE0ELNS1_11target_archE4294967295ELNS1_3gpuE0ELNS1_3repE0EEENS1_30default_config_static_selectorELNS0_4arch9wavefront6targetE0EEEvS14_.has_dyn_sized_stack, 0
	.set _ZN7rocprim17ROCPRIM_400000_NS6detail17trampoline_kernelINS0_14default_configENS1_22reduce_config_selectorIN6thrust23THRUST_200600_302600_NS5tupleIblNS6_9null_typeES8_S8_S8_S8_S8_S8_S8_EEEEZNS1_11reduce_implILb1ES3_NS6_12zip_iteratorINS7_INS6_11hip_rocprim26transform_input_iterator_tIbNSD_35transform_pair_of_input_iterators_tIbNS6_6detail15normal_iteratorINS6_10device_ptrIKbEEEESL_NS6_8equal_toIbEEEENSG_9not_fun_tINSD_8identityEEEEENSD_19counting_iterator_tIlEES8_S8_S8_S8_S8_S8_S8_S8_EEEEPS9_S9_NSD_9__find_if7functorIS9_EEEE10hipError_tPvRmT1_T2_T3_mT4_P12ihipStream_tbEUlT_E1_NS1_11comp_targetILNS1_3genE0ELNS1_11target_archE4294967295ELNS1_3gpuE0ELNS1_3repE0EEENS1_30default_config_static_selectorELNS0_4arch9wavefront6targetE0EEEvS14_.has_recursion, 0
	.set _ZN7rocprim17ROCPRIM_400000_NS6detail17trampoline_kernelINS0_14default_configENS1_22reduce_config_selectorIN6thrust23THRUST_200600_302600_NS5tupleIblNS6_9null_typeES8_S8_S8_S8_S8_S8_S8_EEEEZNS1_11reduce_implILb1ES3_NS6_12zip_iteratorINS7_INS6_11hip_rocprim26transform_input_iterator_tIbNSD_35transform_pair_of_input_iterators_tIbNS6_6detail15normal_iteratorINS6_10device_ptrIKbEEEESL_NS6_8equal_toIbEEEENSG_9not_fun_tINSD_8identityEEEEENSD_19counting_iterator_tIlEES8_S8_S8_S8_S8_S8_S8_S8_EEEEPS9_S9_NSD_9__find_if7functorIS9_EEEE10hipError_tPvRmT1_T2_T3_mT4_P12ihipStream_tbEUlT_E1_NS1_11comp_targetILNS1_3genE0ELNS1_11target_archE4294967295ELNS1_3gpuE0ELNS1_3repE0EEENS1_30default_config_static_selectorELNS0_4arch9wavefront6targetE0EEEvS14_.has_indirect_call, 0
	.section	.AMDGPU.csdata,"",@progbits
; Kernel info:
; codeLenInByte = 0
; TotalNumSgprs: 0
; NumVgprs: 0
; ScratchSize: 0
; MemoryBound: 0
; FloatMode: 240
; IeeeMode: 1
; LDSByteSize: 0 bytes/workgroup (compile time only)
; SGPRBlocks: 0
; VGPRBlocks: 0
; NumSGPRsForWavesPerEU: 1
; NumVGPRsForWavesPerEU: 1
; Occupancy: 16
; WaveLimiterHint : 0
; COMPUTE_PGM_RSRC2:SCRATCH_EN: 0
; COMPUTE_PGM_RSRC2:USER_SGPR: 6
; COMPUTE_PGM_RSRC2:TRAP_HANDLER: 0
; COMPUTE_PGM_RSRC2:TGID_X_EN: 1
; COMPUTE_PGM_RSRC2:TGID_Y_EN: 0
; COMPUTE_PGM_RSRC2:TGID_Z_EN: 0
; COMPUTE_PGM_RSRC2:TIDIG_COMP_CNT: 0
	.section	.text._ZN7rocprim17ROCPRIM_400000_NS6detail17trampoline_kernelINS0_14default_configENS1_22reduce_config_selectorIN6thrust23THRUST_200600_302600_NS5tupleIblNS6_9null_typeES8_S8_S8_S8_S8_S8_S8_EEEEZNS1_11reduce_implILb1ES3_NS6_12zip_iteratorINS7_INS6_11hip_rocprim26transform_input_iterator_tIbNSD_35transform_pair_of_input_iterators_tIbNS6_6detail15normal_iteratorINS6_10device_ptrIKbEEEESL_NS6_8equal_toIbEEEENSG_9not_fun_tINSD_8identityEEEEENSD_19counting_iterator_tIlEES8_S8_S8_S8_S8_S8_S8_S8_EEEEPS9_S9_NSD_9__find_if7functorIS9_EEEE10hipError_tPvRmT1_T2_T3_mT4_P12ihipStream_tbEUlT_E1_NS1_11comp_targetILNS1_3genE5ELNS1_11target_archE942ELNS1_3gpuE9ELNS1_3repE0EEENS1_30default_config_static_selectorELNS0_4arch9wavefront6targetE0EEEvS14_,"axG",@progbits,_ZN7rocprim17ROCPRIM_400000_NS6detail17trampoline_kernelINS0_14default_configENS1_22reduce_config_selectorIN6thrust23THRUST_200600_302600_NS5tupleIblNS6_9null_typeES8_S8_S8_S8_S8_S8_S8_EEEEZNS1_11reduce_implILb1ES3_NS6_12zip_iteratorINS7_INS6_11hip_rocprim26transform_input_iterator_tIbNSD_35transform_pair_of_input_iterators_tIbNS6_6detail15normal_iteratorINS6_10device_ptrIKbEEEESL_NS6_8equal_toIbEEEENSG_9not_fun_tINSD_8identityEEEEENSD_19counting_iterator_tIlEES8_S8_S8_S8_S8_S8_S8_S8_EEEEPS9_S9_NSD_9__find_if7functorIS9_EEEE10hipError_tPvRmT1_T2_T3_mT4_P12ihipStream_tbEUlT_E1_NS1_11comp_targetILNS1_3genE5ELNS1_11target_archE942ELNS1_3gpuE9ELNS1_3repE0EEENS1_30default_config_static_selectorELNS0_4arch9wavefront6targetE0EEEvS14_,comdat
	.protected	_ZN7rocprim17ROCPRIM_400000_NS6detail17trampoline_kernelINS0_14default_configENS1_22reduce_config_selectorIN6thrust23THRUST_200600_302600_NS5tupleIblNS6_9null_typeES8_S8_S8_S8_S8_S8_S8_EEEEZNS1_11reduce_implILb1ES3_NS6_12zip_iteratorINS7_INS6_11hip_rocprim26transform_input_iterator_tIbNSD_35transform_pair_of_input_iterators_tIbNS6_6detail15normal_iteratorINS6_10device_ptrIKbEEEESL_NS6_8equal_toIbEEEENSG_9not_fun_tINSD_8identityEEEEENSD_19counting_iterator_tIlEES8_S8_S8_S8_S8_S8_S8_S8_EEEEPS9_S9_NSD_9__find_if7functorIS9_EEEE10hipError_tPvRmT1_T2_T3_mT4_P12ihipStream_tbEUlT_E1_NS1_11comp_targetILNS1_3genE5ELNS1_11target_archE942ELNS1_3gpuE9ELNS1_3repE0EEENS1_30default_config_static_selectorELNS0_4arch9wavefront6targetE0EEEvS14_ ; -- Begin function _ZN7rocprim17ROCPRIM_400000_NS6detail17trampoline_kernelINS0_14default_configENS1_22reduce_config_selectorIN6thrust23THRUST_200600_302600_NS5tupleIblNS6_9null_typeES8_S8_S8_S8_S8_S8_S8_EEEEZNS1_11reduce_implILb1ES3_NS6_12zip_iteratorINS7_INS6_11hip_rocprim26transform_input_iterator_tIbNSD_35transform_pair_of_input_iterators_tIbNS6_6detail15normal_iteratorINS6_10device_ptrIKbEEEESL_NS6_8equal_toIbEEEENSG_9not_fun_tINSD_8identityEEEEENSD_19counting_iterator_tIlEES8_S8_S8_S8_S8_S8_S8_S8_EEEEPS9_S9_NSD_9__find_if7functorIS9_EEEE10hipError_tPvRmT1_T2_T3_mT4_P12ihipStream_tbEUlT_E1_NS1_11comp_targetILNS1_3genE5ELNS1_11target_archE942ELNS1_3gpuE9ELNS1_3repE0EEENS1_30default_config_static_selectorELNS0_4arch9wavefront6targetE0EEEvS14_
	.globl	_ZN7rocprim17ROCPRIM_400000_NS6detail17trampoline_kernelINS0_14default_configENS1_22reduce_config_selectorIN6thrust23THRUST_200600_302600_NS5tupleIblNS6_9null_typeES8_S8_S8_S8_S8_S8_S8_EEEEZNS1_11reduce_implILb1ES3_NS6_12zip_iteratorINS7_INS6_11hip_rocprim26transform_input_iterator_tIbNSD_35transform_pair_of_input_iterators_tIbNS6_6detail15normal_iteratorINS6_10device_ptrIKbEEEESL_NS6_8equal_toIbEEEENSG_9not_fun_tINSD_8identityEEEEENSD_19counting_iterator_tIlEES8_S8_S8_S8_S8_S8_S8_S8_EEEEPS9_S9_NSD_9__find_if7functorIS9_EEEE10hipError_tPvRmT1_T2_T3_mT4_P12ihipStream_tbEUlT_E1_NS1_11comp_targetILNS1_3genE5ELNS1_11target_archE942ELNS1_3gpuE9ELNS1_3repE0EEENS1_30default_config_static_selectorELNS0_4arch9wavefront6targetE0EEEvS14_
	.p2align	8
	.type	_ZN7rocprim17ROCPRIM_400000_NS6detail17trampoline_kernelINS0_14default_configENS1_22reduce_config_selectorIN6thrust23THRUST_200600_302600_NS5tupleIblNS6_9null_typeES8_S8_S8_S8_S8_S8_S8_EEEEZNS1_11reduce_implILb1ES3_NS6_12zip_iteratorINS7_INS6_11hip_rocprim26transform_input_iterator_tIbNSD_35transform_pair_of_input_iterators_tIbNS6_6detail15normal_iteratorINS6_10device_ptrIKbEEEESL_NS6_8equal_toIbEEEENSG_9not_fun_tINSD_8identityEEEEENSD_19counting_iterator_tIlEES8_S8_S8_S8_S8_S8_S8_S8_EEEEPS9_S9_NSD_9__find_if7functorIS9_EEEE10hipError_tPvRmT1_T2_T3_mT4_P12ihipStream_tbEUlT_E1_NS1_11comp_targetILNS1_3genE5ELNS1_11target_archE942ELNS1_3gpuE9ELNS1_3repE0EEENS1_30default_config_static_selectorELNS0_4arch9wavefront6targetE0EEEvS14_,@function
_ZN7rocprim17ROCPRIM_400000_NS6detail17trampoline_kernelINS0_14default_configENS1_22reduce_config_selectorIN6thrust23THRUST_200600_302600_NS5tupleIblNS6_9null_typeES8_S8_S8_S8_S8_S8_S8_EEEEZNS1_11reduce_implILb1ES3_NS6_12zip_iteratorINS7_INS6_11hip_rocprim26transform_input_iterator_tIbNSD_35transform_pair_of_input_iterators_tIbNS6_6detail15normal_iteratorINS6_10device_ptrIKbEEEESL_NS6_8equal_toIbEEEENSG_9not_fun_tINSD_8identityEEEEENSD_19counting_iterator_tIlEES8_S8_S8_S8_S8_S8_S8_S8_EEEEPS9_S9_NSD_9__find_if7functorIS9_EEEE10hipError_tPvRmT1_T2_T3_mT4_P12ihipStream_tbEUlT_E1_NS1_11comp_targetILNS1_3genE5ELNS1_11target_archE942ELNS1_3gpuE9ELNS1_3repE0EEENS1_30default_config_static_selectorELNS0_4arch9wavefront6targetE0EEEvS14_: ; @_ZN7rocprim17ROCPRIM_400000_NS6detail17trampoline_kernelINS0_14default_configENS1_22reduce_config_selectorIN6thrust23THRUST_200600_302600_NS5tupleIblNS6_9null_typeES8_S8_S8_S8_S8_S8_S8_EEEEZNS1_11reduce_implILb1ES3_NS6_12zip_iteratorINS7_INS6_11hip_rocprim26transform_input_iterator_tIbNSD_35transform_pair_of_input_iterators_tIbNS6_6detail15normal_iteratorINS6_10device_ptrIKbEEEESL_NS6_8equal_toIbEEEENSG_9not_fun_tINSD_8identityEEEEENSD_19counting_iterator_tIlEES8_S8_S8_S8_S8_S8_S8_S8_EEEEPS9_S9_NSD_9__find_if7functorIS9_EEEE10hipError_tPvRmT1_T2_T3_mT4_P12ihipStream_tbEUlT_E1_NS1_11comp_targetILNS1_3genE5ELNS1_11target_archE942ELNS1_3gpuE9ELNS1_3repE0EEENS1_30default_config_static_selectorELNS0_4arch9wavefront6targetE0EEEvS14_
; %bb.0:
	.section	.rodata,"a",@progbits
	.p2align	6, 0x0
	.amdhsa_kernel _ZN7rocprim17ROCPRIM_400000_NS6detail17trampoline_kernelINS0_14default_configENS1_22reduce_config_selectorIN6thrust23THRUST_200600_302600_NS5tupleIblNS6_9null_typeES8_S8_S8_S8_S8_S8_S8_EEEEZNS1_11reduce_implILb1ES3_NS6_12zip_iteratorINS7_INS6_11hip_rocprim26transform_input_iterator_tIbNSD_35transform_pair_of_input_iterators_tIbNS6_6detail15normal_iteratorINS6_10device_ptrIKbEEEESL_NS6_8equal_toIbEEEENSG_9not_fun_tINSD_8identityEEEEENSD_19counting_iterator_tIlEES8_S8_S8_S8_S8_S8_S8_S8_EEEEPS9_S9_NSD_9__find_if7functorIS9_EEEE10hipError_tPvRmT1_T2_T3_mT4_P12ihipStream_tbEUlT_E1_NS1_11comp_targetILNS1_3genE5ELNS1_11target_archE942ELNS1_3gpuE9ELNS1_3repE0EEENS1_30default_config_static_selectorELNS0_4arch9wavefront6targetE0EEEvS14_
		.amdhsa_group_segment_fixed_size 0
		.amdhsa_private_segment_fixed_size 0
		.amdhsa_kernarg_size 88
		.amdhsa_user_sgpr_count 6
		.amdhsa_user_sgpr_private_segment_buffer 1
		.amdhsa_user_sgpr_dispatch_ptr 0
		.amdhsa_user_sgpr_queue_ptr 0
		.amdhsa_user_sgpr_kernarg_segment_ptr 1
		.amdhsa_user_sgpr_dispatch_id 0
		.amdhsa_user_sgpr_flat_scratch_init 0
		.amdhsa_user_sgpr_private_segment_size 0
		.amdhsa_wavefront_size32 1
		.amdhsa_uses_dynamic_stack 0
		.amdhsa_system_sgpr_private_segment_wavefront_offset 0
		.amdhsa_system_sgpr_workgroup_id_x 1
		.amdhsa_system_sgpr_workgroup_id_y 0
		.amdhsa_system_sgpr_workgroup_id_z 0
		.amdhsa_system_sgpr_workgroup_info 0
		.amdhsa_system_vgpr_workitem_id 0
		.amdhsa_next_free_vgpr 1
		.amdhsa_next_free_sgpr 1
		.amdhsa_reserve_vcc 0
		.amdhsa_reserve_flat_scratch 0
		.amdhsa_float_round_mode_32 0
		.amdhsa_float_round_mode_16_64 0
		.amdhsa_float_denorm_mode_32 3
		.amdhsa_float_denorm_mode_16_64 3
		.amdhsa_dx10_clamp 1
		.amdhsa_ieee_mode 1
		.amdhsa_fp16_overflow 0
		.amdhsa_workgroup_processor_mode 1
		.amdhsa_memory_ordered 1
		.amdhsa_forward_progress 1
		.amdhsa_shared_vgpr_count 0
		.amdhsa_exception_fp_ieee_invalid_op 0
		.amdhsa_exception_fp_denorm_src 0
		.amdhsa_exception_fp_ieee_div_zero 0
		.amdhsa_exception_fp_ieee_overflow 0
		.amdhsa_exception_fp_ieee_underflow 0
		.amdhsa_exception_fp_ieee_inexact 0
		.amdhsa_exception_int_div_zero 0
	.end_amdhsa_kernel
	.section	.text._ZN7rocprim17ROCPRIM_400000_NS6detail17trampoline_kernelINS0_14default_configENS1_22reduce_config_selectorIN6thrust23THRUST_200600_302600_NS5tupleIblNS6_9null_typeES8_S8_S8_S8_S8_S8_S8_EEEEZNS1_11reduce_implILb1ES3_NS6_12zip_iteratorINS7_INS6_11hip_rocprim26transform_input_iterator_tIbNSD_35transform_pair_of_input_iterators_tIbNS6_6detail15normal_iteratorINS6_10device_ptrIKbEEEESL_NS6_8equal_toIbEEEENSG_9not_fun_tINSD_8identityEEEEENSD_19counting_iterator_tIlEES8_S8_S8_S8_S8_S8_S8_S8_EEEEPS9_S9_NSD_9__find_if7functorIS9_EEEE10hipError_tPvRmT1_T2_T3_mT4_P12ihipStream_tbEUlT_E1_NS1_11comp_targetILNS1_3genE5ELNS1_11target_archE942ELNS1_3gpuE9ELNS1_3repE0EEENS1_30default_config_static_selectorELNS0_4arch9wavefront6targetE0EEEvS14_,"axG",@progbits,_ZN7rocprim17ROCPRIM_400000_NS6detail17trampoline_kernelINS0_14default_configENS1_22reduce_config_selectorIN6thrust23THRUST_200600_302600_NS5tupleIblNS6_9null_typeES8_S8_S8_S8_S8_S8_S8_EEEEZNS1_11reduce_implILb1ES3_NS6_12zip_iteratorINS7_INS6_11hip_rocprim26transform_input_iterator_tIbNSD_35transform_pair_of_input_iterators_tIbNS6_6detail15normal_iteratorINS6_10device_ptrIKbEEEESL_NS6_8equal_toIbEEEENSG_9not_fun_tINSD_8identityEEEEENSD_19counting_iterator_tIlEES8_S8_S8_S8_S8_S8_S8_S8_EEEEPS9_S9_NSD_9__find_if7functorIS9_EEEE10hipError_tPvRmT1_T2_T3_mT4_P12ihipStream_tbEUlT_E1_NS1_11comp_targetILNS1_3genE5ELNS1_11target_archE942ELNS1_3gpuE9ELNS1_3repE0EEENS1_30default_config_static_selectorELNS0_4arch9wavefront6targetE0EEEvS14_,comdat
.Lfunc_end753:
	.size	_ZN7rocprim17ROCPRIM_400000_NS6detail17trampoline_kernelINS0_14default_configENS1_22reduce_config_selectorIN6thrust23THRUST_200600_302600_NS5tupleIblNS6_9null_typeES8_S8_S8_S8_S8_S8_S8_EEEEZNS1_11reduce_implILb1ES3_NS6_12zip_iteratorINS7_INS6_11hip_rocprim26transform_input_iterator_tIbNSD_35transform_pair_of_input_iterators_tIbNS6_6detail15normal_iteratorINS6_10device_ptrIKbEEEESL_NS6_8equal_toIbEEEENSG_9not_fun_tINSD_8identityEEEEENSD_19counting_iterator_tIlEES8_S8_S8_S8_S8_S8_S8_S8_EEEEPS9_S9_NSD_9__find_if7functorIS9_EEEE10hipError_tPvRmT1_T2_T3_mT4_P12ihipStream_tbEUlT_E1_NS1_11comp_targetILNS1_3genE5ELNS1_11target_archE942ELNS1_3gpuE9ELNS1_3repE0EEENS1_30default_config_static_selectorELNS0_4arch9wavefront6targetE0EEEvS14_, .Lfunc_end753-_ZN7rocprim17ROCPRIM_400000_NS6detail17trampoline_kernelINS0_14default_configENS1_22reduce_config_selectorIN6thrust23THRUST_200600_302600_NS5tupleIblNS6_9null_typeES8_S8_S8_S8_S8_S8_S8_EEEEZNS1_11reduce_implILb1ES3_NS6_12zip_iteratorINS7_INS6_11hip_rocprim26transform_input_iterator_tIbNSD_35transform_pair_of_input_iterators_tIbNS6_6detail15normal_iteratorINS6_10device_ptrIKbEEEESL_NS6_8equal_toIbEEEENSG_9not_fun_tINSD_8identityEEEEENSD_19counting_iterator_tIlEES8_S8_S8_S8_S8_S8_S8_S8_EEEEPS9_S9_NSD_9__find_if7functorIS9_EEEE10hipError_tPvRmT1_T2_T3_mT4_P12ihipStream_tbEUlT_E1_NS1_11comp_targetILNS1_3genE5ELNS1_11target_archE942ELNS1_3gpuE9ELNS1_3repE0EEENS1_30default_config_static_selectorELNS0_4arch9wavefront6targetE0EEEvS14_
                                        ; -- End function
	.set _ZN7rocprim17ROCPRIM_400000_NS6detail17trampoline_kernelINS0_14default_configENS1_22reduce_config_selectorIN6thrust23THRUST_200600_302600_NS5tupleIblNS6_9null_typeES8_S8_S8_S8_S8_S8_S8_EEEEZNS1_11reduce_implILb1ES3_NS6_12zip_iteratorINS7_INS6_11hip_rocprim26transform_input_iterator_tIbNSD_35transform_pair_of_input_iterators_tIbNS6_6detail15normal_iteratorINS6_10device_ptrIKbEEEESL_NS6_8equal_toIbEEEENSG_9not_fun_tINSD_8identityEEEEENSD_19counting_iterator_tIlEES8_S8_S8_S8_S8_S8_S8_S8_EEEEPS9_S9_NSD_9__find_if7functorIS9_EEEE10hipError_tPvRmT1_T2_T3_mT4_P12ihipStream_tbEUlT_E1_NS1_11comp_targetILNS1_3genE5ELNS1_11target_archE942ELNS1_3gpuE9ELNS1_3repE0EEENS1_30default_config_static_selectorELNS0_4arch9wavefront6targetE0EEEvS14_.num_vgpr, 0
	.set _ZN7rocprim17ROCPRIM_400000_NS6detail17trampoline_kernelINS0_14default_configENS1_22reduce_config_selectorIN6thrust23THRUST_200600_302600_NS5tupleIblNS6_9null_typeES8_S8_S8_S8_S8_S8_S8_EEEEZNS1_11reduce_implILb1ES3_NS6_12zip_iteratorINS7_INS6_11hip_rocprim26transform_input_iterator_tIbNSD_35transform_pair_of_input_iterators_tIbNS6_6detail15normal_iteratorINS6_10device_ptrIKbEEEESL_NS6_8equal_toIbEEEENSG_9not_fun_tINSD_8identityEEEEENSD_19counting_iterator_tIlEES8_S8_S8_S8_S8_S8_S8_S8_EEEEPS9_S9_NSD_9__find_if7functorIS9_EEEE10hipError_tPvRmT1_T2_T3_mT4_P12ihipStream_tbEUlT_E1_NS1_11comp_targetILNS1_3genE5ELNS1_11target_archE942ELNS1_3gpuE9ELNS1_3repE0EEENS1_30default_config_static_selectorELNS0_4arch9wavefront6targetE0EEEvS14_.num_agpr, 0
	.set _ZN7rocprim17ROCPRIM_400000_NS6detail17trampoline_kernelINS0_14default_configENS1_22reduce_config_selectorIN6thrust23THRUST_200600_302600_NS5tupleIblNS6_9null_typeES8_S8_S8_S8_S8_S8_S8_EEEEZNS1_11reduce_implILb1ES3_NS6_12zip_iteratorINS7_INS6_11hip_rocprim26transform_input_iterator_tIbNSD_35transform_pair_of_input_iterators_tIbNS6_6detail15normal_iteratorINS6_10device_ptrIKbEEEESL_NS6_8equal_toIbEEEENSG_9not_fun_tINSD_8identityEEEEENSD_19counting_iterator_tIlEES8_S8_S8_S8_S8_S8_S8_S8_EEEEPS9_S9_NSD_9__find_if7functorIS9_EEEE10hipError_tPvRmT1_T2_T3_mT4_P12ihipStream_tbEUlT_E1_NS1_11comp_targetILNS1_3genE5ELNS1_11target_archE942ELNS1_3gpuE9ELNS1_3repE0EEENS1_30default_config_static_selectorELNS0_4arch9wavefront6targetE0EEEvS14_.numbered_sgpr, 0
	.set _ZN7rocprim17ROCPRIM_400000_NS6detail17trampoline_kernelINS0_14default_configENS1_22reduce_config_selectorIN6thrust23THRUST_200600_302600_NS5tupleIblNS6_9null_typeES8_S8_S8_S8_S8_S8_S8_EEEEZNS1_11reduce_implILb1ES3_NS6_12zip_iteratorINS7_INS6_11hip_rocprim26transform_input_iterator_tIbNSD_35transform_pair_of_input_iterators_tIbNS6_6detail15normal_iteratorINS6_10device_ptrIKbEEEESL_NS6_8equal_toIbEEEENSG_9not_fun_tINSD_8identityEEEEENSD_19counting_iterator_tIlEES8_S8_S8_S8_S8_S8_S8_S8_EEEEPS9_S9_NSD_9__find_if7functorIS9_EEEE10hipError_tPvRmT1_T2_T3_mT4_P12ihipStream_tbEUlT_E1_NS1_11comp_targetILNS1_3genE5ELNS1_11target_archE942ELNS1_3gpuE9ELNS1_3repE0EEENS1_30default_config_static_selectorELNS0_4arch9wavefront6targetE0EEEvS14_.num_named_barrier, 0
	.set _ZN7rocprim17ROCPRIM_400000_NS6detail17trampoline_kernelINS0_14default_configENS1_22reduce_config_selectorIN6thrust23THRUST_200600_302600_NS5tupleIblNS6_9null_typeES8_S8_S8_S8_S8_S8_S8_EEEEZNS1_11reduce_implILb1ES3_NS6_12zip_iteratorINS7_INS6_11hip_rocprim26transform_input_iterator_tIbNSD_35transform_pair_of_input_iterators_tIbNS6_6detail15normal_iteratorINS6_10device_ptrIKbEEEESL_NS6_8equal_toIbEEEENSG_9not_fun_tINSD_8identityEEEEENSD_19counting_iterator_tIlEES8_S8_S8_S8_S8_S8_S8_S8_EEEEPS9_S9_NSD_9__find_if7functorIS9_EEEE10hipError_tPvRmT1_T2_T3_mT4_P12ihipStream_tbEUlT_E1_NS1_11comp_targetILNS1_3genE5ELNS1_11target_archE942ELNS1_3gpuE9ELNS1_3repE0EEENS1_30default_config_static_selectorELNS0_4arch9wavefront6targetE0EEEvS14_.private_seg_size, 0
	.set _ZN7rocprim17ROCPRIM_400000_NS6detail17trampoline_kernelINS0_14default_configENS1_22reduce_config_selectorIN6thrust23THRUST_200600_302600_NS5tupleIblNS6_9null_typeES8_S8_S8_S8_S8_S8_S8_EEEEZNS1_11reduce_implILb1ES3_NS6_12zip_iteratorINS7_INS6_11hip_rocprim26transform_input_iterator_tIbNSD_35transform_pair_of_input_iterators_tIbNS6_6detail15normal_iteratorINS6_10device_ptrIKbEEEESL_NS6_8equal_toIbEEEENSG_9not_fun_tINSD_8identityEEEEENSD_19counting_iterator_tIlEES8_S8_S8_S8_S8_S8_S8_S8_EEEEPS9_S9_NSD_9__find_if7functorIS9_EEEE10hipError_tPvRmT1_T2_T3_mT4_P12ihipStream_tbEUlT_E1_NS1_11comp_targetILNS1_3genE5ELNS1_11target_archE942ELNS1_3gpuE9ELNS1_3repE0EEENS1_30default_config_static_selectorELNS0_4arch9wavefront6targetE0EEEvS14_.uses_vcc, 0
	.set _ZN7rocprim17ROCPRIM_400000_NS6detail17trampoline_kernelINS0_14default_configENS1_22reduce_config_selectorIN6thrust23THRUST_200600_302600_NS5tupleIblNS6_9null_typeES8_S8_S8_S8_S8_S8_S8_EEEEZNS1_11reduce_implILb1ES3_NS6_12zip_iteratorINS7_INS6_11hip_rocprim26transform_input_iterator_tIbNSD_35transform_pair_of_input_iterators_tIbNS6_6detail15normal_iteratorINS6_10device_ptrIKbEEEESL_NS6_8equal_toIbEEEENSG_9not_fun_tINSD_8identityEEEEENSD_19counting_iterator_tIlEES8_S8_S8_S8_S8_S8_S8_S8_EEEEPS9_S9_NSD_9__find_if7functorIS9_EEEE10hipError_tPvRmT1_T2_T3_mT4_P12ihipStream_tbEUlT_E1_NS1_11comp_targetILNS1_3genE5ELNS1_11target_archE942ELNS1_3gpuE9ELNS1_3repE0EEENS1_30default_config_static_selectorELNS0_4arch9wavefront6targetE0EEEvS14_.uses_flat_scratch, 0
	.set _ZN7rocprim17ROCPRIM_400000_NS6detail17trampoline_kernelINS0_14default_configENS1_22reduce_config_selectorIN6thrust23THRUST_200600_302600_NS5tupleIblNS6_9null_typeES8_S8_S8_S8_S8_S8_S8_EEEEZNS1_11reduce_implILb1ES3_NS6_12zip_iteratorINS7_INS6_11hip_rocprim26transform_input_iterator_tIbNSD_35transform_pair_of_input_iterators_tIbNS6_6detail15normal_iteratorINS6_10device_ptrIKbEEEESL_NS6_8equal_toIbEEEENSG_9not_fun_tINSD_8identityEEEEENSD_19counting_iterator_tIlEES8_S8_S8_S8_S8_S8_S8_S8_EEEEPS9_S9_NSD_9__find_if7functorIS9_EEEE10hipError_tPvRmT1_T2_T3_mT4_P12ihipStream_tbEUlT_E1_NS1_11comp_targetILNS1_3genE5ELNS1_11target_archE942ELNS1_3gpuE9ELNS1_3repE0EEENS1_30default_config_static_selectorELNS0_4arch9wavefront6targetE0EEEvS14_.has_dyn_sized_stack, 0
	.set _ZN7rocprim17ROCPRIM_400000_NS6detail17trampoline_kernelINS0_14default_configENS1_22reduce_config_selectorIN6thrust23THRUST_200600_302600_NS5tupleIblNS6_9null_typeES8_S8_S8_S8_S8_S8_S8_EEEEZNS1_11reduce_implILb1ES3_NS6_12zip_iteratorINS7_INS6_11hip_rocprim26transform_input_iterator_tIbNSD_35transform_pair_of_input_iterators_tIbNS6_6detail15normal_iteratorINS6_10device_ptrIKbEEEESL_NS6_8equal_toIbEEEENSG_9not_fun_tINSD_8identityEEEEENSD_19counting_iterator_tIlEES8_S8_S8_S8_S8_S8_S8_S8_EEEEPS9_S9_NSD_9__find_if7functorIS9_EEEE10hipError_tPvRmT1_T2_T3_mT4_P12ihipStream_tbEUlT_E1_NS1_11comp_targetILNS1_3genE5ELNS1_11target_archE942ELNS1_3gpuE9ELNS1_3repE0EEENS1_30default_config_static_selectorELNS0_4arch9wavefront6targetE0EEEvS14_.has_recursion, 0
	.set _ZN7rocprim17ROCPRIM_400000_NS6detail17trampoline_kernelINS0_14default_configENS1_22reduce_config_selectorIN6thrust23THRUST_200600_302600_NS5tupleIblNS6_9null_typeES8_S8_S8_S8_S8_S8_S8_EEEEZNS1_11reduce_implILb1ES3_NS6_12zip_iteratorINS7_INS6_11hip_rocprim26transform_input_iterator_tIbNSD_35transform_pair_of_input_iterators_tIbNS6_6detail15normal_iteratorINS6_10device_ptrIKbEEEESL_NS6_8equal_toIbEEEENSG_9not_fun_tINSD_8identityEEEEENSD_19counting_iterator_tIlEES8_S8_S8_S8_S8_S8_S8_S8_EEEEPS9_S9_NSD_9__find_if7functorIS9_EEEE10hipError_tPvRmT1_T2_T3_mT4_P12ihipStream_tbEUlT_E1_NS1_11comp_targetILNS1_3genE5ELNS1_11target_archE942ELNS1_3gpuE9ELNS1_3repE0EEENS1_30default_config_static_selectorELNS0_4arch9wavefront6targetE0EEEvS14_.has_indirect_call, 0
	.section	.AMDGPU.csdata,"",@progbits
; Kernel info:
; codeLenInByte = 0
; TotalNumSgprs: 0
; NumVgprs: 0
; ScratchSize: 0
; MemoryBound: 0
; FloatMode: 240
; IeeeMode: 1
; LDSByteSize: 0 bytes/workgroup (compile time only)
; SGPRBlocks: 0
; VGPRBlocks: 0
; NumSGPRsForWavesPerEU: 1
; NumVGPRsForWavesPerEU: 1
; Occupancy: 16
; WaveLimiterHint : 0
; COMPUTE_PGM_RSRC2:SCRATCH_EN: 0
; COMPUTE_PGM_RSRC2:USER_SGPR: 6
; COMPUTE_PGM_RSRC2:TRAP_HANDLER: 0
; COMPUTE_PGM_RSRC2:TGID_X_EN: 1
; COMPUTE_PGM_RSRC2:TGID_Y_EN: 0
; COMPUTE_PGM_RSRC2:TGID_Z_EN: 0
; COMPUTE_PGM_RSRC2:TIDIG_COMP_CNT: 0
	.section	.text._ZN7rocprim17ROCPRIM_400000_NS6detail17trampoline_kernelINS0_14default_configENS1_22reduce_config_selectorIN6thrust23THRUST_200600_302600_NS5tupleIblNS6_9null_typeES8_S8_S8_S8_S8_S8_S8_EEEEZNS1_11reduce_implILb1ES3_NS6_12zip_iteratorINS7_INS6_11hip_rocprim26transform_input_iterator_tIbNSD_35transform_pair_of_input_iterators_tIbNS6_6detail15normal_iteratorINS6_10device_ptrIKbEEEESL_NS6_8equal_toIbEEEENSG_9not_fun_tINSD_8identityEEEEENSD_19counting_iterator_tIlEES8_S8_S8_S8_S8_S8_S8_S8_EEEEPS9_S9_NSD_9__find_if7functorIS9_EEEE10hipError_tPvRmT1_T2_T3_mT4_P12ihipStream_tbEUlT_E1_NS1_11comp_targetILNS1_3genE4ELNS1_11target_archE910ELNS1_3gpuE8ELNS1_3repE0EEENS1_30default_config_static_selectorELNS0_4arch9wavefront6targetE0EEEvS14_,"axG",@progbits,_ZN7rocprim17ROCPRIM_400000_NS6detail17trampoline_kernelINS0_14default_configENS1_22reduce_config_selectorIN6thrust23THRUST_200600_302600_NS5tupleIblNS6_9null_typeES8_S8_S8_S8_S8_S8_S8_EEEEZNS1_11reduce_implILb1ES3_NS6_12zip_iteratorINS7_INS6_11hip_rocprim26transform_input_iterator_tIbNSD_35transform_pair_of_input_iterators_tIbNS6_6detail15normal_iteratorINS6_10device_ptrIKbEEEESL_NS6_8equal_toIbEEEENSG_9not_fun_tINSD_8identityEEEEENSD_19counting_iterator_tIlEES8_S8_S8_S8_S8_S8_S8_S8_EEEEPS9_S9_NSD_9__find_if7functorIS9_EEEE10hipError_tPvRmT1_T2_T3_mT4_P12ihipStream_tbEUlT_E1_NS1_11comp_targetILNS1_3genE4ELNS1_11target_archE910ELNS1_3gpuE8ELNS1_3repE0EEENS1_30default_config_static_selectorELNS0_4arch9wavefront6targetE0EEEvS14_,comdat
	.protected	_ZN7rocprim17ROCPRIM_400000_NS6detail17trampoline_kernelINS0_14default_configENS1_22reduce_config_selectorIN6thrust23THRUST_200600_302600_NS5tupleIblNS6_9null_typeES8_S8_S8_S8_S8_S8_S8_EEEEZNS1_11reduce_implILb1ES3_NS6_12zip_iteratorINS7_INS6_11hip_rocprim26transform_input_iterator_tIbNSD_35transform_pair_of_input_iterators_tIbNS6_6detail15normal_iteratorINS6_10device_ptrIKbEEEESL_NS6_8equal_toIbEEEENSG_9not_fun_tINSD_8identityEEEEENSD_19counting_iterator_tIlEES8_S8_S8_S8_S8_S8_S8_S8_EEEEPS9_S9_NSD_9__find_if7functorIS9_EEEE10hipError_tPvRmT1_T2_T3_mT4_P12ihipStream_tbEUlT_E1_NS1_11comp_targetILNS1_3genE4ELNS1_11target_archE910ELNS1_3gpuE8ELNS1_3repE0EEENS1_30default_config_static_selectorELNS0_4arch9wavefront6targetE0EEEvS14_ ; -- Begin function _ZN7rocprim17ROCPRIM_400000_NS6detail17trampoline_kernelINS0_14default_configENS1_22reduce_config_selectorIN6thrust23THRUST_200600_302600_NS5tupleIblNS6_9null_typeES8_S8_S8_S8_S8_S8_S8_EEEEZNS1_11reduce_implILb1ES3_NS6_12zip_iteratorINS7_INS6_11hip_rocprim26transform_input_iterator_tIbNSD_35transform_pair_of_input_iterators_tIbNS6_6detail15normal_iteratorINS6_10device_ptrIKbEEEESL_NS6_8equal_toIbEEEENSG_9not_fun_tINSD_8identityEEEEENSD_19counting_iterator_tIlEES8_S8_S8_S8_S8_S8_S8_S8_EEEEPS9_S9_NSD_9__find_if7functorIS9_EEEE10hipError_tPvRmT1_T2_T3_mT4_P12ihipStream_tbEUlT_E1_NS1_11comp_targetILNS1_3genE4ELNS1_11target_archE910ELNS1_3gpuE8ELNS1_3repE0EEENS1_30default_config_static_selectorELNS0_4arch9wavefront6targetE0EEEvS14_
	.globl	_ZN7rocprim17ROCPRIM_400000_NS6detail17trampoline_kernelINS0_14default_configENS1_22reduce_config_selectorIN6thrust23THRUST_200600_302600_NS5tupleIblNS6_9null_typeES8_S8_S8_S8_S8_S8_S8_EEEEZNS1_11reduce_implILb1ES3_NS6_12zip_iteratorINS7_INS6_11hip_rocprim26transform_input_iterator_tIbNSD_35transform_pair_of_input_iterators_tIbNS6_6detail15normal_iteratorINS6_10device_ptrIKbEEEESL_NS6_8equal_toIbEEEENSG_9not_fun_tINSD_8identityEEEEENSD_19counting_iterator_tIlEES8_S8_S8_S8_S8_S8_S8_S8_EEEEPS9_S9_NSD_9__find_if7functorIS9_EEEE10hipError_tPvRmT1_T2_T3_mT4_P12ihipStream_tbEUlT_E1_NS1_11comp_targetILNS1_3genE4ELNS1_11target_archE910ELNS1_3gpuE8ELNS1_3repE0EEENS1_30default_config_static_selectorELNS0_4arch9wavefront6targetE0EEEvS14_
	.p2align	8
	.type	_ZN7rocprim17ROCPRIM_400000_NS6detail17trampoline_kernelINS0_14default_configENS1_22reduce_config_selectorIN6thrust23THRUST_200600_302600_NS5tupleIblNS6_9null_typeES8_S8_S8_S8_S8_S8_S8_EEEEZNS1_11reduce_implILb1ES3_NS6_12zip_iteratorINS7_INS6_11hip_rocprim26transform_input_iterator_tIbNSD_35transform_pair_of_input_iterators_tIbNS6_6detail15normal_iteratorINS6_10device_ptrIKbEEEESL_NS6_8equal_toIbEEEENSG_9not_fun_tINSD_8identityEEEEENSD_19counting_iterator_tIlEES8_S8_S8_S8_S8_S8_S8_S8_EEEEPS9_S9_NSD_9__find_if7functorIS9_EEEE10hipError_tPvRmT1_T2_T3_mT4_P12ihipStream_tbEUlT_E1_NS1_11comp_targetILNS1_3genE4ELNS1_11target_archE910ELNS1_3gpuE8ELNS1_3repE0EEENS1_30default_config_static_selectorELNS0_4arch9wavefront6targetE0EEEvS14_,@function
_ZN7rocprim17ROCPRIM_400000_NS6detail17trampoline_kernelINS0_14default_configENS1_22reduce_config_selectorIN6thrust23THRUST_200600_302600_NS5tupleIblNS6_9null_typeES8_S8_S8_S8_S8_S8_S8_EEEEZNS1_11reduce_implILb1ES3_NS6_12zip_iteratorINS7_INS6_11hip_rocprim26transform_input_iterator_tIbNSD_35transform_pair_of_input_iterators_tIbNS6_6detail15normal_iteratorINS6_10device_ptrIKbEEEESL_NS6_8equal_toIbEEEENSG_9not_fun_tINSD_8identityEEEEENSD_19counting_iterator_tIlEES8_S8_S8_S8_S8_S8_S8_S8_EEEEPS9_S9_NSD_9__find_if7functorIS9_EEEE10hipError_tPvRmT1_T2_T3_mT4_P12ihipStream_tbEUlT_E1_NS1_11comp_targetILNS1_3genE4ELNS1_11target_archE910ELNS1_3gpuE8ELNS1_3repE0EEENS1_30default_config_static_selectorELNS0_4arch9wavefront6targetE0EEEvS14_: ; @_ZN7rocprim17ROCPRIM_400000_NS6detail17trampoline_kernelINS0_14default_configENS1_22reduce_config_selectorIN6thrust23THRUST_200600_302600_NS5tupleIblNS6_9null_typeES8_S8_S8_S8_S8_S8_S8_EEEEZNS1_11reduce_implILb1ES3_NS6_12zip_iteratorINS7_INS6_11hip_rocprim26transform_input_iterator_tIbNSD_35transform_pair_of_input_iterators_tIbNS6_6detail15normal_iteratorINS6_10device_ptrIKbEEEESL_NS6_8equal_toIbEEEENSG_9not_fun_tINSD_8identityEEEEENSD_19counting_iterator_tIlEES8_S8_S8_S8_S8_S8_S8_S8_EEEEPS9_S9_NSD_9__find_if7functorIS9_EEEE10hipError_tPvRmT1_T2_T3_mT4_P12ihipStream_tbEUlT_E1_NS1_11comp_targetILNS1_3genE4ELNS1_11target_archE910ELNS1_3gpuE8ELNS1_3repE0EEENS1_30default_config_static_selectorELNS0_4arch9wavefront6targetE0EEEvS14_
; %bb.0:
	.section	.rodata,"a",@progbits
	.p2align	6, 0x0
	.amdhsa_kernel _ZN7rocprim17ROCPRIM_400000_NS6detail17trampoline_kernelINS0_14default_configENS1_22reduce_config_selectorIN6thrust23THRUST_200600_302600_NS5tupleIblNS6_9null_typeES8_S8_S8_S8_S8_S8_S8_EEEEZNS1_11reduce_implILb1ES3_NS6_12zip_iteratorINS7_INS6_11hip_rocprim26transform_input_iterator_tIbNSD_35transform_pair_of_input_iterators_tIbNS6_6detail15normal_iteratorINS6_10device_ptrIKbEEEESL_NS6_8equal_toIbEEEENSG_9not_fun_tINSD_8identityEEEEENSD_19counting_iterator_tIlEES8_S8_S8_S8_S8_S8_S8_S8_EEEEPS9_S9_NSD_9__find_if7functorIS9_EEEE10hipError_tPvRmT1_T2_T3_mT4_P12ihipStream_tbEUlT_E1_NS1_11comp_targetILNS1_3genE4ELNS1_11target_archE910ELNS1_3gpuE8ELNS1_3repE0EEENS1_30default_config_static_selectorELNS0_4arch9wavefront6targetE0EEEvS14_
		.amdhsa_group_segment_fixed_size 0
		.amdhsa_private_segment_fixed_size 0
		.amdhsa_kernarg_size 88
		.amdhsa_user_sgpr_count 6
		.amdhsa_user_sgpr_private_segment_buffer 1
		.amdhsa_user_sgpr_dispatch_ptr 0
		.amdhsa_user_sgpr_queue_ptr 0
		.amdhsa_user_sgpr_kernarg_segment_ptr 1
		.amdhsa_user_sgpr_dispatch_id 0
		.amdhsa_user_sgpr_flat_scratch_init 0
		.amdhsa_user_sgpr_private_segment_size 0
		.amdhsa_wavefront_size32 1
		.amdhsa_uses_dynamic_stack 0
		.amdhsa_system_sgpr_private_segment_wavefront_offset 0
		.amdhsa_system_sgpr_workgroup_id_x 1
		.amdhsa_system_sgpr_workgroup_id_y 0
		.amdhsa_system_sgpr_workgroup_id_z 0
		.amdhsa_system_sgpr_workgroup_info 0
		.amdhsa_system_vgpr_workitem_id 0
		.amdhsa_next_free_vgpr 1
		.amdhsa_next_free_sgpr 1
		.amdhsa_reserve_vcc 0
		.amdhsa_reserve_flat_scratch 0
		.amdhsa_float_round_mode_32 0
		.amdhsa_float_round_mode_16_64 0
		.amdhsa_float_denorm_mode_32 3
		.amdhsa_float_denorm_mode_16_64 3
		.amdhsa_dx10_clamp 1
		.amdhsa_ieee_mode 1
		.amdhsa_fp16_overflow 0
		.amdhsa_workgroup_processor_mode 1
		.amdhsa_memory_ordered 1
		.amdhsa_forward_progress 1
		.amdhsa_shared_vgpr_count 0
		.amdhsa_exception_fp_ieee_invalid_op 0
		.amdhsa_exception_fp_denorm_src 0
		.amdhsa_exception_fp_ieee_div_zero 0
		.amdhsa_exception_fp_ieee_overflow 0
		.amdhsa_exception_fp_ieee_underflow 0
		.amdhsa_exception_fp_ieee_inexact 0
		.amdhsa_exception_int_div_zero 0
	.end_amdhsa_kernel
	.section	.text._ZN7rocprim17ROCPRIM_400000_NS6detail17trampoline_kernelINS0_14default_configENS1_22reduce_config_selectorIN6thrust23THRUST_200600_302600_NS5tupleIblNS6_9null_typeES8_S8_S8_S8_S8_S8_S8_EEEEZNS1_11reduce_implILb1ES3_NS6_12zip_iteratorINS7_INS6_11hip_rocprim26transform_input_iterator_tIbNSD_35transform_pair_of_input_iterators_tIbNS6_6detail15normal_iteratorINS6_10device_ptrIKbEEEESL_NS6_8equal_toIbEEEENSG_9not_fun_tINSD_8identityEEEEENSD_19counting_iterator_tIlEES8_S8_S8_S8_S8_S8_S8_S8_EEEEPS9_S9_NSD_9__find_if7functorIS9_EEEE10hipError_tPvRmT1_T2_T3_mT4_P12ihipStream_tbEUlT_E1_NS1_11comp_targetILNS1_3genE4ELNS1_11target_archE910ELNS1_3gpuE8ELNS1_3repE0EEENS1_30default_config_static_selectorELNS0_4arch9wavefront6targetE0EEEvS14_,"axG",@progbits,_ZN7rocprim17ROCPRIM_400000_NS6detail17trampoline_kernelINS0_14default_configENS1_22reduce_config_selectorIN6thrust23THRUST_200600_302600_NS5tupleIblNS6_9null_typeES8_S8_S8_S8_S8_S8_S8_EEEEZNS1_11reduce_implILb1ES3_NS6_12zip_iteratorINS7_INS6_11hip_rocprim26transform_input_iterator_tIbNSD_35transform_pair_of_input_iterators_tIbNS6_6detail15normal_iteratorINS6_10device_ptrIKbEEEESL_NS6_8equal_toIbEEEENSG_9not_fun_tINSD_8identityEEEEENSD_19counting_iterator_tIlEES8_S8_S8_S8_S8_S8_S8_S8_EEEEPS9_S9_NSD_9__find_if7functorIS9_EEEE10hipError_tPvRmT1_T2_T3_mT4_P12ihipStream_tbEUlT_E1_NS1_11comp_targetILNS1_3genE4ELNS1_11target_archE910ELNS1_3gpuE8ELNS1_3repE0EEENS1_30default_config_static_selectorELNS0_4arch9wavefront6targetE0EEEvS14_,comdat
.Lfunc_end754:
	.size	_ZN7rocprim17ROCPRIM_400000_NS6detail17trampoline_kernelINS0_14default_configENS1_22reduce_config_selectorIN6thrust23THRUST_200600_302600_NS5tupleIblNS6_9null_typeES8_S8_S8_S8_S8_S8_S8_EEEEZNS1_11reduce_implILb1ES3_NS6_12zip_iteratorINS7_INS6_11hip_rocprim26transform_input_iterator_tIbNSD_35transform_pair_of_input_iterators_tIbNS6_6detail15normal_iteratorINS6_10device_ptrIKbEEEESL_NS6_8equal_toIbEEEENSG_9not_fun_tINSD_8identityEEEEENSD_19counting_iterator_tIlEES8_S8_S8_S8_S8_S8_S8_S8_EEEEPS9_S9_NSD_9__find_if7functorIS9_EEEE10hipError_tPvRmT1_T2_T3_mT4_P12ihipStream_tbEUlT_E1_NS1_11comp_targetILNS1_3genE4ELNS1_11target_archE910ELNS1_3gpuE8ELNS1_3repE0EEENS1_30default_config_static_selectorELNS0_4arch9wavefront6targetE0EEEvS14_, .Lfunc_end754-_ZN7rocprim17ROCPRIM_400000_NS6detail17trampoline_kernelINS0_14default_configENS1_22reduce_config_selectorIN6thrust23THRUST_200600_302600_NS5tupleIblNS6_9null_typeES8_S8_S8_S8_S8_S8_S8_EEEEZNS1_11reduce_implILb1ES3_NS6_12zip_iteratorINS7_INS6_11hip_rocprim26transform_input_iterator_tIbNSD_35transform_pair_of_input_iterators_tIbNS6_6detail15normal_iteratorINS6_10device_ptrIKbEEEESL_NS6_8equal_toIbEEEENSG_9not_fun_tINSD_8identityEEEEENSD_19counting_iterator_tIlEES8_S8_S8_S8_S8_S8_S8_S8_EEEEPS9_S9_NSD_9__find_if7functorIS9_EEEE10hipError_tPvRmT1_T2_T3_mT4_P12ihipStream_tbEUlT_E1_NS1_11comp_targetILNS1_3genE4ELNS1_11target_archE910ELNS1_3gpuE8ELNS1_3repE0EEENS1_30default_config_static_selectorELNS0_4arch9wavefront6targetE0EEEvS14_
                                        ; -- End function
	.set _ZN7rocprim17ROCPRIM_400000_NS6detail17trampoline_kernelINS0_14default_configENS1_22reduce_config_selectorIN6thrust23THRUST_200600_302600_NS5tupleIblNS6_9null_typeES8_S8_S8_S8_S8_S8_S8_EEEEZNS1_11reduce_implILb1ES3_NS6_12zip_iteratorINS7_INS6_11hip_rocprim26transform_input_iterator_tIbNSD_35transform_pair_of_input_iterators_tIbNS6_6detail15normal_iteratorINS6_10device_ptrIKbEEEESL_NS6_8equal_toIbEEEENSG_9not_fun_tINSD_8identityEEEEENSD_19counting_iterator_tIlEES8_S8_S8_S8_S8_S8_S8_S8_EEEEPS9_S9_NSD_9__find_if7functorIS9_EEEE10hipError_tPvRmT1_T2_T3_mT4_P12ihipStream_tbEUlT_E1_NS1_11comp_targetILNS1_3genE4ELNS1_11target_archE910ELNS1_3gpuE8ELNS1_3repE0EEENS1_30default_config_static_selectorELNS0_4arch9wavefront6targetE0EEEvS14_.num_vgpr, 0
	.set _ZN7rocprim17ROCPRIM_400000_NS6detail17trampoline_kernelINS0_14default_configENS1_22reduce_config_selectorIN6thrust23THRUST_200600_302600_NS5tupleIblNS6_9null_typeES8_S8_S8_S8_S8_S8_S8_EEEEZNS1_11reduce_implILb1ES3_NS6_12zip_iteratorINS7_INS6_11hip_rocprim26transform_input_iterator_tIbNSD_35transform_pair_of_input_iterators_tIbNS6_6detail15normal_iteratorINS6_10device_ptrIKbEEEESL_NS6_8equal_toIbEEEENSG_9not_fun_tINSD_8identityEEEEENSD_19counting_iterator_tIlEES8_S8_S8_S8_S8_S8_S8_S8_EEEEPS9_S9_NSD_9__find_if7functorIS9_EEEE10hipError_tPvRmT1_T2_T3_mT4_P12ihipStream_tbEUlT_E1_NS1_11comp_targetILNS1_3genE4ELNS1_11target_archE910ELNS1_3gpuE8ELNS1_3repE0EEENS1_30default_config_static_selectorELNS0_4arch9wavefront6targetE0EEEvS14_.num_agpr, 0
	.set _ZN7rocprim17ROCPRIM_400000_NS6detail17trampoline_kernelINS0_14default_configENS1_22reduce_config_selectorIN6thrust23THRUST_200600_302600_NS5tupleIblNS6_9null_typeES8_S8_S8_S8_S8_S8_S8_EEEEZNS1_11reduce_implILb1ES3_NS6_12zip_iteratorINS7_INS6_11hip_rocprim26transform_input_iterator_tIbNSD_35transform_pair_of_input_iterators_tIbNS6_6detail15normal_iteratorINS6_10device_ptrIKbEEEESL_NS6_8equal_toIbEEEENSG_9not_fun_tINSD_8identityEEEEENSD_19counting_iterator_tIlEES8_S8_S8_S8_S8_S8_S8_S8_EEEEPS9_S9_NSD_9__find_if7functorIS9_EEEE10hipError_tPvRmT1_T2_T3_mT4_P12ihipStream_tbEUlT_E1_NS1_11comp_targetILNS1_3genE4ELNS1_11target_archE910ELNS1_3gpuE8ELNS1_3repE0EEENS1_30default_config_static_selectorELNS0_4arch9wavefront6targetE0EEEvS14_.numbered_sgpr, 0
	.set _ZN7rocprim17ROCPRIM_400000_NS6detail17trampoline_kernelINS0_14default_configENS1_22reduce_config_selectorIN6thrust23THRUST_200600_302600_NS5tupleIblNS6_9null_typeES8_S8_S8_S8_S8_S8_S8_EEEEZNS1_11reduce_implILb1ES3_NS6_12zip_iteratorINS7_INS6_11hip_rocprim26transform_input_iterator_tIbNSD_35transform_pair_of_input_iterators_tIbNS6_6detail15normal_iteratorINS6_10device_ptrIKbEEEESL_NS6_8equal_toIbEEEENSG_9not_fun_tINSD_8identityEEEEENSD_19counting_iterator_tIlEES8_S8_S8_S8_S8_S8_S8_S8_EEEEPS9_S9_NSD_9__find_if7functorIS9_EEEE10hipError_tPvRmT1_T2_T3_mT4_P12ihipStream_tbEUlT_E1_NS1_11comp_targetILNS1_3genE4ELNS1_11target_archE910ELNS1_3gpuE8ELNS1_3repE0EEENS1_30default_config_static_selectorELNS0_4arch9wavefront6targetE0EEEvS14_.num_named_barrier, 0
	.set _ZN7rocprim17ROCPRIM_400000_NS6detail17trampoline_kernelINS0_14default_configENS1_22reduce_config_selectorIN6thrust23THRUST_200600_302600_NS5tupleIblNS6_9null_typeES8_S8_S8_S8_S8_S8_S8_EEEEZNS1_11reduce_implILb1ES3_NS6_12zip_iteratorINS7_INS6_11hip_rocprim26transform_input_iterator_tIbNSD_35transform_pair_of_input_iterators_tIbNS6_6detail15normal_iteratorINS6_10device_ptrIKbEEEESL_NS6_8equal_toIbEEEENSG_9not_fun_tINSD_8identityEEEEENSD_19counting_iterator_tIlEES8_S8_S8_S8_S8_S8_S8_S8_EEEEPS9_S9_NSD_9__find_if7functorIS9_EEEE10hipError_tPvRmT1_T2_T3_mT4_P12ihipStream_tbEUlT_E1_NS1_11comp_targetILNS1_3genE4ELNS1_11target_archE910ELNS1_3gpuE8ELNS1_3repE0EEENS1_30default_config_static_selectorELNS0_4arch9wavefront6targetE0EEEvS14_.private_seg_size, 0
	.set _ZN7rocprim17ROCPRIM_400000_NS6detail17trampoline_kernelINS0_14default_configENS1_22reduce_config_selectorIN6thrust23THRUST_200600_302600_NS5tupleIblNS6_9null_typeES8_S8_S8_S8_S8_S8_S8_EEEEZNS1_11reduce_implILb1ES3_NS6_12zip_iteratorINS7_INS6_11hip_rocprim26transform_input_iterator_tIbNSD_35transform_pair_of_input_iterators_tIbNS6_6detail15normal_iteratorINS6_10device_ptrIKbEEEESL_NS6_8equal_toIbEEEENSG_9not_fun_tINSD_8identityEEEEENSD_19counting_iterator_tIlEES8_S8_S8_S8_S8_S8_S8_S8_EEEEPS9_S9_NSD_9__find_if7functorIS9_EEEE10hipError_tPvRmT1_T2_T3_mT4_P12ihipStream_tbEUlT_E1_NS1_11comp_targetILNS1_3genE4ELNS1_11target_archE910ELNS1_3gpuE8ELNS1_3repE0EEENS1_30default_config_static_selectorELNS0_4arch9wavefront6targetE0EEEvS14_.uses_vcc, 0
	.set _ZN7rocprim17ROCPRIM_400000_NS6detail17trampoline_kernelINS0_14default_configENS1_22reduce_config_selectorIN6thrust23THRUST_200600_302600_NS5tupleIblNS6_9null_typeES8_S8_S8_S8_S8_S8_S8_EEEEZNS1_11reduce_implILb1ES3_NS6_12zip_iteratorINS7_INS6_11hip_rocprim26transform_input_iterator_tIbNSD_35transform_pair_of_input_iterators_tIbNS6_6detail15normal_iteratorINS6_10device_ptrIKbEEEESL_NS6_8equal_toIbEEEENSG_9not_fun_tINSD_8identityEEEEENSD_19counting_iterator_tIlEES8_S8_S8_S8_S8_S8_S8_S8_EEEEPS9_S9_NSD_9__find_if7functorIS9_EEEE10hipError_tPvRmT1_T2_T3_mT4_P12ihipStream_tbEUlT_E1_NS1_11comp_targetILNS1_3genE4ELNS1_11target_archE910ELNS1_3gpuE8ELNS1_3repE0EEENS1_30default_config_static_selectorELNS0_4arch9wavefront6targetE0EEEvS14_.uses_flat_scratch, 0
	.set _ZN7rocprim17ROCPRIM_400000_NS6detail17trampoline_kernelINS0_14default_configENS1_22reduce_config_selectorIN6thrust23THRUST_200600_302600_NS5tupleIblNS6_9null_typeES8_S8_S8_S8_S8_S8_S8_EEEEZNS1_11reduce_implILb1ES3_NS6_12zip_iteratorINS7_INS6_11hip_rocprim26transform_input_iterator_tIbNSD_35transform_pair_of_input_iterators_tIbNS6_6detail15normal_iteratorINS6_10device_ptrIKbEEEESL_NS6_8equal_toIbEEEENSG_9not_fun_tINSD_8identityEEEEENSD_19counting_iterator_tIlEES8_S8_S8_S8_S8_S8_S8_S8_EEEEPS9_S9_NSD_9__find_if7functorIS9_EEEE10hipError_tPvRmT1_T2_T3_mT4_P12ihipStream_tbEUlT_E1_NS1_11comp_targetILNS1_3genE4ELNS1_11target_archE910ELNS1_3gpuE8ELNS1_3repE0EEENS1_30default_config_static_selectorELNS0_4arch9wavefront6targetE0EEEvS14_.has_dyn_sized_stack, 0
	.set _ZN7rocprim17ROCPRIM_400000_NS6detail17trampoline_kernelINS0_14default_configENS1_22reduce_config_selectorIN6thrust23THRUST_200600_302600_NS5tupleIblNS6_9null_typeES8_S8_S8_S8_S8_S8_S8_EEEEZNS1_11reduce_implILb1ES3_NS6_12zip_iteratorINS7_INS6_11hip_rocprim26transform_input_iterator_tIbNSD_35transform_pair_of_input_iterators_tIbNS6_6detail15normal_iteratorINS6_10device_ptrIKbEEEESL_NS6_8equal_toIbEEEENSG_9not_fun_tINSD_8identityEEEEENSD_19counting_iterator_tIlEES8_S8_S8_S8_S8_S8_S8_S8_EEEEPS9_S9_NSD_9__find_if7functorIS9_EEEE10hipError_tPvRmT1_T2_T3_mT4_P12ihipStream_tbEUlT_E1_NS1_11comp_targetILNS1_3genE4ELNS1_11target_archE910ELNS1_3gpuE8ELNS1_3repE0EEENS1_30default_config_static_selectorELNS0_4arch9wavefront6targetE0EEEvS14_.has_recursion, 0
	.set _ZN7rocprim17ROCPRIM_400000_NS6detail17trampoline_kernelINS0_14default_configENS1_22reduce_config_selectorIN6thrust23THRUST_200600_302600_NS5tupleIblNS6_9null_typeES8_S8_S8_S8_S8_S8_S8_EEEEZNS1_11reduce_implILb1ES3_NS6_12zip_iteratorINS7_INS6_11hip_rocprim26transform_input_iterator_tIbNSD_35transform_pair_of_input_iterators_tIbNS6_6detail15normal_iteratorINS6_10device_ptrIKbEEEESL_NS6_8equal_toIbEEEENSG_9not_fun_tINSD_8identityEEEEENSD_19counting_iterator_tIlEES8_S8_S8_S8_S8_S8_S8_S8_EEEEPS9_S9_NSD_9__find_if7functorIS9_EEEE10hipError_tPvRmT1_T2_T3_mT4_P12ihipStream_tbEUlT_E1_NS1_11comp_targetILNS1_3genE4ELNS1_11target_archE910ELNS1_3gpuE8ELNS1_3repE0EEENS1_30default_config_static_selectorELNS0_4arch9wavefront6targetE0EEEvS14_.has_indirect_call, 0
	.section	.AMDGPU.csdata,"",@progbits
; Kernel info:
; codeLenInByte = 0
; TotalNumSgprs: 0
; NumVgprs: 0
; ScratchSize: 0
; MemoryBound: 0
; FloatMode: 240
; IeeeMode: 1
; LDSByteSize: 0 bytes/workgroup (compile time only)
; SGPRBlocks: 0
; VGPRBlocks: 0
; NumSGPRsForWavesPerEU: 1
; NumVGPRsForWavesPerEU: 1
; Occupancy: 16
; WaveLimiterHint : 0
; COMPUTE_PGM_RSRC2:SCRATCH_EN: 0
; COMPUTE_PGM_RSRC2:USER_SGPR: 6
; COMPUTE_PGM_RSRC2:TRAP_HANDLER: 0
; COMPUTE_PGM_RSRC2:TGID_X_EN: 1
; COMPUTE_PGM_RSRC2:TGID_Y_EN: 0
; COMPUTE_PGM_RSRC2:TGID_Z_EN: 0
; COMPUTE_PGM_RSRC2:TIDIG_COMP_CNT: 0
	.section	.text._ZN7rocprim17ROCPRIM_400000_NS6detail17trampoline_kernelINS0_14default_configENS1_22reduce_config_selectorIN6thrust23THRUST_200600_302600_NS5tupleIblNS6_9null_typeES8_S8_S8_S8_S8_S8_S8_EEEEZNS1_11reduce_implILb1ES3_NS6_12zip_iteratorINS7_INS6_11hip_rocprim26transform_input_iterator_tIbNSD_35transform_pair_of_input_iterators_tIbNS6_6detail15normal_iteratorINS6_10device_ptrIKbEEEESL_NS6_8equal_toIbEEEENSG_9not_fun_tINSD_8identityEEEEENSD_19counting_iterator_tIlEES8_S8_S8_S8_S8_S8_S8_S8_EEEEPS9_S9_NSD_9__find_if7functorIS9_EEEE10hipError_tPvRmT1_T2_T3_mT4_P12ihipStream_tbEUlT_E1_NS1_11comp_targetILNS1_3genE3ELNS1_11target_archE908ELNS1_3gpuE7ELNS1_3repE0EEENS1_30default_config_static_selectorELNS0_4arch9wavefront6targetE0EEEvS14_,"axG",@progbits,_ZN7rocprim17ROCPRIM_400000_NS6detail17trampoline_kernelINS0_14default_configENS1_22reduce_config_selectorIN6thrust23THRUST_200600_302600_NS5tupleIblNS6_9null_typeES8_S8_S8_S8_S8_S8_S8_EEEEZNS1_11reduce_implILb1ES3_NS6_12zip_iteratorINS7_INS6_11hip_rocprim26transform_input_iterator_tIbNSD_35transform_pair_of_input_iterators_tIbNS6_6detail15normal_iteratorINS6_10device_ptrIKbEEEESL_NS6_8equal_toIbEEEENSG_9not_fun_tINSD_8identityEEEEENSD_19counting_iterator_tIlEES8_S8_S8_S8_S8_S8_S8_S8_EEEEPS9_S9_NSD_9__find_if7functorIS9_EEEE10hipError_tPvRmT1_T2_T3_mT4_P12ihipStream_tbEUlT_E1_NS1_11comp_targetILNS1_3genE3ELNS1_11target_archE908ELNS1_3gpuE7ELNS1_3repE0EEENS1_30default_config_static_selectorELNS0_4arch9wavefront6targetE0EEEvS14_,comdat
	.protected	_ZN7rocprim17ROCPRIM_400000_NS6detail17trampoline_kernelINS0_14default_configENS1_22reduce_config_selectorIN6thrust23THRUST_200600_302600_NS5tupleIblNS6_9null_typeES8_S8_S8_S8_S8_S8_S8_EEEEZNS1_11reduce_implILb1ES3_NS6_12zip_iteratorINS7_INS6_11hip_rocprim26transform_input_iterator_tIbNSD_35transform_pair_of_input_iterators_tIbNS6_6detail15normal_iteratorINS6_10device_ptrIKbEEEESL_NS6_8equal_toIbEEEENSG_9not_fun_tINSD_8identityEEEEENSD_19counting_iterator_tIlEES8_S8_S8_S8_S8_S8_S8_S8_EEEEPS9_S9_NSD_9__find_if7functorIS9_EEEE10hipError_tPvRmT1_T2_T3_mT4_P12ihipStream_tbEUlT_E1_NS1_11comp_targetILNS1_3genE3ELNS1_11target_archE908ELNS1_3gpuE7ELNS1_3repE0EEENS1_30default_config_static_selectorELNS0_4arch9wavefront6targetE0EEEvS14_ ; -- Begin function _ZN7rocprim17ROCPRIM_400000_NS6detail17trampoline_kernelINS0_14default_configENS1_22reduce_config_selectorIN6thrust23THRUST_200600_302600_NS5tupleIblNS6_9null_typeES8_S8_S8_S8_S8_S8_S8_EEEEZNS1_11reduce_implILb1ES3_NS6_12zip_iteratorINS7_INS6_11hip_rocprim26transform_input_iterator_tIbNSD_35transform_pair_of_input_iterators_tIbNS6_6detail15normal_iteratorINS6_10device_ptrIKbEEEESL_NS6_8equal_toIbEEEENSG_9not_fun_tINSD_8identityEEEEENSD_19counting_iterator_tIlEES8_S8_S8_S8_S8_S8_S8_S8_EEEEPS9_S9_NSD_9__find_if7functorIS9_EEEE10hipError_tPvRmT1_T2_T3_mT4_P12ihipStream_tbEUlT_E1_NS1_11comp_targetILNS1_3genE3ELNS1_11target_archE908ELNS1_3gpuE7ELNS1_3repE0EEENS1_30default_config_static_selectorELNS0_4arch9wavefront6targetE0EEEvS14_
	.globl	_ZN7rocprim17ROCPRIM_400000_NS6detail17trampoline_kernelINS0_14default_configENS1_22reduce_config_selectorIN6thrust23THRUST_200600_302600_NS5tupleIblNS6_9null_typeES8_S8_S8_S8_S8_S8_S8_EEEEZNS1_11reduce_implILb1ES3_NS6_12zip_iteratorINS7_INS6_11hip_rocprim26transform_input_iterator_tIbNSD_35transform_pair_of_input_iterators_tIbNS6_6detail15normal_iteratorINS6_10device_ptrIKbEEEESL_NS6_8equal_toIbEEEENSG_9not_fun_tINSD_8identityEEEEENSD_19counting_iterator_tIlEES8_S8_S8_S8_S8_S8_S8_S8_EEEEPS9_S9_NSD_9__find_if7functorIS9_EEEE10hipError_tPvRmT1_T2_T3_mT4_P12ihipStream_tbEUlT_E1_NS1_11comp_targetILNS1_3genE3ELNS1_11target_archE908ELNS1_3gpuE7ELNS1_3repE0EEENS1_30default_config_static_selectorELNS0_4arch9wavefront6targetE0EEEvS14_
	.p2align	8
	.type	_ZN7rocprim17ROCPRIM_400000_NS6detail17trampoline_kernelINS0_14default_configENS1_22reduce_config_selectorIN6thrust23THRUST_200600_302600_NS5tupleIblNS6_9null_typeES8_S8_S8_S8_S8_S8_S8_EEEEZNS1_11reduce_implILb1ES3_NS6_12zip_iteratorINS7_INS6_11hip_rocprim26transform_input_iterator_tIbNSD_35transform_pair_of_input_iterators_tIbNS6_6detail15normal_iteratorINS6_10device_ptrIKbEEEESL_NS6_8equal_toIbEEEENSG_9not_fun_tINSD_8identityEEEEENSD_19counting_iterator_tIlEES8_S8_S8_S8_S8_S8_S8_S8_EEEEPS9_S9_NSD_9__find_if7functorIS9_EEEE10hipError_tPvRmT1_T2_T3_mT4_P12ihipStream_tbEUlT_E1_NS1_11comp_targetILNS1_3genE3ELNS1_11target_archE908ELNS1_3gpuE7ELNS1_3repE0EEENS1_30default_config_static_selectorELNS0_4arch9wavefront6targetE0EEEvS14_,@function
_ZN7rocprim17ROCPRIM_400000_NS6detail17trampoline_kernelINS0_14default_configENS1_22reduce_config_selectorIN6thrust23THRUST_200600_302600_NS5tupleIblNS6_9null_typeES8_S8_S8_S8_S8_S8_S8_EEEEZNS1_11reduce_implILb1ES3_NS6_12zip_iteratorINS7_INS6_11hip_rocprim26transform_input_iterator_tIbNSD_35transform_pair_of_input_iterators_tIbNS6_6detail15normal_iteratorINS6_10device_ptrIKbEEEESL_NS6_8equal_toIbEEEENSG_9not_fun_tINSD_8identityEEEEENSD_19counting_iterator_tIlEES8_S8_S8_S8_S8_S8_S8_S8_EEEEPS9_S9_NSD_9__find_if7functorIS9_EEEE10hipError_tPvRmT1_T2_T3_mT4_P12ihipStream_tbEUlT_E1_NS1_11comp_targetILNS1_3genE3ELNS1_11target_archE908ELNS1_3gpuE7ELNS1_3repE0EEENS1_30default_config_static_selectorELNS0_4arch9wavefront6targetE0EEEvS14_: ; @_ZN7rocprim17ROCPRIM_400000_NS6detail17trampoline_kernelINS0_14default_configENS1_22reduce_config_selectorIN6thrust23THRUST_200600_302600_NS5tupleIblNS6_9null_typeES8_S8_S8_S8_S8_S8_S8_EEEEZNS1_11reduce_implILb1ES3_NS6_12zip_iteratorINS7_INS6_11hip_rocprim26transform_input_iterator_tIbNSD_35transform_pair_of_input_iterators_tIbNS6_6detail15normal_iteratorINS6_10device_ptrIKbEEEESL_NS6_8equal_toIbEEEENSG_9not_fun_tINSD_8identityEEEEENSD_19counting_iterator_tIlEES8_S8_S8_S8_S8_S8_S8_S8_EEEEPS9_S9_NSD_9__find_if7functorIS9_EEEE10hipError_tPvRmT1_T2_T3_mT4_P12ihipStream_tbEUlT_E1_NS1_11comp_targetILNS1_3genE3ELNS1_11target_archE908ELNS1_3gpuE7ELNS1_3repE0EEENS1_30default_config_static_selectorELNS0_4arch9wavefront6targetE0EEEvS14_
; %bb.0:
	.section	.rodata,"a",@progbits
	.p2align	6, 0x0
	.amdhsa_kernel _ZN7rocprim17ROCPRIM_400000_NS6detail17trampoline_kernelINS0_14default_configENS1_22reduce_config_selectorIN6thrust23THRUST_200600_302600_NS5tupleIblNS6_9null_typeES8_S8_S8_S8_S8_S8_S8_EEEEZNS1_11reduce_implILb1ES3_NS6_12zip_iteratorINS7_INS6_11hip_rocprim26transform_input_iterator_tIbNSD_35transform_pair_of_input_iterators_tIbNS6_6detail15normal_iteratorINS6_10device_ptrIKbEEEESL_NS6_8equal_toIbEEEENSG_9not_fun_tINSD_8identityEEEEENSD_19counting_iterator_tIlEES8_S8_S8_S8_S8_S8_S8_S8_EEEEPS9_S9_NSD_9__find_if7functorIS9_EEEE10hipError_tPvRmT1_T2_T3_mT4_P12ihipStream_tbEUlT_E1_NS1_11comp_targetILNS1_3genE3ELNS1_11target_archE908ELNS1_3gpuE7ELNS1_3repE0EEENS1_30default_config_static_selectorELNS0_4arch9wavefront6targetE0EEEvS14_
		.amdhsa_group_segment_fixed_size 0
		.amdhsa_private_segment_fixed_size 0
		.amdhsa_kernarg_size 88
		.amdhsa_user_sgpr_count 6
		.amdhsa_user_sgpr_private_segment_buffer 1
		.amdhsa_user_sgpr_dispatch_ptr 0
		.amdhsa_user_sgpr_queue_ptr 0
		.amdhsa_user_sgpr_kernarg_segment_ptr 1
		.amdhsa_user_sgpr_dispatch_id 0
		.amdhsa_user_sgpr_flat_scratch_init 0
		.amdhsa_user_sgpr_private_segment_size 0
		.amdhsa_wavefront_size32 1
		.amdhsa_uses_dynamic_stack 0
		.amdhsa_system_sgpr_private_segment_wavefront_offset 0
		.amdhsa_system_sgpr_workgroup_id_x 1
		.amdhsa_system_sgpr_workgroup_id_y 0
		.amdhsa_system_sgpr_workgroup_id_z 0
		.amdhsa_system_sgpr_workgroup_info 0
		.amdhsa_system_vgpr_workitem_id 0
		.amdhsa_next_free_vgpr 1
		.amdhsa_next_free_sgpr 1
		.amdhsa_reserve_vcc 0
		.amdhsa_reserve_flat_scratch 0
		.amdhsa_float_round_mode_32 0
		.amdhsa_float_round_mode_16_64 0
		.amdhsa_float_denorm_mode_32 3
		.amdhsa_float_denorm_mode_16_64 3
		.amdhsa_dx10_clamp 1
		.amdhsa_ieee_mode 1
		.amdhsa_fp16_overflow 0
		.amdhsa_workgroup_processor_mode 1
		.amdhsa_memory_ordered 1
		.amdhsa_forward_progress 1
		.amdhsa_shared_vgpr_count 0
		.amdhsa_exception_fp_ieee_invalid_op 0
		.amdhsa_exception_fp_denorm_src 0
		.amdhsa_exception_fp_ieee_div_zero 0
		.amdhsa_exception_fp_ieee_overflow 0
		.amdhsa_exception_fp_ieee_underflow 0
		.amdhsa_exception_fp_ieee_inexact 0
		.amdhsa_exception_int_div_zero 0
	.end_amdhsa_kernel
	.section	.text._ZN7rocprim17ROCPRIM_400000_NS6detail17trampoline_kernelINS0_14default_configENS1_22reduce_config_selectorIN6thrust23THRUST_200600_302600_NS5tupleIblNS6_9null_typeES8_S8_S8_S8_S8_S8_S8_EEEEZNS1_11reduce_implILb1ES3_NS6_12zip_iteratorINS7_INS6_11hip_rocprim26transform_input_iterator_tIbNSD_35transform_pair_of_input_iterators_tIbNS6_6detail15normal_iteratorINS6_10device_ptrIKbEEEESL_NS6_8equal_toIbEEEENSG_9not_fun_tINSD_8identityEEEEENSD_19counting_iterator_tIlEES8_S8_S8_S8_S8_S8_S8_S8_EEEEPS9_S9_NSD_9__find_if7functorIS9_EEEE10hipError_tPvRmT1_T2_T3_mT4_P12ihipStream_tbEUlT_E1_NS1_11comp_targetILNS1_3genE3ELNS1_11target_archE908ELNS1_3gpuE7ELNS1_3repE0EEENS1_30default_config_static_selectorELNS0_4arch9wavefront6targetE0EEEvS14_,"axG",@progbits,_ZN7rocprim17ROCPRIM_400000_NS6detail17trampoline_kernelINS0_14default_configENS1_22reduce_config_selectorIN6thrust23THRUST_200600_302600_NS5tupleIblNS6_9null_typeES8_S8_S8_S8_S8_S8_S8_EEEEZNS1_11reduce_implILb1ES3_NS6_12zip_iteratorINS7_INS6_11hip_rocprim26transform_input_iterator_tIbNSD_35transform_pair_of_input_iterators_tIbNS6_6detail15normal_iteratorINS6_10device_ptrIKbEEEESL_NS6_8equal_toIbEEEENSG_9not_fun_tINSD_8identityEEEEENSD_19counting_iterator_tIlEES8_S8_S8_S8_S8_S8_S8_S8_EEEEPS9_S9_NSD_9__find_if7functorIS9_EEEE10hipError_tPvRmT1_T2_T3_mT4_P12ihipStream_tbEUlT_E1_NS1_11comp_targetILNS1_3genE3ELNS1_11target_archE908ELNS1_3gpuE7ELNS1_3repE0EEENS1_30default_config_static_selectorELNS0_4arch9wavefront6targetE0EEEvS14_,comdat
.Lfunc_end755:
	.size	_ZN7rocprim17ROCPRIM_400000_NS6detail17trampoline_kernelINS0_14default_configENS1_22reduce_config_selectorIN6thrust23THRUST_200600_302600_NS5tupleIblNS6_9null_typeES8_S8_S8_S8_S8_S8_S8_EEEEZNS1_11reduce_implILb1ES3_NS6_12zip_iteratorINS7_INS6_11hip_rocprim26transform_input_iterator_tIbNSD_35transform_pair_of_input_iterators_tIbNS6_6detail15normal_iteratorINS6_10device_ptrIKbEEEESL_NS6_8equal_toIbEEEENSG_9not_fun_tINSD_8identityEEEEENSD_19counting_iterator_tIlEES8_S8_S8_S8_S8_S8_S8_S8_EEEEPS9_S9_NSD_9__find_if7functorIS9_EEEE10hipError_tPvRmT1_T2_T3_mT4_P12ihipStream_tbEUlT_E1_NS1_11comp_targetILNS1_3genE3ELNS1_11target_archE908ELNS1_3gpuE7ELNS1_3repE0EEENS1_30default_config_static_selectorELNS0_4arch9wavefront6targetE0EEEvS14_, .Lfunc_end755-_ZN7rocprim17ROCPRIM_400000_NS6detail17trampoline_kernelINS0_14default_configENS1_22reduce_config_selectorIN6thrust23THRUST_200600_302600_NS5tupleIblNS6_9null_typeES8_S8_S8_S8_S8_S8_S8_EEEEZNS1_11reduce_implILb1ES3_NS6_12zip_iteratorINS7_INS6_11hip_rocprim26transform_input_iterator_tIbNSD_35transform_pair_of_input_iterators_tIbNS6_6detail15normal_iteratorINS6_10device_ptrIKbEEEESL_NS6_8equal_toIbEEEENSG_9not_fun_tINSD_8identityEEEEENSD_19counting_iterator_tIlEES8_S8_S8_S8_S8_S8_S8_S8_EEEEPS9_S9_NSD_9__find_if7functorIS9_EEEE10hipError_tPvRmT1_T2_T3_mT4_P12ihipStream_tbEUlT_E1_NS1_11comp_targetILNS1_3genE3ELNS1_11target_archE908ELNS1_3gpuE7ELNS1_3repE0EEENS1_30default_config_static_selectorELNS0_4arch9wavefront6targetE0EEEvS14_
                                        ; -- End function
	.set _ZN7rocprim17ROCPRIM_400000_NS6detail17trampoline_kernelINS0_14default_configENS1_22reduce_config_selectorIN6thrust23THRUST_200600_302600_NS5tupleIblNS6_9null_typeES8_S8_S8_S8_S8_S8_S8_EEEEZNS1_11reduce_implILb1ES3_NS6_12zip_iteratorINS7_INS6_11hip_rocprim26transform_input_iterator_tIbNSD_35transform_pair_of_input_iterators_tIbNS6_6detail15normal_iteratorINS6_10device_ptrIKbEEEESL_NS6_8equal_toIbEEEENSG_9not_fun_tINSD_8identityEEEEENSD_19counting_iterator_tIlEES8_S8_S8_S8_S8_S8_S8_S8_EEEEPS9_S9_NSD_9__find_if7functorIS9_EEEE10hipError_tPvRmT1_T2_T3_mT4_P12ihipStream_tbEUlT_E1_NS1_11comp_targetILNS1_3genE3ELNS1_11target_archE908ELNS1_3gpuE7ELNS1_3repE0EEENS1_30default_config_static_selectorELNS0_4arch9wavefront6targetE0EEEvS14_.num_vgpr, 0
	.set _ZN7rocprim17ROCPRIM_400000_NS6detail17trampoline_kernelINS0_14default_configENS1_22reduce_config_selectorIN6thrust23THRUST_200600_302600_NS5tupleIblNS6_9null_typeES8_S8_S8_S8_S8_S8_S8_EEEEZNS1_11reduce_implILb1ES3_NS6_12zip_iteratorINS7_INS6_11hip_rocprim26transform_input_iterator_tIbNSD_35transform_pair_of_input_iterators_tIbNS6_6detail15normal_iteratorINS6_10device_ptrIKbEEEESL_NS6_8equal_toIbEEEENSG_9not_fun_tINSD_8identityEEEEENSD_19counting_iterator_tIlEES8_S8_S8_S8_S8_S8_S8_S8_EEEEPS9_S9_NSD_9__find_if7functorIS9_EEEE10hipError_tPvRmT1_T2_T3_mT4_P12ihipStream_tbEUlT_E1_NS1_11comp_targetILNS1_3genE3ELNS1_11target_archE908ELNS1_3gpuE7ELNS1_3repE0EEENS1_30default_config_static_selectorELNS0_4arch9wavefront6targetE0EEEvS14_.num_agpr, 0
	.set _ZN7rocprim17ROCPRIM_400000_NS6detail17trampoline_kernelINS0_14default_configENS1_22reduce_config_selectorIN6thrust23THRUST_200600_302600_NS5tupleIblNS6_9null_typeES8_S8_S8_S8_S8_S8_S8_EEEEZNS1_11reduce_implILb1ES3_NS6_12zip_iteratorINS7_INS6_11hip_rocprim26transform_input_iterator_tIbNSD_35transform_pair_of_input_iterators_tIbNS6_6detail15normal_iteratorINS6_10device_ptrIKbEEEESL_NS6_8equal_toIbEEEENSG_9not_fun_tINSD_8identityEEEEENSD_19counting_iterator_tIlEES8_S8_S8_S8_S8_S8_S8_S8_EEEEPS9_S9_NSD_9__find_if7functorIS9_EEEE10hipError_tPvRmT1_T2_T3_mT4_P12ihipStream_tbEUlT_E1_NS1_11comp_targetILNS1_3genE3ELNS1_11target_archE908ELNS1_3gpuE7ELNS1_3repE0EEENS1_30default_config_static_selectorELNS0_4arch9wavefront6targetE0EEEvS14_.numbered_sgpr, 0
	.set _ZN7rocprim17ROCPRIM_400000_NS6detail17trampoline_kernelINS0_14default_configENS1_22reduce_config_selectorIN6thrust23THRUST_200600_302600_NS5tupleIblNS6_9null_typeES8_S8_S8_S8_S8_S8_S8_EEEEZNS1_11reduce_implILb1ES3_NS6_12zip_iteratorINS7_INS6_11hip_rocprim26transform_input_iterator_tIbNSD_35transform_pair_of_input_iterators_tIbNS6_6detail15normal_iteratorINS6_10device_ptrIKbEEEESL_NS6_8equal_toIbEEEENSG_9not_fun_tINSD_8identityEEEEENSD_19counting_iterator_tIlEES8_S8_S8_S8_S8_S8_S8_S8_EEEEPS9_S9_NSD_9__find_if7functorIS9_EEEE10hipError_tPvRmT1_T2_T3_mT4_P12ihipStream_tbEUlT_E1_NS1_11comp_targetILNS1_3genE3ELNS1_11target_archE908ELNS1_3gpuE7ELNS1_3repE0EEENS1_30default_config_static_selectorELNS0_4arch9wavefront6targetE0EEEvS14_.num_named_barrier, 0
	.set _ZN7rocprim17ROCPRIM_400000_NS6detail17trampoline_kernelINS0_14default_configENS1_22reduce_config_selectorIN6thrust23THRUST_200600_302600_NS5tupleIblNS6_9null_typeES8_S8_S8_S8_S8_S8_S8_EEEEZNS1_11reduce_implILb1ES3_NS6_12zip_iteratorINS7_INS6_11hip_rocprim26transform_input_iterator_tIbNSD_35transform_pair_of_input_iterators_tIbNS6_6detail15normal_iteratorINS6_10device_ptrIKbEEEESL_NS6_8equal_toIbEEEENSG_9not_fun_tINSD_8identityEEEEENSD_19counting_iterator_tIlEES8_S8_S8_S8_S8_S8_S8_S8_EEEEPS9_S9_NSD_9__find_if7functorIS9_EEEE10hipError_tPvRmT1_T2_T3_mT4_P12ihipStream_tbEUlT_E1_NS1_11comp_targetILNS1_3genE3ELNS1_11target_archE908ELNS1_3gpuE7ELNS1_3repE0EEENS1_30default_config_static_selectorELNS0_4arch9wavefront6targetE0EEEvS14_.private_seg_size, 0
	.set _ZN7rocprim17ROCPRIM_400000_NS6detail17trampoline_kernelINS0_14default_configENS1_22reduce_config_selectorIN6thrust23THRUST_200600_302600_NS5tupleIblNS6_9null_typeES8_S8_S8_S8_S8_S8_S8_EEEEZNS1_11reduce_implILb1ES3_NS6_12zip_iteratorINS7_INS6_11hip_rocprim26transform_input_iterator_tIbNSD_35transform_pair_of_input_iterators_tIbNS6_6detail15normal_iteratorINS6_10device_ptrIKbEEEESL_NS6_8equal_toIbEEEENSG_9not_fun_tINSD_8identityEEEEENSD_19counting_iterator_tIlEES8_S8_S8_S8_S8_S8_S8_S8_EEEEPS9_S9_NSD_9__find_if7functorIS9_EEEE10hipError_tPvRmT1_T2_T3_mT4_P12ihipStream_tbEUlT_E1_NS1_11comp_targetILNS1_3genE3ELNS1_11target_archE908ELNS1_3gpuE7ELNS1_3repE0EEENS1_30default_config_static_selectorELNS0_4arch9wavefront6targetE0EEEvS14_.uses_vcc, 0
	.set _ZN7rocprim17ROCPRIM_400000_NS6detail17trampoline_kernelINS0_14default_configENS1_22reduce_config_selectorIN6thrust23THRUST_200600_302600_NS5tupleIblNS6_9null_typeES8_S8_S8_S8_S8_S8_S8_EEEEZNS1_11reduce_implILb1ES3_NS6_12zip_iteratorINS7_INS6_11hip_rocprim26transform_input_iterator_tIbNSD_35transform_pair_of_input_iterators_tIbNS6_6detail15normal_iteratorINS6_10device_ptrIKbEEEESL_NS6_8equal_toIbEEEENSG_9not_fun_tINSD_8identityEEEEENSD_19counting_iterator_tIlEES8_S8_S8_S8_S8_S8_S8_S8_EEEEPS9_S9_NSD_9__find_if7functorIS9_EEEE10hipError_tPvRmT1_T2_T3_mT4_P12ihipStream_tbEUlT_E1_NS1_11comp_targetILNS1_3genE3ELNS1_11target_archE908ELNS1_3gpuE7ELNS1_3repE0EEENS1_30default_config_static_selectorELNS0_4arch9wavefront6targetE0EEEvS14_.uses_flat_scratch, 0
	.set _ZN7rocprim17ROCPRIM_400000_NS6detail17trampoline_kernelINS0_14default_configENS1_22reduce_config_selectorIN6thrust23THRUST_200600_302600_NS5tupleIblNS6_9null_typeES8_S8_S8_S8_S8_S8_S8_EEEEZNS1_11reduce_implILb1ES3_NS6_12zip_iteratorINS7_INS6_11hip_rocprim26transform_input_iterator_tIbNSD_35transform_pair_of_input_iterators_tIbNS6_6detail15normal_iteratorINS6_10device_ptrIKbEEEESL_NS6_8equal_toIbEEEENSG_9not_fun_tINSD_8identityEEEEENSD_19counting_iterator_tIlEES8_S8_S8_S8_S8_S8_S8_S8_EEEEPS9_S9_NSD_9__find_if7functorIS9_EEEE10hipError_tPvRmT1_T2_T3_mT4_P12ihipStream_tbEUlT_E1_NS1_11comp_targetILNS1_3genE3ELNS1_11target_archE908ELNS1_3gpuE7ELNS1_3repE0EEENS1_30default_config_static_selectorELNS0_4arch9wavefront6targetE0EEEvS14_.has_dyn_sized_stack, 0
	.set _ZN7rocprim17ROCPRIM_400000_NS6detail17trampoline_kernelINS0_14default_configENS1_22reduce_config_selectorIN6thrust23THRUST_200600_302600_NS5tupleIblNS6_9null_typeES8_S8_S8_S8_S8_S8_S8_EEEEZNS1_11reduce_implILb1ES3_NS6_12zip_iteratorINS7_INS6_11hip_rocprim26transform_input_iterator_tIbNSD_35transform_pair_of_input_iterators_tIbNS6_6detail15normal_iteratorINS6_10device_ptrIKbEEEESL_NS6_8equal_toIbEEEENSG_9not_fun_tINSD_8identityEEEEENSD_19counting_iterator_tIlEES8_S8_S8_S8_S8_S8_S8_S8_EEEEPS9_S9_NSD_9__find_if7functorIS9_EEEE10hipError_tPvRmT1_T2_T3_mT4_P12ihipStream_tbEUlT_E1_NS1_11comp_targetILNS1_3genE3ELNS1_11target_archE908ELNS1_3gpuE7ELNS1_3repE0EEENS1_30default_config_static_selectorELNS0_4arch9wavefront6targetE0EEEvS14_.has_recursion, 0
	.set _ZN7rocprim17ROCPRIM_400000_NS6detail17trampoline_kernelINS0_14default_configENS1_22reduce_config_selectorIN6thrust23THRUST_200600_302600_NS5tupleIblNS6_9null_typeES8_S8_S8_S8_S8_S8_S8_EEEEZNS1_11reduce_implILb1ES3_NS6_12zip_iteratorINS7_INS6_11hip_rocprim26transform_input_iterator_tIbNSD_35transform_pair_of_input_iterators_tIbNS6_6detail15normal_iteratorINS6_10device_ptrIKbEEEESL_NS6_8equal_toIbEEEENSG_9not_fun_tINSD_8identityEEEEENSD_19counting_iterator_tIlEES8_S8_S8_S8_S8_S8_S8_S8_EEEEPS9_S9_NSD_9__find_if7functorIS9_EEEE10hipError_tPvRmT1_T2_T3_mT4_P12ihipStream_tbEUlT_E1_NS1_11comp_targetILNS1_3genE3ELNS1_11target_archE908ELNS1_3gpuE7ELNS1_3repE0EEENS1_30default_config_static_selectorELNS0_4arch9wavefront6targetE0EEEvS14_.has_indirect_call, 0
	.section	.AMDGPU.csdata,"",@progbits
; Kernel info:
; codeLenInByte = 0
; TotalNumSgprs: 0
; NumVgprs: 0
; ScratchSize: 0
; MemoryBound: 0
; FloatMode: 240
; IeeeMode: 1
; LDSByteSize: 0 bytes/workgroup (compile time only)
; SGPRBlocks: 0
; VGPRBlocks: 0
; NumSGPRsForWavesPerEU: 1
; NumVGPRsForWavesPerEU: 1
; Occupancy: 16
; WaveLimiterHint : 0
; COMPUTE_PGM_RSRC2:SCRATCH_EN: 0
; COMPUTE_PGM_RSRC2:USER_SGPR: 6
; COMPUTE_PGM_RSRC2:TRAP_HANDLER: 0
; COMPUTE_PGM_RSRC2:TGID_X_EN: 1
; COMPUTE_PGM_RSRC2:TGID_Y_EN: 0
; COMPUTE_PGM_RSRC2:TGID_Z_EN: 0
; COMPUTE_PGM_RSRC2:TIDIG_COMP_CNT: 0
	.section	.text._ZN7rocprim17ROCPRIM_400000_NS6detail17trampoline_kernelINS0_14default_configENS1_22reduce_config_selectorIN6thrust23THRUST_200600_302600_NS5tupleIblNS6_9null_typeES8_S8_S8_S8_S8_S8_S8_EEEEZNS1_11reduce_implILb1ES3_NS6_12zip_iteratorINS7_INS6_11hip_rocprim26transform_input_iterator_tIbNSD_35transform_pair_of_input_iterators_tIbNS6_6detail15normal_iteratorINS6_10device_ptrIKbEEEESL_NS6_8equal_toIbEEEENSG_9not_fun_tINSD_8identityEEEEENSD_19counting_iterator_tIlEES8_S8_S8_S8_S8_S8_S8_S8_EEEEPS9_S9_NSD_9__find_if7functorIS9_EEEE10hipError_tPvRmT1_T2_T3_mT4_P12ihipStream_tbEUlT_E1_NS1_11comp_targetILNS1_3genE2ELNS1_11target_archE906ELNS1_3gpuE6ELNS1_3repE0EEENS1_30default_config_static_selectorELNS0_4arch9wavefront6targetE0EEEvS14_,"axG",@progbits,_ZN7rocprim17ROCPRIM_400000_NS6detail17trampoline_kernelINS0_14default_configENS1_22reduce_config_selectorIN6thrust23THRUST_200600_302600_NS5tupleIblNS6_9null_typeES8_S8_S8_S8_S8_S8_S8_EEEEZNS1_11reduce_implILb1ES3_NS6_12zip_iteratorINS7_INS6_11hip_rocprim26transform_input_iterator_tIbNSD_35transform_pair_of_input_iterators_tIbNS6_6detail15normal_iteratorINS6_10device_ptrIKbEEEESL_NS6_8equal_toIbEEEENSG_9not_fun_tINSD_8identityEEEEENSD_19counting_iterator_tIlEES8_S8_S8_S8_S8_S8_S8_S8_EEEEPS9_S9_NSD_9__find_if7functorIS9_EEEE10hipError_tPvRmT1_T2_T3_mT4_P12ihipStream_tbEUlT_E1_NS1_11comp_targetILNS1_3genE2ELNS1_11target_archE906ELNS1_3gpuE6ELNS1_3repE0EEENS1_30default_config_static_selectorELNS0_4arch9wavefront6targetE0EEEvS14_,comdat
	.protected	_ZN7rocprim17ROCPRIM_400000_NS6detail17trampoline_kernelINS0_14default_configENS1_22reduce_config_selectorIN6thrust23THRUST_200600_302600_NS5tupleIblNS6_9null_typeES8_S8_S8_S8_S8_S8_S8_EEEEZNS1_11reduce_implILb1ES3_NS6_12zip_iteratorINS7_INS6_11hip_rocprim26transform_input_iterator_tIbNSD_35transform_pair_of_input_iterators_tIbNS6_6detail15normal_iteratorINS6_10device_ptrIKbEEEESL_NS6_8equal_toIbEEEENSG_9not_fun_tINSD_8identityEEEEENSD_19counting_iterator_tIlEES8_S8_S8_S8_S8_S8_S8_S8_EEEEPS9_S9_NSD_9__find_if7functorIS9_EEEE10hipError_tPvRmT1_T2_T3_mT4_P12ihipStream_tbEUlT_E1_NS1_11comp_targetILNS1_3genE2ELNS1_11target_archE906ELNS1_3gpuE6ELNS1_3repE0EEENS1_30default_config_static_selectorELNS0_4arch9wavefront6targetE0EEEvS14_ ; -- Begin function _ZN7rocprim17ROCPRIM_400000_NS6detail17trampoline_kernelINS0_14default_configENS1_22reduce_config_selectorIN6thrust23THRUST_200600_302600_NS5tupleIblNS6_9null_typeES8_S8_S8_S8_S8_S8_S8_EEEEZNS1_11reduce_implILb1ES3_NS6_12zip_iteratorINS7_INS6_11hip_rocprim26transform_input_iterator_tIbNSD_35transform_pair_of_input_iterators_tIbNS6_6detail15normal_iteratorINS6_10device_ptrIKbEEEESL_NS6_8equal_toIbEEEENSG_9not_fun_tINSD_8identityEEEEENSD_19counting_iterator_tIlEES8_S8_S8_S8_S8_S8_S8_S8_EEEEPS9_S9_NSD_9__find_if7functorIS9_EEEE10hipError_tPvRmT1_T2_T3_mT4_P12ihipStream_tbEUlT_E1_NS1_11comp_targetILNS1_3genE2ELNS1_11target_archE906ELNS1_3gpuE6ELNS1_3repE0EEENS1_30default_config_static_selectorELNS0_4arch9wavefront6targetE0EEEvS14_
	.globl	_ZN7rocprim17ROCPRIM_400000_NS6detail17trampoline_kernelINS0_14default_configENS1_22reduce_config_selectorIN6thrust23THRUST_200600_302600_NS5tupleIblNS6_9null_typeES8_S8_S8_S8_S8_S8_S8_EEEEZNS1_11reduce_implILb1ES3_NS6_12zip_iteratorINS7_INS6_11hip_rocprim26transform_input_iterator_tIbNSD_35transform_pair_of_input_iterators_tIbNS6_6detail15normal_iteratorINS6_10device_ptrIKbEEEESL_NS6_8equal_toIbEEEENSG_9not_fun_tINSD_8identityEEEEENSD_19counting_iterator_tIlEES8_S8_S8_S8_S8_S8_S8_S8_EEEEPS9_S9_NSD_9__find_if7functorIS9_EEEE10hipError_tPvRmT1_T2_T3_mT4_P12ihipStream_tbEUlT_E1_NS1_11comp_targetILNS1_3genE2ELNS1_11target_archE906ELNS1_3gpuE6ELNS1_3repE0EEENS1_30default_config_static_selectorELNS0_4arch9wavefront6targetE0EEEvS14_
	.p2align	8
	.type	_ZN7rocprim17ROCPRIM_400000_NS6detail17trampoline_kernelINS0_14default_configENS1_22reduce_config_selectorIN6thrust23THRUST_200600_302600_NS5tupleIblNS6_9null_typeES8_S8_S8_S8_S8_S8_S8_EEEEZNS1_11reduce_implILb1ES3_NS6_12zip_iteratorINS7_INS6_11hip_rocprim26transform_input_iterator_tIbNSD_35transform_pair_of_input_iterators_tIbNS6_6detail15normal_iteratorINS6_10device_ptrIKbEEEESL_NS6_8equal_toIbEEEENSG_9not_fun_tINSD_8identityEEEEENSD_19counting_iterator_tIlEES8_S8_S8_S8_S8_S8_S8_S8_EEEEPS9_S9_NSD_9__find_if7functorIS9_EEEE10hipError_tPvRmT1_T2_T3_mT4_P12ihipStream_tbEUlT_E1_NS1_11comp_targetILNS1_3genE2ELNS1_11target_archE906ELNS1_3gpuE6ELNS1_3repE0EEENS1_30default_config_static_selectorELNS0_4arch9wavefront6targetE0EEEvS14_,@function
_ZN7rocprim17ROCPRIM_400000_NS6detail17trampoline_kernelINS0_14default_configENS1_22reduce_config_selectorIN6thrust23THRUST_200600_302600_NS5tupleIblNS6_9null_typeES8_S8_S8_S8_S8_S8_S8_EEEEZNS1_11reduce_implILb1ES3_NS6_12zip_iteratorINS7_INS6_11hip_rocprim26transform_input_iterator_tIbNSD_35transform_pair_of_input_iterators_tIbNS6_6detail15normal_iteratorINS6_10device_ptrIKbEEEESL_NS6_8equal_toIbEEEENSG_9not_fun_tINSD_8identityEEEEENSD_19counting_iterator_tIlEES8_S8_S8_S8_S8_S8_S8_S8_EEEEPS9_S9_NSD_9__find_if7functorIS9_EEEE10hipError_tPvRmT1_T2_T3_mT4_P12ihipStream_tbEUlT_E1_NS1_11comp_targetILNS1_3genE2ELNS1_11target_archE906ELNS1_3gpuE6ELNS1_3repE0EEENS1_30default_config_static_selectorELNS0_4arch9wavefront6targetE0EEEvS14_: ; @_ZN7rocprim17ROCPRIM_400000_NS6detail17trampoline_kernelINS0_14default_configENS1_22reduce_config_selectorIN6thrust23THRUST_200600_302600_NS5tupleIblNS6_9null_typeES8_S8_S8_S8_S8_S8_S8_EEEEZNS1_11reduce_implILb1ES3_NS6_12zip_iteratorINS7_INS6_11hip_rocprim26transform_input_iterator_tIbNSD_35transform_pair_of_input_iterators_tIbNS6_6detail15normal_iteratorINS6_10device_ptrIKbEEEESL_NS6_8equal_toIbEEEENSG_9not_fun_tINSD_8identityEEEEENSD_19counting_iterator_tIlEES8_S8_S8_S8_S8_S8_S8_S8_EEEEPS9_S9_NSD_9__find_if7functorIS9_EEEE10hipError_tPvRmT1_T2_T3_mT4_P12ihipStream_tbEUlT_E1_NS1_11comp_targetILNS1_3genE2ELNS1_11target_archE906ELNS1_3gpuE6ELNS1_3repE0EEENS1_30default_config_static_selectorELNS0_4arch9wavefront6targetE0EEEvS14_
; %bb.0:
	.section	.rodata,"a",@progbits
	.p2align	6, 0x0
	.amdhsa_kernel _ZN7rocprim17ROCPRIM_400000_NS6detail17trampoline_kernelINS0_14default_configENS1_22reduce_config_selectorIN6thrust23THRUST_200600_302600_NS5tupleIblNS6_9null_typeES8_S8_S8_S8_S8_S8_S8_EEEEZNS1_11reduce_implILb1ES3_NS6_12zip_iteratorINS7_INS6_11hip_rocprim26transform_input_iterator_tIbNSD_35transform_pair_of_input_iterators_tIbNS6_6detail15normal_iteratorINS6_10device_ptrIKbEEEESL_NS6_8equal_toIbEEEENSG_9not_fun_tINSD_8identityEEEEENSD_19counting_iterator_tIlEES8_S8_S8_S8_S8_S8_S8_S8_EEEEPS9_S9_NSD_9__find_if7functorIS9_EEEE10hipError_tPvRmT1_T2_T3_mT4_P12ihipStream_tbEUlT_E1_NS1_11comp_targetILNS1_3genE2ELNS1_11target_archE906ELNS1_3gpuE6ELNS1_3repE0EEENS1_30default_config_static_selectorELNS0_4arch9wavefront6targetE0EEEvS14_
		.amdhsa_group_segment_fixed_size 0
		.amdhsa_private_segment_fixed_size 0
		.amdhsa_kernarg_size 88
		.amdhsa_user_sgpr_count 6
		.amdhsa_user_sgpr_private_segment_buffer 1
		.amdhsa_user_sgpr_dispatch_ptr 0
		.amdhsa_user_sgpr_queue_ptr 0
		.amdhsa_user_sgpr_kernarg_segment_ptr 1
		.amdhsa_user_sgpr_dispatch_id 0
		.amdhsa_user_sgpr_flat_scratch_init 0
		.amdhsa_user_sgpr_private_segment_size 0
		.amdhsa_wavefront_size32 1
		.amdhsa_uses_dynamic_stack 0
		.amdhsa_system_sgpr_private_segment_wavefront_offset 0
		.amdhsa_system_sgpr_workgroup_id_x 1
		.amdhsa_system_sgpr_workgroup_id_y 0
		.amdhsa_system_sgpr_workgroup_id_z 0
		.amdhsa_system_sgpr_workgroup_info 0
		.amdhsa_system_vgpr_workitem_id 0
		.amdhsa_next_free_vgpr 1
		.amdhsa_next_free_sgpr 1
		.amdhsa_reserve_vcc 0
		.amdhsa_reserve_flat_scratch 0
		.amdhsa_float_round_mode_32 0
		.amdhsa_float_round_mode_16_64 0
		.amdhsa_float_denorm_mode_32 3
		.amdhsa_float_denorm_mode_16_64 3
		.amdhsa_dx10_clamp 1
		.amdhsa_ieee_mode 1
		.amdhsa_fp16_overflow 0
		.amdhsa_workgroup_processor_mode 1
		.amdhsa_memory_ordered 1
		.amdhsa_forward_progress 1
		.amdhsa_shared_vgpr_count 0
		.amdhsa_exception_fp_ieee_invalid_op 0
		.amdhsa_exception_fp_denorm_src 0
		.amdhsa_exception_fp_ieee_div_zero 0
		.amdhsa_exception_fp_ieee_overflow 0
		.amdhsa_exception_fp_ieee_underflow 0
		.amdhsa_exception_fp_ieee_inexact 0
		.amdhsa_exception_int_div_zero 0
	.end_amdhsa_kernel
	.section	.text._ZN7rocprim17ROCPRIM_400000_NS6detail17trampoline_kernelINS0_14default_configENS1_22reduce_config_selectorIN6thrust23THRUST_200600_302600_NS5tupleIblNS6_9null_typeES8_S8_S8_S8_S8_S8_S8_EEEEZNS1_11reduce_implILb1ES3_NS6_12zip_iteratorINS7_INS6_11hip_rocprim26transform_input_iterator_tIbNSD_35transform_pair_of_input_iterators_tIbNS6_6detail15normal_iteratorINS6_10device_ptrIKbEEEESL_NS6_8equal_toIbEEEENSG_9not_fun_tINSD_8identityEEEEENSD_19counting_iterator_tIlEES8_S8_S8_S8_S8_S8_S8_S8_EEEEPS9_S9_NSD_9__find_if7functorIS9_EEEE10hipError_tPvRmT1_T2_T3_mT4_P12ihipStream_tbEUlT_E1_NS1_11comp_targetILNS1_3genE2ELNS1_11target_archE906ELNS1_3gpuE6ELNS1_3repE0EEENS1_30default_config_static_selectorELNS0_4arch9wavefront6targetE0EEEvS14_,"axG",@progbits,_ZN7rocprim17ROCPRIM_400000_NS6detail17trampoline_kernelINS0_14default_configENS1_22reduce_config_selectorIN6thrust23THRUST_200600_302600_NS5tupleIblNS6_9null_typeES8_S8_S8_S8_S8_S8_S8_EEEEZNS1_11reduce_implILb1ES3_NS6_12zip_iteratorINS7_INS6_11hip_rocprim26transform_input_iterator_tIbNSD_35transform_pair_of_input_iterators_tIbNS6_6detail15normal_iteratorINS6_10device_ptrIKbEEEESL_NS6_8equal_toIbEEEENSG_9not_fun_tINSD_8identityEEEEENSD_19counting_iterator_tIlEES8_S8_S8_S8_S8_S8_S8_S8_EEEEPS9_S9_NSD_9__find_if7functorIS9_EEEE10hipError_tPvRmT1_T2_T3_mT4_P12ihipStream_tbEUlT_E1_NS1_11comp_targetILNS1_3genE2ELNS1_11target_archE906ELNS1_3gpuE6ELNS1_3repE0EEENS1_30default_config_static_selectorELNS0_4arch9wavefront6targetE0EEEvS14_,comdat
.Lfunc_end756:
	.size	_ZN7rocprim17ROCPRIM_400000_NS6detail17trampoline_kernelINS0_14default_configENS1_22reduce_config_selectorIN6thrust23THRUST_200600_302600_NS5tupleIblNS6_9null_typeES8_S8_S8_S8_S8_S8_S8_EEEEZNS1_11reduce_implILb1ES3_NS6_12zip_iteratorINS7_INS6_11hip_rocprim26transform_input_iterator_tIbNSD_35transform_pair_of_input_iterators_tIbNS6_6detail15normal_iteratorINS6_10device_ptrIKbEEEESL_NS6_8equal_toIbEEEENSG_9not_fun_tINSD_8identityEEEEENSD_19counting_iterator_tIlEES8_S8_S8_S8_S8_S8_S8_S8_EEEEPS9_S9_NSD_9__find_if7functorIS9_EEEE10hipError_tPvRmT1_T2_T3_mT4_P12ihipStream_tbEUlT_E1_NS1_11comp_targetILNS1_3genE2ELNS1_11target_archE906ELNS1_3gpuE6ELNS1_3repE0EEENS1_30default_config_static_selectorELNS0_4arch9wavefront6targetE0EEEvS14_, .Lfunc_end756-_ZN7rocprim17ROCPRIM_400000_NS6detail17trampoline_kernelINS0_14default_configENS1_22reduce_config_selectorIN6thrust23THRUST_200600_302600_NS5tupleIblNS6_9null_typeES8_S8_S8_S8_S8_S8_S8_EEEEZNS1_11reduce_implILb1ES3_NS6_12zip_iteratorINS7_INS6_11hip_rocprim26transform_input_iterator_tIbNSD_35transform_pair_of_input_iterators_tIbNS6_6detail15normal_iteratorINS6_10device_ptrIKbEEEESL_NS6_8equal_toIbEEEENSG_9not_fun_tINSD_8identityEEEEENSD_19counting_iterator_tIlEES8_S8_S8_S8_S8_S8_S8_S8_EEEEPS9_S9_NSD_9__find_if7functorIS9_EEEE10hipError_tPvRmT1_T2_T3_mT4_P12ihipStream_tbEUlT_E1_NS1_11comp_targetILNS1_3genE2ELNS1_11target_archE906ELNS1_3gpuE6ELNS1_3repE0EEENS1_30default_config_static_selectorELNS0_4arch9wavefront6targetE0EEEvS14_
                                        ; -- End function
	.set _ZN7rocprim17ROCPRIM_400000_NS6detail17trampoline_kernelINS0_14default_configENS1_22reduce_config_selectorIN6thrust23THRUST_200600_302600_NS5tupleIblNS6_9null_typeES8_S8_S8_S8_S8_S8_S8_EEEEZNS1_11reduce_implILb1ES3_NS6_12zip_iteratorINS7_INS6_11hip_rocprim26transform_input_iterator_tIbNSD_35transform_pair_of_input_iterators_tIbNS6_6detail15normal_iteratorINS6_10device_ptrIKbEEEESL_NS6_8equal_toIbEEEENSG_9not_fun_tINSD_8identityEEEEENSD_19counting_iterator_tIlEES8_S8_S8_S8_S8_S8_S8_S8_EEEEPS9_S9_NSD_9__find_if7functorIS9_EEEE10hipError_tPvRmT1_T2_T3_mT4_P12ihipStream_tbEUlT_E1_NS1_11comp_targetILNS1_3genE2ELNS1_11target_archE906ELNS1_3gpuE6ELNS1_3repE0EEENS1_30default_config_static_selectorELNS0_4arch9wavefront6targetE0EEEvS14_.num_vgpr, 0
	.set _ZN7rocprim17ROCPRIM_400000_NS6detail17trampoline_kernelINS0_14default_configENS1_22reduce_config_selectorIN6thrust23THRUST_200600_302600_NS5tupleIblNS6_9null_typeES8_S8_S8_S8_S8_S8_S8_EEEEZNS1_11reduce_implILb1ES3_NS6_12zip_iteratorINS7_INS6_11hip_rocprim26transform_input_iterator_tIbNSD_35transform_pair_of_input_iterators_tIbNS6_6detail15normal_iteratorINS6_10device_ptrIKbEEEESL_NS6_8equal_toIbEEEENSG_9not_fun_tINSD_8identityEEEEENSD_19counting_iterator_tIlEES8_S8_S8_S8_S8_S8_S8_S8_EEEEPS9_S9_NSD_9__find_if7functorIS9_EEEE10hipError_tPvRmT1_T2_T3_mT4_P12ihipStream_tbEUlT_E1_NS1_11comp_targetILNS1_3genE2ELNS1_11target_archE906ELNS1_3gpuE6ELNS1_3repE0EEENS1_30default_config_static_selectorELNS0_4arch9wavefront6targetE0EEEvS14_.num_agpr, 0
	.set _ZN7rocprim17ROCPRIM_400000_NS6detail17trampoline_kernelINS0_14default_configENS1_22reduce_config_selectorIN6thrust23THRUST_200600_302600_NS5tupleIblNS6_9null_typeES8_S8_S8_S8_S8_S8_S8_EEEEZNS1_11reduce_implILb1ES3_NS6_12zip_iteratorINS7_INS6_11hip_rocprim26transform_input_iterator_tIbNSD_35transform_pair_of_input_iterators_tIbNS6_6detail15normal_iteratorINS6_10device_ptrIKbEEEESL_NS6_8equal_toIbEEEENSG_9not_fun_tINSD_8identityEEEEENSD_19counting_iterator_tIlEES8_S8_S8_S8_S8_S8_S8_S8_EEEEPS9_S9_NSD_9__find_if7functorIS9_EEEE10hipError_tPvRmT1_T2_T3_mT4_P12ihipStream_tbEUlT_E1_NS1_11comp_targetILNS1_3genE2ELNS1_11target_archE906ELNS1_3gpuE6ELNS1_3repE0EEENS1_30default_config_static_selectorELNS0_4arch9wavefront6targetE0EEEvS14_.numbered_sgpr, 0
	.set _ZN7rocprim17ROCPRIM_400000_NS6detail17trampoline_kernelINS0_14default_configENS1_22reduce_config_selectorIN6thrust23THRUST_200600_302600_NS5tupleIblNS6_9null_typeES8_S8_S8_S8_S8_S8_S8_EEEEZNS1_11reduce_implILb1ES3_NS6_12zip_iteratorINS7_INS6_11hip_rocprim26transform_input_iterator_tIbNSD_35transform_pair_of_input_iterators_tIbNS6_6detail15normal_iteratorINS6_10device_ptrIKbEEEESL_NS6_8equal_toIbEEEENSG_9not_fun_tINSD_8identityEEEEENSD_19counting_iterator_tIlEES8_S8_S8_S8_S8_S8_S8_S8_EEEEPS9_S9_NSD_9__find_if7functorIS9_EEEE10hipError_tPvRmT1_T2_T3_mT4_P12ihipStream_tbEUlT_E1_NS1_11comp_targetILNS1_3genE2ELNS1_11target_archE906ELNS1_3gpuE6ELNS1_3repE0EEENS1_30default_config_static_selectorELNS0_4arch9wavefront6targetE0EEEvS14_.num_named_barrier, 0
	.set _ZN7rocprim17ROCPRIM_400000_NS6detail17trampoline_kernelINS0_14default_configENS1_22reduce_config_selectorIN6thrust23THRUST_200600_302600_NS5tupleIblNS6_9null_typeES8_S8_S8_S8_S8_S8_S8_EEEEZNS1_11reduce_implILb1ES3_NS6_12zip_iteratorINS7_INS6_11hip_rocprim26transform_input_iterator_tIbNSD_35transform_pair_of_input_iterators_tIbNS6_6detail15normal_iteratorINS6_10device_ptrIKbEEEESL_NS6_8equal_toIbEEEENSG_9not_fun_tINSD_8identityEEEEENSD_19counting_iterator_tIlEES8_S8_S8_S8_S8_S8_S8_S8_EEEEPS9_S9_NSD_9__find_if7functorIS9_EEEE10hipError_tPvRmT1_T2_T3_mT4_P12ihipStream_tbEUlT_E1_NS1_11comp_targetILNS1_3genE2ELNS1_11target_archE906ELNS1_3gpuE6ELNS1_3repE0EEENS1_30default_config_static_selectorELNS0_4arch9wavefront6targetE0EEEvS14_.private_seg_size, 0
	.set _ZN7rocprim17ROCPRIM_400000_NS6detail17trampoline_kernelINS0_14default_configENS1_22reduce_config_selectorIN6thrust23THRUST_200600_302600_NS5tupleIblNS6_9null_typeES8_S8_S8_S8_S8_S8_S8_EEEEZNS1_11reduce_implILb1ES3_NS6_12zip_iteratorINS7_INS6_11hip_rocprim26transform_input_iterator_tIbNSD_35transform_pair_of_input_iterators_tIbNS6_6detail15normal_iteratorINS6_10device_ptrIKbEEEESL_NS6_8equal_toIbEEEENSG_9not_fun_tINSD_8identityEEEEENSD_19counting_iterator_tIlEES8_S8_S8_S8_S8_S8_S8_S8_EEEEPS9_S9_NSD_9__find_if7functorIS9_EEEE10hipError_tPvRmT1_T2_T3_mT4_P12ihipStream_tbEUlT_E1_NS1_11comp_targetILNS1_3genE2ELNS1_11target_archE906ELNS1_3gpuE6ELNS1_3repE0EEENS1_30default_config_static_selectorELNS0_4arch9wavefront6targetE0EEEvS14_.uses_vcc, 0
	.set _ZN7rocprim17ROCPRIM_400000_NS6detail17trampoline_kernelINS0_14default_configENS1_22reduce_config_selectorIN6thrust23THRUST_200600_302600_NS5tupleIblNS6_9null_typeES8_S8_S8_S8_S8_S8_S8_EEEEZNS1_11reduce_implILb1ES3_NS6_12zip_iteratorINS7_INS6_11hip_rocprim26transform_input_iterator_tIbNSD_35transform_pair_of_input_iterators_tIbNS6_6detail15normal_iteratorINS6_10device_ptrIKbEEEESL_NS6_8equal_toIbEEEENSG_9not_fun_tINSD_8identityEEEEENSD_19counting_iterator_tIlEES8_S8_S8_S8_S8_S8_S8_S8_EEEEPS9_S9_NSD_9__find_if7functorIS9_EEEE10hipError_tPvRmT1_T2_T3_mT4_P12ihipStream_tbEUlT_E1_NS1_11comp_targetILNS1_3genE2ELNS1_11target_archE906ELNS1_3gpuE6ELNS1_3repE0EEENS1_30default_config_static_selectorELNS0_4arch9wavefront6targetE0EEEvS14_.uses_flat_scratch, 0
	.set _ZN7rocprim17ROCPRIM_400000_NS6detail17trampoline_kernelINS0_14default_configENS1_22reduce_config_selectorIN6thrust23THRUST_200600_302600_NS5tupleIblNS6_9null_typeES8_S8_S8_S8_S8_S8_S8_EEEEZNS1_11reduce_implILb1ES3_NS6_12zip_iteratorINS7_INS6_11hip_rocprim26transform_input_iterator_tIbNSD_35transform_pair_of_input_iterators_tIbNS6_6detail15normal_iteratorINS6_10device_ptrIKbEEEESL_NS6_8equal_toIbEEEENSG_9not_fun_tINSD_8identityEEEEENSD_19counting_iterator_tIlEES8_S8_S8_S8_S8_S8_S8_S8_EEEEPS9_S9_NSD_9__find_if7functorIS9_EEEE10hipError_tPvRmT1_T2_T3_mT4_P12ihipStream_tbEUlT_E1_NS1_11comp_targetILNS1_3genE2ELNS1_11target_archE906ELNS1_3gpuE6ELNS1_3repE0EEENS1_30default_config_static_selectorELNS0_4arch9wavefront6targetE0EEEvS14_.has_dyn_sized_stack, 0
	.set _ZN7rocprim17ROCPRIM_400000_NS6detail17trampoline_kernelINS0_14default_configENS1_22reduce_config_selectorIN6thrust23THRUST_200600_302600_NS5tupleIblNS6_9null_typeES8_S8_S8_S8_S8_S8_S8_EEEEZNS1_11reduce_implILb1ES3_NS6_12zip_iteratorINS7_INS6_11hip_rocprim26transform_input_iterator_tIbNSD_35transform_pair_of_input_iterators_tIbNS6_6detail15normal_iteratorINS6_10device_ptrIKbEEEESL_NS6_8equal_toIbEEEENSG_9not_fun_tINSD_8identityEEEEENSD_19counting_iterator_tIlEES8_S8_S8_S8_S8_S8_S8_S8_EEEEPS9_S9_NSD_9__find_if7functorIS9_EEEE10hipError_tPvRmT1_T2_T3_mT4_P12ihipStream_tbEUlT_E1_NS1_11comp_targetILNS1_3genE2ELNS1_11target_archE906ELNS1_3gpuE6ELNS1_3repE0EEENS1_30default_config_static_selectorELNS0_4arch9wavefront6targetE0EEEvS14_.has_recursion, 0
	.set _ZN7rocprim17ROCPRIM_400000_NS6detail17trampoline_kernelINS0_14default_configENS1_22reduce_config_selectorIN6thrust23THRUST_200600_302600_NS5tupleIblNS6_9null_typeES8_S8_S8_S8_S8_S8_S8_EEEEZNS1_11reduce_implILb1ES3_NS6_12zip_iteratorINS7_INS6_11hip_rocprim26transform_input_iterator_tIbNSD_35transform_pair_of_input_iterators_tIbNS6_6detail15normal_iteratorINS6_10device_ptrIKbEEEESL_NS6_8equal_toIbEEEENSG_9not_fun_tINSD_8identityEEEEENSD_19counting_iterator_tIlEES8_S8_S8_S8_S8_S8_S8_S8_EEEEPS9_S9_NSD_9__find_if7functorIS9_EEEE10hipError_tPvRmT1_T2_T3_mT4_P12ihipStream_tbEUlT_E1_NS1_11comp_targetILNS1_3genE2ELNS1_11target_archE906ELNS1_3gpuE6ELNS1_3repE0EEENS1_30default_config_static_selectorELNS0_4arch9wavefront6targetE0EEEvS14_.has_indirect_call, 0
	.section	.AMDGPU.csdata,"",@progbits
; Kernel info:
; codeLenInByte = 0
; TotalNumSgprs: 0
; NumVgprs: 0
; ScratchSize: 0
; MemoryBound: 0
; FloatMode: 240
; IeeeMode: 1
; LDSByteSize: 0 bytes/workgroup (compile time only)
; SGPRBlocks: 0
; VGPRBlocks: 0
; NumSGPRsForWavesPerEU: 1
; NumVGPRsForWavesPerEU: 1
; Occupancy: 16
; WaveLimiterHint : 0
; COMPUTE_PGM_RSRC2:SCRATCH_EN: 0
; COMPUTE_PGM_RSRC2:USER_SGPR: 6
; COMPUTE_PGM_RSRC2:TRAP_HANDLER: 0
; COMPUTE_PGM_RSRC2:TGID_X_EN: 1
; COMPUTE_PGM_RSRC2:TGID_Y_EN: 0
; COMPUTE_PGM_RSRC2:TGID_Z_EN: 0
; COMPUTE_PGM_RSRC2:TIDIG_COMP_CNT: 0
	.section	.text._ZN7rocprim17ROCPRIM_400000_NS6detail17trampoline_kernelINS0_14default_configENS1_22reduce_config_selectorIN6thrust23THRUST_200600_302600_NS5tupleIblNS6_9null_typeES8_S8_S8_S8_S8_S8_S8_EEEEZNS1_11reduce_implILb1ES3_NS6_12zip_iteratorINS7_INS6_11hip_rocprim26transform_input_iterator_tIbNSD_35transform_pair_of_input_iterators_tIbNS6_6detail15normal_iteratorINS6_10device_ptrIKbEEEESL_NS6_8equal_toIbEEEENSG_9not_fun_tINSD_8identityEEEEENSD_19counting_iterator_tIlEES8_S8_S8_S8_S8_S8_S8_S8_EEEEPS9_S9_NSD_9__find_if7functorIS9_EEEE10hipError_tPvRmT1_T2_T3_mT4_P12ihipStream_tbEUlT_E1_NS1_11comp_targetILNS1_3genE10ELNS1_11target_archE1201ELNS1_3gpuE5ELNS1_3repE0EEENS1_30default_config_static_selectorELNS0_4arch9wavefront6targetE0EEEvS14_,"axG",@progbits,_ZN7rocprim17ROCPRIM_400000_NS6detail17trampoline_kernelINS0_14default_configENS1_22reduce_config_selectorIN6thrust23THRUST_200600_302600_NS5tupleIblNS6_9null_typeES8_S8_S8_S8_S8_S8_S8_EEEEZNS1_11reduce_implILb1ES3_NS6_12zip_iteratorINS7_INS6_11hip_rocprim26transform_input_iterator_tIbNSD_35transform_pair_of_input_iterators_tIbNS6_6detail15normal_iteratorINS6_10device_ptrIKbEEEESL_NS6_8equal_toIbEEEENSG_9not_fun_tINSD_8identityEEEEENSD_19counting_iterator_tIlEES8_S8_S8_S8_S8_S8_S8_S8_EEEEPS9_S9_NSD_9__find_if7functorIS9_EEEE10hipError_tPvRmT1_T2_T3_mT4_P12ihipStream_tbEUlT_E1_NS1_11comp_targetILNS1_3genE10ELNS1_11target_archE1201ELNS1_3gpuE5ELNS1_3repE0EEENS1_30default_config_static_selectorELNS0_4arch9wavefront6targetE0EEEvS14_,comdat
	.protected	_ZN7rocprim17ROCPRIM_400000_NS6detail17trampoline_kernelINS0_14default_configENS1_22reduce_config_selectorIN6thrust23THRUST_200600_302600_NS5tupleIblNS6_9null_typeES8_S8_S8_S8_S8_S8_S8_EEEEZNS1_11reduce_implILb1ES3_NS6_12zip_iteratorINS7_INS6_11hip_rocprim26transform_input_iterator_tIbNSD_35transform_pair_of_input_iterators_tIbNS6_6detail15normal_iteratorINS6_10device_ptrIKbEEEESL_NS6_8equal_toIbEEEENSG_9not_fun_tINSD_8identityEEEEENSD_19counting_iterator_tIlEES8_S8_S8_S8_S8_S8_S8_S8_EEEEPS9_S9_NSD_9__find_if7functorIS9_EEEE10hipError_tPvRmT1_T2_T3_mT4_P12ihipStream_tbEUlT_E1_NS1_11comp_targetILNS1_3genE10ELNS1_11target_archE1201ELNS1_3gpuE5ELNS1_3repE0EEENS1_30default_config_static_selectorELNS0_4arch9wavefront6targetE0EEEvS14_ ; -- Begin function _ZN7rocprim17ROCPRIM_400000_NS6detail17trampoline_kernelINS0_14default_configENS1_22reduce_config_selectorIN6thrust23THRUST_200600_302600_NS5tupleIblNS6_9null_typeES8_S8_S8_S8_S8_S8_S8_EEEEZNS1_11reduce_implILb1ES3_NS6_12zip_iteratorINS7_INS6_11hip_rocprim26transform_input_iterator_tIbNSD_35transform_pair_of_input_iterators_tIbNS6_6detail15normal_iteratorINS6_10device_ptrIKbEEEESL_NS6_8equal_toIbEEEENSG_9not_fun_tINSD_8identityEEEEENSD_19counting_iterator_tIlEES8_S8_S8_S8_S8_S8_S8_S8_EEEEPS9_S9_NSD_9__find_if7functorIS9_EEEE10hipError_tPvRmT1_T2_T3_mT4_P12ihipStream_tbEUlT_E1_NS1_11comp_targetILNS1_3genE10ELNS1_11target_archE1201ELNS1_3gpuE5ELNS1_3repE0EEENS1_30default_config_static_selectorELNS0_4arch9wavefront6targetE0EEEvS14_
	.globl	_ZN7rocprim17ROCPRIM_400000_NS6detail17trampoline_kernelINS0_14default_configENS1_22reduce_config_selectorIN6thrust23THRUST_200600_302600_NS5tupleIblNS6_9null_typeES8_S8_S8_S8_S8_S8_S8_EEEEZNS1_11reduce_implILb1ES3_NS6_12zip_iteratorINS7_INS6_11hip_rocprim26transform_input_iterator_tIbNSD_35transform_pair_of_input_iterators_tIbNS6_6detail15normal_iteratorINS6_10device_ptrIKbEEEESL_NS6_8equal_toIbEEEENSG_9not_fun_tINSD_8identityEEEEENSD_19counting_iterator_tIlEES8_S8_S8_S8_S8_S8_S8_S8_EEEEPS9_S9_NSD_9__find_if7functorIS9_EEEE10hipError_tPvRmT1_T2_T3_mT4_P12ihipStream_tbEUlT_E1_NS1_11comp_targetILNS1_3genE10ELNS1_11target_archE1201ELNS1_3gpuE5ELNS1_3repE0EEENS1_30default_config_static_selectorELNS0_4arch9wavefront6targetE0EEEvS14_
	.p2align	8
	.type	_ZN7rocprim17ROCPRIM_400000_NS6detail17trampoline_kernelINS0_14default_configENS1_22reduce_config_selectorIN6thrust23THRUST_200600_302600_NS5tupleIblNS6_9null_typeES8_S8_S8_S8_S8_S8_S8_EEEEZNS1_11reduce_implILb1ES3_NS6_12zip_iteratorINS7_INS6_11hip_rocprim26transform_input_iterator_tIbNSD_35transform_pair_of_input_iterators_tIbNS6_6detail15normal_iteratorINS6_10device_ptrIKbEEEESL_NS6_8equal_toIbEEEENSG_9not_fun_tINSD_8identityEEEEENSD_19counting_iterator_tIlEES8_S8_S8_S8_S8_S8_S8_S8_EEEEPS9_S9_NSD_9__find_if7functorIS9_EEEE10hipError_tPvRmT1_T2_T3_mT4_P12ihipStream_tbEUlT_E1_NS1_11comp_targetILNS1_3genE10ELNS1_11target_archE1201ELNS1_3gpuE5ELNS1_3repE0EEENS1_30default_config_static_selectorELNS0_4arch9wavefront6targetE0EEEvS14_,@function
_ZN7rocprim17ROCPRIM_400000_NS6detail17trampoline_kernelINS0_14default_configENS1_22reduce_config_selectorIN6thrust23THRUST_200600_302600_NS5tupleIblNS6_9null_typeES8_S8_S8_S8_S8_S8_S8_EEEEZNS1_11reduce_implILb1ES3_NS6_12zip_iteratorINS7_INS6_11hip_rocprim26transform_input_iterator_tIbNSD_35transform_pair_of_input_iterators_tIbNS6_6detail15normal_iteratorINS6_10device_ptrIKbEEEESL_NS6_8equal_toIbEEEENSG_9not_fun_tINSD_8identityEEEEENSD_19counting_iterator_tIlEES8_S8_S8_S8_S8_S8_S8_S8_EEEEPS9_S9_NSD_9__find_if7functorIS9_EEEE10hipError_tPvRmT1_T2_T3_mT4_P12ihipStream_tbEUlT_E1_NS1_11comp_targetILNS1_3genE10ELNS1_11target_archE1201ELNS1_3gpuE5ELNS1_3repE0EEENS1_30default_config_static_selectorELNS0_4arch9wavefront6targetE0EEEvS14_: ; @_ZN7rocprim17ROCPRIM_400000_NS6detail17trampoline_kernelINS0_14default_configENS1_22reduce_config_selectorIN6thrust23THRUST_200600_302600_NS5tupleIblNS6_9null_typeES8_S8_S8_S8_S8_S8_S8_EEEEZNS1_11reduce_implILb1ES3_NS6_12zip_iteratorINS7_INS6_11hip_rocprim26transform_input_iterator_tIbNSD_35transform_pair_of_input_iterators_tIbNS6_6detail15normal_iteratorINS6_10device_ptrIKbEEEESL_NS6_8equal_toIbEEEENSG_9not_fun_tINSD_8identityEEEEENSD_19counting_iterator_tIlEES8_S8_S8_S8_S8_S8_S8_S8_EEEEPS9_S9_NSD_9__find_if7functorIS9_EEEE10hipError_tPvRmT1_T2_T3_mT4_P12ihipStream_tbEUlT_E1_NS1_11comp_targetILNS1_3genE10ELNS1_11target_archE1201ELNS1_3gpuE5ELNS1_3repE0EEENS1_30default_config_static_selectorELNS0_4arch9wavefront6targetE0EEEvS14_
; %bb.0:
	.section	.rodata,"a",@progbits
	.p2align	6, 0x0
	.amdhsa_kernel _ZN7rocprim17ROCPRIM_400000_NS6detail17trampoline_kernelINS0_14default_configENS1_22reduce_config_selectorIN6thrust23THRUST_200600_302600_NS5tupleIblNS6_9null_typeES8_S8_S8_S8_S8_S8_S8_EEEEZNS1_11reduce_implILb1ES3_NS6_12zip_iteratorINS7_INS6_11hip_rocprim26transform_input_iterator_tIbNSD_35transform_pair_of_input_iterators_tIbNS6_6detail15normal_iteratorINS6_10device_ptrIKbEEEESL_NS6_8equal_toIbEEEENSG_9not_fun_tINSD_8identityEEEEENSD_19counting_iterator_tIlEES8_S8_S8_S8_S8_S8_S8_S8_EEEEPS9_S9_NSD_9__find_if7functorIS9_EEEE10hipError_tPvRmT1_T2_T3_mT4_P12ihipStream_tbEUlT_E1_NS1_11comp_targetILNS1_3genE10ELNS1_11target_archE1201ELNS1_3gpuE5ELNS1_3repE0EEENS1_30default_config_static_selectorELNS0_4arch9wavefront6targetE0EEEvS14_
		.amdhsa_group_segment_fixed_size 0
		.amdhsa_private_segment_fixed_size 0
		.amdhsa_kernarg_size 88
		.amdhsa_user_sgpr_count 6
		.amdhsa_user_sgpr_private_segment_buffer 1
		.amdhsa_user_sgpr_dispatch_ptr 0
		.amdhsa_user_sgpr_queue_ptr 0
		.amdhsa_user_sgpr_kernarg_segment_ptr 1
		.amdhsa_user_sgpr_dispatch_id 0
		.amdhsa_user_sgpr_flat_scratch_init 0
		.amdhsa_user_sgpr_private_segment_size 0
		.amdhsa_wavefront_size32 1
		.amdhsa_uses_dynamic_stack 0
		.amdhsa_system_sgpr_private_segment_wavefront_offset 0
		.amdhsa_system_sgpr_workgroup_id_x 1
		.amdhsa_system_sgpr_workgroup_id_y 0
		.amdhsa_system_sgpr_workgroup_id_z 0
		.amdhsa_system_sgpr_workgroup_info 0
		.amdhsa_system_vgpr_workitem_id 0
		.amdhsa_next_free_vgpr 1
		.amdhsa_next_free_sgpr 1
		.amdhsa_reserve_vcc 0
		.amdhsa_reserve_flat_scratch 0
		.amdhsa_float_round_mode_32 0
		.amdhsa_float_round_mode_16_64 0
		.amdhsa_float_denorm_mode_32 3
		.amdhsa_float_denorm_mode_16_64 3
		.amdhsa_dx10_clamp 1
		.amdhsa_ieee_mode 1
		.amdhsa_fp16_overflow 0
		.amdhsa_workgroup_processor_mode 1
		.amdhsa_memory_ordered 1
		.amdhsa_forward_progress 1
		.amdhsa_shared_vgpr_count 0
		.amdhsa_exception_fp_ieee_invalid_op 0
		.amdhsa_exception_fp_denorm_src 0
		.amdhsa_exception_fp_ieee_div_zero 0
		.amdhsa_exception_fp_ieee_overflow 0
		.amdhsa_exception_fp_ieee_underflow 0
		.amdhsa_exception_fp_ieee_inexact 0
		.amdhsa_exception_int_div_zero 0
	.end_amdhsa_kernel
	.section	.text._ZN7rocprim17ROCPRIM_400000_NS6detail17trampoline_kernelINS0_14default_configENS1_22reduce_config_selectorIN6thrust23THRUST_200600_302600_NS5tupleIblNS6_9null_typeES8_S8_S8_S8_S8_S8_S8_EEEEZNS1_11reduce_implILb1ES3_NS6_12zip_iteratorINS7_INS6_11hip_rocprim26transform_input_iterator_tIbNSD_35transform_pair_of_input_iterators_tIbNS6_6detail15normal_iteratorINS6_10device_ptrIKbEEEESL_NS6_8equal_toIbEEEENSG_9not_fun_tINSD_8identityEEEEENSD_19counting_iterator_tIlEES8_S8_S8_S8_S8_S8_S8_S8_EEEEPS9_S9_NSD_9__find_if7functorIS9_EEEE10hipError_tPvRmT1_T2_T3_mT4_P12ihipStream_tbEUlT_E1_NS1_11comp_targetILNS1_3genE10ELNS1_11target_archE1201ELNS1_3gpuE5ELNS1_3repE0EEENS1_30default_config_static_selectorELNS0_4arch9wavefront6targetE0EEEvS14_,"axG",@progbits,_ZN7rocprim17ROCPRIM_400000_NS6detail17trampoline_kernelINS0_14default_configENS1_22reduce_config_selectorIN6thrust23THRUST_200600_302600_NS5tupleIblNS6_9null_typeES8_S8_S8_S8_S8_S8_S8_EEEEZNS1_11reduce_implILb1ES3_NS6_12zip_iteratorINS7_INS6_11hip_rocprim26transform_input_iterator_tIbNSD_35transform_pair_of_input_iterators_tIbNS6_6detail15normal_iteratorINS6_10device_ptrIKbEEEESL_NS6_8equal_toIbEEEENSG_9not_fun_tINSD_8identityEEEEENSD_19counting_iterator_tIlEES8_S8_S8_S8_S8_S8_S8_S8_EEEEPS9_S9_NSD_9__find_if7functorIS9_EEEE10hipError_tPvRmT1_T2_T3_mT4_P12ihipStream_tbEUlT_E1_NS1_11comp_targetILNS1_3genE10ELNS1_11target_archE1201ELNS1_3gpuE5ELNS1_3repE0EEENS1_30default_config_static_selectorELNS0_4arch9wavefront6targetE0EEEvS14_,comdat
.Lfunc_end757:
	.size	_ZN7rocprim17ROCPRIM_400000_NS6detail17trampoline_kernelINS0_14default_configENS1_22reduce_config_selectorIN6thrust23THRUST_200600_302600_NS5tupleIblNS6_9null_typeES8_S8_S8_S8_S8_S8_S8_EEEEZNS1_11reduce_implILb1ES3_NS6_12zip_iteratorINS7_INS6_11hip_rocprim26transform_input_iterator_tIbNSD_35transform_pair_of_input_iterators_tIbNS6_6detail15normal_iteratorINS6_10device_ptrIKbEEEESL_NS6_8equal_toIbEEEENSG_9not_fun_tINSD_8identityEEEEENSD_19counting_iterator_tIlEES8_S8_S8_S8_S8_S8_S8_S8_EEEEPS9_S9_NSD_9__find_if7functorIS9_EEEE10hipError_tPvRmT1_T2_T3_mT4_P12ihipStream_tbEUlT_E1_NS1_11comp_targetILNS1_3genE10ELNS1_11target_archE1201ELNS1_3gpuE5ELNS1_3repE0EEENS1_30default_config_static_selectorELNS0_4arch9wavefront6targetE0EEEvS14_, .Lfunc_end757-_ZN7rocprim17ROCPRIM_400000_NS6detail17trampoline_kernelINS0_14default_configENS1_22reduce_config_selectorIN6thrust23THRUST_200600_302600_NS5tupleIblNS6_9null_typeES8_S8_S8_S8_S8_S8_S8_EEEEZNS1_11reduce_implILb1ES3_NS6_12zip_iteratorINS7_INS6_11hip_rocprim26transform_input_iterator_tIbNSD_35transform_pair_of_input_iterators_tIbNS6_6detail15normal_iteratorINS6_10device_ptrIKbEEEESL_NS6_8equal_toIbEEEENSG_9not_fun_tINSD_8identityEEEEENSD_19counting_iterator_tIlEES8_S8_S8_S8_S8_S8_S8_S8_EEEEPS9_S9_NSD_9__find_if7functorIS9_EEEE10hipError_tPvRmT1_T2_T3_mT4_P12ihipStream_tbEUlT_E1_NS1_11comp_targetILNS1_3genE10ELNS1_11target_archE1201ELNS1_3gpuE5ELNS1_3repE0EEENS1_30default_config_static_selectorELNS0_4arch9wavefront6targetE0EEEvS14_
                                        ; -- End function
	.set _ZN7rocprim17ROCPRIM_400000_NS6detail17trampoline_kernelINS0_14default_configENS1_22reduce_config_selectorIN6thrust23THRUST_200600_302600_NS5tupleIblNS6_9null_typeES8_S8_S8_S8_S8_S8_S8_EEEEZNS1_11reduce_implILb1ES3_NS6_12zip_iteratorINS7_INS6_11hip_rocprim26transform_input_iterator_tIbNSD_35transform_pair_of_input_iterators_tIbNS6_6detail15normal_iteratorINS6_10device_ptrIKbEEEESL_NS6_8equal_toIbEEEENSG_9not_fun_tINSD_8identityEEEEENSD_19counting_iterator_tIlEES8_S8_S8_S8_S8_S8_S8_S8_EEEEPS9_S9_NSD_9__find_if7functorIS9_EEEE10hipError_tPvRmT1_T2_T3_mT4_P12ihipStream_tbEUlT_E1_NS1_11comp_targetILNS1_3genE10ELNS1_11target_archE1201ELNS1_3gpuE5ELNS1_3repE0EEENS1_30default_config_static_selectorELNS0_4arch9wavefront6targetE0EEEvS14_.num_vgpr, 0
	.set _ZN7rocprim17ROCPRIM_400000_NS6detail17trampoline_kernelINS0_14default_configENS1_22reduce_config_selectorIN6thrust23THRUST_200600_302600_NS5tupleIblNS6_9null_typeES8_S8_S8_S8_S8_S8_S8_EEEEZNS1_11reduce_implILb1ES3_NS6_12zip_iteratorINS7_INS6_11hip_rocprim26transform_input_iterator_tIbNSD_35transform_pair_of_input_iterators_tIbNS6_6detail15normal_iteratorINS6_10device_ptrIKbEEEESL_NS6_8equal_toIbEEEENSG_9not_fun_tINSD_8identityEEEEENSD_19counting_iterator_tIlEES8_S8_S8_S8_S8_S8_S8_S8_EEEEPS9_S9_NSD_9__find_if7functorIS9_EEEE10hipError_tPvRmT1_T2_T3_mT4_P12ihipStream_tbEUlT_E1_NS1_11comp_targetILNS1_3genE10ELNS1_11target_archE1201ELNS1_3gpuE5ELNS1_3repE0EEENS1_30default_config_static_selectorELNS0_4arch9wavefront6targetE0EEEvS14_.num_agpr, 0
	.set _ZN7rocprim17ROCPRIM_400000_NS6detail17trampoline_kernelINS0_14default_configENS1_22reduce_config_selectorIN6thrust23THRUST_200600_302600_NS5tupleIblNS6_9null_typeES8_S8_S8_S8_S8_S8_S8_EEEEZNS1_11reduce_implILb1ES3_NS6_12zip_iteratorINS7_INS6_11hip_rocprim26transform_input_iterator_tIbNSD_35transform_pair_of_input_iterators_tIbNS6_6detail15normal_iteratorINS6_10device_ptrIKbEEEESL_NS6_8equal_toIbEEEENSG_9not_fun_tINSD_8identityEEEEENSD_19counting_iterator_tIlEES8_S8_S8_S8_S8_S8_S8_S8_EEEEPS9_S9_NSD_9__find_if7functorIS9_EEEE10hipError_tPvRmT1_T2_T3_mT4_P12ihipStream_tbEUlT_E1_NS1_11comp_targetILNS1_3genE10ELNS1_11target_archE1201ELNS1_3gpuE5ELNS1_3repE0EEENS1_30default_config_static_selectorELNS0_4arch9wavefront6targetE0EEEvS14_.numbered_sgpr, 0
	.set _ZN7rocprim17ROCPRIM_400000_NS6detail17trampoline_kernelINS0_14default_configENS1_22reduce_config_selectorIN6thrust23THRUST_200600_302600_NS5tupleIblNS6_9null_typeES8_S8_S8_S8_S8_S8_S8_EEEEZNS1_11reduce_implILb1ES3_NS6_12zip_iteratorINS7_INS6_11hip_rocprim26transform_input_iterator_tIbNSD_35transform_pair_of_input_iterators_tIbNS6_6detail15normal_iteratorINS6_10device_ptrIKbEEEESL_NS6_8equal_toIbEEEENSG_9not_fun_tINSD_8identityEEEEENSD_19counting_iterator_tIlEES8_S8_S8_S8_S8_S8_S8_S8_EEEEPS9_S9_NSD_9__find_if7functorIS9_EEEE10hipError_tPvRmT1_T2_T3_mT4_P12ihipStream_tbEUlT_E1_NS1_11comp_targetILNS1_3genE10ELNS1_11target_archE1201ELNS1_3gpuE5ELNS1_3repE0EEENS1_30default_config_static_selectorELNS0_4arch9wavefront6targetE0EEEvS14_.num_named_barrier, 0
	.set _ZN7rocprim17ROCPRIM_400000_NS6detail17trampoline_kernelINS0_14default_configENS1_22reduce_config_selectorIN6thrust23THRUST_200600_302600_NS5tupleIblNS6_9null_typeES8_S8_S8_S8_S8_S8_S8_EEEEZNS1_11reduce_implILb1ES3_NS6_12zip_iteratorINS7_INS6_11hip_rocprim26transform_input_iterator_tIbNSD_35transform_pair_of_input_iterators_tIbNS6_6detail15normal_iteratorINS6_10device_ptrIKbEEEESL_NS6_8equal_toIbEEEENSG_9not_fun_tINSD_8identityEEEEENSD_19counting_iterator_tIlEES8_S8_S8_S8_S8_S8_S8_S8_EEEEPS9_S9_NSD_9__find_if7functorIS9_EEEE10hipError_tPvRmT1_T2_T3_mT4_P12ihipStream_tbEUlT_E1_NS1_11comp_targetILNS1_3genE10ELNS1_11target_archE1201ELNS1_3gpuE5ELNS1_3repE0EEENS1_30default_config_static_selectorELNS0_4arch9wavefront6targetE0EEEvS14_.private_seg_size, 0
	.set _ZN7rocprim17ROCPRIM_400000_NS6detail17trampoline_kernelINS0_14default_configENS1_22reduce_config_selectorIN6thrust23THRUST_200600_302600_NS5tupleIblNS6_9null_typeES8_S8_S8_S8_S8_S8_S8_EEEEZNS1_11reduce_implILb1ES3_NS6_12zip_iteratorINS7_INS6_11hip_rocprim26transform_input_iterator_tIbNSD_35transform_pair_of_input_iterators_tIbNS6_6detail15normal_iteratorINS6_10device_ptrIKbEEEESL_NS6_8equal_toIbEEEENSG_9not_fun_tINSD_8identityEEEEENSD_19counting_iterator_tIlEES8_S8_S8_S8_S8_S8_S8_S8_EEEEPS9_S9_NSD_9__find_if7functorIS9_EEEE10hipError_tPvRmT1_T2_T3_mT4_P12ihipStream_tbEUlT_E1_NS1_11comp_targetILNS1_3genE10ELNS1_11target_archE1201ELNS1_3gpuE5ELNS1_3repE0EEENS1_30default_config_static_selectorELNS0_4arch9wavefront6targetE0EEEvS14_.uses_vcc, 0
	.set _ZN7rocprim17ROCPRIM_400000_NS6detail17trampoline_kernelINS0_14default_configENS1_22reduce_config_selectorIN6thrust23THRUST_200600_302600_NS5tupleIblNS6_9null_typeES8_S8_S8_S8_S8_S8_S8_EEEEZNS1_11reduce_implILb1ES3_NS6_12zip_iteratorINS7_INS6_11hip_rocprim26transform_input_iterator_tIbNSD_35transform_pair_of_input_iterators_tIbNS6_6detail15normal_iteratorINS6_10device_ptrIKbEEEESL_NS6_8equal_toIbEEEENSG_9not_fun_tINSD_8identityEEEEENSD_19counting_iterator_tIlEES8_S8_S8_S8_S8_S8_S8_S8_EEEEPS9_S9_NSD_9__find_if7functorIS9_EEEE10hipError_tPvRmT1_T2_T3_mT4_P12ihipStream_tbEUlT_E1_NS1_11comp_targetILNS1_3genE10ELNS1_11target_archE1201ELNS1_3gpuE5ELNS1_3repE0EEENS1_30default_config_static_selectorELNS0_4arch9wavefront6targetE0EEEvS14_.uses_flat_scratch, 0
	.set _ZN7rocprim17ROCPRIM_400000_NS6detail17trampoline_kernelINS0_14default_configENS1_22reduce_config_selectorIN6thrust23THRUST_200600_302600_NS5tupleIblNS6_9null_typeES8_S8_S8_S8_S8_S8_S8_EEEEZNS1_11reduce_implILb1ES3_NS6_12zip_iteratorINS7_INS6_11hip_rocprim26transform_input_iterator_tIbNSD_35transform_pair_of_input_iterators_tIbNS6_6detail15normal_iteratorINS6_10device_ptrIKbEEEESL_NS6_8equal_toIbEEEENSG_9not_fun_tINSD_8identityEEEEENSD_19counting_iterator_tIlEES8_S8_S8_S8_S8_S8_S8_S8_EEEEPS9_S9_NSD_9__find_if7functorIS9_EEEE10hipError_tPvRmT1_T2_T3_mT4_P12ihipStream_tbEUlT_E1_NS1_11comp_targetILNS1_3genE10ELNS1_11target_archE1201ELNS1_3gpuE5ELNS1_3repE0EEENS1_30default_config_static_selectorELNS0_4arch9wavefront6targetE0EEEvS14_.has_dyn_sized_stack, 0
	.set _ZN7rocprim17ROCPRIM_400000_NS6detail17trampoline_kernelINS0_14default_configENS1_22reduce_config_selectorIN6thrust23THRUST_200600_302600_NS5tupleIblNS6_9null_typeES8_S8_S8_S8_S8_S8_S8_EEEEZNS1_11reduce_implILb1ES3_NS6_12zip_iteratorINS7_INS6_11hip_rocprim26transform_input_iterator_tIbNSD_35transform_pair_of_input_iterators_tIbNS6_6detail15normal_iteratorINS6_10device_ptrIKbEEEESL_NS6_8equal_toIbEEEENSG_9not_fun_tINSD_8identityEEEEENSD_19counting_iterator_tIlEES8_S8_S8_S8_S8_S8_S8_S8_EEEEPS9_S9_NSD_9__find_if7functorIS9_EEEE10hipError_tPvRmT1_T2_T3_mT4_P12ihipStream_tbEUlT_E1_NS1_11comp_targetILNS1_3genE10ELNS1_11target_archE1201ELNS1_3gpuE5ELNS1_3repE0EEENS1_30default_config_static_selectorELNS0_4arch9wavefront6targetE0EEEvS14_.has_recursion, 0
	.set _ZN7rocprim17ROCPRIM_400000_NS6detail17trampoline_kernelINS0_14default_configENS1_22reduce_config_selectorIN6thrust23THRUST_200600_302600_NS5tupleIblNS6_9null_typeES8_S8_S8_S8_S8_S8_S8_EEEEZNS1_11reduce_implILb1ES3_NS6_12zip_iteratorINS7_INS6_11hip_rocprim26transform_input_iterator_tIbNSD_35transform_pair_of_input_iterators_tIbNS6_6detail15normal_iteratorINS6_10device_ptrIKbEEEESL_NS6_8equal_toIbEEEENSG_9not_fun_tINSD_8identityEEEEENSD_19counting_iterator_tIlEES8_S8_S8_S8_S8_S8_S8_S8_EEEEPS9_S9_NSD_9__find_if7functorIS9_EEEE10hipError_tPvRmT1_T2_T3_mT4_P12ihipStream_tbEUlT_E1_NS1_11comp_targetILNS1_3genE10ELNS1_11target_archE1201ELNS1_3gpuE5ELNS1_3repE0EEENS1_30default_config_static_selectorELNS0_4arch9wavefront6targetE0EEEvS14_.has_indirect_call, 0
	.section	.AMDGPU.csdata,"",@progbits
; Kernel info:
; codeLenInByte = 0
; TotalNumSgprs: 0
; NumVgprs: 0
; ScratchSize: 0
; MemoryBound: 0
; FloatMode: 240
; IeeeMode: 1
; LDSByteSize: 0 bytes/workgroup (compile time only)
; SGPRBlocks: 0
; VGPRBlocks: 0
; NumSGPRsForWavesPerEU: 1
; NumVGPRsForWavesPerEU: 1
; Occupancy: 16
; WaveLimiterHint : 0
; COMPUTE_PGM_RSRC2:SCRATCH_EN: 0
; COMPUTE_PGM_RSRC2:USER_SGPR: 6
; COMPUTE_PGM_RSRC2:TRAP_HANDLER: 0
; COMPUTE_PGM_RSRC2:TGID_X_EN: 1
; COMPUTE_PGM_RSRC2:TGID_Y_EN: 0
; COMPUTE_PGM_RSRC2:TGID_Z_EN: 0
; COMPUTE_PGM_RSRC2:TIDIG_COMP_CNT: 0
	.section	.text._ZN7rocprim17ROCPRIM_400000_NS6detail17trampoline_kernelINS0_14default_configENS1_22reduce_config_selectorIN6thrust23THRUST_200600_302600_NS5tupleIblNS6_9null_typeES8_S8_S8_S8_S8_S8_S8_EEEEZNS1_11reduce_implILb1ES3_NS6_12zip_iteratorINS7_INS6_11hip_rocprim26transform_input_iterator_tIbNSD_35transform_pair_of_input_iterators_tIbNS6_6detail15normal_iteratorINS6_10device_ptrIKbEEEESL_NS6_8equal_toIbEEEENSG_9not_fun_tINSD_8identityEEEEENSD_19counting_iterator_tIlEES8_S8_S8_S8_S8_S8_S8_S8_EEEEPS9_S9_NSD_9__find_if7functorIS9_EEEE10hipError_tPvRmT1_T2_T3_mT4_P12ihipStream_tbEUlT_E1_NS1_11comp_targetILNS1_3genE10ELNS1_11target_archE1200ELNS1_3gpuE4ELNS1_3repE0EEENS1_30default_config_static_selectorELNS0_4arch9wavefront6targetE0EEEvS14_,"axG",@progbits,_ZN7rocprim17ROCPRIM_400000_NS6detail17trampoline_kernelINS0_14default_configENS1_22reduce_config_selectorIN6thrust23THRUST_200600_302600_NS5tupleIblNS6_9null_typeES8_S8_S8_S8_S8_S8_S8_EEEEZNS1_11reduce_implILb1ES3_NS6_12zip_iteratorINS7_INS6_11hip_rocprim26transform_input_iterator_tIbNSD_35transform_pair_of_input_iterators_tIbNS6_6detail15normal_iteratorINS6_10device_ptrIKbEEEESL_NS6_8equal_toIbEEEENSG_9not_fun_tINSD_8identityEEEEENSD_19counting_iterator_tIlEES8_S8_S8_S8_S8_S8_S8_S8_EEEEPS9_S9_NSD_9__find_if7functorIS9_EEEE10hipError_tPvRmT1_T2_T3_mT4_P12ihipStream_tbEUlT_E1_NS1_11comp_targetILNS1_3genE10ELNS1_11target_archE1200ELNS1_3gpuE4ELNS1_3repE0EEENS1_30default_config_static_selectorELNS0_4arch9wavefront6targetE0EEEvS14_,comdat
	.protected	_ZN7rocprim17ROCPRIM_400000_NS6detail17trampoline_kernelINS0_14default_configENS1_22reduce_config_selectorIN6thrust23THRUST_200600_302600_NS5tupleIblNS6_9null_typeES8_S8_S8_S8_S8_S8_S8_EEEEZNS1_11reduce_implILb1ES3_NS6_12zip_iteratorINS7_INS6_11hip_rocprim26transform_input_iterator_tIbNSD_35transform_pair_of_input_iterators_tIbNS6_6detail15normal_iteratorINS6_10device_ptrIKbEEEESL_NS6_8equal_toIbEEEENSG_9not_fun_tINSD_8identityEEEEENSD_19counting_iterator_tIlEES8_S8_S8_S8_S8_S8_S8_S8_EEEEPS9_S9_NSD_9__find_if7functorIS9_EEEE10hipError_tPvRmT1_T2_T3_mT4_P12ihipStream_tbEUlT_E1_NS1_11comp_targetILNS1_3genE10ELNS1_11target_archE1200ELNS1_3gpuE4ELNS1_3repE0EEENS1_30default_config_static_selectorELNS0_4arch9wavefront6targetE0EEEvS14_ ; -- Begin function _ZN7rocprim17ROCPRIM_400000_NS6detail17trampoline_kernelINS0_14default_configENS1_22reduce_config_selectorIN6thrust23THRUST_200600_302600_NS5tupleIblNS6_9null_typeES8_S8_S8_S8_S8_S8_S8_EEEEZNS1_11reduce_implILb1ES3_NS6_12zip_iteratorINS7_INS6_11hip_rocprim26transform_input_iterator_tIbNSD_35transform_pair_of_input_iterators_tIbNS6_6detail15normal_iteratorINS6_10device_ptrIKbEEEESL_NS6_8equal_toIbEEEENSG_9not_fun_tINSD_8identityEEEEENSD_19counting_iterator_tIlEES8_S8_S8_S8_S8_S8_S8_S8_EEEEPS9_S9_NSD_9__find_if7functorIS9_EEEE10hipError_tPvRmT1_T2_T3_mT4_P12ihipStream_tbEUlT_E1_NS1_11comp_targetILNS1_3genE10ELNS1_11target_archE1200ELNS1_3gpuE4ELNS1_3repE0EEENS1_30default_config_static_selectorELNS0_4arch9wavefront6targetE0EEEvS14_
	.globl	_ZN7rocprim17ROCPRIM_400000_NS6detail17trampoline_kernelINS0_14default_configENS1_22reduce_config_selectorIN6thrust23THRUST_200600_302600_NS5tupleIblNS6_9null_typeES8_S8_S8_S8_S8_S8_S8_EEEEZNS1_11reduce_implILb1ES3_NS6_12zip_iteratorINS7_INS6_11hip_rocprim26transform_input_iterator_tIbNSD_35transform_pair_of_input_iterators_tIbNS6_6detail15normal_iteratorINS6_10device_ptrIKbEEEESL_NS6_8equal_toIbEEEENSG_9not_fun_tINSD_8identityEEEEENSD_19counting_iterator_tIlEES8_S8_S8_S8_S8_S8_S8_S8_EEEEPS9_S9_NSD_9__find_if7functorIS9_EEEE10hipError_tPvRmT1_T2_T3_mT4_P12ihipStream_tbEUlT_E1_NS1_11comp_targetILNS1_3genE10ELNS1_11target_archE1200ELNS1_3gpuE4ELNS1_3repE0EEENS1_30default_config_static_selectorELNS0_4arch9wavefront6targetE0EEEvS14_
	.p2align	8
	.type	_ZN7rocprim17ROCPRIM_400000_NS6detail17trampoline_kernelINS0_14default_configENS1_22reduce_config_selectorIN6thrust23THRUST_200600_302600_NS5tupleIblNS6_9null_typeES8_S8_S8_S8_S8_S8_S8_EEEEZNS1_11reduce_implILb1ES3_NS6_12zip_iteratorINS7_INS6_11hip_rocprim26transform_input_iterator_tIbNSD_35transform_pair_of_input_iterators_tIbNS6_6detail15normal_iteratorINS6_10device_ptrIKbEEEESL_NS6_8equal_toIbEEEENSG_9not_fun_tINSD_8identityEEEEENSD_19counting_iterator_tIlEES8_S8_S8_S8_S8_S8_S8_S8_EEEEPS9_S9_NSD_9__find_if7functorIS9_EEEE10hipError_tPvRmT1_T2_T3_mT4_P12ihipStream_tbEUlT_E1_NS1_11comp_targetILNS1_3genE10ELNS1_11target_archE1200ELNS1_3gpuE4ELNS1_3repE0EEENS1_30default_config_static_selectorELNS0_4arch9wavefront6targetE0EEEvS14_,@function
_ZN7rocprim17ROCPRIM_400000_NS6detail17trampoline_kernelINS0_14default_configENS1_22reduce_config_selectorIN6thrust23THRUST_200600_302600_NS5tupleIblNS6_9null_typeES8_S8_S8_S8_S8_S8_S8_EEEEZNS1_11reduce_implILb1ES3_NS6_12zip_iteratorINS7_INS6_11hip_rocprim26transform_input_iterator_tIbNSD_35transform_pair_of_input_iterators_tIbNS6_6detail15normal_iteratorINS6_10device_ptrIKbEEEESL_NS6_8equal_toIbEEEENSG_9not_fun_tINSD_8identityEEEEENSD_19counting_iterator_tIlEES8_S8_S8_S8_S8_S8_S8_S8_EEEEPS9_S9_NSD_9__find_if7functorIS9_EEEE10hipError_tPvRmT1_T2_T3_mT4_P12ihipStream_tbEUlT_E1_NS1_11comp_targetILNS1_3genE10ELNS1_11target_archE1200ELNS1_3gpuE4ELNS1_3repE0EEENS1_30default_config_static_selectorELNS0_4arch9wavefront6targetE0EEEvS14_: ; @_ZN7rocprim17ROCPRIM_400000_NS6detail17trampoline_kernelINS0_14default_configENS1_22reduce_config_selectorIN6thrust23THRUST_200600_302600_NS5tupleIblNS6_9null_typeES8_S8_S8_S8_S8_S8_S8_EEEEZNS1_11reduce_implILb1ES3_NS6_12zip_iteratorINS7_INS6_11hip_rocprim26transform_input_iterator_tIbNSD_35transform_pair_of_input_iterators_tIbNS6_6detail15normal_iteratorINS6_10device_ptrIKbEEEESL_NS6_8equal_toIbEEEENSG_9not_fun_tINSD_8identityEEEEENSD_19counting_iterator_tIlEES8_S8_S8_S8_S8_S8_S8_S8_EEEEPS9_S9_NSD_9__find_if7functorIS9_EEEE10hipError_tPvRmT1_T2_T3_mT4_P12ihipStream_tbEUlT_E1_NS1_11comp_targetILNS1_3genE10ELNS1_11target_archE1200ELNS1_3gpuE4ELNS1_3repE0EEENS1_30default_config_static_selectorELNS0_4arch9wavefront6targetE0EEEvS14_
; %bb.0:
	.section	.rodata,"a",@progbits
	.p2align	6, 0x0
	.amdhsa_kernel _ZN7rocprim17ROCPRIM_400000_NS6detail17trampoline_kernelINS0_14default_configENS1_22reduce_config_selectorIN6thrust23THRUST_200600_302600_NS5tupleIblNS6_9null_typeES8_S8_S8_S8_S8_S8_S8_EEEEZNS1_11reduce_implILb1ES3_NS6_12zip_iteratorINS7_INS6_11hip_rocprim26transform_input_iterator_tIbNSD_35transform_pair_of_input_iterators_tIbNS6_6detail15normal_iteratorINS6_10device_ptrIKbEEEESL_NS6_8equal_toIbEEEENSG_9not_fun_tINSD_8identityEEEEENSD_19counting_iterator_tIlEES8_S8_S8_S8_S8_S8_S8_S8_EEEEPS9_S9_NSD_9__find_if7functorIS9_EEEE10hipError_tPvRmT1_T2_T3_mT4_P12ihipStream_tbEUlT_E1_NS1_11comp_targetILNS1_3genE10ELNS1_11target_archE1200ELNS1_3gpuE4ELNS1_3repE0EEENS1_30default_config_static_selectorELNS0_4arch9wavefront6targetE0EEEvS14_
		.amdhsa_group_segment_fixed_size 0
		.amdhsa_private_segment_fixed_size 0
		.amdhsa_kernarg_size 88
		.amdhsa_user_sgpr_count 6
		.amdhsa_user_sgpr_private_segment_buffer 1
		.amdhsa_user_sgpr_dispatch_ptr 0
		.amdhsa_user_sgpr_queue_ptr 0
		.amdhsa_user_sgpr_kernarg_segment_ptr 1
		.amdhsa_user_sgpr_dispatch_id 0
		.amdhsa_user_sgpr_flat_scratch_init 0
		.amdhsa_user_sgpr_private_segment_size 0
		.amdhsa_wavefront_size32 1
		.amdhsa_uses_dynamic_stack 0
		.amdhsa_system_sgpr_private_segment_wavefront_offset 0
		.amdhsa_system_sgpr_workgroup_id_x 1
		.amdhsa_system_sgpr_workgroup_id_y 0
		.amdhsa_system_sgpr_workgroup_id_z 0
		.amdhsa_system_sgpr_workgroup_info 0
		.amdhsa_system_vgpr_workitem_id 0
		.amdhsa_next_free_vgpr 1
		.amdhsa_next_free_sgpr 1
		.amdhsa_reserve_vcc 0
		.amdhsa_reserve_flat_scratch 0
		.amdhsa_float_round_mode_32 0
		.amdhsa_float_round_mode_16_64 0
		.amdhsa_float_denorm_mode_32 3
		.amdhsa_float_denorm_mode_16_64 3
		.amdhsa_dx10_clamp 1
		.amdhsa_ieee_mode 1
		.amdhsa_fp16_overflow 0
		.amdhsa_workgroup_processor_mode 1
		.amdhsa_memory_ordered 1
		.amdhsa_forward_progress 1
		.amdhsa_shared_vgpr_count 0
		.amdhsa_exception_fp_ieee_invalid_op 0
		.amdhsa_exception_fp_denorm_src 0
		.amdhsa_exception_fp_ieee_div_zero 0
		.amdhsa_exception_fp_ieee_overflow 0
		.amdhsa_exception_fp_ieee_underflow 0
		.amdhsa_exception_fp_ieee_inexact 0
		.amdhsa_exception_int_div_zero 0
	.end_amdhsa_kernel
	.section	.text._ZN7rocprim17ROCPRIM_400000_NS6detail17trampoline_kernelINS0_14default_configENS1_22reduce_config_selectorIN6thrust23THRUST_200600_302600_NS5tupleIblNS6_9null_typeES8_S8_S8_S8_S8_S8_S8_EEEEZNS1_11reduce_implILb1ES3_NS6_12zip_iteratorINS7_INS6_11hip_rocprim26transform_input_iterator_tIbNSD_35transform_pair_of_input_iterators_tIbNS6_6detail15normal_iteratorINS6_10device_ptrIKbEEEESL_NS6_8equal_toIbEEEENSG_9not_fun_tINSD_8identityEEEEENSD_19counting_iterator_tIlEES8_S8_S8_S8_S8_S8_S8_S8_EEEEPS9_S9_NSD_9__find_if7functorIS9_EEEE10hipError_tPvRmT1_T2_T3_mT4_P12ihipStream_tbEUlT_E1_NS1_11comp_targetILNS1_3genE10ELNS1_11target_archE1200ELNS1_3gpuE4ELNS1_3repE0EEENS1_30default_config_static_selectorELNS0_4arch9wavefront6targetE0EEEvS14_,"axG",@progbits,_ZN7rocprim17ROCPRIM_400000_NS6detail17trampoline_kernelINS0_14default_configENS1_22reduce_config_selectorIN6thrust23THRUST_200600_302600_NS5tupleIblNS6_9null_typeES8_S8_S8_S8_S8_S8_S8_EEEEZNS1_11reduce_implILb1ES3_NS6_12zip_iteratorINS7_INS6_11hip_rocprim26transform_input_iterator_tIbNSD_35transform_pair_of_input_iterators_tIbNS6_6detail15normal_iteratorINS6_10device_ptrIKbEEEESL_NS6_8equal_toIbEEEENSG_9not_fun_tINSD_8identityEEEEENSD_19counting_iterator_tIlEES8_S8_S8_S8_S8_S8_S8_S8_EEEEPS9_S9_NSD_9__find_if7functorIS9_EEEE10hipError_tPvRmT1_T2_T3_mT4_P12ihipStream_tbEUlT_E1_NS1_11comp_targetILNS1_3genE10ELNS1_11target_archE1200ELNS1_3gpuE4ELNS1_3repE0EEENS1_30default_config_static_selectorELNS0_4arch9wavefront6targetE0EEEvS14_,comdat
.Lfunc_end758:
	.size	_ZN7rocprim17ROCPRIM_400000_NS6detail17trampoline_kernelINS0_14default_configENS1_22reduce_config_selectorIN6thrust23THRUST_200600_302600_NS5tupleIblNS6_9null_typeES8_S8_S8_S8_S8_S8_S8_EEEEZNS1_11reduce_implILb1ES3_NS6_12zip_iteratorINS7_INS6_11hip_rocprim26transform_input_iterator_tIbNSD_35transform_pair_of_input_iterators_tIbNS6_6detail15normal_iteratorINS6_10device_ptrIKbEEEESL_NS6_8equal_toIbEEEENSG_9not_fun_tINSD_8identityEEEEENSD_19counting_iterator_tIlEES8_S8_S8_S8_S8_S8_S8_S8_EEEEPS9_S9_NSD_9__find_if7functorIS9_EEEE10hipError_tPvRmT1_T2_T3_mT4_P12ihipStream_tbEUlT_E1_NS1_11comp_targetILNS1_3genE10ELNS1_11target_archE1200ELNS1_3gpuE4ELNS1_3repE0EEENS1_30default_config_static_selectorELNS0_4arch9wavefront6targetE0EEEvS14_, .Lfunc_end758-_ZN7rocprim17ROCPRIM_400000_NS6detail17trampoline_kernelINS0_14default_configENS1_22reduce_config_selectorIN6thrust23THRUST_200600_302600_NS5tupleIblNS6_9null_typeES8_S8_S8_S8_S8_S8_S8_EEEEZNS1_11reduce_implILb1ES3_NS6_12zip_iteratorINS7_INS6_11hip_rocprim26transform_input_iterator_tIbNSD_35transform_pair_of_input_iterators_tIbNS6_6detail15normal_iteratorINS6_10device_ptrIKbEEEESL_NS6_8equal_toIbEEEENSG_9not_fun_tINSD_8identityEEEEENSD_19counting_iterator_tIlEES8_S8_S8_S8_S8_S8_S8_S8_EEEEPS9_S9_NSD_9__find_if7functorIS9_EEEE10hipError_tPvRmT1_T2_T3_mT4_P12ihipStream_tbEUlT_E1_NS1_11comp_targetILNS1_3genE10ELNS1_11target_archE1200ELNS1_3gpuE4ELNS1_3repE0EEENS1_30default_config_static_selectorELNS0_4arch9wavefront6targetE0EEEvS14_
                                        ; -- End function
	.set _ZN7rocprim17ROCPRIM_400000_NS6detail17trampoline_kernelINS0_14default_configENS1_22reduce_config_selectorIN6thrust23THRUST_200600_302600_NS5tupleIblNS6_9null_typeES8_S8_S8_S8_S8_S8_S8_EEEEZNS1_11reduce_implILb1ES3_NS6_12zip_iteratorINS7_INS6_11hip_rocprim26transform_input_iterator_tIbNSD_35transform_pair_of_input_iterators_tIbNS6_6detail15normal_iteratorINS6_10device_ptrIKbEEEESL_NS6_8equal_toIbEEEENSG_9not_fun_tINSD_8identityEEEEENSD_19counting_iterator_tIlEES8_S8_S8_S8_S8_S8_S8_S8_EEEEPS9_S9_NSD_9__find_if7functorIS9_EEEE10hipError_tPvRmT1_T2_T3_mT4_P12ihipStream_tbEUlT_E1_NS1_11comp_targetILNS1_3genE10ELNS1_11target_archE1200ELNS1_3gpuE4ELNS1_3repE0EEENS1_30default_config_static_selectorELNS0_4arch9wavefront6targetE0EEEvS14_.num_vgpr, 0
	.set _ZN7rocprim17ROCPRIM_400000_NS6detail17trampoline_kernelINS0_14default_configENS1_22reduce_config_selectorIN6thrust23THRUST_200600_302600_NS5tupleIblNS6_9null_typeES8_S8_S8_S8_S8_S8_S8_EEEEZNS1_11reduce_implILb1ES3_NS6_12zip_iteratorINS7_INS6_11hip_rocprim26transform_input_iterator_tIbNSD_35transform_pair_of_input_iterators_tIbNS6_6detail15normal_iteratorINS6_10device_ptrIKbEEEESL_NS6_8equal_toIbEEEENSG_9not_fun_tINSD_8identityEEEEENSD_19counting_iterator_tIlEES8_S8_S8_S8_S8_S8_S8_S8_EEEEPS9_S9_NSD_9__find_if7functorIS9_EEEE10hipError_tPvRmT1_T2_T3_mT4_P12ihipStream_tbEUlT_E1_NS1_11comp_targetILNS1_3genE10ELNS1_11target_archE1200ELNS1_3gpuE4ELNS1_3repE0EEENS1_30default_config_static_selectorELNS0_4arch9wavefront6targetE0EEEvS14_.num_agpr, 0
	.set _ZN7rocprim17ROCPRIM_400000_NS6detail17trampoline_kernelINS0_14default_configENS1_22reduce_config_selectorIN6thrust23THRUST_200600_302600_NS5tupleIblNS6_9null_typeES8_S8_S8_S8_S8_S8_S8_EEEEZNS1_11reduce_implILb1ES3_NS6_12zip_iteratorINS7_INS6_11hip_rocprim26transform_input_iterator_tIbNSD_35transform_pair_of_input_iterators_tIbNS6_6detail15normal_iteratorINS6_10device_ptrIKbEEEESL_NS6_8equal_toIbEEEENSG_9not_fun_tINSD_8identityEEEEENSD_19counting_iterator_tIlEES8_S8_S8_S8_S8_S8_S8_S8_EEEEPS9_S9_NSD_9__find_if7functorIS9_EEEE10hipError_tPvRmT1_T2_T3_mT4_P12ihipStream_tbEUlT_E1_NS1_11comp_targetILNS1_3genE10ELNS1_11target_archE1200ELNS1_3gpuE4ELNS1_3repE0EEENS1_30default_config_static_selectorELNS0_4arch9wavefront6targetE0EEEvS14_.numbered_sgpr, 0
	.set _ZN7rocprim17ROCPRIM_400000_NS6detail17trampoline_kernelINS0_14default_configENS1_22reduce_config_selectorIN6thrust23THRUST_200600_302600_NS5tupleIblNS6_9null_typeES8_S8_S8_S8_S8_S8_S8_EEEEZNS1_11reduce_implILb1ES3_NS6_12zip_iteratorINS7_INS6_11hip_rocprim26transform_input_iterator_tIbNSD_35transform_pair_of_input_iterators_tIbNS6_6detail15normal_iteratorINS6_10device_ptrIKbEEEESL_NS6_8equal_toIbEEEENSG_9not_fun_tINSD_8identityEEEEENSD_19counting_iterator_tIlEES8_S8_S8_S8_S8_S8_S8_S8_EEEEPS9_S9_NSD_9__find_if7functorIS9_EEEE10hipError_tPvRmT1_T2_T3_mT4_P12ihipStream_tbEUlT_E1_NS1_11comp_targetILNS1_3genE10ELNS1_11target_archE1200ELNS1_3gpuE4ELNS1_3repE0EEENS1_30default_config_static_selectorELNS0_4arch9wavefront6targetE0EEEvS14_.num_named_barrier, 0
	.set _ZN7rocprim17ROCPRIM_400000_NS6detail17trampoline_kernelINS0_14default_configENS1_22reduce_config_selectorIN6thrust23THRUST_200600_302600_NS5tupleIblNS6_9null_typeES8_S8_S8_S8_S8_S8_S8_EEEEZNS1_11reduce_implILb1ES3_NS6_12zip_iteratorINS7_INS6_11hip_rocprim26transform_input_iterator_tIbNSD_35transform_pair_of_input_iterators_tIbNS6_6detail15normal_iteratorINS6_10device_ptrIKbEEEESL_NS6_8equal_toIbEEEENSG_9not_fun_tINSD_8identityEEEEENSD_19counting_iterator_tIlEES8_S8_S8_S8_S8_S8_S8_S8_EEEEPS9_S9_NSD_9__find_if7functorIS9_EEEE10hipError_tPvRmT1_T2_T3_mT4_P12ihipStream_tbEUlT_E1_NS1_11comp_targetILNS1_3genE10ELNS1_11target_archE1200ELNS1_3gpuE4ELNS1_3repE0EEENS1_30default_config_static_selectorELNS0_4arch9wavefront6targetE0EEEvS14_.private_seg_size, 0
	.set _ZN7rocprim17ROCPRIM_400000_NS6detail17trampoline_kernelINS0_14default_configENS1_22reduce_config_selectorIN6thrust23THRUST_200600_302600_NS5tupleIblNS6_9null_typeES8_S8_S8_S8_S8_S8_S8_EEEEZNS1_11reduce_implILb1ES3_NS6_12zip_iteratorINS7_INS6_11hip_rocprim26transform_input_iterator_tIbNSD_35transform_pair_of_input_iterators_tIbNS6_6detail15normal_iteratorINS6_10device_ptrIKbEEEESL_NS6_8equal_toIbEEEENSG_9not_fun_tINSD_8identityEEEEENSD_19counting_iterator_tIlEES8_S8_S8_S8_S8_S8_S8_S8_EEEEPS9_S9_NSD_9__find_if7functorIS9_EEEE10hipError_tPvRmT1_T2_T3_mT4_P12ihipStream_tbEUlT_E1_NS1_11comp_targetILNS1_3genE10ELNS1_11target_archE1200ELNS1_3gpuE4ELNS1_3repE0EEENS1_30default_config_static_selectorELNS0_4arch9wavefront6targetE0EEEvS14_.uses_vcc, 0
	.set _ZN7rocprim17ROCPRIM_400000_NS6detail17trampoline_kernelINS0_14default_configENS1_22reduce_config_selectorIN6thrust23THRUST_200600_302600_NS5tupleIblNS6_9null_typeES8_S8_S8_S8_S8_S8_S8_EEEEZNS1_11reduce_implILb1ES3_NS6_12zip_iteratorINS7_INS6_11hip_rocprim26transform_input_iterator_tIbNSD_35transform_pair_of_input_iterators_tIbNS6_6detail15normal_iteratorINS6_10device_ptrIKbEEEESL_NS6_8equal_toIbEEEENSG_9not_fun_tINSD_8identityEEEEENSD_19counting_iterator_tIlEES8_S8_S8_S8_S8_S8_S8_S8_EEEEPS9_S9_NSD_9__find_if7functorIS9_EEEE10hipError_tPvRmT1_T2_T3_mT4_P12ihipStream_tbEUlT_E1_NS1_11comp_targetILNS1_3genE10ELNS1_11target_archE1200ELNS1_3gpuE4ELNS1_3repE0EEENS1_30default_config_static_selectorELNS0_4arch9wavefront6targetE0EEEvS14_.uses_flat_scratch, 0
	.set _ZN7rocprim17ROCPRIM_400000_NS6detail17trampoline_kernelINS0_14default_configENS1_22reduce_config_selectorIN6thrust23THRUST_200600_302600_NS5tupleIblNS6_9null_typeES8_S8_S8_S8_S8_S8_S8_EEEEZNS1_11reduce_implILb1ES3_NS6_12zip_iteratorINS7_INS6_11hip_rocprim26transform_input_iterator_tIbNSD_35transform_pair_of_input_iterators_tIbNS6_6detail15normal_iteratorINS6_10device_ptrIKbEEEESL_NS6_8equal_toIbEEEENSG_9not_fun_tINSD_8identityEEEEENSD_19counting_iterator_tIlEES8_S8_S8_S8_S8_S8_S8_S8_EEEEPS9_S9_NSD_9__find_if7functorIS9_EEEE10hipError_tPvRmT1_T2_T3_mT4_P12ihipStream_tbEUlT_E1_NS1_11comp_targetILNS1_3genE10ELNS1_11target_archE1200ELNS1_3gpuE4ELNS1_3repE0EEENS1_30default_config_static_selectorELNS0_4arch9wavefront6targetE0EEEvS14_.has_dyn_sized_stack, 0
	.set _ZN7rocprim17ROCPRIM_400000_NS6detail17trampoline_kernelINS0_14default_configENS1_22reduce_config_selectorIN6thrust23THRUST_200600_302600_NS5tupleIblNS6_9null_typeES8_S8_S8_S8_S8_S8_S8_EEEEZNS1_11reduce_implILb1ES3_NS6_12zip_iteratorINS7_INS6_11hip_rocprim26transform_input_iterator_tIbNSD_35transform_pair_of_input_iterators_tIbNS6_6detail15normal_iteratorINS6_10device_ptrIKbEEEESL_NS6_8equal_toIbEEEENSG_9not_fun_tINSD_8identityEEEEENSD_19counting_iterator_tIlEES8_S8_S8_S8_S8_S8_S8_S8_EEEEPS9_S9_NSD_9__find_if7functorIS9_EEEE10hipError_tPvRmT1_T2_T3_mT4_P12ihipStream_tbEUlT_E1_NS1_11comp_targetILNS1_3genE10ELNS1_11target_archE1200ELNS1_3gpuE4ELNS1_3repE0EEENS1_30default_config_static_selectorELNS0_4arch9wavefront6targetE0EEEvS14_.has_recursion, 0
	.set _ZN7rocprim17ROCPRIM_400000_NS6detail17trampoline_kernelINS0_14default_configENS1_22reduce_config_selectorIN6thrust23THRUST_200600_302600_NS5tupleIblNS6_9null_typeES8_S8_S8_S8_S8_S8_S8_EEEEZNS1_11reduce_implILb1ES3_NS6_12zip_iteratorINS7_INS6_11hip_rocprim26transform_input_iterator_tIbNSD_35transform_pair_of_input_iterators_tIbNS6_6detail15normal_iteratorINS6_10device_ptrIKbEEEESL_NS6_8equal_toIbEEEENSG_9not_fun_tINSD_8identityEEEEENSD_19counting_iterator_tIlEES8_S8_S8_S8_S8_S8_S8_S8_EEEEPS9_S9_NSD_9__find_if7functorIS9_EEEE10hipError_tPvRmT1_T2_T3_mT4_P12ihipStream_tbEUlT_E1_NS1_11comp_targetILNS1_3genE10ELNS1_11target_archE1200ELNS1_3gpuE4ELNS1_3repE0EEENS1_30default_config_static_selectorELNS0_4arch9wavefront6targetE0EEEvS14_.has_indirect_call, 0
	.section	.AMDGPU.csdata,"",@progbits
; Kernel info:
; codeLenInByte = 0
; TotalNumSgprs: 0
; NumVgprs: 0
; ScratchSize: 0
; MemoryBound: 0
; FloatMode: 240
; IeeeMode: 1
; LDSByteSize: 0 bytes/workgroup (compile time only)
; SGPRBlocks: 0
; VGPRBlocks: 0
; NumSGPRsForWavesPerEU: 1
; NumVGPRsForWavesPerEU: 1
; Occupancy: 16
; WaveLimiterHint : 0
; COMPUTE_PGM_RSRC2:SCRATCH_EN: 0
; COMPUTE_PGM_RSRC2:USER_SGPR: 6
; COMPUTE_PGM_RSRC2:TRAP_HANDLER: 0
; COMPUTE_PGM_RSRC2:TGID_X_EN: 1
; COMPUTE_PGM_RSRC2:TGID_Y_EN: 0
; COMPUTE_PGM_RSRC2:TGID_Z_EN: 0
; COMPUTE_PGM_RSRC2:TIDIG_COMP_CNT: 0
	.section	.text._ZN7rocprim17ROCPRIM_400000_NS6detail17trampoline_kernelINS0_14default_configENS1_22reduce_config_selectorIN6thrust23THRUST_200600_302600_NS5tupleIblNS6_9null_typeES8_S8_S8_S8_S8_S8_S8_EEEEZNS1_11reduce_implILb1ES3_NS6_12zip_iteratorINS7_INS6_11hip_rocprim26transform_input_iterator_tIbNSD_35transform_pair_of_input_iterators_tIbNS6_6detail15normal_iteratorINS6_10device_ptrIKbEEEESL_NS6_8equal_toIbEEEENSG_9not_fun_tINSD_8identityEEEEENSD_19counting_iterator_tIlEES8_S8_S8_S8_S8_S8_S8_S8_EEEEPS9_S9_NSD_9__find_if7functorIS9_EEEE10hipError_tPvRmT1_T2_T3_mT4_P12ihipStream_tbEUlT_E1_NS1_11comp_targetILNS1_3genE9ELNS1_11target_archE1100ELNS1_3gpuE3ELNS1_3repE0EEENS1_30default_config_static_selectorELNS0_4arch9wavefront6targetE0EEEvS14_,"axG",@progbits,_ZN7rocprim17ROCPRIM_400000_NS6detail17trampoline_kernelINS0_14default_configENS1_22reduce_config_selectorIN6thrust23THRUST_200600_302600_NS5tupleIblNS6_9null_typeES8_S8_S8_S8_S8_S8_S8_EEEEZNS1_11reduce_implILb1ES3_NS6_12zip_iteratorINS7_INS6_11hip_rocprim26transform_input_iterator_tIbNSD_35transform_pair_of_input_iterators_tIbNS6_6detail15normal_iteratorINS6_10device_ptrIKbEEEESL_NS6_8equal_toIbEEEENSG_9not_fun_tINSD_8identityEEEEENSD_19counting_iterator_tIlEES8_S8_S8_S8_S8_S8_S8_S8_EEEEPS9_S9_NSD_9__find_if7functorIS9_EEEE10hipError_tPvRmT1_T2_T3_mT4_P12ihipStream_tbEUlT_E1_NS1_11comp_targetILNS1_3genE9ELNS1_11target_archE1100ELNS1_3gpuE3ELNS1_3repE0EEENS1_30default_config_static_selectorELNS0_4arch9wavefront6targetE0EEEvS14_,comdat
	.protected	_ZN7rocprim17ROCPRIM_400000_NS6detail17trampoline_kernelINS0_14default_configENS1_22reduce_config_selectorIN6thrust23THRUST_200600_302600_NS5tupleIblNS6_9null_typeES8_S8_S8_S8_S8_S8_S8_EEEEZNS1_11reduce_implILb1ES3_NS6_12zip_iteratorINS7_INS6_11hip_rocprim26transform_input_iterator_tIbNSD_35transform_pair_of_input_iterators_tIbNS6_6detail15normal_iteratorINS6_10device_ptrIKbEEEESL_NS6_8equal_toIbEEEENSG_9not_fun_tINSD_8identityEEEEENSD_19counting_iterator_tIlEES8_S8_S8_S8_S8_S8_S8_S8_EEEEPS9_S9_NSD_9__find_if7functorIS9_EEEE10hipError_tPvRmT1_T2_T3_mT4_P12ihipStream_tbEUlT_E1_NS1_11comp_targetILNS1_3genE9ELNS1_11target_archE1100ELNS1_3gpuE3ELNS1_3repE0EEENS1_30default_config_static_selectorELNS0_4arch9wavefront6targetE0EEEvS14_ ; -- Begin function _ZN7rocprim17ROCPRIM_400000_NS6detail17trampoline_kernelINS0_14default_configENS1_22reduce_config_selectorIN6thrust23THRUST_200600_302600_NS5tupleIblNS6_9null_typeES8_S8_S8_S8_S8_S8_S8_EEEEZNS1_11reduce_implILb1ES3_NS6_12zip_iteratorINS7_INS6_11hip_rocprim26transform_input_iterator_tIbNSD_35transform_pair_of_input_iterators_tIbNS6_6detail15normal_iteratorINS6_10device_ptrIKbEEEESL_NS6_8equal_toIbEEEENSG_9not_fun_tINSD_8identityEEEEENSD_19counting_iterator_tIlEES8_S8_S8_S8_S8_S8_S8_S8_EEEEPS9_S9_NSD_9__find_if7functorIS9_EEEE10hipError_tPvRmT1_T2_T3_mT4_P12ihipStream_tbEUlT_E1_NS1_11comp_targetILNS1_3genE9ELNS1_11target_archE1100ELNS1_3gpuE3ELNS1_3repE0EEENS1_30default_config_static_selectorELNS0_4arch9wavefront6targetE0EEEvS14_
	.globl	_ZN7rocprim17ROCPRIM_400000_NS6detail17trampoline_kernelINS0_14default_configENS1_22reduce_config_selectorIN6thrust23THRUST_200600_302600_NS5tupleIblNS6_9null_typeES8_S8_S8_S8_S8_S8_S8_EEEEZNS1_11reduce_implILb1ES3_NS6_12zip_iteratorINS7_INS6_11hip_rocprim26transform_input_iterator_tIbNSD_35transform_pair_of_input_iterators_tIbNS6_6detail15normal_iteratorINS6_10device_ptrIKbEEEESL_NS6_8equal_toIbEEEENSG_9not_fun_tINSD_8identityEEEEENSD_19counting_iterator_tIlEES8_S8_S8_S8_S8_S8_S8_S8_EEEEPS9_S9_NSD_9__find_if7functorIS9_EEEE10hipError_tPvRmT1_T2_T3_mT4_P12ihipStream_tbEUlT_E1_NS1_11comp_targetILNS1_3genE9ELNS1_11target_archE1100ELNS1_3gpuE3ELNS1_3repE0EEENS1_30default_config_static_selectorELNS0_4arch9wavefront6targetE0EEEvS14_
	.p2align	8
	.type	_ZN7rocprim17ROCPRIM_400000_NS6detail17trampoline_kernelINS0_14default_configENS1_22reduce_config_selectorIN6thrust23THRUST_200600_302600_NS5tupleIblNS6_9null_typeES8_S8_S8_S8_S8_S8_S8_EEEEZNS1_11reduce_implILb1ES3_NS6_12zip_iteratorINS7_INS6_11hip_rocprim26transform_input_iterator_tIbNSD_35transform_pair_of_input_iterators_tIbNS6_6detail15normal_iteratorINS6_10device_ptrIKbEEEESL_NS6_8equal_toIbEEEENSG_9not_fun_tINSD_8identityEEEEENSD_19counting_iterator_tIlEES8_S8_S8_S8_S8_S8_S8_S8_EEEEPS9_S9_NSD_9__find_if7functorIS9_EEEE10hipError_tPvRmT1_T2_T3_mT4_P12ihipStream_tbEUlT_E1_NS1_11comp_targetILNS1_3genE9ELNS1_11target_archE1100ELNS1_3gpuE3ELNS1_3repE0EEENS1_30default_config_static_selectorELNS0_4arch9wavefront6targetE0EEEvS14_,@function
_ZN7rocprim17ROCPRIM_400000_NS6detail17trampoline_kernelINS0_14default_configENS1_22reduce_config_selectorIN6thrust23THRUST_200600_302600_NS5tupleIblNS6_9null_typeES8_S8_S8_S8_S8_S8_S8_EEEEZNS1_11reduce_implILb1ES3_NS6_12zip_iteratorINS7_INS6_11hip_rocprim26transform_input_iterator_tIbNSD_35transform_pair_of_input_iterators_tIbNS6_6detail15normal_iteratorINS6_10device_ptrIKbEEEESL_NS6_8equal_toIbEEEENSG_9not_fun_tINSD_8identityEEEEENSD_19counting_iterator_tIlEES8_S8_S8_S8_S8_S8_S8_S8_EEEEPS9_S9_NSD_9__find_if7functorIS9_EEEE10hipError_tPvRmT1_T2_T3_mT4_P12ihipStream_tbEUlT_E1_NS1_11comp_targetILNS1_3genE9ELNS1_11target_archE1100ELNS1_3gpuE3ELNS1_3repE0EEENS1_30default_config_static_selectorELNS0_4arch9wavefront6targetE0EEEvS14_: ; @_ZN7rocprim17ROCPRIM_400000_NS6detail17trampoline_kernelINS0_14default_configENS1_22reduce_config_selectorIN6thrust23THRUST_200600_302600_NS5tupleIblNS6_9null_typeES8_S8_S8_S8_S8_S8_S8_EEEEZNS1_11reduce_implILb1ES3_NS6_12zip_iteratorINS7_INS6_11hip_rocprim26transform_input_iterator_tIbNSD_35transform_pair_of_input_iterators_tIbNS6_6detail15normal_iteratorINS6_10device_ptrIKbEEEESL_NS6_8equal_toIbEEEENSG_9not_fun_tINSD_8identityEEEEENSD_19counting_iterator_tIlEES8_S8_S8_S8_S8_S8_S8_S8_EEEEPS9_S9_NSD_9__find_if7functorIS9_EEEE10hipError_tPvRmT1_T2_T3_mT4_P12ihipStream_tbEUlT_E1_NS1_11comp_targetILNS1_3genE9ELNS1_11target_archE1100ELNS1_3gpuE3ELNS1_3repE0EEENS1_30default_config_static_selectorELNS0_4arch9wavefront6targetE0EEEvS14_
; %bb.0:
	.section	.rodata,"a",@progbits
	.p2align	6, 0x0
	.amdhsa_kernel _ZN7rocprim17ROCPRIM_400000_NS6detail17trampoline_kernelINS0_14default_configENS1_22reduce_config_selectorIN6thrust23THRUST_200600_302600_NS5tupleIblNS6_9null_typeES8_S8_S8_S8_S8_S8_S8_EEEEZNS1_11reduce_implILb1ES3_NS6_12zip_iteratorINS7_INS6_11hip_rocprim26transform_input_iterator_tIbNSD_35transform_pair_of_input_iterators_tIbNS6_6detail15normal_iteratorINS6_10device_ptrIKbEEEESL_NS6_8equal_toIbEEEENSG_9not_fun_tINSD_8identityEEEEENSD_19counting_iterator_tIlEES8_S8_S8_S8_S8_S8_S8_S8_EEEEPS9_S9_NSD_9__find_if7functorIS9_EEEE10hipError_tPvRmT1_T2_T3_mT4_P12ihipStream_tbEUlT_E1_NS1_11comp_targetILNS1_3genE9ELNS1_11target_archE1100ELNS1_3gpuE3ELNS1_3repE0EEENS1_30default_config_static_selectorELNS0_4arch9wavefront6targetE0EEEvS14_
		.amdhsa_group_segment_fixed_size 0
		.amdhsa_private_segment_fixed_size 0
		.amdhsa_kernarg_size 88
		.amdhsa_user_sgpr_count 6
		.amdhsa_user_sgpr_private_segment_buffer 1
		.amdhsa_user_sgpr_dispatch_ptr 0
		.amdhsa_user_sgpr_queue_ptr 0
		.amdhsa_user_sgpr_kernarg_segment_ptr 1
		.amdhsa_user_sgpr_dispatch_id 0
		.amdhsa_user_sgpr_flat_scratch_init 0
		.amdhsa_user_sgpr_private_segment_size 0
		.amdhsa_wavefront_size32 1
		.amdhsa_uses_dynamic_stack 0
		.amdhsa_system_sgpr_private_segment_wavefront_offset 0
		.amdhsa_system_sgpr_workgroup_id_x 1
		.amdhsa_system_sgpr_workgroup_id_y 0
		.amdhsa_system_sgpr_workgroup_id_z 0
		.amdhsa_system_sgpr_workgroup_info 0
		.amdhsa_system_vgpr_workitem_id 0
		.amdhsa_next_free_vgpr 1
		.amdhsa_next_free_sgpr 1
		.amdhsa_reserve_vcc 0
		.amdhsa_reserve_flat_scratch 0
		.amdhsa_float_round_mode_32 0
		.amdhsa_float_round_mode_16_64 0
		.amdhsa_float_denorm_mode_32 3
		.amdhsa_float_denorm_mode_16_64 3
		.amdhsa_dx10_clamp 1
		.amdhsa_ieee_mode 1
		.amdhsa_fp16_overflow 0
		.amdhsa_workgroup_processor_mode 1
		.amdhsa_memory_ordered 1
		.amdhsa_forward_progress 1
		.amdhsa_shared_vgpr_count 0
		.amdhsa_exception_fp_ieee_invalid_op 0
		.amdhsa_exception_fp_denorm_src 0
		.amdhsa_exception_fp_ieee_div_zero 0
		.amdhsa_exception_fp_ieee_overflow 0
		.amdhsa_exception_fp_ieee_underflow 0
		.amdhsa_exception_fp_ieee_inexact 0
		.amdhsa_exception_int_div_zero 0
	.end_amdhsa_kernel
	.section	.text._ZN7rocprim17ROCPRIM_400000_NS6detail17trampoline_kernelINS0_14default_configENS1_22reduce_config_selectorIN6thrust23THRUST_200600_302600_NS5tupleIblNS6_9null_typeES8_S8_S8_S8_S8_S8_S8_EEEEZNS1_11reduce_implILb1ES3_NS6_12zip_iteratorINS7_INS6_11hip_rocprim26transform_input_iterator_tIbNSD_35transform_pair_of_input_iterators_tIbNS6_6detail15normal_iteratorINS6_10device_ptrIKbEEEESL_NS6_8equal_toIbEEEENSG_9not_fun_tINSD_8identityEEEEENSD_19counting_iterator_tIlEES8_S8_S8_S8_S8_S8_S8_S8_EEEEPS9_S9_NSD_9__find_if7functorIS9_EEEE10hipError_tPvRmT1_T2_T3_mT4_P12ihipStream_tbEUlT_E1_NS1_11comp_targetILNS1_3genE9ELNS1_11target_archE1100ELNS1_3gpuE3ELNS1_3repE0EEENS1_30default_config_static_selectorELNS0_4arch9wavefront6targetE0EEEvS14_,"axG",@progbits,_ZN7rocprim17ROCPRIM_400000_NS6detail17trampoline_kernelINS0_14default_configENS1_22reduce_config_selectorIN6thrust23THRUST_200600_302600_NS5tupleIblNS6_9null_typeES8_S8_S8_S8_S8_S8_S8_EEEEZNS1_11reduce_implILb1ES3_NS6_12zip_iteratorINS7_INS6_11hip_rocprim26transform_input_iterator_tIbNSD_35transform_pair_of_input_iterators_tIbNS6_6detail15normal_iteratorINS6_10device_ptrIKbEEEESL_NS6_8equal_toIbEEEENSG_9not_fun_tINSD_8identityEEEEENSD_19counting_iterator_tIlEES8_S8_S8_S8_S8_S8_S8_S8_EEEEPS9_S9_NSD_9__find_if7functorIS9_EEEE10hipError_tPvRmT1_T2_T3_mT4_P12ihipStream_tbEUlT_E1_NS1_11comp_targetILNS1_3genE9ELNS1_11target_archE1100ELNS1_3gpuE3ELNS1_3repE0EEENS1_30default_config_static_selectorELNS0_4arch9wavefront6targetE0EEEvS14_,comdat
.Lfunc_end759:
	.size	_ZN7rocprim17ROCPRIM_400000_NS6detail17trampoline_kernelINS0_14default_configENS1_22reduce_config_selectorIN6thrust23THRUST_200600_302600_NS5tupleIblNS6_9null_typeES8_S8_S8_S8_S8_S8_S8_EEEEZNS1_11reduce_implILb1ES3_NS6_12zip_iteratorINS7_INS6_11hip_rocprim26transform_input_iterator_tIbNSD_35transform_pair_of_input_iterators_tIbNS6_6detail15normal_iteratorINS6_10device_ptrIKbEEEESL_NS6_8equal_toIbEEEENSG_9not_fun_tINSD_8identityEEEEENSD_19counting_iterator_tIlEES8_S8_S8_S8_S8_S8_S8_S8_EEEEPS9_S9_NSD_9__find_if7functorIS9_EEEE10hipError_tPvRmT1_T2_T3_mT4_P12ihipStream_tbEUlT_E1_NS1_11comp_targetILNS1_3genE9ELNS1_11target_archE1100ELNS1_3gpuE3ELNS1_3repE0EEENS1_30default_config_static_selectorELNS0_4arch9wavefront6targetE0EEEvS14_, .Lfunc_end759-_ZN7rocprim17ROCPRIM_400000_NS6detail17trampoline_kernelINS0_14default_configENS1_22reduce_config_selectorIN6thrust23THRUST_200600_302600_NS5tupleIblNS6_9null_typeES8_S8_S8_S8_S8_S8_S8_EEEEZNS1_11reduce_implILb1ES3_NS6_12zip_iteratorINS7_INS6_11hip_rocprim26transform_input_iterator_tIbNSD_35transform_pair_of_input_iterators_tIbNS6_6detail15normal_iteratorINS6_10device_ptrIKbEEEESL_NS6_8equal_toIbEEEENSG_9not_fun_tINSD_8identityEEEEENSD_19counting_iterator_tIlEES8_S8_S8_S8_S8_S8_S8_S8_EEEEPS9_S9_NSD_9__find_if7functorIS9_EEEE10hipError_tPvRmT1_T2_T3_mT4_P12ihipStream_tbEUlT_E1_NS1_11comp_targetILNS1_3genE9ELNS1_11target_archE1100ELNS1_3gpuE3ELNS1_3repE0EEENS1_30default_config_static_selectorELNS0_4arch9wavefront6targetE0EEEvS14_
                                        ; -- End function
	.set _ZN7rocprim17ROCPRIM_400000_NS6detail17trampoline_kernelINS0_14default_configENS1_22reduce_config_selectorIN6thrust23THRUST_200600_302600_NS5tupleIblNS6_9null_typeES8_S8_S8_S8_S8_S8_S8_EEEEZNS1_11reduce_implILb1ES3_NS6_12zip_iteratorINS7_INS6_11hip_rocprim26transform_input_iterator_tIbNSD_35transform_pair_of_input_iterators_tIbNS6_6detail15normal_iteratorINS6_10device_ptrIKbEEEESL_NS6_8equal_toIbEEEENSG_9not_fun_tINSD_8identityEEEEENSD_19counting_iterator_tIlEES8_S8_S8_S8_S8_S8_S8_S8_EEEEPS9_S9_NSD_9__find_if7functorIS9_EEEE10hipError_tPvRmT1_T2_T3_mT4_P12ihipStream_tbEUlT_E1_NS1_11comp_targetILNS1_3genE9ELNS1_11target_archE1100ELNS1_3gpuE3ELNS1_3repE0EEENS1_30default_config_static_selectorELNS0_4arch9wavefront6targetE0EEEvS14_.num_vgpr, 0
	.set _ZN7rocprim17ROCPRIM_400000_NS6detail17trampoline_kernelINS0_14default_configENS1_22reduce_config_selectorIN6thrust23THRUST_200600_302600_NS5tupleIblNS6_9null_typeES8_S8_S8_S8_S8_S8_S8_EEEEZNS1_11reduce_implILb1ES3_NS6_12zip_iteratorINS7_INS6_11hip_rocprim26transform_input_iterator_tIbNSD_35transform_pair_of_input_iterators_tIbNS6_6detail15normal_iteratorINS6_10device_ptrIKbEEEESL_NS6_8equal_toIbEEEENSG_9not_fun_tINSD_8identityEEEEENSD_19counting_iterator_tIlEES8_S8_S8_S8_S8_S8_S8_S8_EEEEPS9_S9_NSD_9__find_if7functorIS9_EEEE10hipError_tPvRmT1_T2_T3_mT4_P12ihipStream_tbEUlT_E1_NS1_11comp_targetILNS1_3genE9ELNS1_11target_archE1100ELNS1_3gpuE3ELNS1_3repE0EEENS1_30default_config_static_selectorELNS0_4arch9wavefront6targetE0EEEvS14_.num_agpr, 0
	.set _ZN7rocprim17ROCPRIM_400000_NS6detail17trampoline_kernelINS0_14default_configENS1_22reduce_config_selectorIN6thrust23THRUST_200600_302600_NS5tupleIblNS6_9null_typeES8_S8_S8_S8_S8_S8_S8_EEEEZNS1_11reduce_implILb1ES3_NS6_12zip_iteratorINS7_INS6_11hip_rocprim26transform_input_iterator_tIbNSD_35transform_pair_of_input_iterators_tIbNS6_6detail15normal_iteratorINS6_10device_ptrIKbEEEESL_NS6_8equal_toIbEEEENSG_9not_fun_tINSD_8identityEEEEENSD_19counting_iterator_tIlEES8_S8_S8_S8_S8_S8_S8_S8_EEEEPS9_S9_NSD_9__find_if7functorIS9_EEEE10hipError_tPvRmT1_T2_T3_mT4_P12ihipStream_tbEUlT_E1_NS1_11comp_targetILNS1_3genE9ELNS1_11target_archE1100ELNS1_3gpuE3ELNS1_3repE0EEENS1_30default_config_static_selectorELNS0_4arch9wavefront6targetE0EEEvS14_.numbered_sgpr, 0
	.set _ZN7rocprim17ROCPRIM_400000_NS6detail17trampoline_kernelINS0_14default_configENS1_22reduce_config_selectorIN6thrust23THRUST_200600_302600_NS5tupleIblNS6_9null_typeES8_S8_S8_S8_S8_S8_S8_EEEEZNS1_11reduce_implILb1ES3_NS6_12zip_iteratorINS7_INS6_11hip_rocprim26transform_input_iterator_tIbNSD_35transform_pair_of_input_iterators_tIbNS6_6detail15normal_iteratorINS6_10device_ptrIKbEEEESL_NS6_8equal_toIbEEEENSG_9not_fun_tINSD_8identityEEEEENSD_19counting_iterator_tIlEES8_S8_S8_S8_S8_S8_S8_S8_EEEEPS9_S9_NSD_9__find_if7functorIS9_EEEE10hipError_tPvRmT1_T2_T3_mT4_P12ihipStream_tbEUlT_E1_NS1_11comp_targetILNS1_3genE9ELNS1_11target_archE1100ELNS1_3gpuE3ELNS1_3repE0EEENS1_30default_config_static_selectorELNS0_4arch9wavefront6targetE0EEEvS14_.num_named_barrier, 0
	.set _ZN7rocprim17ROCPRIM_400000_NS6detail17trampoline_kernelINS0_14default_configENS1_22reduce_config_selectorIN6thrust23THRUST_200600_302600_NS5tupleIblNS6_9null_typeES8_S8_S8_S8_S8_S8_S8_EEEEZNS1_11reduce_implILb1ES3_NS6_12zip_iteratorINS7_INS6_11hip_rocprim26transform_input_iterator_tIbNSD_35transform_pair_of_input_iterators_tIbNS6_6detail15normal_iteratorINS6_10device_ptrIKbEEEESL_NS6_8equal_toIbEEEENSG_9not_fun_tINSD_8identityEEEEENSD_19counting_iterator_tIlEES8_S8_S8_S8_S8_S8_S8_S8_EEEEPS9_S9_NSD_9__find_if7functorIS9_EEEE10hipError_tPvRmT1_T2_T3_mT4_P12ihipStream_tbEUlT_E1_NS1_11comp_targetILNS1_3genE9ELNS1_11target_archE1100ELNS1_3gpuE3ELNS1_3repE0EEENS1_30default_config_static_selectorELNS0_4arch9wavefront6targetE0EEEvS14_.private_seg_size, 0
	.set _ZN7rocprim17ROCPRIM_400000_NS6detail17trampoline_kernelINS0_14default_configENS1_22reduce_config_selectorIN6thrust23THRUST_200600_302600_NS5tupleIblNS6_9null_typeES8_S8_S8_S8_S8_S8_S8_EEEEZNS1_11reduce_implILb1ES3_NS6_12zip_iteratorINS7_INS6_11hip_rocprim26transform_input_iterator_tIbNSD_35transform_pair_of_input_iterators_tIbNS6_6detail15normal_iteratorINS6_10device_ptrIKbEEEESL_NS6_8equal_toIbEEEENSG_9not_fun_tINSD_8identityEEEEENSD_19counting_iterator_tIlEES8_S8_S8_S8_S8_S8_S8_S8_EEEEPS9_S9_NSD_9__find_if7functorIS9_EEEE10hipError_tPvRmT1_T2_T3_mT4_P12ihipStream_tbEUlT_E1_NS1_11comp_targetILNS1_3genE9ELNS1_11target_archE1100ELNS1_3gpuE3ELNS1_3repE0EEENS1_30default_config_static_selectorELNS0_4arch9wavefront6targetE0EEEvS14_.uses_vcc, 0
	.set _ZN7rocprim17ROCPRIM_400000_NS6detail17trampoline_kernelINS0_14default_configENS1_22reduce_config_selectorIN6thrust23THRUST_200600_302600_NS5tupleIblNS6_9null_typeES8_S8_S8_S8_S8_S8_S8_EEEEZNS1_11reduce_implILb1ES3_NS6_12zip_iteratorINS7_INS6_11hip_rocprim26transform_input_iterator_tIbNSD_35transform_pair_of_input_iterators_tIbNS6_6detail15normal_iteratorINS6_10device_ptrIKbEEEESL_NS6_8equal_toIbEEEENSG_9not_fun_tINSD_8identityEEEEENSD_19counting_iterator_tIlEES8_S8_S8_S8_S8_S8_S8_S8_EEEEPS9_S9_NSD_9__find_if7functorIS9_EEEE10hipError_tPvRmT1_T2_T3_mT4_P12ihipStream_tbEUlT_E1_NS1_11comp_targetILNS1_3genE9ELNS1_11target_archE1100ELNS1_3gpuE3ELNS1_3repE0EEENS1_30default_config_static_selectorELNS0_4arch9wavefront6targetE0EEEvS14_.uses_flat_scratch, 0
	.set _ZN7rocprim17ROCPRIM_400000_NS6detail17trampoline_kernelINS0_14default_configENS1_22reduce_config_selectorIN6thrust23THRUST_200600_302600_NS5tupleIblNS6_9null_typeES8_S8_S8_S8_S8_S8_S8_EEEEZNS1_11reduce_implILb1ES3_NS6_12zip_iteratorINS7_INS6_11hip_rocprim26transform_input_iterator_tIbNSD_35transform_pair_of_input_iterators_tIbNS6_6detail15normal_iteratorINS6_10device_ptrIKbEEEESL_NS6_8equal_toIbEEEENSG_9not_fun_tINSD_8identityEEEEENSD_19counting_iterator_tIlEES8_S8_S8_S8_S8_S8_S8_S8_EEEEPS9_S9_NSD_9__find_if7functorIS9_EEEE10hipError_tPvRmT1_T2_T3_mT4_P12ihipStream_tbEUlT_E1_NS1_11comp_targetILNS1_3genE9ELNS1_11target_archE1100ELNS1_3gpuE3ELNS1_3repE0EEENS1_30default_config_static_selectorELNS0_4arch9wavefront6targetE0EEEvS14_.has_dyn_sized_stack, 0
	.set _ZN7rocprim17ROCPRIM_400000_NS6detail17trampoline_kernelINS0_14default_configENS1_22reduce_config_selectorIN6thrust23THRUST_200600_302600_NS5tupleIblNS6_9null_typeES8_S8_S8_S8_S8_S8_S8_EEEEZNS1_11reduce_implILb1ES3_NS6_12zip_iteratorINS7_INS6_11hip_rocprim26transform_input_iterator_tIbNSD_35transform_pair_of_input_iterators_tIbNS6_6detail15normal_iteratorINS6_10device_ptrIKbEEEESL_NS6_8equal_toIbEEEENSG_9not_fun_tINSD_8identityEEEEENSD_19counting_iterator_tIlEES8_S8_S8_S8_S8_S8_S8_S8_EEEEPS9_S9_NSD_9__find_if7functorIS9_EEEE10hipError_tPvRmT1_T2_T3_mT4_P12ihipStream_tbEUlT_E1_NS1_11comp_targetILNS1_3genE9ELNS1_11target_archE1100ELNS1_3gpuE3ELNS1_3repE0EEENS1_30default_config_static_selectorELNS0_4arch9wavefront6targetE0EEEvS14_.has_recursion, 0
	.set _ZN7rocprim17ROCPRIM_400000_NS6detail17trampoline_kernelINS0_14default_configENS1_22reduce_config_selectorIN6thrust23THRUST_200600_302600_NS5tupleIblNS6_9null_typeES8_S8_S8_S8_S8_S8_S8_EEEEZNS1_11reduce_implILb1ES3_NS6_12zip_iteratorINS7_INS6_11hip_rocprim26transform_input_iterator_tIbNSD_35transform_pair_of_input_iterators_tIbNS6_6detail15normal_iteratorINS6_10device_ptrIKbEEEESL_NS6_8equal_toIbEEEENSG_9not_fun_tINSD_8identityEEEEENSD_19counting_iterator_tIlEES8_S8_S8_S8_S8_S8_S8_S8_EEEEPS9_S9_NSD_9__find_if7functorIS9_EEEE10hipError_tPvRmT1_T2_T3_mT4_P12ihipStream_tbEUlT_E1_NS1_11comp_targetILNS1_3genE9ELNS1_11target_archE1100ELNS1_3gpuE3ELNS1_3repE0EEENS1_30default_config_static_selectorELNS0_4arch9wavefront6targetE0EEEvS14_.has_indirect_call, 0
	.section	.AMDGPU.csdata,"",@progbits
; Kernel info:
; codeLenInByte = 0
; TotalNumSgprs: 0
; NumVgprs: 0
; ScratchSize: 0
; MemoryBound: 0
; FloatMode: 240
; IeeeMode: 1
; LDSByteSize: 0 bytes/workgroup (compile time only)
; SGPRBlocks: 0
; VGPRBlocks: 0
; NumSGPRsForWavesPerEU: 1
; NumVGPRsForWavesPerEU: 1
; Occupancy: 16
; WaveLimiterHint : 0
; COMPUTE_PGM_RSRC2:SCRATCH_EN: 0
; COMPUTE_PGM_RSRC2:USER_SGPR: 6
; COMPUTE_PGM_RSRC2:TRAP_HANDLER: 0
; COMPUTE_PGM_RSRC2:TGID_X_EN: 1
; COMPUTE_PGM_RSRC2:TGID_Y_EN: 0
; COMPUTE_PGM_RSRC2:TGID_Z_EN: 0
; COMPUTE_PGM_RSRC2:TIDIG_COMP_CNT: 0
	.section	.text._ZN7rocprim17ROCPRIM_400000_NS6detail17trampoline_kernelINS0_14default_configENS1_22reduce_config_selectorIN6thrust23THRUST_200600_302600_NS5tupleIblNS6_9null_typeES8_S8_S8_S8_S8_S8_S8_EEEEZNS1_11reduce_implILb1ES3_NS6_12zip_iteratorINS7_INS6_11hip_rocprim26transform_input_iterator_tIbNSD_35transform_pair_of_input_iterators_tIbNS6_6detail15normal_iteratorINS6_10device_ptrIKbEEEESL_NS6_8equal_toIbEEEENSG_9not_fun_tINSD_8identityEEEEENSD_19counting_iterator_tIlEES8_S8_S8_S8_S8_S8_S8_S8_EEEEPS9_S9_NSD_9__find_if7functorIS9_EEEE10hipError_tPvRmT1_T2_T3_mT4_P12ihipStream_tbEUlT_E1_NS1_11comp_targetILNS1_3genE8ELNS1_11target_archE1030ELNS1_3gpuE2ELNS1_3repE0EEENS1_30default_config_static_selectorELNS0_4arch9wavefront6targetE0EEEvS14_,"axG",@progbits,_ZN7rocprim17ROCPRIM_400000_NS6detail17trampoline_kernelINS0_14default_configENS1_22reduce_config_selectorIN6thrust23THRUST_200600_302600_NS5tupleIblNS6_9null_typeES8_S8_S8_S8_S8_S8_S8_EEEEZNS1_11reduce_implILb1ES3_NS6_12zip_iteratorINS7_INS6_11hip_rocprim26transform_input_iterator_tIbNSD_35transform_pair_of_input_iterators_tIbNS6_6detail15normal_iteratorINS6_10device_ptrIKbEEEESL_NS6_8equal_toIbEEEENSG_9not_fun_tINSD_8identityEEEEENSD_19counting_iterator_tIlEES8_S8_S8_S8_S8_S8_S8_S8_EEEEPS9_S9_NSD_9__find_if7functorIS9_EEEE10hipError_tPvRmT1_T2_T3_mT4_P12ihipStream_tbEUlT_E1_NS1_11comp_targetILNS1_3genE8ELNS1_11target_archE1030ELNS1_3gpuE2ELNS1_3repE0EEENS1_30default_config_static_selectorELNS0_4arch9wavefront6targetE0EEEvS14_,comdat
	.protected	_ZN7rocprim17ROCPRIM_400000_NS6detail17trampoline_kernelINS0_14default_configENS1_22reduce_config_selectorIN6thrust23THRUST_200600_302600_NS5tupleIblNS6_9null_typeES8_S8_S8_S8_S8_S8_S8_EEEEZNS1_11reduce_implILb1ES3_NS6_12zip_iteratorINS7_INS6_11hip_rocprim26transform_input_iterator_tIbNSD_35transform_pair_of_input_iterators_tIbNS6_6detail15normal_iteratorINS6_10device_ptrIKbEEEESL_NS6_8equal_toIbEEEENSG_9not_fun_tINSD_8identityEEEEENSD_19counting_iterator_tIlEES8_S8_S8_S8_S8_S8_S8_S8_EEEEPS9_S9_NSD_9__find_if7functorIS9_EEEE10hipError_tPvRmT1_T2_T3_mT4_P12ihipStream_tbEUlT_E1_NS1_11comp_targetILNS1_3genE8ELNS1_11target_archE1030ELNS1_3gpuE2ELNS1_3repE0EEENS1_30default_config_static_selectorELNS0_4arch9wavefront6targetE0EEEvS14_ ; -- Begin function _ZN7rocprim17ROCPRIM_400000_NS6detail17trampoline_kernelINS0_14default_configENS1_22reduce_config_selectorIN6thrust23THRUST_200600_302600_NS5tupleIblNS6_9null_typeES8_S8_S8_S8_S8_S8_S8_EEEEZNS1_11reduce_implILb1ES3_NS6_12zip_iteratorINS7_INS6_11hip_rocprim26transform_input_iterator_tIbNSD_35transform_pair_of_input_iterators_tIbNS6_6detail15normal_iteratorINS6_10device_ptrIKbEEEESL_NS6_8equal_toIbEEEENSG_9not_fun_tINSD_8identityEEEEENSD_19counting_iterator_tIlEES8_S8_S8_S8_S8_S8_S8_S8_EEEEPS9_S9_NSD_9__find_if7functorIS9_EEEE10hipError_tPvRmT1_T2_T3_mT4_P12ihipStream_tbEUlT_E1_NS1_11comp_targetILNS1_3genE8ELNS1_11target_archE1030ELNS1_3gpuE2ELNS1_3repE0EEENS1_30default_config_static_selectorELNS0_4arch9wavefront6targetE0EEEvS14_
	.globl	_ZN7rocprim17ROCPRIM_400000_NS6detail17trampoline_kernelINS0_14default_configENS1_22reduce_config_selectorIN6thrust23THRUST_200600_302600_NS5tupleIblNS6_9null_typeES8_S8_S8_S8_S8_S8_S8_EEEEZNS1_11reduce_implILb1ES3_NS6_12zip_iteratorINS7_INS6_11hip_rocprim26transform_input_iterator_tIbNSD_35transform_pair_of_input_iterators_tIbNS6_6detail15normal_iteratorINS6_10device_ptrIKbEEEESL_NS6_8equal_toIbEEEENSG_9not_fun_tINSD_8identityEEEEENSD_19counting_iterator_tIlEES8_S8_S8_S8_S8_S8_S8_S8_EEEEPS9_S9_NSD_9__find_if7functorIS9_EEEE10hipError_tPvRmT1_T2_T3_mT4_P12ihipStream_tbEUlT_E1_NS1_11comp_targetILNS1_3genE8ELNS1_11target_archE1030ELNS1_3gpuE2ELNS1_3repE0EEENS1_30default_config_static_selectorELNS0_4arch9wavefront6targetE0EEEvS14_
	.p2align	8
	.type	_ZN7rocprim17ROCPRIM_400000_NS6detail17trampoline_kernelINS0_14default_configENS1_22reduce_config_selectorIN6thrust23THRUST_200600_302600_NS5tupleIblNS6_9null_typeES8_S8_S8_S8_S8_S8_S8_EEEEZNS1_11reduce_implILb1ES3_NS6_12zip_iteratorINS7_INS6_11hip_rocprim26transform_input_iterator_tIbNSD_35transform_pair_of_input_iterators_tIbNS6_6detail15normal_iteratorINS6_10device_ptrIKbEEEESL_NS6_8equal_toIbEEEENSG_9not_fun_tINSD_8identityEEEEENSD_19counting_iterator_tIlEES8_S8_S8_S8_S8_S8_S8_S8_EEEEPS9_S9_NSD_9__find_if7functorIS9_EEEE10hipError_tPvRmT1_T2_T3_mT4_P12ihipStream_tbEUlT_E1_NS1_11comp_targetILNS1_3genE8ELNS1_11target_archE1030ELNS1_3gpuE2ELNS1_3repE0EEENS1_30default_config_static_selectorELNS0_4arch9wavefront6targetE0EEEvS14_,@function
_ZN7rocprim17ROCPRIM_400000_NS6detail17trampoline_kernelINS0_14default_configENS1_22reduce_config_selectorIN6thrust23THRUST_200600_302600_NS5tupleIblNS6_9null_typeES8_S8_S8_S8_S8_S8_S8_EEEEZNS1_11reduce_implILb1ES3_NS6_12zip_iteratorINS7_INS6_11hip_rocprim26transform_input_iterator_tIbNSD_35transform_pair_of_input_iterators_tIbNS6_6detail15normal_iteratorINS6_10device_ptrIKbEEEESL_NS6_8equal_toIbEEEENSG_9not_fun_tINSD_8identityEEEEENSD_19counting_iterator_tIlEES8_S8_S8_S8_S8_S8_S8_S8_EEEEPS9_S9_NSD_9__find_if7functorIS9_EEEE10hipError_tPvRmT1_T2_T3_mT4_P12ihipStream_tbEUlT_E1_NS1_11comp_targetILNS1_3genE8ELNS1_11target_archE1030ELNS1_3gpuE2ELNS1_3repE0EEENS1_30default_config_static_selectorELNS0_4arch9wavefront6targetE0EEEvS14_: ; @_ZN7rocprim17ROCPRIM_400000_NS6detail17trampoline_kernelINS0_14default_configENS1_22reduce_config_selectorIN6thrust23THRUST_200600_302600_NS5tupleIblNS6_9null_typeES8_S8_S8_S8_S8_S8_S8_EEEEZNS1_11reduce_implILb1ES3_NS6_12zip_iteratorINS7_INS6_11hip_rocprim26transform_input_iterator_tIbNSD_35transform_pair_of_input_iterators_tIbNS6_6detail15normal_iteratorINS6_10device_ptrIKbEEEESL_NS6_8equal_toIbEEEENSG_9not_fun_tINSD_8identityEEEEENSD_19counting_iterator_tIlEES8_S8_S8_S8_S8_S8_S8_S8_EEEEPS9_S9_NSD_9__find_if7functorIS9_EEEE10hipError_tPvRmT1_T2_T3_mT4_P12ihipStream_tbEUlT_E1_NS1_11comp_targetILNS1_3genE8ELNS1_11target_archE1030ELNS1_3gpuE2ELNS1_3repE0EEENS1_30default_config_static_selectorELNS0_4arch9wavefront6targetE0EEEvS14_
; %bb.0:
	s_clause 0x4
	s_load_dword s25, s[4:5], 0x4
	s_load_dwordx4 s[16:19], s[4:5], 0x8
	s_load_dwordx4 s[12:15], s[4:5], 0x28
	s_load_dword s24, s[4:5], 0x40
	s_load_dwordx2 s[20:21], s[4:5], 0x48
	s_waitcnt lgkmcnt(0)
	s_cmp_lt_i32 s25, 4
	s_cbranch_scc1 .LBB760_21
; %bb.1:
	s_cmp_gt_i32 s25, 7
	s_cbranch_scc0 .LBB760_22
; %bb.2:
	s_cmp_eq_u32 s25, 8
	s_mov_b32 s26, 0
	s_cbranch_scc0 .LBB760_23
; %bb.3:
	s_lshl_b32 s8, s6, 11
	s_lshr_b64 s[0:1], s[14:15], 11
	s_add_u32 s10, s16, s8
	s_addc_u32 s11, s17, 0
	s_add_u32 s22, s18, s8
	s_addc_u32 s23, s19, 0
	s_mov_b32 s7, 0
	s_add_u32 s28, s12, s8
	s_addc_u32 s29, s13, 0
	s_cmp_lg_u64 s[0:1], s[6:7]
	s_cbranch_scc0 .LBB760_44
; %bb.4:
	s_clause 0xf
	global_load_ubyte v1, v0, s[10:11] offset:1536
	global_load_ubyte v2, v0, s[22:23] offset:1536
	;; [unrolled: 1-line block ×14, first 2 shown]
	global_load_ubyte v15, v0, s[10:11]
	global_load_ubyte v16, v0, s[22:23]
	v_mov_b32_e32 v17, 0x600
	s_waitcnt vmcnt(14)
	v_cmp_ne_u16_e32 vcc_lo, v1, v2
	s_waitcnt vmcnt(12)
	v_cmp_ne_u16_e64 s0, v4, v3
	s_waitcnt vmcnt(10)
	v_cmp_ne_u16_e64 s1, v5, v6
	v_cndmask_b32_e32 v1, 0x700, v17, vcc_lo
	s_waitcnt vmcnt(7)
	v_cmp_ne_u16_e64 s2, v9, v8
	s_waitcnt vmcnt(6)
	v_cmp_ne_u16_e64 s3, v10, v7
	v_cndmask_b32_e64 v1, v1, 0x500, s0
	s_or_b32 s2, vcc_lo, s2
	s_waitcnt vmcnt(4)
	v_cmp_ne_u16_e32 vcc_lo, v11, v12
	s_or_b32 s0, s0, s2
	v_cndmask_b32_e64 v1, v1, 0x400, s1
	s_or_b32 s1, s1, s0
	s_waitcnt vmcnt(2)
	v_cmp_ne_u16_e64 s0, v14, v13
	s_or_b32 s1, s3, s1
	v_add_co_u32 v2, s2, s28, v0
	v_cndmask_b32_e64 v1, v1, 0x300, s3
	s_or_b32 s1, vcc_lo, s1
	v_add_co_ci_u32_e64 v3, null, s29, 0, s2
	s_or_b32 s1, s0, s1
	v_cndmask_b32_e64 v1, v1, 0x200, vcc_lo
	s_waitcnt vmcnt(0)
	v_cmp_ne_u16_e32 vcc_lo, v15, v16
	v_cndmask_b32_e64 v1, v1, 0x100, s0
	v_cndmask_b32_e64 v1, v1, 0, vcc_lo
	v_add_co_u32 v1, s0, v2, v1
	v_add_co_ci_u32_e64 v2, null, 0, v3, s0
	s_or_b32 s0, vcc_lo, s1
	v_mov_b32_dpp v3, v1 quad_perm:[1,0,3,2] row_mask:0xf bank_mask:0xf
	v_cndmask_b32_e64 v5, 0, 1, s0
	v_mov_b32_dpp v4, v2 quad_perm:[1,0,3,2] row_mask:0xf bank_mask:0xf
	v_mov_b32_dpp v6, v5 quad_perm:[1,0,3,2] row_mask:0xf bank_mask:0xf
	v_cmp_lt_i64_e32 vcc_lo, v[1:2], v[3:4]
	v_and_b32_e32 v6, 1, v6
	s_and_b32 vcc_lo, s0, vcc_lo
	v_cndmask_b32_e32 v3, v3, v1, vcc_lo
	v_cndmask_b32_e32 v4, v4, v2, vcc_lo
	v_cmp_eq_u32_e32 vcc_lo, 1, v6
	v_cndmask_b32_e32 v2, v2, v4, vcc_lo
	v_cndmask_b32_e32 v1, v1, v3, vcc_lo
	v_cndmask_b32_e64 v5, v5, 1, vcc_lo
	v_mov_b32_dpp v4, v2 quad_perm:[2,3,0,1] row_mask:0xf bank_mask:0xf
	v_mov_b32_dpp v3, v1 quad_perm:[2,3,0,1] row_mask:0xf bank_mask:0xf
	v_and_b32_e32 v7, 1, v5
	v_mov_b32_dpp v6, v5 quad_perm:[2,3,0,1] row_mask:0xf bank_mask:0xf
	v_cmp_lt_i64_e32 vcc_lo, v[1:2], v[3:4]
	v_cmp_eq_u32_e64 s0, 1, v7
	v_and_b32_e32 v6, 1, v6
	s_and_b32 vcc_lo, s0, vcc_lo
	v_cmp_eq_u32_e64 s1, 1, v6
	v_cndmask_b32_e32 v3, v3, v1, vcc_lo
	v_cndmask_b32_e32 v4, v4, v2, vcc_lo
	v_cndmask_b32_e64 v5, v5, 1, s1
	v_cndmask_b32_e64 v1, v1, v3, s1
	;; [unrolled: 1-line block ×3, first 2 shown]
	v_and_b32_e32 v7, 1, v5
	v_mov_b32_dpp v3, v1 row_ror:4 row_mask:0xf bank_mask:0xf
	v_mov_b32_dpp v4, v2 row_ror:4 row_mask:0xf bank_mask:0xf
	;; [unrolled: 1-line block ×3, first 2 shown]
	v_cmp_eq_u32_e64 s0, 1, v7
	v_cmp_lt_i64_e32 vcc_lo, v[1:2], v[3:4]
	v_and_b32_e32 v6, 1, v6
	s_and_b32 vcc_lo, s0, vcc_lo
	v_cmp_eq_u32_e64 s1, 1, v6
	v_cndmask_b32_e32 v3, v3, v1, vcc_lo
	v_cndmask_b32_e32 v4, v4, v2, vcc_lo
	v_cndmask_b32_e64 v5, v5, 1, s1
	v_cndmask_b32_e64 v1, v1, v3, s1
	;; [unrolled: 1-line block ×3, first 2 shown]
	v_and_b32_e32 v7, 1, v5
	v_mov_b32_dpp v3, v1 row_ror:8 row_mask:0xf bank_mask:0xf
	v_mov_b32_dpp v4, v2 row_ror:8 row_mask:0xf bank_mask:0xf
	;; [unrolled: 1-line block ×3, first 2 shown]
	v_cmp_eq_u32_e64 s0, 1, v7
	v_cmp_lt_i64_e32 vcc_lo, v[1:2], v[3:4]
	v_and_b32_e32 v6, 1, v6
	s_and_b32 vcc_lo, s0, vcc_lo
	v_cmp_eq_u32_e64 s1, 1, v6
	v_cndmask_b32_e32 v3, v3, v1, vcc_lo
	v_cndmask_b32_e32 v4, v4, v2, vcc_lo
	v_cndmask_b32_e64 v5, v5, 1, s1
	v_cndmask_b32_e64 v1, v1, v3, s1
	;; [unrolled: 1-line block ×3, first 2 shown]
	ds_swizzle_b32 v6, v5 offset:swizzle(BROADCAST,32,15)
	ds_swizzle_b32 v3, v1 offset:swizzle(BROADCAST,32,15)
	;; [unrolled: 1-line block ×3, first 2 shown]
	v_and_b32_e32 v7, 1, v5
	v_cmp_eq_u32_e64 s0, 1, v7
	v_mbcnt_lo_u32_b32 v7, -1, 0
	s_waitcnt lgkmcnt(2)
	v_and_b32_e32 v6, 1, v6
	s_waitcnt lgkmcnt(0)
	v_cmp_lt_i64_e32 vcc_lo, v[1:2], v[3:4]
	v_cmp_eq_u32_e64 s1, 1, v6
	v_mov_b32_e32 v6, 0
	s_and_b32 vcc_lo, s0, vcc_lo
	s_mov_b32 s0, exec_lo
	v_cndmask_b32_e32 v3, v3, v1, vcc_lo
	v_cndmask_b32_e32 v4, v4, v2, vcc_lo
	v_cndmask_b32_e64 v5, v5, 1, s1
	v_cndmask_b32_e64 v1, v1, v3, s1
	;; [unrolled: 1-line block ×3, first 2 shown]
	ds_bpermute_b32 v17, v6, v5 offset:124
	ds_bpermute_b32 v1, v6, v1 offset:124
	;; [unrolled: 1-line block ×3, first 2 shown]
	v_cmpx_eq_u32_e32 0, v7
	s_cbranch_execz .LBB760_6
; %bb.5:
	v_lshrrev_b32_e32 v3, 1, v0
	v_and_b32_e32 v3, 0x70, v3
	s_waitcnt lgkmcnt(2)
	ds_write_b8 v3, v17 offset:384
	s_waitcnt lgkmcnt(1)
	ds_write_b64 v3, v[1:2] offset:392
.LBB760_6:
	s_or_b32 exec_lo, exec_lo, s0
	s_mov_b32 s0, exec_lo
	s_waitcnt lgkmcnt(0)
	s_barrier
	buffer_gl0_inv
	v_cmpx_gt_u32_e32 32, v0
	s_cbranch_execz .LBB760_20
; %bb.7:
	v_and_b32_e32 v8, 7, v7
	v_lshlrev_b32_e32 v1, 4, v8
	v_cmp_ne_u32_e32 vcc_lo, 7, v8
	ds_read_u8 v10, v1 offset:384
	ds_read_b64 v[3:4], v1 offset:392
	v_add_co_ci_u32_e64 v2, null, 0, v7, vcc_lo
	v_lshlrev_b32_e32 v2, 2, v2
	s_waitcnt lgkmcnt(1)
	v_and_b32_e32 v1, 0xff, v10
	s_waitcnt lgkmcnt(0)
	ds_bpermute_b32 v5, v2, v3
	ds_bpermute_b32 v6, v2, v4
	;; [unrolled: 1-line block ×3, first 2 shown]
	s_waitcnt lgkmcnt(0)
	v_and_b32_e32 v1, v10, v11
	v_and_b32_e32 v1, 1, v1
	v_cmp_eq_u32_e32 vcc_lo, 1, v1
                                        ; implicit-def: $vgpr1_vgpr2
	s_and_saveexec_b32 s1, vcc_lo
	s_xor_b32 s1, exec_lo, s1
; %bb.8:
	v_cmp_lt_i64_e32 vcc_lo, v[5:6], v[3:4]
                                        ; implicit-def: $vgpr10
                                        ; implicit-def: $vgpr11
	v_cndmask_b32_e32 v2, v4, v6, vcc_lo
	v_cndmask_b32_e32 v1, v3, v5, vcc_lo
                                        ; implicit-def: $vgpr5_vgpr6
                                        ; implicit-def: $vgpr3_vgpr4
; %bb.9:
	s_or_saveexec_b32 s1, s1
	v_mov_b32_e32 v9, 1
	s_xor_b32 exec_lo, exec_lo, s1
; %bb.10:
	v_and_b32_e32 v1, 1, v10
	v_and_b32_e32 v9, 0xff, v11
	v_cmp_eq_u32_e32 vcc_lo, 1, v1
	v_cndmask_b32_e32 v2, v6, v4, vcc_lo
	v_cndmask_b32_e32 v1, v5, v3, vcc_lo
	v_cndmask_b32_e64 v9, v9, 1, vcc_lo
; %bb.11:
	s_or_b32 exec_lo, exec_lo, s1
	v_cmp_gt_u32_e32 vcc_lo, 6, v8
	v_cndmask_b32_e64 v3, 0, 2, vcc_lo
	v_add_lshl_u32 v3, v3, v7, 2
	ds_bpermute_b32 v8, v3, v9
	ds_bpermute_b32 v5, v3, v1
	;; [unrolled: 1-line block ×3, first 2 shown]
	s_waitcnt lgkmcnt(2)
	v_and_b32_e32 v3, v9, v8
	v_and_b32_e32 v3, 1, v3
	v_cmp_eq_u32_e32 vcc_lo, 1, v3
                                        ; implicit-def: $vgpr3_vgpr4
	s_and_saveexec_b32 s1, vcc_lo
	s_xor_b32 s1, exec_lo, s1
	s_cbranch_execz .LBB760_13
; %bb.12:
	s_waitcnt lgkmcnt(0)
	v_cmp_lt_i64_e32 vcc_lo, v[5:6], v[1:2]
                                        ; implicit-def: $vgpr9
                                        ; implicit-def: $vgpr8
	v_cndmask_b32_e32 v4, v2, v6, vcc_lo
	v_cndmask_b32_e32 v3, v1, v5, vcc_lo
                                        ; implicit-def: $vgpr5_vgpr6
                                        ; implicit-def: $vgpr1_vgpr2
.LBB760_13:
	s_or_saveexec_b32 s1, s1
	v_lshlrev_b32_e32 v10, 2, v7
	v_mov_b32_e32 v7, 1
	s_xor_b32 exec_lo, exec_lo, s1
	s_cbranch_execz .LBB760_15
; %bb.14:
	v_and_b32_e32 v3, 1, v9
	v_and_b32_e32 v7, 0xff, v8
	v_cmp_eq_u32_e32 vcc_lo, 1, v3
	s_waitcnt lgkmcnt(0)
	v_cndmask_b32_e32 v4, v6, v2, vcc_lo
	v_cndmask_b32_e32 v3, v5, v1, vcc_lo
	v_cndmask_b32_e64 v7, v7, 1, vcc_lo
.LBB760_15:
	s_or_b32 exec_lo, exec_lo, s1
	v_or_b32_e32 v1, 16, v10
	ds_bpermute_b32 v8, v1, v7
	s_waitcnt lgkmcnt(2)
	ds_bpermute_b32 v5, v1, v3
	s_waitcnt lgkmcnt(2)
	;; [unrolled: 2-line block ×3, first 2 shown]
	v_and_b32_e32 v1, v7, v8
	v_and_b32_e32 v1, 1, v1
	v_cmp_eq_u32_e32 vcc_lo, 1, v1
                                        ; implicit-def: $vgpr1_vgpr2
	s_and_saveexec_b32 s1, vcc_lo
	s_xor_b32 s1, exec_lo, s1
	s_cbranch_execz .LBB760_17
; %bb.16:
	s_waitcnt lgkmcnt(0)
	v_cmp_lt_i64_e32 vcc_lo, v[5:6], v[3:4]
                                        ; implicit-def: $vgpr7
                                        ; implicit-def: $vgpr8
	v_cndmask_b32_e32 v2, v4, v6, vcc_lo
	v_cndmask_b32_e32 v1, v3, v5, vcc_lo
                                        ; implicit-def: $vgpr5_vgpr6
                                        ; implicit-def: $vgpr3_vgpr4
.LBB760_17:
	s_or_saveexec_b32 s1, s1
	v_mov_b32_e32 v17, 1
	s_xor_b32 exec_lo, exec_lo, s1
	s_cbranch_execz .LBB760_19
; %bb.18:
	v_and_b32_e32 v1, 1, v7
	v_cmp_eq_u32_e32 vcc_lo, 1, v1
	s_waitcnt lgkmcnt(0)
	v_cndmask_b32_e32 v2, v6, v4, vcc_lo
	v_cndmask_b32_e32 v1, v5, v3, vcc_lo
	v_cndmask_b32_e64 v17, v8, 1, vcc_lo
.LBB760_19:
	s_or_b32 exec_lo, exec_lo, s1
.LBB760_20:
	s_or_b32 exec_lo, exec_lo, s0
	s_branch .LBB760_167
.LBB760_21:
	s_mov_b32 s10, 0
                                        ; implicit-def: $vgpr3_vgpr4
                                        ; implicit-def: $vgpr5
                                        ; implicit-def: $vgpr1_vgpr2
	s_cbranch_execnz .LBB760_247
	s_branch .LBB760_368
.LBB760_22:
	s_mov_b32 s26, -1
.LBB760_23:
	s_mov_b32 s10, 0
                                        ; implicit-def: $vgpr3_vgpr4
                                        ; implicit-def: $vgpr5
                                        ; implicit-def: $vgpr1_vgpr2
	s_and_b32 vcc_lo, exec_lo, s26
	s_cbranch_vccz .LBB760_172
.LBB760_24:
	s_cmp_eq_u32 s25, 4
	s_cbranch_scc0 .LBB760_43
; %bb.25:
	s_lshl_b32 s23, s6, 10
	s_lshr_b64 s[0:1], s[14:15], 10
	s_add_u32 s2, s16, s23
	s_addc_u32 s3, s17, 0
	s_add_u32 s8, s18, s23
	s_addc_u32 s9, s19, 0
	s_mov_b32 s7, 0
	s_add_u32 s11, s12, s23
	s_addc_u32 s22, s13, 0
	s_cmp_lg_u64 s[0:1], s[6:7]
	s_cbranch_scc0 .LBB760_67
; %bb.26:
	s_clause 0x1
	global_load_ubyte v1, v0, s[2:3] offset:512
	global_load_ubyte v2, v0, s[8:9] offset:512
	s_waitcnt lgkmcnt(1)
	global_load_ubyte v3, v0, s[8:9] offset:256
	s_waitcnt lgkmcnt(0)
	s_clause 0x4
	global_load_ubyte v4, v0, s[8:9] offset:768
	global_load_ubyte v5, v0, s[2:3] offset:768
	;; [unrolled: 1-line block ×3, first 2 shown]
	global_load_ubyte v7, v0, s[8:9]
	global_load_ubyte v8, v0, s[2:3]
	v_mov_b32_e32 v9, 0x200
	s_waitcnt vmcnt(6)
	v_cmp_ne_u16_e32 vcc_lo, v1, v2
	v_add_co_u32 v2, s26, s11, v0
	s_waitcnt vmcnt(3)
	v_cmp_ne_u16_e64 s0, v5, v4
	s_waitcnt vmcnt(2)
	v_cmp_ne_u16_e64 s1, v6, v3
	v_cndmask_b32_e32 v1, 0x300, v9, vcc_lo
	v_add_co_ci_u32_e64 v3, null, s22, 0, s26
	s_or_b32 s0, vcc_lo, s0
	s_waitcnt vmcnt(0)
	v_cmp_ne_u16_e32 vcc_lo, v8, v7
	v_cndmask_b32_e64 v1, v1, 0x100, s1
	s_or_b32 s1, s1, s0
	v_cndmask_b32_e64 v1, v1, 0, vcc_lo
	v_add_co_u32 v1, s0, v2, v1
	v_add_co_ci_u32_e64 v2, null, 0, v3, s0
	s_or_b32 s0, vcc_lo, s1
	v_mov_b32_dpp v3, v1 quad_perm:[1,0,3,2] row_mask:0xf bank_mask:0xf
	v_cndmask_b32_e64 v5, 0, 1, s0
	v_mov_b32_dpp v4, v2 quad_perm:[1,0,3,2] row_mask:0xf bank_mask:0xf
	v_mov_b32_dpp v6, v5 quad_perm:[1,0,3,2] row_mask:0xf bank_mask:0xf
	v_cmp_lt_i64_e32 vcc_lo, v[1:2], v[3:4]
	v_and_b32_e32 v6, 1, v6
	s_and_b32 vcc_lo, s0, vcc_lo
	v_cndmask_b32_e32 v3, v3, v1, vcc_lo
	v_cndmask_b32_e32 v4, v4, v2, vcc_lo
	v_cmp_eq_u32_e32 vcc_lo, 1, v6
	v_cndmask_b32_e32 v2, v2, v4, vcc_lo
	v_cndmask_b32_e32 v1, v1, v3, vcc_lo
	v_cndmask_b32_e64 v5, v5, 1, vcc_lo
	v_mov_b32_dpp v4, v2 quad_perm:[2,3,0,1] row_mask:0xf bank_mask:0xf
	v_mov_b32_dpp v3, v1 quad_perm:[2,3,0,1] row_mask:0xf bank_mask:0xf
	v_and_b32_e32 v7, 1, v5
	v_mov_b32_dpp v6, v5 quad_perm:[2,3,0,1] row_mask:0xf bank_mask:0xf
	v_cmp_lt_i64_e32 vcc_lo, v[1:2], v[3:4]
	v_cmp_eq_u32_e64 s0, 1, v7
	v_and_b32_e32 v6, 1, v6
	s_and_b32 vcc_lo, s0, vcc_lo
	v_cmp_eq_u32_e64 s1, 1, v6
	v_cndmask_b32_e32 v3, v3, v1, vcc_lo
	v_cndmask_b32_e32 v4, v4, v2, vcc_lo
	v_cndmask_b32_e64 v5, v5, 1, s1
	v_cndmask_b32_e64 v1, v1, v3, s1
	;; [unrolled: 1-line block ×3, first 2 shown]
	v_and_b32_e32 v7, 1, v5
	v_mov_b32_dpp v3, v1 row_ror:4 row_mask:0xf bank_mask:0xf
	v_mov_b32_dpp v4, v2 row_ror:4 row_mask:0xf bank_mask:0xf
	;; [unrolled: 1-line block ×3, first 2 shown]
	v_cmp_eq_u32_e64 s0, 1, v7
	v_cmp_lt_i64_e32 vcc_lo, v[1:2], v[3:4]
	v_and_b32_e32 v6, 1, v6
	s_and_b32 vcc_lo, s0, vcc_lo
	v_cmp_eq_u32_e64 s1, 1, v6
	v_cndmask_b32_e32 v3, v3, v1, vcc_lo
	v_cndmask_b32_e32 v4, v4, v2, vcc_lo
	v_cndmask_b32_e64 v5, v5, 1, s1
	v_cndmask_b32_e64 v1, v1, v3, s1
	;; [unrolled: 1-line block ×3, first 2 shown]
	v_and_b32_e32 v7, 1, v5
	v_mov_b32_dpp v3, v1 row_ror:8 row_mask:0xf bank_mask:0xf
	v_mov_b32_dpp v4, v2 row_ror:8 row_mask:0xf bank_mask:0xf
	;; [unrolled: 1-line block ×3, first 2 shown]
	v_cmp_eq_u32_e64 s0, 1, v7
	v_cmp_lt_i64_e32 vcc_lo, v[1:2], v[3:4]
	v_and_b32_e32 v6, 1, v6
	s_and_b32 vcc_lo, s0, vcc_lo
	v_cmp_eq_u32_e64 s1, 1, v6
	v_cndmask_b32_e32 v3, v3, v1, vcc_lo
	v_cndmask_b32_e32 v4, v4, v2, vcc_lo
	v_cndmask_b32_e64 v5, v5, 1, s1
	v_cndmask_b32_e64 v1, v1, v3, s1
	;; [unrolled: 1-line block ×3, first 2 shown]
	ds_swizzle_b32 v6, v5 offset:swizzle(BROADCAST,32,15)
	ds_swizzle_b32 v3, v1 offset:swizzle(BROADCAST,32,15)
	;; [unrolled: 1-line block ×3, first 2 shown]
	v_and_b32_e32 v7, 1, v5
	v_cmp_eq_u32_e64 s0, 1, v7
	v_mbcnt_lo_u32_b32 v7, -1, 0
	s_waitcnt lgkmcnt(2)
	v_and_b32_e32 v6, 1, v6
	s_waitcnt lgkmcnt(0)
	v_cmp_lt_i64_e32 vcc_lo, v[1:2], v[3:4]
	v_cmp_eq_u32_e64 s1, 1, v6
	v_mov_b32_e32 v6, 0
	s_and_b32 vcc_lo, s0, vcc_lo
	s_mov_b32 s0, exec_lo
	v_cndmask_b32_e32 v3, v3, v1, vcc_lo
	v_cndmask_b32_e32 v4, v4, v2, vcc_lo
	v_cndmask_b32_e64 v5, v5, 1, s1
	v_cndmask_b32_e64 v1, v1, v3, s1
	;; [unrolled: 1-line block ×3, first 2 shown]
	ds_bpermute_b32 v9, v6, v5 offset:124
	ds_bpermute_b32 v1, v6, v1 offset:124
	;; [unrolled: 1-line block ×3, first 2 shown]
	v_cmpx_eq_u32_e32 0, v7
	s_cbranch_execz .LBB760_28
; %bb.27:
	v_lshrrev_b32_e32 v3, 1, v0
	v_and_b32_e32 v3, 0x70, v3
	s_waitcnt lgkmcnt(2)
	ds_write_b8 v3, v9 offset:256
	s_waitcnt lgkmcnt(1)
	ds_write_b64 v3, v[1:2] offset:264
.LBB760_28:
	s_or_b32 exec_lo, exec_lo, s0
	s_mov_b32 s0, exec_lo
	s_waitcnt lgkmcnt(0)
	s_barrier
	buffer_gl0_inv
	v_cmpx_gt_u32_e32 32, v0
	s_cbranch_execz .LBB760_42
; %bb.29:
	v_and_b32_e32 v8, 7, v7
	v_lshlrev_b32_e32 v1, 4, v8
	v_cmp_ne_u32_e32 vcc_lo, 7, v8
	ds_read_u8 v10, v1 offset:256
	ds_read_b64 v[3:4], v1 offset:264
	v_add_co_ci_u32_e64 v2, null, 0, v7, vcc_lo
	v_lshlrev_b32_e32 v2, 2, v2
	s_waitcnt lgkmcnt(1)
	v_and_b32_e32 v1, 0xff, v10
	s_waitcnt lgkmcnt(0)
	ds_bpermute_b32 v5, v2, v3
	ds_bpermute_b32 v6, v2, v4
	;; [unrolled: 1-line block ×3, first 2 shown]
	s_waitcnt lgkmcnt(0)
	v_and_b32_e32 v1, v10, v11
	v_and_b32_e32 v1, 1, v1
	v_cmp_eq_u32_e32 vcc_lo, 1, v1
                                        ; implicit-def: $vgpr1_vgpr2
	s_and_saveexec_b32 s1, vcc_lo
	s_xor_b32 s1, exec_lo, s1
; %bb.30:
	v_cmp_lt_i64_e32 vcc_lo, v[5:6], v[3:4]
                                        ; implicit-def: $vgpr10
                                        ; implicit-def: $vgpr11
	v_cndmask_b32_e32 v2, v4, v6, vcc_lo
	v_cndmask_b32_e32 v1, v3, v5, vcc_lo
                                        ; implicit-def: $vgpr5_vgpr6
                                        ; implicit-def: $vgpr3_vgpr4
; %bb.31:
	s_or_saveexec_b32 s1, s1
	v_mov_b32_e32 v9, 1
	s_xor_b32 exec_lo, exec_lo, s1
; %bb.32:
	v_and_b32_e32 v1, 1, v10
	v_and_b32_e32 v9, 0xff, v11
	v_cmp_eq_u32_e32 vcc_lo, 1, v1
	v_cndmask_b32_e32 v2, v6, v4, vcc_lo
	v_cndmask_b32_e32 v1, v5, v3, vcc_lo
	v_cndmask_b32_e64 v9, v9, 1, vcc_lo
; %bb.33:
	s_or_b32 exec_lo, exec_lo, s1
	v_cmp_gt_u32_e32 vcc_lo, 6, v8
	v_cndmask_b32_e64 v3, 0, 2, vcc_lo
	v_add_lshl_u32 v3, v3, v7, 2
	ds_bpermute_b32 v8, v3, v9
	ds_bpermute_b32 v5, v3, v1
	;; [unrolled: 1-line block ×3, first 2 shown]
	s_waitcnt lgkmcnt(2)
	v_and_b32_e32 v3, v9, v8
	v_and_b32_e32 v3, 1, v3
	v_cmp_eq_u32_e32 vcc_lo, 1, v3
                                        ; implicit-def: $vgpr3_vgpr4
	s_and_saveexec_b32 s1, vcc_lo
	s_xor_b32 s1, exec_lo, s1
	s_cbranch_execz .LBB760_35
; %bb.34:
	s_waitcnt lgkmcnt(0)
	v_cmp_lt_i64_e32 vcc_lo, v[5:6], v[1:2]
                                        ; implicit-def: $vgpr9
                                        ; implicit-def: $vgpr8
	v_cndmask_b32_e32 v4, v2, v6, vcc_lo
	v_cndmask_b32_e32 v3, v1, v5, vcc_lo
                                        ; implicit-def: $vgpr5_vgpr6
                                        ; implicit-def: $vgpr1_vgpr2
.LBB760_35:
	s_or_saveexec_b32 s1, s1
	v_lshlrev_b32_e32 v10, 2, v7
	v_mov_b32_e32 v7, 1
	s_xor_b32 exec_lo, exec_lo, s1
	s_cbranch_execz .LBB760_37
; %bb.36:
	v_and_b32_e32 v3, 1, v9
	v_and_b32_e32 v7, 0xff, v8
	v_cmp_eq_u32_e32 vcc_lo, 1, v3
	s_waitcnt lgkmcnt(0)
	v_cndmask_b32_e32 v4, v6, v2, vcc_lo
	v_cndmask_b32_e32 v3, v5, v1, vcc_lo
	v_cndmask_b32_e64 v7, v7, 1, vcc_lo
.LBB760_37:
	s_or_b32 exec_lo, exec_lo, s1
	v_or_b32_e32 v1, 16, v10
	ds_bpermute_b32 v8, v1, v7
	s_waitcnt lgkmcnt(2)
	ds_bpermute_b32 v5, v1, v3
	s_waitcnt lgkmcnt(2)
	;; [unrolled: 2-line block ×3, first 2 shown]
	v_and_b32_e32 v1, v7, v8
	v_and_b32_e32 v1, 1, v1
	v_cmp_eq_u32_e32 vcc_lo, 1, v1
                                        ; implicit-def: $vgpr1_vgpr2
	s_and_saveexec_b32 s1, vcc_lo
	s_xor_b32 s1, exec_lo, s1
	s_cbranch_execz .LBB760_39
; %bb.38:
	s_waitcnt lgkmcnt(0)
	v_cmp_lt_i64_e32 vcc_lo, v[5:6], v[3:4]
                                        ; implicit-def: $vgpr7
                                        ; implicit-def: $vgpr8
	v_cndmask_b32_e32 v2, v4, v6, vcc_lo
	v_cndmask_b32_e32 v1, v3, v5, vcc_lo
                                        ; implicit-def: $vgpr5_vgpr6
                                        ; implicit-def: $vgpr3_vgpr4
.LBB760_39:
	s_or_saveexec_b32 s1, s1
	v_mov_b32_e32 v9, 1
	s_xor_b32 exec_lo, exec_lo, s1
	s_cbranch_execz .LBB760_41
; %bb.40:
	v_and_b32_e32 v1, 1, v7
	v_cmp_eq_u32_e32 vcc_lo, 1, v1
	s_waitcnt lgkmcnt(0)
	v_cndmask_b32_e32 v2, v6, v4, vcc_lo
	v_cndmask_b32_e32 v1, v5, v3, vcc_lo
	v_cndmask_b32_e64 v9, v8, 1, vcc_lo
.LBB760_41:
	s_or_b32 exec_lo, exec_lo, s1
.LBB760_42:
	s_or_b32 exec_lo, exec_lo, s0
	s_branch .LBB760_242
.LBB760_43:
                                        ; implicit-def: $vgpr3_vgpr4
                                        ; implicit-def: $vgpr5
                                        ; implicit-def: $vgpr1_vgpr2
	s_branch .LBB760_368
.LBB760_44:
                                        ; implicit-def: $vgpr1_vgpr2
                                        ; implicit-def: $vgpr17
	s_cbranch_execz .LBB760_167
; %bb.45:
	v_mov_b32_e32 v15, 0
	v_mov_b32_e32 v1, 0
	;; [unrolled: 1-line block ×6, first 2 shown]
	s_sub_i32 s27, s14, s8
	s_mov_b32 s0, exec_lo
	v_cmpx_gt_u32_e64 s27, v0
	s_cbranch_execz .LBB760_47
; %bb.46:
	s_clause 0x1
	global_load_ubyte v3, v0, s[10:11]
	global_load_ubyte v4, v0, s[22:23]
	v_add_co_u32 v1, s1, s28, v0
	v_add_co_ci_u32_e64 v2, null, s29, 0, s1
	s_waitcnt vmcnt(0)
	v_cmp_ne_u16_e32 vcc_lo, v3, v4
	v_cndmask_b32_e64 v17, 0, 1, vcc_lo
.LBB760_47:
	s_or_b32 exec_lo, exec_lo, s0
	v_or_b32_e32 v3, 0x100, v0
	v_cmp_gt_u32_e64 s9, s27, v3
	s_and_saveexec_b32 s0, s9
	s_cbranch_execz .LBB760_49
; %bb.48:
	global_load_ubyte v4, v0, s[10:11] offset:256
	s_waitcnt lgkmcnt(1)
	global_load_ubyte v5, v0, s[22:23] offset:256
	v_add_co_u32 v15, s1, s28, v3
	v_add_co_ci_u32_e64 v16, null, s29, 0, s1
	s_waitcnt vmcnt(0)
	v_cmp_ne_u16_e32 vcc_lo, v4, v5
	v_cndmask_b32_e64 v24, 0, 1, vcc_lo
.LBB760_49:
	s_or_b32 exec_lo, exec_lo, s0
	v_or_b32_e32 v3, 0x200, v0
	v_mov_b32_e32 v11, 0
	v_mov_b32_e32 v13, 0
	;; [unrolled: 1-line block ×5, first 2 shown]
	v_cmp_gt_u32_e64 s8, s27, v3
	v_mov_b32_e32 v23, 0
	s_and_saveexec_b32 s0, s8
	s_cbranch_execz .LBB760_51
; %bb.50:
	global_load_ubyte v4, v0, s[10:11] offset:512
	s_waitcnt lgkmcnt(1)
	global_load_ubyte v5, v0, s[22:23] offset:512
	v_add_co_u32 v13, s1, s28, v3
	v_add_co_ci_u32_e64 v14, null, s29, 0, s1
	s_waitcnt vmcnt(0)
	v_cmp_ne_u16_e32 vcc_lo, v4, v5
	v_cndmask_b32_e64 v23, 0, 1, vcc_lo
.LBB760_51:
	s_or_b32 exec_lo, exec_lo, s0
	v_or_b32_e32 v3, 0x300, v0
	v_cmp_gt_u32_e64 s3, s27, v3
	s_and_saveexec_b32 s0, s3
	s_cbranch_execz .LBB760_53
; %bb.52:
	global_load_ubyte v4, v0, s[10:11] offset:768
	s_waitcnt lgkmcnt(1)
	global_load_ubyte v5, v0, s[22:23] offset:768
	v_add_co_u32 v11, s1, s28, v3
	v_add_co_ci_u32_e64 v12, null, s29, 0, s1
	s_waitcnt vmcnt(0)
	v_cmp_ne_u16_e32 vcc_lo, v4, v5
	v_cndmask_b32_e64 v22, 0, 1, vcc_lo
.LBB760_53:
	s_or_b32 exec_lo, exec_lo, s0
	v_or_b32_e32 v3, 0x400, v0
	v_mov_b32_e32 v7, 0
	v_mov_b32_e32 v9, 0
	;; [unrolled: 1-line block ×5, first 2 shown]
	v_cmp_gt_u32_e64 s2, s27, v3
	v_mov_b32_e32 v21, 0
	s_and_saveexec_b32 s0, s2
	s_cbranch_execz .LBB760_55
; %bb.54:
	global_load_ubyte v4, v0, s[10:11] offset:1024
	s_waitcnt lgkmcnt(1)
	global_load_ubyte v5, v0, s[22:23] offset:1024
	v_add_co_u32 v9, s1, s28, v3
	v_add_co_ci_u32_e64 v10, null, s29, 0, s1
	s_waitcnt vmcnt(0)
	v_cmp_ne_u16_e32 vcc_lo, v4, v5
	v_cndmask_b32_e64 v21, 0, 1, vcc_lo
.LBB760_55:
	s_or_b32 exec_lo, exec_lo, s0
	v_or_b32_e32 v3, 0x500, v0
	v_cmp_gt_u32_e64 s1, s27, v3
	s_and_saveexec_b32 s0, s1
	s_cbranch_execz .LBB760_57
; %bb.56:
	global_load_ubyte v4, v0, s[10:11] offset:1280
	s_waitcnt lgkmcnt(1)
	global_load_ubyte v5, v0, s[22:23] offset:1280
	v_add_co_u32 v7, s30, s28, v3
	v_add_co_ci_u32_e64 v8, null, s29, 0, s30
	s_waitcnt vmcnt(0)
	v_cmp_ne_u16_e32 vcc_lo, v4, v5
	v_cndmask_b32_e64 v20, 0, 1, vcc_lo
.LBB760_57:
	s_or_b32 exec_lo, exec_lo, s0
	v_or_b32_e32 v25, 0x600, v0
	v_mov_b32_e32 v3, 0
	s_waitcnt lgkmcnt(0)
	v_mov_b32_e32 v5, 0
	v_mov_b32_e32 v4, 0
	;; [unrolled: 1-line block ×4, first 2 shown]
	v_cmp_gt_u32_e64 s0, s27, v25
	v_mov_b32_e32 v19, 0
	s_and_saveexec_b32 s30, s0
	s_cbranch_execz .LBB760_59
; %bb.58:
	s_clause 0x1
	global_load_ubyte v19, v0, s[10:11] offset:1536
	global_load_ubyte v26, v0, s[22:23] offset:1536
	v_add_co_u32 v5, s31, s28, v25
	v_add_co_ci_u32_e64 v6, null, s29, 0, s31
	s_waitcnt vmcnt(0)
	v_cmp_ne_u16_e32 vcc_lo, v19, v26
	v_cndmask_b32_e64 v19, 0, 1, vcc_lo
.LBB760_59:
	s_or_b32 exec_lo, exec_lo, s30
	v_or_b32_e32 v25, 0x700, v0
	v_cmp_gt_u32_e32 vcc_lo, s27, v25
	s_and_saveexec_b32 s30, vcc_lo
	s_cbranch_execnz .LBB760_78
; %bb.60:
	s_or_b32 exec_lo, exec_lo, s30
	s_and_saveexec_b32 s11, s9
	s_cbranch_execnz .LBB760_79
.LBB760_61:
	s_or_b32 exec_lo, exec_lo, s11
	s_and_saveexec_b32 s10, s8
	s_cbranch_execnz .LBB760_84
.LBB760_62:
	s_or_b32 exec_lo, exec_lo, s10
	s_and_saveexec_b32 s9, s3
	s_cbranch_execnz .LBB760_89
.LBB760_63:
	s_or_b32 exec_lo, exec_lo, s9
	s_and_saveexec_b32 s8, s2
	s_cbranch_execnz .LBB760_94
.LBB760_64:
	s_or_b32 exec_lo, exec_lo, s8
	s_and_saveexec_b32 s3, s1
	s_cbranch_execnz .LBB760_99
.LBB760_65:
	s_or_b32 exec_lo, exec_lo, s3
	s_and_saveexec_b32 s2, s0
	s_cbranch_execnz .LBB760_104
.LBB760_66:
	s_or_b32 exec_lo, exec_lo, s2
	s_and_saveexec_b32 s1, vcc_lo
	s_cbranch_execnz .LBB760_109
	s_branch .LBB760_114
.LBB760_67:
                                        ; implicit-def: $vgpr1_vgpr2
                                        ; implicit-def: $vgpr9
	s_cbranch_execz .LBB760_242
; %bb.68:
	v_mov_b32_e32 v7, 0
	v_mov_b32_e32 v1, 0
	;; [unrolled: 1-line block ×6, first 2 shown]
	s_sub_i32 s23, s14, s23
	s_mov_b32 s0, exec_lo
	v_cmpx_gt_u32_e64 s23, v0
	s_cbranch_execz .LBB760_70
; %bb.69:
	s_waitcnt lgkmcnt(1)
	global_load_ubyte v3, v0, s[2:3]
	s_waitcnt lgkmcnt(0)
	global_load_ubyte v4, v0, s[8:9]
	v_add_co_u32 v1, s1, s11, v0
	v_add_co_ci_u32_e64 v2, null, s22, 0, s1
	s_waitcnt vmcnt(0)
	v_cmp_ne_u16_e32 vcc_lo, v3, v4
	v_cndmask_b32_e64 v9, 0, 1, vcc_lo
.LBB760_70:
	s_or_b32 exec_lo, exec_lo, s0
	s_waitcnt lgkmcnt(1)
	v_or_b32_e32 v3, 0x100, v0
	v_cmp_gt_u32_e64 s1, s23, v3
	s_and_saveexec_b32 s0, s1
	s_cbranch_execz .LBB760_72
; %bb.71:
	s_waitcnt lgkmcnt(0)
	s_clause 0x1
	global_load_ubyte v4, v0, s[2:3] offset:256
	global_load_ubyte v5, v0, s[8:9] offset:256
	v_add_co_u32 v7, s26, s11, v3
	v_add_co_ci_u32_e64 v8, null, s22, 0, s26
	s_waitcnt vmcnt(0)
	v_cmp_ne_u16_e32 vcc_lo, v4, v5
	v_cndmask_b32_e64 v12, 0, 1, vcc_lo
.LBB760_72:
	s_or_b32 exec_lo, exec_lo, s0
	v_or_b32_e32 v13, 0x200, v0
	s_waitcnt lgkmcnt(0)
	v_mov_b32_e32 v3, 0
	v_mov_b32_e32 v5, 0
	;; [unrolled: 1-line block ×5, first 2 shown]
	v_cmp_gt_u32_e64 s0, s23, v13
	v_mov_b32_e32 v11, 0
	s_and_saveexec_b32 s26, s0
	s_cbranch_execz .LBB760_74
; %bb.73:
	s_clause 0x1
	global_load_ubyte v11, v0, s[2:3] offset:512
	global_load_ubyte v14, v0, s[8:9] offset:512
	v_add_co_u32 v5, s27, s11, v13
	v_add_co_ci_u32_e64 v6, null, s22, 0, s27
	s_waitcnt vmcnt(0)
	v_cmp_ne_u16_e32 vcc_lo, v11, v14
	v_cndmask_b32_e64 v11, 0, 1, vcc_lo
.LBB760_74:
	s_or_b32 exec_lo, exec_lo, s26
	v_or_b32_e32 v13, 0x300, v0
	v_cmp_gt_u32_e32 vcc_lo, s23, v13
	s_and_saveexec_b32 s26, vcc_lo
	s_cbranch_execnz .LBB760_173
; %bb.75:
	s_or_b32 exec_lo, exec_lo, s26
	s_and_saveexec_b32 s3, s1
	s_cbranch_execnz .LBB760_174
.LBB760_76:
	s_or_b32 exec_lo, exec_lo, s3
	s_and_saveexec_b32 s2, s0
	s_cbranch_execnz .LBB760_179
.LBB760_77:
	s_or_b32 exec_lo, exec_lo, s2
	s_and_saveexec_b32 s1, vcc_lo
	s_cbranch_execnz .LBB760_184
	s_branch .LBB760_189
.LBB760_78:
	s_clause 0x1
	global_load_ubyte v18, v0, s[10:11] offset:1792
	global_load_ubyte v26, v0, s[22:23] offset:1792
	v_add_co_u32 v3, s10, s28, v25
	v_add_co_ci_u32_e64 v4, null, s29, 0, s10
	s_waitcnt vmcnt(0)
	v_cmp_ne_u16_e64 s10, v18, v26
	v_cndmask_b32_e64 v18, 0, 1, s10
	s_or_b32 exec_lo, exec_lo, s30
	s_and_saveexec_b32 s11, s9
	s_cbranch_execz .LBB760_61
.LBB760_79:
	v_and_b32_e32 v17, 1, v17
	v_and_b32_e32 v25, 1, v24
	v_cmp_eq_u32_e64 s9, 1, v17
	v_cmp_eq_u32_e64 s10, 1, v25
                                        ; implicit-def: $vgpr17
	s_and_b32 s10, s9, s10
	s_xor_b32 s10, s10, -1
	s_and_saveexec_b32 s22, s10
	s_xor_b32 s10, exec_lo, s22
; %bb.80:
	v_and_b32_e32 v17, 0xffff, v24
	v_cndmask_b32_e64 v2, v16, v2, s9
	v_cndmask_b32_e64 v1, v15, v1, s9
                                        ; implicit-def: $vgpr15_vgpr16
	v_cndmask_b32_e64 v17, v17, 1, s9
; %bb.81:
	s_andn2_saveexec_b32 s10, s10
; %bb.82:
	v_cmp_lt_i64_e64 s9, v[15:16], v[1:2]
	v_mov_b32_e32 v17, 1
	v_cndmask_b32_e64 v2, v2, v16, s9
	v_cndmask_b32_e64 v1, v1, v15, s9
; %bb.83:
	s_or_b32 exec_lo, exec_lo, s10
	s_or_b32 exec_lo, exec_lo, s11
	s_and_saveexec_b32 s10, s8
	s_cbranch_execz .LBB760_62
.LBB760_84:
	v_and_b32_e32 v15, 1, v17
	v_and_b32_e32 v16, 1, v23
                                        ; implicit-def: $vgpr17
	v_cmp_eq_u32_e64 s8, 1, v15
	v_cmp_eq_u32_e64 s9, 1, v16
	s_and_b32 s9, s8, s9
	s_xor_b32 s9, s9, -1
	s_and_saveexec_b32 s11, s9
	s_xor_b32 s9, exec_lo, s11
; %bb.85:
	v_and_b32_e32 v15, 0xffff, v23
	v_cndmask_b32_e64 v2, v14, v2, s8
	v_cndmask_b32_e64 v1, v13, v1, s8
                                        ; implicit-def: $vgpr13_vgpr14
	v_cndmask_b32_e64 v17, v15, 1, s8
; %bb.86:
	s_andn2_saveexec_b32 s9, s9
; %bb.87:
	v_cmp_lt_i64_e64 s8, v[13:14], v[1:2]
	v_mov_b32_e32 v17, 1
	v_cndmask_b32_e64 v2, v2, v14, s8
	v_cndmask_b32_e64 v1, v1, v13, s8
; %bb.88:
	s_or_b32 exec_lo, exec_lo, s9
	s_or_b32 exec_lo, exec_lo, s10
	s_and_saveexec_b32 s9, s3
	s_cbranch_execz .LBB760_63
.LBB760_89:
	v_and_b32_e32 v13, 1, v17
	v_and_b32_e32 v14, 1, v22
                                        ; implicit-def: $vgpr17
	v_cmp_eq_u32_e64 s3, 1, v13
	v_cmp_eq_u32_e64 s8, 1, v14
	s_and_b32 s8, s3, s8
	s_xor_b32 s8, s8, -1
	s_and_saveexec_b32 s10, s8
	s_xor_b32 s8, exec_lo, s10
; %bb.90:
	v_and_b32_e32 v13, 0xffff, v22
	v_cndmask_b32_e64 v2, v12, v2, s3
	v_cndmask_b32_e64 v1, v11, v1, s3
                                        ; implicit-def: $vgpr11_vgpr12
	v_cndmask_b32_e64 v17, v13, 1, s3
; %bb.91:
	s_andn2_saveexec_b32 s8, s8
; %bb.92:
	v_cmp_lt_i64_e64 s3, v[11:12], v[1:2]
	v_mov_b32_e32 v17, 1
	v_cndmask_b32_e64 v2, v2, v12, s3
	v_cndmask_b32_e64 v1, v1, v11, s3
; %bb.93:
	s_or_b32 exec_lo, exec_lo, s8
	s_or_b32 exec_lo, exec_lo, s9
	s_and_saveexec_b32 s8, s2
	s_cbranch_execz .LBB760_64
.LBB760_94:
	v_and_b32_e32 v11, 1, v17
	v_and_b32_e32 v12, 1, v21
                                        ; implicit-def: $vgpr17
	v_cmp_eq_u32_e64 s2, 1, v11
	v_cmp_eq_u32_e64 s3, 1, v12
	s_and_b32 s3, s2, s3
	s_xor_b32 s3, s3, -1
	s_and_saveexec_b32 s9, s3
	s_xor_b32 s3, exec_lo, s9
; %bb.95:
	v_and_b32_e32 v11, 0xffff, v21
	v_cndmask_b32_e64 v2, v10, v2, s2
	v_cndmask_b32_e64 v1, v9, v1, s2
                                        ; implicit-def: $vgpr9_vgpr10
	v_cndmask_b32_e64 v17, v11, 1, s2
; %bb.96:
	s_andn2_saveexec_b32 s3, s3
; %bb.97:
	v_cmp_lt_i64_e64 s2, v[9:10], v[1:2]
	v_mov_b32_e32 v17, 1
	v_cndmask_b32_e64 v2, v2, v10, s2
	v_cndmask_b32_e64 v1, v1, v9, s2
; %bb.98:
	s_or_b32 exec_lo, exec_lo, s3
	s_or_b32 exec_lo, exec_lo, s8
	s_and_saveexec_b32 s3, s1
	s_cbranch_execz .LBB760_65
.LBB760_99:
	v_and_b32_e32 v9, 1, v17
	v_and_b32_e32 v10, 1, v20
                                        ; implicit-def: $vgpr17
	v_cmp_eq_u32_e64 s1, 1, v9
	v_cmp_eq_u32_e64 s2, 1, v10
	s_and_b32 s2, s1, s2
	s_xor_b32 s2, s2, -1
	s_and_saveexec_b32 s8, s2
	s_xor_b32 s2, exec_lo, s8
; %bb.100:
	v_and_b32_e32 v9, 0xffff, v20
	v_cndmask_b32_e64 v2, v8, v2, s1
	v_cndmask_b32_e64 v1, v7, v1, s1
                                        ; implicit-def: $vgpr7_vgpr8
	v_cndmask_b32_e64 v17, v9, 1, s1
; %bb.101:
	s_andn2_saveexec_b32 s2, s2
; %bb.102:
	v_cmp_lt_i64_e64 s1, v[7:8], v[1:2]
	v_mov_b32_e32 v17, 1
	v_cndmask_b32_e64 v2, v2, v8, s1
	v_cndmask_b32_e64 v1, v1, v7, s1
; %bb.103:
	s_or_b32 exec_lo, exec_lo, s2
	s_or_b32 exec_lo, exec_lo, s3
	s_and_saveexec_b32 s2, s0
	s_cbranch_execz .LBB760_66
.LBB760_104:
	v_and_b32_e32 v7, 1, v17
	v_and_b32_e32 v8, 1, v19
                                        ; implicit-def: $vgpr17
	v_cmp_eq_u32_e64 s0, 1, v7
	v_cmp_eq_u32_e64 s1, 1, v8
	s_and_b32 s1, s0, s1
	s_xor_b32 s1, s1, -1
	s_and_saveexec_b32 s3, s1
	s_xor_b32 s1, exec_lo, s3
; %bb.105:
	v_and_b32_e32 v7, 0xffff, v19
	v_cndmask_b32_e64 v2, v6, v2, s0
	v_cndmask_b32_e64 v1, v5, v1, s0
                                        ; implicit-def: $vgpr5_vgpr6
	v_cndmask_b32_e64 v17, v7, 1, s0
; %bb.106:
	s_andn2_saveexec_b32 s1, s1
; %bb.107:
	v_cmp_lt_i64_e64 s0, v[5:6], v[1:2]
	v_mov_b32_e32 v17, 1
	v_cndmask_b32_e64 v2, v2, v6, s0
	v_cndmask_b32_e64 v1, v1, v5, s0
; %bb.108:
	s_or_b32 exec_lo, exec_lo, s1
	s_or_b32 exec_lo, exec_lo, s2
	s_and_saveexec_b32 s1, vcc_lo
	s_cbranch_execz .LBB760_114
.LBB760_109:
	v_and_b32_e32 v5, 1, v17
	v_and_b32_e32 v6, 1, v18
                                        ; implicit-def: $vgpr17
	v_cmp_eq_u32_e32 vcc_lo, 1, v5
	v_cmp_eq_u32_e64 s0, 1, v6
	s_and_b32 s0, vcc_lo, s0
	s_xor_b32 s0, s0, -1
	s_and_saveexec_b32 s2, s0
	s_xor_b32 s0, exec_lo, s2
; %bb.110:
	v_and_b32_e32 v5, 0xffff, v18
	v_cndmask_b32_e32 v2, v4, v2, vcc_lo
	v_cndmask_b32_e32 v1, v3, v1, vcc_lo
                                        ; implicit-def: $vgpr3_vgpr4
	v_cndmask_b32_e64 v17, v5, 1, vcc_lo
; %bb.111:
	s_andn2_saveexec_b32 s0, s0
; %bb.112:
	v_cmp_lt_i64_e32 vcc_lo, v[3:4], v[1:2]
	v_mov_b32_e32 v17, 1
	v_cndmask_b32_e32 v2, v2, v4, vcc_lo
	v_cndmask_b32_e32 v1, v1, v3, vcc_lo
; %bb.113:
	s_or_b32 exec_lo, exec_lo, s0
.LBB760_114:
	s_or_b32 exec_lo, exec_lo, s1
	v_mbcnt_lo_u32_b32 v5, -1, 0
	v_and_b32_e32 v6, 0xe0, v0
	s_min_u32 s0, s27, 0x100
	s_mov_b32 s1, exec_lo
	v_cmp_ne_u32_e32 vcc_lo, 31, v5
	v_sub_nc_u32_e64 v6, s0, v6 clamp
	v_add_nc_u32_e32 v8, 1, v5
	v_add_co_ci_u32_e64 v3, null, 0, v5, vcc_lo
	v_lshlrev_b32_e32 v4, 2, v3
	ds_bpermute_b32 v7, v4, v17
	ds_bpermute_b32 v3, v4, v1
	;; [unrolled: 1-line block ×3, first 2 shown]
	v_cmpx_lt_u32_e64 v8, v6
	s_xor_b32 s1, exec_lo, s1
	s_cbranch_execz .LBB760_120
; %bb.115:
	s_waitcnt lgkmcnt(2)
	v_and_b32_e32 v8, v7, v17
	s_mov_b32 s2, exec_lo
	v_cmpx_ne_u32_e32 0, v8
	s_xor_b32 s2, exec_lo, s2
	s_cbranch_execz .LBB760_117
; %bb.116:
	s_waitcnt lgkmcnt(0)
	v_cmp_lt_i64_e32 vcc_lo, v[3:4], v[1:2]
                                        ; implicit-def: $vgpr17
                                        ; implicit-def: $vgpr7
	v_cndmask_b32_e32 v2, v2, v4, vcc_lo
	v_cndmask_b32_e32 v1, v1, v3, vcc_lo
                                        ; implicit-def: $vgpr3_vgpr4
.LBB760_117:
	s_or_saveexec_b32 s2, s2
	v_mov_b32_e32 v8, 1
	s_xor_b32 exec_lo, exec_lo, s2
	s_cbranch_execz .LBB760_119
; %bb.118:
	v_and_b32_e32 v8, 1, v17
	v_and_b32_e32 v7, 0xff, v7
	v_cmp_eq_u32_e32 vcc_lo, 1, v8
	s_waitcnt lgkmcnt(0)
	v_cndmask_b32_e32 v2, v4, v2, vcc_lo
	v_cndmask_b32_e32 v1, v3, v1, vcc_lo
	v_cndmask_b32_e64 v8, v7, 1, vcc_lo
.LBB760_119:
	s_or_b32 exec_lo, exec_lo, s2
	v_mov_b32_e32 v17, v8
.LBB760_120:
	s_or_b32 exec_lo, exec_lo, s1
	v_cmp_gt_u32_e32 vcc_lo, 30, v5
	v_add_nc_u32_e32 v8, 2, v5
	s_mov_b32 s1, exec_lo
	s_waitcnt lgkmcnt(1)
	v_cndmask_b32_e64 v3, 0, 2, vcc_lo
	s_waitcnt lgkmcnt(0)
	v_add_lshl_u32 v4, v3, v5, 2
	ds_bpermute_b32 v7, v4, v17
	ds_bpermute_b32 v3, v4, v1
	ds_bpermute_b32 v4, v4, v2
	v_cmpx_lt_u32_e64 v8, v6
	s_cbranch_execz .LBB760_126
; %bb.121:
	s_waitcnt lgkmcnt(2)
	v_and_b32_e32 v8, v17, v7
	s_mov_b32 s2, exec_lo
	v_and_b32_e32 v8, 1, v8
	v_cmpx_eq_u32_e32 1, v8
	s_xor_b32 s2, exec_lo, s2
	s_cbranch_execz .LBB760_123
; %bb.122:
	s_waitcnt lgkmcnt(0)
	v_cmp_lt_i64_e32 vcc_lo, v[3:4], v[1:2]
                                        ; implicit-def: $vgpr17
                                        ; implicit-def: $vgpr7
	v_cndmask_b32_e32 v2, v2, v4, vcc_lo
	v_cndmask_b32_e32 v1, v1, v3, vcc_lo
                                        ; implicit-def: $vgpr3_vgpr4
.LBB760_123:
	s_or_saveexec_b32 s2, s2
	v_mov_b32_e32 v8, 1
	s_xor_b32 exec_lo, exec_lo, s2
	s_cbranch_execz .LBB760_125
; %bb.124:
	v_and_b32_e32 v8, 1, v17
	v_and_b32_e32 v7, 0xff, v7
	v_cmp_eq_u32_e32 vcc_lo, 1, v8
	s_waitcnt lgkmcnt(0)
	v_cndmask_b32_e32 v2, v4, v2, vcc_lo
	v_cndmask_b32_e32 v1, v3, v1, vcc_lo
	v_cndmask_b32_e64 v8, v7, 1, vcc_lo
.LBB760_125:
	s_or_b32 exec_lo, exec_lo, s2
	v_mov_b32_e32 v17, v8
.LBB760_126:
	s_or_b32 exec_lo, exec_lo, s1
	v_cmp_gt_u32_e32 vcc_lo, 28, v5
	v_add_nc_u32_e32 v8, 4, v5
	s_mov_b32 s1, exec_lo
	s_waitcnt lgkmcnt(1)
	v_cndmask_b32_e64 v3, 0, 4, vcc_lo
	s_waitcnt lgkmcnt(0)
	v_add_lshl_u32 v4, v3, v5, 2
	ds_bpermute_b32 v7, v4, v17
	ds_bpermute_b32 v3, v4, v1
	ds_bpermute_b32 v4, v4, v2
	v_cmpx_lt_u32_e64 v8, v6
	s_cbranch_execz .LBB760_132
; %bb.127:
	s_waitcnt lgkmcnt(2)
	v_and_b32_e32 v8, v17, v7
	s_mov_b32 s2, exec_lo
	v_and_b32_e32 v8, 1, v8
	v_cmpx_eq_u32_e32 1, v8
	s_xor_b32 s2, exec_lo, s2
	s_cbranch_execz .LBB760_129
; %bb.128:
	s_waitcnt lgkmcnt(0)
	v_cmp_lt_i64_e32 vcc_lo, v[3:4], v[1:2]
                                        ; implicit-def: $vgpr17
                                        ; implicit-def: $vgpr7
	v_cndmask_b32_e32 v2, v2, v4, vcc_lo
	v_cndmask_b32_e32 v1, v1, v3, vcc_lo
                                        ; implicit-def: $vgpr3_vgpr4
.LBB760_129:
	s_or_saveexec_b32 s2, s2
	v_mov_b32_e32 v8, 1
	s_xor_b32 exec_lo, exec_lo, s2
	s_cbranch_execz .LBB760_131
; %bb.130:
	v_and_b32_e32 v8, 1, v17
	v_and_b32_e32 v7, 0xff, v7
	v_cmp_eq_u32_e32 vcc_lo, 1, v8
	s_waitcnt lgkmcnt(0)
	v_cndmask_b32_e32 v2, v4, v2, vcc_lo
	v_cndmask_b32_e32 v1, v3, v1, vcc_lo
	v_cndmask_b32_e64 v8, v7, 1, vcc_lo
.LBB760_131:
	s_or_b32 exec_lo, exec_lo, s2
	v_mov_b32_e32 v17, v8
.LBB760_132:
	;; [unrolled: 46-line block ×3, first 2 shown]
	s_or_b32 exec_lo, exec_lo, s1
	s_waitcnt lgkmcnt(2)
	v_lshlrev_b32_e32 v7, 2, v5
	v_add_nc_u32_e32 v9, 16, v5
	s_waitcnt lgkmcnt(0)
	v_or_b32_e32 v4, 64, v7
	v_cmp_lt_u32_e32 vcc_lo, v9, v6
	v_mov_b32_e32 v6, v17
	ds_bpermute_b32 v8, v4, v17
	ds_bpermute_b32 v3, v4, v1
	;; [unrolled: 1-line block ×3, first 2 shown]
	s_and_saveexec_b32 s1, vcc_lo
	s_cbranch_execz .LBB760_144
; %bb.139:
	s_waitcnt lgkmcnt(2)
	v_and_b32_e32 v6, v17, v8
	s_mov_b32 s2, exec_lo
	v_and_b32_e32 v6, 1, v6
	v_cmpx_eq_u32_e32 1, v6
	s_xor_b32 s2, exec_lo, s2
	s_cbranch_execz .LBB760_141
; %bb.140:
	s_waitcnt lgkmcnt(0)
	v_cmp_lt_i64_e32 vcc_lo, v[3:4], v[1:2]
                                        ; implicit-def: $vgpr17
                                        ; implicit-def: $vgpr8
	v_cndmask_b32_e32 v2, v2, v4, vcc_lo
	v_cndmask_b32_e32 v1, v1, v3, vcc_lo
                                        ; implicit-def: $vgpr3_vgpr4
.LBB760_141:
	s_or_saveexec_b32 s2, s2
	v_mov_b32_e32 v6, 1
	s_xor_b32 exec_lo, exec_lo, s2
	s_cbranch_execz .LBB760_143
; %bb.142:
	v_and_b32_e32 v6, 1, v17
	v_cmp_eq_u32_e32 vcc_lo, 1, v6
	v_cndmask_b32_e64 v6, v8, 1, vcc_lo
	s_waitcnt lgkmcnt(0)
	v_cndmask_b32_e32 v2, v4, v2, vcc_lo
	v_cndmask_b32_e32 v1, v3, v1, vcc_lo
.LBB760_143:
	s_or_b32 exec_lo, exec_lo, s2
	v_and_b32_e32 v17, 0xff, v6
.LBB760_144:
	s_or_b32 exec_lo, exec_lo, s1
	s_mov_b32 s1, exec_lo
	v_cmpx_eq_u32_e32 0, v5
	s_cbranch_execz .LBB760_146
; %bb.145:
	s_waitcnt lgkmcnt(1)
	v_lshrrev_b32_e32 v3, 1, v0
	v_and_b32_e32 v3, 0x70, v3
	ds_write_b8 v3, v6 offset:512
	ds_write_b64 v3, v[1:2] offset:520
.LBB760_146:
	s_or_b32 exec_lo, exec_lo, s1
	s_mov_b32 s1, exec_lo
	s_waitcnt lgkmcnt(0)
	s_barrier
	buffer_gl0_inv
	v_cmpx_gt_u32_e32 8, v0
	s_cbranch_execz .LBB760_166
; %bb.147:
	v_lshlrev_b32_e32 v1, 4, v5
	v_and_b32_e32 v6, 7, v5
	s_add_i32 s0, s0, 31
	s_mov_b32 s2, exec_lo
	s_lshr_b32 s0, s0, 5
	ds_read_u8 v8, v1 offset:512
	ds_read_b64 v[1:2], v1 offset:520
	v_cmp_ne_u32_e32 vcc_lo, 7, v6
	v_add_nc_u32_e32 v10, 1, v6
	v_add_co_ci_u32_e64 v3, null, 0, v5, vcc_lo
	v_lshlrev_b32_e32 v4, 2, v3
	s_waitcnt lgkmcnt(1)
	v_and_b32_e32 v17, 0xff, v8
	s_waitcnt lgkmcnt(0)
	ds_bpermute_b32 v3, v4, v1
	ds_bpermute_b32 v9, v4, v17
	;; [unrolled: 1-line block ×3, first 2 shown]
	v_cmpx_gt_u32_e64 s0, v10
	s_cbranch_execz .LBB760_153
; %bb.148:
	s_waitcnt lgkmcnt(1)
	v_and_b32_e32 v10, v17, v9
	s_mov_b32 s3, exec_lo
	v_and_b32_e32 v10, 1, v10
	v_cmpx_eq_u32_e32 1, v10
	s_xor_b32 s3, exec_lo, s3
	s_cbranch_execz .LBB760_150
; %bb.149:
	s_waitcnt lgkmcnt(0)
	v_cmp_lt_i64_e32 vcc_lo, v[3:4], v[1:2]
                                        ; implicit-def: $vgpr8
                                        ; implicit-def: $vgpr9
	v_cndmask_b32_e32 v2, v2, v4, vcc_lo
	v_cndmask_b32_e32 v1, v1, v3, vcc_lo
                                        ; implicit-def: $vgpr3_vgpr4
.LBB760_150:
	s_or_saveexec_b32 s3, s3
	v_mov_b32_e32 v17, 1
	s_xor_b32 exec_lo, exec_lo, s3
	s_cbranch_execz .LBB760_152
; %bb.151:
	v_and_b32_e32 v8, 1, v8
	v_cmp_eq_u32_e32 vcc_lo, 1, v8
	v_and_b32_e32 v8, 0xff, v9
	s_waitcnt lgkmcnt(0)
	v_cndmask_b32_e32 v2, v4, v2, vcc_lo
	v_cndmask_b32_e32 v1, v3, v1, vcc_lo
	v_cndmask_b32_e64 v17, v8, 1, vcc_lo
.LBB760_152:
	s_or_b32 exec_lo, exec_lo, s3
.LBB760_153:
	s_or_b32 exec_lo, exec_lo, s2
	v_cmp_gt_u32_e32 vcc_lo, 6, v6
	v_add_nc_u32_e32 v8, 2, v6
	s_mov_b32 s2, exec_lo
	s_waitcnt lgkmcnt(2)
	v_cndmask_b32_e64 v3, 0, 2, vcc_lo
	s_waitcnt lgkmcnt(0)
	v_add_lshl_u32 v4, v3, v5, 2
	ds_bpermute_b32 v5, v4, v17
	ds_bpermute_b32 v3, v4, v1
	ds_bpermute_b32 v4, v4, v2
	v_cmpx_gt_u32_e64 s0, v8
	s_cbranch_execz .LBB760_159
; %bb.154:
	s_waitcnt lgkmcnt(2)
	v_and_b32_e32 v8, v17, v5
	s_mov_b32 s3, exec_lo
	v_and_b32_e32 v8, 1, v8
	v_cmpx_eq_u32_e32 1, v8
	s_xor_b32 s3, exec_lo, s3
	s_cbranch_execz .LBB760_156
; %bb.155:
	s_waitcnt lgkmcnt(0)
	v_cmp_lt_i64_e32 vcc_lo, v[3:4], v[1:2]
                                        ; implicit-def: $vgpr17
                                        ; implicit-def: $vgpr5
	v_cndmask_b32_e32 v2, v2, v4, vcc_lo
	v_cndmask_b32_e32 v1, v1, v3, vcc_lo
                                        ; implicit-def: $vgpr3_vgpr4
.LBB760_156:
	s_or_saveexec_b32 s3, s3
	v_mov_b32_e32 v8, 1
	s_xor_b32 exec_lo, exec_lo, s3
	s_cbranch_execz .LBB760_158
; %bb.157:
	v_and_b32_e32 v8, 1, v17
	v_and_b32_e32 v5, 0xff, v5
	v_cmp_eq_u32_e32 vcc_lo, 1, v8
	s_waitcnt lgkmcnt(0)
	v_cndmask_b32_e32 v2, v4, v2, vcc_lo
	v_cndmask_b32_e32 v1, v3, v1, vcc_lo
	v_cndmask_b32_e64 v8, v5, 1, vcc_lo
.LBB760_158:
	s_or_b32 exec_lo, exec_lo, s3
	v_mov_b32_e32 v17, v8
.LBB760_159:
	s_or_b32 exec_lo, exec_lo, s2
	s_waitcnt lgkmcnt(0)
	v_or_b32_e32 v4, 16, v7
	v_add_nc_u32_e32 v6, 4, v6
	ds_bpermute_b32 v5, v4, v17
	ds_bpermute_b32 v3, v4, v1
	;; [unrolled: 1-line block ×3, first 2 shown]
	v_cmp_gt_u32_e32 vcc_lo, s0, v6
	s_and_saveexec_b32 s0, vcc_lo
	s_cbranch_execz .LBB760_165
; %bb.160:
	s_waitcnt lgkmcnt(2)
	v_and_b32_e32 v6, v17, v5
	s_mov_b32 s2, exec_lo
	v_and_b32_e32 v6, 1, v6
	v_cmpx_eq_u32_e32 1, v6
	s_xor_b32 s2, exec_lo, s2
	s_cbranch_execz .LBB760_162
; %bb.161:
	s_waitcnt lgkmcnt(0)
	v_cmp_lt_i64_e32 vcc_lo, v[3:4], v[1:2]
                                        ; implicit-def: $vgpr17
                                        ; implicit-def: $vgpr5
	v_cndmask_b32_e32 v2, v2, v4, vcc_lo
	v_cndmask_b32_e32 v1, v1, v3, vcc_lo
                                        ; implicit-def: $vgpr3_vgpr4
.LBB760_162:
	s_or_saveexec_b32 s2, s2
	v_mov_b32_e32 v6, 1
	s_xor_b32 exec_lo, exec_lo, s2
	s_cbranch_execz .LBB760_164
; %bb.163:
	v_and_b32_e32 v6, 1, v17
	v_cmp_eq_u32_e32 vcc_lo, 1, v6
	s_waitcnt lgkmcnt(0)
	v_cndmask_b32_e32 v2, v4, v2, vcc_lo
	v_cndmask_b32_e32 v1, v3, v1, vcc_lo
	v_cndmask_b32_e64 v6, v5, 1, vcc_lo
.LBB760_164:
	s_or_b32 exec_lo, exec_lo, s2
	v_mov_b32_e32 v17, v6
.LBB760_165:
	s_or_b32 exec_lo, exec_lo, s0
.LBB760_166:
	s_or_b32 exec_lo, exec_lo, s1
.LBB760_167:
	s_mov_b32 s10, 0
                                        ; implicit-def: $vgpr3_vgpr4
                                        ; implicit-def: $vgpr5
	s_mov_b32 s0, exec_lo
	v_cmpx_eq_u32_e32 0, v0
	s_xor_b32 s2, exec_lo, s0
	s_cbranch_execz .LBB760_171
; %bb.168:
	s_waitcnt lgkmcnt(0)
	v_mov_b32_e32 v3, s20
	v_mov_b32_e32 v4, s21
	v_mov_b32_e32 v5, s24
	s_cmp_eq_u64 s[14:15], 0
	s_cbranch_scc1 .LBB760_170
; %bb.169:
	v_and_b32_e32 v3, 1, v17
	v_cmp_gt_i64_e32 vcc_lo, s[20:21], v[1:2]
	s_bitcmp1_b32 s24, 0
	s_cselect_b32 s1, -1, 0
	v_cmp_eq_u32_e64 s0, 1, v3
	v_cndmask_b32_e64 v5, v17, 1, s1
	s_and_b32 vcc_lo, s0, vcc_lo
	v_cndmask_b32_e32 v3, s20, v1, vcc_lo
	v_cndmask_b32_e32 v4, s21, v2, vcc_lo
	v_cndmask_b32_e64 v3, v1, v3, s1
	v_cndmask_b32_e64 v4, v2, v4, s1
.LBB760_170:
	s_mov_b32 s10, exec_lo
.LBB760_171:
	s_or_b32 exec_lo, exec_lo, s2
	v_mov_b32_e32 v1, s6
	v_mov_b32_e32 v2, s7
	s_and_b32 vcc_lo, exec_lo, s26
	s_cbranch_vccnz .LBB760_24
.LBB760_172:
	s_branch .LBB760_368
.LBB760_173:
	s_clause 0x1
	global_load_ubyte v10, v0, s[2:3] offset:768
	global_load_ubyte v14, v0, s[8:9] offset:768
	v_add_co_u32 v3, s2, s11, v13
	v_add_co_ci_u32_e64 v4, null, s22, 0, s2
	s_waitcnt vmcnt(0)
	v_cmp_ne_u16_e64 s2, v10, v14
	v_cndmask_b32_e64 v10, 0, 1, s2
	s_or_b32 exec_lo, exec_lo, s26
	s_and_saveexec_b32 s3, s1
	s_cbranch_execz .LBB760_76
.LBB760_174:
	v_and_b32_e32 v9, 1, v9
	v_and_b32_e32 v13, 1, v12
	v_cmp_eq_u32_e64 s1, 1, v9
	v_cmp_eq_u32_e64 s2, 1, v13
                                        ; implicit-def: $vgpr9
	s_and_b32 s2, s1, s2
	s_xor_b32 s2, s2, -1
	s_and_saveexec_b32 s8, s2
	s_xor_b32 s2, exec_lo, s8
; %bb.175:
	v_and_b32_e32 v9, 0xffff, v12
	v_cndmask_b32_e64 v2, v8, v2, s1
	v_cndmask_b32_e64 v1, v7, v1, s1
                                        ; implicit-def: $vgpr7_vgpr8
	v_cndmask_b32_e64 v9, v9, 1, s1
; %bb.176:
	s_andn2_saveexec_b32 s2, s2
; %bb.177:
	v_cmp_lt_i64_e64 s1, v[7:8], v[1:2]
	v_mov_b32_e32 v9, 1
	v_cndmask_b32_e64 v2, v2, v8, s1
	v_cndmask_b32_e64 v1, v1, v7, s1
; %bb.178:
	s_or_b32 exec_lo, exec_lo, s2
	s_or_b32 exec_lo, exec_lo, s3
	s_and_saveexec_b32 s2, s0
	s_cbranch_execz .LBB760_77
.LBB760_179:
	v_and_b32_e32 v7, 1, v9
	v_and_b32_e32 v8, 1, v11
                                        ; implicit-def: $vgpr9
	v_cmp_eq_u32_e64 s0, 1, v7
	v_cmp_eq_u32_e64 s1, 1, v8
	s_and_b32 s1, s0, s1
	s_xor_b32 s1, s1, -1
	s_and_saveexec_b32 s3, s1
	s_xor_b32 s1, exec_lo, s3
; %bb.180:
	v_and_b32_e32 v7, 0xffff, v11
	v_cndmask_b32_e64 v2, v6, v2, s0
	v_cndmask_b32_e64 v1, v5, v1, s0
                                        ; implicit-def: $vgpr5_vgpr6
	v_cndmask_b32_e64 v9, v7, 1, s0
; %bb.181:
	s_andn2_saveexec_b32 s1, s1
; %bb.182:
	v_cmp_lt_i64_e64 s0, v[5:6], v[1:2]
	v_mov_b32_e32 v9, 1
	v_cndmask_b32_e64 v2, v2, v6, s0
	v_cndmask_b32_e64 v1, v1, v5, s0
; %bb.183:
	s_or_b32 exec_lo, exec_lo, s1
	s_or_b32 exec_lo, exec_lo, s2
	s_and_saveexec_b32 s1, vcc_lo
	s_cbranch_execz .LBB760_189
.LBB760_184:
	v_and_b32_e32 v5, 1, v9
	v_and_b32_e32 v6, 1, v10
                                        ; implicit-def: $vgpr9
	v_cmp_eq_u32_e32 vcc_lo, 1, v5
	v_cmp_eq_u32_e64 s0, 1, v6
	s_and_b32 s0, vcc_lo, s0
	s_xor_b32 s0, s0, -1
	s_and_saveexec_b32 s2, s0
	s_xor_b32 s0, exec_lo, s2
; %bb.185:
	v_and_b32_e32 v5, 0xffff, v10
	v_cndmask_b32_e32 v2, v4, v2, vcc_lo
	v_cndmask_b32_e32 v1, v3, v1, vcc_lo
                                        ; implicit-def: $vgpr3_vgpr4
	v_cndmask_b32_e64 v9, v5, 1, vcc_lo
; %bb.186:
	s_andn2_saveexec_b32 s0, s0
; %bb.187:
	v_cmp_lt_i64_e32 vcc_lo, v[3:4], v[1:2]
	v_mov_b32_e32 v9, 1
	v_cndmask_b32_e32 v2, v2, v4, vcc_lo
	v_cndmask_b32_e32 v1, v1, v3, vcc_lo
; %bb.188:
	s_or_b32 exec_lo, exec_lo, s0
.LBB760_189:
	s_or_b32 exec_lo, exec_lo, s1
	v_mbcnt_lo_u32_b32 v5, -1, 0
	v_and_b32_e32 v6, 0xe0, v0
	s_min_u32 s0, s23, 0x100
	s_mov_b32 s1, exec_lo
	v_cmp_ne_u32_e32 vcc_lo, 31, v5
	v_sub_nc_u32_e64 v6, s0, v6 clamp
	v_add_nc_u32_e32 v8, 1, v5
	v_add_co_ci_u32_e64 v3, null, 0, v5, vcc_lo
	v_lshlrev_b32_e32 v4, 2, v3
	ds_bpermute_b32 v7, v4, v9
	ds_bpermute_b32 v3, v4, v1
	;; [unrolled: 1-line block ×3, first 2 shown]
	v_cmpx_lt_u32_e64 v8, v6
	s_xor_b32 s1, exec_lo, s1
	s_cbranch_execz .LBB760_195
; %bb.190:
	s_waitcnt lgkmcnt(2)
	v_and_b32_e32 v8, v7, v9
	s_mov_b32 s2, exec_lo
	v_cmpx_ne_u32_e32 0, v8
	s_xor_b32 s2, exec_lo, s2
	s_cbranch_execz .LBB760_192
; %bb.191:
	s_waitcnt lgkmcnt(0)
	v_cmp_lt_i64_e32 vcc_lo, v[3:4], v[1:2]
                                        ; implicit-def: $vgpr9
                                        ; implicit-def: $vgpr7
	v_cndmask_b32_e32 v2, v2, v4, vcc_lo
	v_cndmask_b32_e32 v1, v1, v3, vcc_lo
                                        ; implicit-def: $vgpr3_vgpr4
.LBB760_192:
	s_or_saveexec_b32 s2, s2
	v_mov_b32_e32 v8, 1
	s_xor_b32 exec_lo, exec_lo, s2
	s_cbranch_execz .LBB760_194
; %bb.193:
	v_and_b32_e32 v8, 1, v9
	v_and_b32_e32 v7, 0xff, v7
	v_cmp_eq_u32_e32 vcc_lo, 1, v8
	s_waitcnt lgkmcnt(0)
	v_cndmask_b32_e32 v2, v4, v2, vcc_lo
	v_cndmask_b32_e32 v1, v3, v1, vcc_lo
	v_cndmask_b32_e64 v8, v7, 1, vcc_lo
.LBB760_194:
	s_or_b32 exec_lo, exec_lo, s2
	v_mov_b32_e32 v9, v8
.LBB760_195:
	s_or_b32 exec_lo, exec_lo, s1
	v_cmp_gt_u32_e32 vcc_lo, 30, v5
	v_add_nc_u32_e32 v8, 2, v5
	s_mov_b32 s1, exec_lo
	s_waitcnt lgkmcnt(1)
	v_cndmask_b32_e64 v3, 0, 2, vcc_lo
	s_waitcnt lgkmcnt(0)
	v_add_lshl_u32 v4, v3, v5, 2
	ds_bpermute_b32 v7, v4, v9
	ds_bpermute_b32 v3, v4, v1
	ds_bpermute_b32 v4, v4, v2
	v_cmpx_lt_u32_e64 v8, v6
	s_cbranch_execz .LBB760_201
; %bb.196:
	s_waitcnt lgkmcnt(2)
	v_and_b32_e32 v8, v9, v7
	s_mov_b32 s2, exec_lo
	v_and_b32_e32 v8, 1, v8
	v_cmpx_eq_u32_e32 1, v8
	s_xor_b32 s2, exec_lo, s2
	s_cbranch_execz .LBB760_198
; %bb.197:
	s_waitcnt lgkmcnt(0)
	v_cmp_lt_i64_e32 vcc_lo, v[3:4], v[1:2]
                                        ; implicit-def: $vgpr9
                                        ; implicit-def: $vgpr7
	v_cndmask_b32_e32 v2, v2, v4, vcc_lo
	v_cndmask_b32_e32 v1, v1, v3, vcc_lo
                                        ; implicit-def: $vgpr3_vgpr4
.LBB760_198:
	s_or_saveexec_b32 s2, s2
	v_mov_b32_e32 v8, 1
	s_xor_b32 exec_lo, exec_lo, s2
	s_cbranch_execz .LBB760_200
; %bb.199:
	v_and_b32_e32 v8, 1, v9
	v_and_b32_e32 v7, 0xff, v7
	v_cmp_eq_u32_e32 vcc_lo, 1, v8
	s_waitcnt lgkmcnt(0)
	v_cndmask_b32_e32 v2, v4, v2, vcc_lo
	v_cndmask_b32_e32 v1, v3, v1, vcc_lo
	v_cndmask_b32_e64 v8, v7, 1, vcc_lo
.LBB760_200:
	s_or_b32 exec_lo, exec_lo, s2
	v_mov_b32_e32 v9, v8
.LBB760_201:
	s_or_b32 exec_lo, exec_lo, s1
	v_cmp_gt_u32_e32 vcc_lo, 28, v5
	v_add_nc_u32_e32 v8, 4, v5
	s_mov_b32 s1, exec_lo
	s_waitcnt lgkmcnt(1)
	v_cndmask_b32_e64 v3, 0, 4, vcc_lo
	s_waitcnt lgkmcnt(0)
	v_add_lshl_u32 v4, v3, v5, 2
	ds_bpermute_b32 v7, v4, v9
	ds_bpermute_b32 v3, v4, v1
	ds_bpermute_b32 v4, v4, v2
	v_cmpx_lt_u32_e64 v8, v6
	s_cbranch_execz .LBB760_207
; %bb.202:
	s_waitcnt lgkmcnt(2)
	v_and_b32_e32 v8, v9, v7
	s_mov_b32 s2, exec_lo
	v_and_b32_e32 v8, 1, v8
	v_cmpx_eq_u32_e32 1, v8
	s_xor_b32 s2, exec_lo, s2
	s_cbranch_execz .LBB760_204
; %bb.203:
	s_waitcnt lgkmcnt(0)
	v_cmp_lt_i64_e32 vcc_lo, v[3:4], v[1:2]
                                        ; implicit-def: $vgpr9
                                        ; implicit-def: $vgpr7
	v_cndmask_b32_e32 v2, v2, v4, vcc_lo
	v_cndmask_b32_e32 v1, v1, v3, vcc_lo
                                        ; implicit-def: $vgpr3_vgpr4
.LBB760_204:
	s_or_saveexec_b32 s2, s2
	v_mov_b32_e32 v8, 1
	s_xor_b32 exec_lo, exec_lo, s2
	s_cbranch_execz .LBB760_206
; %bb.205:
	v_and_b32_e32 v8, 1, v9
	v_and_b32_e32 v7, 0xff, v7
	v_cmp_eq_u32_e32 vcc_lo, 1, v8
	s_waitcnt lgkmcnt(0)
	v_cndmask_b32_e32 v2, v4, v2, vcc_lo
	v_cndmask_b32_e32 v1, v3, v1, vcc_lo
	v_cndmask_b32_e64 v8, v7, 1, vcc_lo
.LBB760_206:
	s_or_b32 exec_lo, exec_lo, s2
	v_mov_b32_e32 v9, v8
.LBB760_207:
	;; [unrolled: 46-line block ×3, first 2 shown]
	s_or_b32 exec_lo, exec_lo, s1
	s_waitcnt lgkmcnt(2)
	v_lshlrev_b32_e32 v7, 2, v5
	v_add_nc_u32_e32 v10, 16, v5
	s_waitcnt lgkmcnt(0)
	v_or_b32_e32 v4, 64, v7
	v_cmp_lt_u32_e32 vcc_lo, v10, v6
	v_mov_b32_e32 v6, v9
	ds_bpermute_b32 v8, v4, v9
	ds_bpermute_b32 v3, v4, v1
	;; [unrolled: 1-line block ×3, first 2 shown]
	s_and_saveexec_b32 s1, vcc_lo
	s_cbranch_execz .LBB760_219
; %bb.214:
	s_waitcnt lgkmcnt(2)
	v_and_b32_e32 v6, v9, v8
	s_mov_b32 s2, exec_lo
	v_and_b32_e32 v6, 1, v6
	v_cmpx_eq_u32_e32 1, v6
	s_xor_b32 s2, exec_lo, s2
	s_cbranch_execz .LBB760_216
; %bb.215:
	s_waitcnt lgkmcnt(0)
	v_cmp_lt_i64_e32 vcc_lo, v[3:4], v[1:2]
                                        ; implicit-def: $vgpr9
                                        ; implicit-def: $vgpr8
	v_cndmask_b32_e32 v2, v2, v4, vcc_lo
	v_cndmask_b32_e32 v1, v1, v3, vcc_lo
                                        ; implicit-def: $vgpr3_vgpr4
.LBB760_216:
	s_or_saveexec_b32 s2, s2
	v_mov_b32_e32 v6, 1
	s_xor_b32 exec_lo, exec_lo, s2
	s_cbranch_execz .LBB760_218
; %bb.217:
	v_and_b32_e32 v6, 1, v9
	v_cmp_eq_u32_e32 vcc_lo, 1, v6
	v_cndmask_b32_e64 v6, v8, 1, vcc_lo
	s_waitcnt lgkmcnt(0)
	v_cndmask_b32_e32 v2, v4, v2, vcc_lo
	v_cndmask_b32_e32 v1, v3, v1, vcc_lo
.LBB760_218:
	s_or_b32 exec_lo, exec_lo, s2
	v_and_b32_e32 v9, 0xff, v6
.LBB760_219:
	s_or_b32 exec_lo, exec_lo, s1
	s_mov_b32 s1, exec_lo
	v_cmpx_eq_u32_e32 0, v5
	s_cbranch_execz .LBB760_221
; %bb.220:
	s_waitcnt lgkmcnt(1)
	v_lshrrev_b32_e32 v3, 1, v0
	v_and_b32_e32 v3, 0x70, v3
	ds_write_b8 v3, v6 offset:512
	ds_write_b64 v3, v[1:2] offset:520
.LBB760_221:
	s_or_b32 exec_lo, exec_lo, s1
	s_mov_b32 s1, exec_lo
	s_waitcnt lgkmcnt(0)
	s_barrier
	buffer_gl0_inv
	v_cmpx_gt_u32_e32 8, v0
	s_cbranch_execz .LBB760_241
; %bb.222:
	v_lshlrev_b32_e32 v1, 4, v5
	v_and_b32_e32 v6, 7, v5
	s_add_i32 s0, s0, 31
	s_mov_b32 s2, exec_lo
	s_lshr_b32 s0, s0, 5
	ds_read_u8 v8, v1 offset:512
	ds_read_b64 v[1:2], v1 offset:520
	v_cmp_ne_u32_e32 vcc_lo, 7, v6
	v_add_nc_u32_e32 v11, 1, v6
	v_add_co_ci_u32_e64 v3, null, 0, v5, vcc_lo
	v_lshlrev_b32_e32 v4, 2, v3
	s_waitcnt lgkmcnt(1)
	v_and_b32_e32 v9, 0xff, v8
	s_waitcnt lgkmcnt(0)
	ds_bpermute_b32 v3, v4, v1
	ds_bpermute_b32 v10, v4, v9
	;; [unrolled: 1-line block ×3, first 2 shown]
	v_cmpx_gt_u32_e64 s0, v11
	s_cbranch_execz .LBB760_228
; %bb.223:
	s_waitcnt lgkmcnt(1)
	v_and_b32_e32 v9, v9, v10
	s_mov_b32 s3, exec_lo
	v_and_b32_e32 v9, 1, v9
	v_cmpx_eq_u32_e32 1, v9
	s_xor_b32 s3, exec_lo, s3
	s_cbranch_execz .LBB760_225
; %bb.224:
	s_waitcnt lgkmcnt(0)
	v_cmp_lt_i64_e32 vcc_lo, v[3:4], v[1:2]
                                        ; implicit-def: $vgpr8
                                        ; implicit-def: $vgpr10
	v_cndmask_b32_e32 v2, v2, v4, vcc_lo
	v_cndmask_b32_e32 v1, v1, v3, vcc_lo
                                        ; implicit-def: $vgpr3_vgpr4
.LBB760_225:
	s_or_saveexec_b32 s3, s3
	v_mov_b32_e32 v9, 1
	s_xor_b32 exec_lo, exec_lo, s3
	s_cbranch_execz .LBB760_227
; %bb.226:
	v_and_b32_e32 v8, 1, v8
	v_cmp_eq_u32_e32 vcc_lo, 1, v8
	v_and_b32_e32 v8, 0xff, v10
	s_waitcnt lgkmcnt(0)
	v_cndmask_b32_e32 v2, v4, v2, vcc_lo
	v_cndmask_b32_e32 v1, v3, v1, vcc_lo
	v_cndmask_b32_e64 v9, v8, 1, vcc_lo
.LBB760_227:
	s_or_b32 exec_lo, exec_lo, s3
.LBB760_228:
	s_or_b32 exec_lo, exec_lo, s2
	v_cmp_gt_u32_e32 vcc_lo, 6, v6
	v_add_nc_u32_e32 v8, 2, v6
	s_mov_b32 s2, exec_lo
	s_waitcnt lgkmcnt(2)
	v_cndmask_b32_e64 v3, 0, 2, vcc_lo
	s_waitcnt lgkmcnt(0)
	v_add_lshl_u32 v4, v3, v5, 2
	ds_bpermute_b32 v5, v4, v9
	ds_bpermute_b32 v3, v4, v1
	;; [unrolled: 1-line block ×3, first 2 shown]
	v_cmpx_gt_u32_e64 s0, v8
	s_cbranch_execz .LBB760_234
; %bb.229:
	s_waitcnt lgkmcnt(2)
	v_and_b32_e32 v8, v9, v5
	s_mov_b32 s3, exec_lo
	v_and_b32_e32 v8, 1, v8
	v_cmpx_eq_u32_e32 1, v8
	s_xor_b32 s3, exec_lo, s3
	s_cbranch_execz .LBB760_231
; %bb.230:
	s_waitcnt lgkmcnt(0)
	v_cmp_lt_i64_e32 vcc_lo, v[3:4], v[1:2]
                                        ; implicit-def: $vgpr9
                                        ; implicit-def: $vgpr5
	v_cndmask_b32_e32 v2, v2, v4, vcc_lo
	v_cndmask_b32_e32 v1, v1, v3, vcc_lo
                                        ; implicit-def: $vgpr3_vgpr4
.LBB760_231:
	s_or_saveexec_b32 s3, s3
	v_mov_b32_e32 v8, 1
	s_xor_b32 exec_lo, exec_lo, s3
	s_cbranch_execz .LBB760_233
; %bb.232:
	v_and_b32_e32 v8, 1, v9
	v_and_b32_e32 v5, 0xff, v5
	v_cmp_eq_u32_e32 vcc_lo, 1, v8
	s_waitcnt lgkmcnt(0)
	v_cndmask_b32_e32 v2, v4, v2, vcc_lo
	v_cndmask_b32_e32 v1, v3, v1, vcc_lo
	v_cndmask_b32_e64 v8, v5, 1, vcc_lo
.LBB760_233:
	s_or_b32 exec_lo, exec_lo, s3
	v_mov_b32_e32 v9, v8
.LBB760_234:
	s_or_b32 exec_lo, exec_lo, s2
	s_waitcnt lgkmcnt(0)
	v_or_b32_e32 v4, 16, v7
	v_add_nc_u32_e32 v6, 4, v6
	ds_bpermute_b32 v5, v4, v9
	ds_bpermute_b32 v3, v4, v1
	;; [unrolled: 1-line block ×3, first 2 shown]
	v_cmp_gt_u32_e32 vcc_lo, s0, v6
	s_and_saveexec_b32 s0, vcc_lo
	s_cbranch_execz .LBB760_240
; %bb.235:
	s_waitcnt lgkmcnt(2)
	v_and_b32_e32 v6, v9, v5
	s_mov_b32 s2, exec_lo
	v_and_b32_e32 v6, 1, v6
	v_cmpx_eq_u32_e32 1, v6
	s_xor_b32 s2, exec_lo, s2
	s_cbranch_execz .LBB760_237
; %bb.236:
	s_waitcnt lgkmcnt(0)
	v_cmp_lt_i64_e32 vcc_lo, v[3:4], v[1:2]
                                        ; implicit-def: $vgpr9
                                        ; implicit-def: $vgpr5
	v_cndmask_b32_e32 v2, v2, v4, vcc_lo
	v_cndmask_b32_e32 v1, v1, v3, vcc_lo
                                        ; implicit-def: $vgpr3_vgpr4
.LBB760_237:
	s_or_saveexec_b32 s2, s2
	v_mov_b32_e32 v6, 1
	s_xor_b32 exec_lo, exec_lo, s2
	s_cbranch_execz .LBB760_239
; %bb.238:
	v_and_b32_e32 v6, 1, v9
	v_cmp_eq_u32_e32 vcc_lo, 1, v6
	s_waitcnt lgkmcnt(0)
	v_cndmask_b32_e32 v2, v4, v2, vcc_lo
	v_cndmask_b32_e32 v1, v3, v1, vcc_lo
	v_cndmask_b32_e64 v6, v5, 1, vcc_lo
.LBB760_239:
	s_or_b32 exec_lo, exec_lo, s2
	v_mov_b32_e32 v9, v6
.LBB760_240:
	s_or_b32 exec_lo, exec_lo, s0
.LBB760_241:
	s_or_b32 exec_lo, exec_lo, s1
.LBB760_242:
                                        ; implicit-def: $vgpr3_vgpr4
                                        ; implicit-def: $vgpr5
	s_mov_b32 s0, exec_lo
	v_cmpx_eq_u32_e32 0, v0
	s_xor_b32 s2, exec_lo, s0
	s_cbranch_execz .LBB760_246
; %bb.243:
	s_waitcnt lgkmcnt(0)
	v_mov_b32_e32 v3, s20
	v_mov_b32_e32 v4, s21
	;; [unrolled: 1-line block ×3, first 2 shown]
	s_cmp_eq_u64 s[14:15], 0
	s_cbranch_scc1 .LBB760_245
; %bb.244:
	v_and_b32_e32 v3, 1, v9
	v_cmp_gt_i64_e32 vcc_lo, s[20:21], v[1:2]
	s_bitcmp1_b32 s24, 0
	s_cselect_b32 s1, -1, 0
	v_cmp_eq_u32_e64 s0, 1, v3
	v_cndmask_b32_e64 v5, v9, 1, s1
	s_and_b32 vcc_lo, s0, vcc_lo
	v_cndmask_b32_e32 v3, s20, v1, vcc_lo
	v_cndmask_b32_e32 v4, s21, v2, vcc_lo
	v_cndmask_b32_e64 v3, v1, v3, s1
	v_cndmask_b32_e64 v4, v2, v4, s1
.LBB760_245:
	s_or_b32 s10, s10, exec_lo
.LBB760_246:
	s_or_b32 exec_lo, exec_lo, s2
	v_mov_b32_e32 v1, s6
	v_mov_b32_e32 v2, s7
	s_branch .LBB760_368
.LBB760_247:
	s_cmp_gt_i32 s25, 1
	s_cbranch_scc0 .LBB760_271
; %bb.248:
	s_cmp_eq_u32 s25, 2
	s_cbranch_scc0 .LBB760_272
; %bb.249:
	s_lshl_b32 s23, s6, 9
	s_lshr_b64 s[0:1], s[14:15], 9
	s_add_u32 s2, s16, s23
	s_addc_u32 s3, s17, 0
	s_add_u32 s8, s18, s23
	s_addc_u32 s9, s19, 0
	s_mov_b32 s7, 0
	s_add_u32 s11, s12, s23
	s_addc_u32 s22, s13, 0
	s_cmp_lg_u64 s[0:1], s[6:7]
	s_cbranch_scc0 .LBB760_273
; %bb.250:
	s_clause 0x1
	global_load_ubyte v1, v0, s[2:3]
	global_load_ubyte v2, v0, s[8:9]
	s_waitcnt lgkmcnt(1)
	global_load_ubyte v3, v0, s[8:9] offset:256
	s_waitcnt lgkmcnt(0)
	global_load_ubyte v4, v0, s[2:3] offset:256
	v_add_co_u32 v5, s0, s11, v0
	v_add_co_ci_u32_e64 v6, null, s22, 0, s0
	v_add_co_u32 v7, vcc_lo, 0x100, v5
	v_add_co_ci_u32_e64 v8, null, 0, v6, vcc_lo
	s_waitcnt vmcnt(2)
	v_cmp_ne_u16_e32 vcc_lo, v1, v2
	s_waitcnt vmcnt(0)
	v_cmp_ne_u16_e64 s0, v4, v3
	v_cndmask_b32_e32 v2, v8, v6, vcc_lo
	v_cndmask_b32_e32 v1, v7, v5, vcc_lo
	s_or_b32 s0, vcc_lo, s0
	v_cndmask_b32_e64 v5, 0, 1, s0
	v_mov_b32_dpp v4, v2 quad_perm:[1,0,3,2] row_mask:0xf bank_mask:0xf
	v_mov_b32_dpp v3, v1 quad_perm:[1,0,3,2] row_mask:0xf bank_mask:0xf
	;; [unrolled: 1-line block ×3, first 2 shown]
	v_cmp_lt_i64_e32 vcc_lo, v[1:2], v[3:4]
	v_and_b32_e32 v6, 1, v6
	s_and_b32 vcc_lo, s0, vcc_lo
	v_cndmask_b32_e32 v3, v3, v1, vcc_lo
	v_cndmask_b32_e32 v4, v4, v2, vcc_lo
	v_cmp_eq_u32_e32 vcc_lo, 1, v6
	v_cndmask_b32_e64 v5, v5, 1, vcc_lo
	v_cndmask_b32_e32 v2, v2, v4, vcc_lo
	v_cndmask_b32_e32 v1, v1, v3, vcc_lo
	v_mov_b32_dpp v4, v5 quad_perm:[2,3,0,1] row_mask:0xf bank_mask:0xf
	v_and_b32_e32 v8, 1, v5
	v_mov_b32_dpp v3, v1 quad_perm:[2,3,0,1] row_mask:0xf bank_mask:0xf
	v_and_b32_e32 v6, 1, v4
	v_mov_b32_dpp v4, v2 quad_perm:[2,3,0,1] row_mask:0xf bank_mask:0xf
	v_cmp_eq_u32_e64 s1, 1, v8
	v_cmp_eq_u32_e32 vcc_lo, 1, v6
	v_cmp_lt_i64_e64 s0, v[1:2], v[3:4]
	v_cndmask_b32_e64 v7, v5, 1, vcc_lo
	s_and_b32 s0, s1, s0
	v_cndmask_b32_e64 v3, v3, v1, s0
	v_mov_b32_dpp v8, v7 row_ror:4 row_mask:0xf bank_mask:0xf
	v_cndmask_b32_e64 v4, v4, v2, s0
	v_cndmask_b32_e32 v3, v1, v3, vcc_lo
	v_and_b32_e32 v5, v8, v7
	v_cndmask_b32_e32 v4, v2, v4, vcc_lo
	v_and_b32_e32 v1, 1, v5
	v_mov_b32_dpp v5, v3 row_ror:4 row_mask:0xf bank_mask:0xf
	v_mov_b32_dpp v6, v4 row_ror:4 row_mask:0xf bank_mask:0xf
	v_cmp_eq_u32_e32 vcc_lo, 1, v1
                                        ; implicit-def: $vgpr1_vgpr2
	s_and_saveexec_b32 s0, vcc_lo
	s_xor_b32 s0, exec_lo, s0
; %bb.251:
	v_cmp_lt_i64_e32 vcc_lo, v[3:4], v[5:6]
                                        ; implicit-def: $vgpr8
                                        ; implicit-def: $vgpr7
	v_cndmask_b32_e32 v2, v6, v4, vcc_lo
	v_cndmask_b32_e32 v1, v5, v3, vcc_lo
                                        ; implicit-def: $vgpr3_vgpr4
                                        ; implicit-def: $vgpr5_vgpr6
; %bb.252:
	s_or_saveexec_b32 s0, s0
	v_mov_b32_e32 v9, 1
	s_xor_b32 exec_lo, exec_lo, s0
; %bb.253:
	v_and_b32_e32 v1, 1, v8
	v_cmp_eq_u32_e32 vcc_lo, 1, v1
	v_cndmask_b32_e32 v2, v4, v6, vcc_lo
	v_cndmask_b32_e32 v1, v3, v5, vcc_lo
	v_cndmask_b32_e64 v9, v7, 1, vcc_lo
; %bb.254:
	s_or_b32 exec_lo, exec_lo, s0
	v_mov_b32_dpp v3, v1 row_ror:8 row_mask:0xf bank_mask:0xf
	v_mov_b32_dpp v4, v2 row_ror:8 row_mask:0xf bank_mask:0xf
	v_and_b32_e32 v6, 1, v9
	v_mov_b32_dpp v5, v9 row_ror:8 row_mask:0xf bank_mask:0xf
	v_mbcnt_lo_u32_b32 v8, -1, 0
	v_cmp_lt_i64_e32 vcc_lo, v[1:2], v[3:4]
	v_cmp_eq_u32_e64 s0, 1, v6
	v_and_b32_e32 v5, 1, v5
	s_and_b32 vcc_lo, s0, vcc_lo
	v_cmp_eq_u32_e64 s1, 1, v5
	v_cndmask_b32_e32 v3, v3, v1, vcc_lo
	v_cndmask_b32_e32 v4, v4, v2, vcc_lo
	v_cndmask_b32_e64 v5, v9, 1, s1
	v_cndmask_b32_e64 v1, v1, v3, s1
	;; [unrolled: 1-line block ×3, first 2 shown]
	ds_swizzle_b32 v6, v5 offset:swizzle(BROADCAST,32,15)
	ds_swizzle_b32 v3, v1 offset:swizzle(BROADCAST,32,15)
	;; [unrolled: 1-line block ×3, first 2 shown]
	v_and_b32_e32 v7, 1, v5
	v_cmp_eq_u32_e64 s0, 1, v7
	s_waitcnt lgkmcnt(2)
	v_and_b32_e32 v6, 1, v6
	s_waitcnt lgkmcnt(0)
	v_cmp_lt_i64_e32 vcc_lo, v[1:2], v[3:4]
	v_cmp_eq_u32_e64 s1, 1, v6
	v_mov_b32_e32 v6, 0
	s_and_b32 vcc_lo, s0, vcc_lo
	s_mov_b32 s0, exec_lo
	v_cndmask_b32_e32 v3, v3, v1, vcc_lo
	v_cndmask_b32_e32 v4, v4, v2, vcc_lo
	v_cndmask_b32_e64 v5, v5, 1, s1
	v_cndmask_b32_e64 v1, v1, v3, s1
	;; [unrolled: 1-line block ×3, first 2 shown]
	ds_bpermute_b32 v7, v6, v5 offset:124
	ds_bpermute_b32 v1, v6, v1 offset:124
	;; [unrolled: 1-line block ×3, first 2 shown]
	v_cmpx_eq_u32_e32 0, v8
	s_cbranch_execz .LBB760_256
; %bb.255:
	v_lshrrev_b32_e32 v3, 1, v0
	v_and_b32_e32 v3, 0x70, v3
	s_waitcnt lgkmcnt(2)
	ds_write_b8 v3, v7 offset:128
	s_waitcnt lgkmcnt(1)
	ds_write_b64 v3, v[1:2] offset:136
.LBB760_256:
	s_or_b32 exec_lo, exec_lo, s0
	s_mov_b32 s0, exec_lo
	s_waitcnt lgkmcnt(0)
	s_barrier
	buffer_gl0_inv
	v_cmpx_gt_u32_e32 32, v0
	s_cbranch_execz .LBB760_270
; %bb.257:
	v_and_b32_e32 v7, 7, v8
	v_lshlrev_b32_e32 v1, 4, v7
	v_cmp_ne_u32_e32 vcc_lo, 7, v7
	ds_read_u8 v10, v1 offset:128
	ds_read_b64 v[3:4], v1 offset:136
	v_add_co_ci_u32_e64 v2, null, 0, v8, vcc_lo
	v_lshlrev_b32_e32 v2, 2, v2
	s_waitcnt lgkmcnt(1)
	v_and_b32_e32 v1, 0xff, v10
	s_waitcnt lgkmcnt(0)
	ds_bpermute_b32 v5, v2, v3
	ds_bpermute_b32 v6, v2, v4
	;; [unrolled: 1-line block ×3, first 2 shown]
	s_waitcnt lgkmcnt(0)
	v_and_b32_e32 v1, v10, v11
	v_and_b32_e32 v1, 1, v1
	v_cmp_eq_u32_e32 vcc_lo, 1, v1
                                        ; implicit-def: $vgpr1_vgpr2
	s_and_saveexec_b32 s1, vcc_lo
	s_xor_b32 s1, exec_lo, s1
; %bb.258:
	v_cmp_lt_i64_e32 vcc_lo, v[5:6], v[3:4]
                                        ; implicit-def: $vgpr10
                                        ; implicit-def: $vgpr11
	v_cndmask_b32_e32 v2, v4, v6, vcc_lo
	v_cndmask_b32_e32 v1, v3, v5, vcc_lo
                                        ; implicit-def: $vgpr5_vgpr6
                                        ; implicit-def: $vgpr3_vgpr4
; %bb.259:
	s_or_saveexec_b32 s1, s1
	v_mov_b32_e32 v9, 1
	s_xor_b32 exec_lo, exec_lo, s1
; %bb.260:
	v_and_b32_e32 v1, 1, v10
	v_and_b32_e32 v9, 0xff, v11
	v_cmp_eq_u32_e32 vcc_lo, 1, v1
	v_cndmask_b32_e32 v2, v6, v4, vcc_lo
	v_cndmask_b32_e32 v1, v5, v3, vcc_lo
	v_cndmask_b32_e64 v9, v9, 1, vcc_lo
; %bb.261:
	s_or_b32 exec_lo, exec_lo, s1
	v_cmp_gt_u32_e32 vcc_lo, 6, v7
	v_cndmask_b32_e64 v3, 0, 2, vcc_lo
	v_add_lshl_u32 v3, v3, v8, 2
	ds_bpermute_b32 v7, v3, v9
	ds_bpermute_b32 v5, v3, v1
	;; [unrolled: 1-line block ×3, first 2 shown]
	s_waitcnt lgkmcnt(2)
	v_and_b32_e32 v3, v9, v7
	v_and_b32_e32 v3, 1, v3
	v_cmp_eq_u32_e32 vcc_lo, 1, v3
                                        ; implicit-def: $vgpr3_vgpr4
	s_and_saveexec_b32 s1, vcc_lo
	s_xor_b32 s1, exec_lo, s1
	s_cbranch_execz .LBB760_263
; %bb.262:
	s_waitcnt lgkmcnt(0)
	v_cmp_lt_i64_e32 vcc_lo, v[5:6], v[1:2]
                                        ; implicit-def: $vgpr9
                                        ; implicit-def: $vgpr7
	v_cndmask_b32_e32 v4, v2, v6, vcc_lo
	v_cndmask_b32_e32 v3, v1, v5, vcc_lo
                                        ; implicit-def: $vgpr5_vgpr6
                                        ; implicit-def: $vgpr1_vgpr2
.LBB760_263:
	s_or_saveexec_b32 s1, s1
	v_lshlrev_b32_e32 v10, 2, v8
	v_mov_b32_e32 v8, 1
	s_xor_b32 exec_lo, exec_lo, s1
	s_cbranch_execz .LBB760_265
; %bb.264:
	v_and_b32_e32 v3, 1, v9
	v_and_b32_e32 v7, 0xff, v7
	v_cmp_eq_u32_e32 vcc_lo, 1, v3
	s_waitcnt lgkmcnt(0)
	v_cndmask_b32_e32 v4, v6, v2, vcc_lo
	v_cndmask_b32_e32 v3, v5, v1, vcc_lo
	v_cndmask_b32_e64 v8, v7, 1, vcc_lo
.LBB760_265:
	s_or_b32 exec_lo, exec_lo, s1
	v_or_b32_e32 v1, 16, v10
	ds_bpermute_b32 v9, v1, v8
	s_waitcnt lgkmcnt(2)
	ds_bpermute_b32 v5, v1, v3
	s_waitcnt lgkmcnt(2)
	;; [unrolled: 2-line block ×3, first 2 shown]
	v_and_b32_e32 v1, v8, v9
	v_and_b32_e32 v1, 1, v1
	v_cmp_eq_u32_e32 vcc_lo, 1, v1
                                        ; implicit-def: $vgpr1_vgpr2
	s_and_saveexec_b32 s1, vcc_lo
	s_xor_b32 s1, exec_lo, s1
	s_cbranch_execz .LBB760_267
; %bb.266:
	s_waitcnt lgkmcnt(0)
	v_cmp_lt_i64_e32 vcc_lo, v[5:6], v[3:4]
                                        ; implicit-def: $vgpr8
                                        ; implicit-def: $vgpr9
	v_cndmask_b32_e32 v2, v4, v6, vcc_lo
	v_cndmask_b32_e32 v1, v3, v5, vcc_lo
                                        ; implicit-def: $vgpr5_vgpr6
                                        ; implicit-def: $vgpr3_vgpr4
.LBB760_267:
	s_or_saveexec_b32 s1, s1
	v_mov_b32_e32 v7, 1
	s_xor_b32 exec_lo, exec_lo, s1
	s_cbranch_execz .LBB760_269
; %bb.268:
	v_and_b32_e32 v1, 1, v8
	v_cmp_eq_u32_e32 vcc_lo, 1, v1
	s_waitcnt lgkmcnt(0)
	v_cndmask_b32_e32 v2, v6, v4, vcc_lo
	v_cndmask_b32_e32 v1, v5, v3, vcc_lo
	v_cndmask_b32_e64 v7, v9, 1, vcc_lo
.LBB760_269:
	s_or_b32 exec_lo, exec_lo, s1
.LBB760_270:
	s_or_b32 exec_lo, exec_lo, s0
	s_branch .LBB760_331
.LBB760_271:
                                        ; implicit-def: $vgpr3_vgpr4
                                        ; implicit-def: $vgpr5
                                        ; implicit-def: $vgpr1_vgpr2
	s_cbranch_execnz .LBB760_336
	s_branch .LBB760_368
.LBB760_272:
                                        ; implicit-def: $vgpr3_vgpr4
                                        ; implicit-def: $vgpr5
                                        ; implicit-def: $vgpr1_vgpr2
	s_branch .LBB760_368
.LBB760_273:
                                        ; implicit-def: $vgpr1_vgpr2
                                        ; implicit-def: $vgpr7
	s_cbranch_execz .LBB760_331
; %bb.274:
	s_waitcnt lgkmcnt(0)
	v_mov_b32_e32 v3, 0
	v_mov_b32_e32 v1, 0
	;; [unrolled: 1-line block ×6, first 2 shown]
	s_sub_i32 s23, s14, s23
	s_mov_b32 s0, exec_lo
	v_cmpx_gt_u32_e64 s23, v0
	s_cbranch_execz .LBB760_276
; %bb.275:
	s_clause 0x1
	global_load_ubyte v6, v0, s[2:3]
	global_load_ubyte v7, v0, s[8:9]
	v_add_co_u32 v1, s1, s11, v0
	v_add_co_ci_u32_e64 v2, null, s22, 0, s1
	s_waitcnt vmcnt(0)
	v_cmp_ne_u16_e32 vcc_lo, v6, v7
	v_cndmask_b32_e64 v6, 0, 1, vcc_lo
.LBB760_276:
	s_or_b32 exec_lo, exec_lo, s0
	v_or_b32_e32 v7, 0x100, v0
	v_cmp_gt_u32_e32 vcc_lo, s23, v7
	s_and_saveexec_b32 s1, vcc_lo
	s_cbranch_execz .LBB760_278
; %bb.277:
	s_clause 0x1
	global_load_ubyte v5, v0, s[2:3] offset:256
	global_load_ubyte v8, v0, s[8:9] offset:256
	v_add_co_u32 v3, s0, s11, v7
	v_add_co_ci_u32_e64 v4, null, s22, 0, s0
	s_waitcnt vmcnt(0)
	v_cmp_ne_u16_e64 s0, v5, v8
	v_cndmask_b32_e64 v5, 0, 1, s0
.LBB760_278:
	s_or_b32 exec_lo, exec_lo, s1
	v_and_b32_e32 v7, 1, v5
	v_cmp_lt_i64_e64 s0, v[3:4], v[1:2]
	v_and_b32_e32 v8, 0xffff, v5
	v_mbcnt_lo_u32_b32 v5, -1, 0
	v_cmp_eq_u32_e64 s1, 1, v7
	v_and_b32_e32 v7, 0xffff, v6
	v_and_b32_e32 v6, 1, v6
	s_and_b32 s0, s1, s0
	v_cmp_ne_u32_e64 s1, 31, v5
	v_cndmask_b32_e64 v9, v2, v4, s0
	v_cndmask_b32_e64 v10, v1, v3, s0
	v_cmp_eq_u32_e64 s0, 1, v6
	v_cndmask_b32_e64 v6, v8, 1, s0
	v_add_co_ci_u32_e64 v8, null, 0, v5, s1
	v_cndmask_b32_e64 v3, v3, v10, s0
	v_cndmask_b32_e64 v4, v4, v9, s0
	v_cndmask_b32_e32 v7, v7, v6, vcc_lo
	v_lshlrev_b32_e32 v6, 2, v8
	s_min_u32 s0, s23, 0x100
	v_cndmask_b32_e32 v1, v1, v3, vcc_lo
	v_cndmask_b32_e32 v2, v2, v4, vcc_lo
	v_add_nc_u32_e32 v9, 1, v5
	ds_bpermute_b32 v8, v6, v7
	s_mov_b32 s1, exec_lo
	ds_bpermute_b32 v3, v6, v1
	ds_bpermute_b32 v4, v6, v2
	v_and_b32_e32 v6, 0xe0, v0
	v_sub_nc_u32_e64 v6, s0, v6 clamp
	v_cmpx_lt_u32_e64 v9, v6
	s_cbranch_execz .LBB760_284
; %bb.279:
	s_waitcnt lgkmcnt(2)
	v_and_b32_e32 v9, v7, v8
	s_mov_b32 s2, exec_lo
	v_cmpx_ne_u32_e32 0, v9
	s_xor_b32 s2, exec_lo, s2
	s_cbranch_execz .LBB760_281
; %bb.280:
	s_waitcnt lgkmcnt(0)
	v_cmp_lt_i64_e32 vcc_lo, v[3:4], v[1:2]
                                        ; implicit-def: $vgpr7
                                        ; implicit-def: $vgpr8
	v_cndmask_b32_e32 v2, v2, v4, vcc_lo
	v_cndmask_b32_e32 v1, v1, v3, vcc_lo
                                        ; implicit-def: $vgpr3_vgpr4
.LBB760_281:
	s_or_saveexec_b32 s2, s2
	v_mov_b32_e32 v9, 1
	s_xor_b32 exec_lo, exec_lo, s2
	s_cbranch_execz .LBB760_283
; %bb.282:
	v_and_b32_e32 v7, 1, v7
	v_cmp_eq_u32_e32 vcc_lo, 1, v7
	v_and_b32_e32 v7, 0xff, v8
	s_waitcnt lgkmcnt(0)
	v_cndmask_b32_e32 v2, v4, v2, vcc_lo
	v_cndmask_b32_e32 v1, v3, v1, vcc_lo
	v_cndmask_b32_e64 v9, v7, 1, vcc_lo
.LBB760_283:
	s_or_b32 exec_lo, exec_lo, s2
	v_mov_b32_e32 v7, v9
.LBB760_284:
	s_or_b32 exec_lo, exec_lo, s1
	v_cmp_gt_u32_e32 vcc_lo, 30, v5
	v_add_nc_u32_e32 v9, 2, v5
	s_mov_b32 s1, exec_lo
	s_waitcnt lgkmcnt(1)
	v_cndmask_b32_e64 v3, 0, 2, vcc_lo
	s_waitcnt lgkmcnt(0)
	v_add_lshl_u32 v4, v3, v5, 2
	ds_bpermute_b32 v8, v4, v7
	ds_bpermute_b32 v3, v4, v1
	ds_bpermute_b32 v4, v4, v2
	v_cmpx_lt_u32_e64 v9, v6
	s_cbranch_execz .LBB760_290
; %bb.285:
	s_waitcnt lgkmcnt(2)
	v_and_b32_e32 v9, v7, v8
	s_mov_b32 s2, exec_lo
	v_and_b32_e32 v9, 1, v9
	v_cmpx_eq_u32_e32 1, v9
	s_xor_b32 s2, exec_lo, s2
	s_cbranch_execz .LBB760_287
; %bb.286:
	s_waitcnt lgkmcnt(0)
	v_cmp_lt_i64_e32 vcc_lo, v[3:4], v[1:2]
                                        ; implicit-def: $vgpr7
                                        ; implicit-def: $vgpr8
	v_cndmask_b32_e32 v2, v2, v4, vcc_lo
	v_cndmask_b32_e32 v1, v1, v3, vcc_lo
                                        ; implicit-def: $vgpr3_vgpr4
.LBB760_287:
	s_or_saveexec_b32 s2, s2
	v_mov_b32_e32 v9, 1
	s_xor_b32 exec_lo, exec_lo, s2
	s_cbranch_execz .LBB760_289
; %bb.288:
	v_and_b32_e32 v7, 1, v7
	v_cmp_eq_u32_e32 vcc_lo, 1, v7
	v_and_b32_e32 v7, 0xff, v8
	s_waitcnt lgkmcnt(0)
	v_cndmask_b32_e32 v2, v4, v2, vcc_lo
	v_cndmask_b32_e32 v1, v3, v1, vcc_lo
	v_cndmask_b32_e64 v9, v7, 1, vcc_lo
.LBB760_289:
	s_or_b32 exec_lo, exec_lo, s2
	v_mov_b32_e32 v7, v9
.LBB760_290:
	s_or_b32 exec_lo, exec_lo, s1
	v_cmp_gt_u32_e32 vcc_lo, 28, v5
	v_add_nc_u32_e32 v9, 4, v5
	s_mov_b32 s1, exec_lo
	s_waitcnt lgkmcnt(1)
	v_cndmask_b32_e64 v3, 0, 4, vcc_lo
	s_waitcnt lgkmcnt(0)
	v_add_lshl_u32 v4, v3, v5, 2
	ds_bpermute_b32 v8, v4, v7
	ds_bpermute_b32 v3, v4, v1
	ds_bpermute_b32 v4, v4, v2
	v_cmpx_lt_u32_e64 v9, v6
	s_cbranch_execz .LBB760_296
; %bb.291:
	s_waitcnt lgkmcnt(2)
	v_and_b32_e32 v9, v7, v8
	s_mov_b32 s2, exec_lo
	v_and_b32_e32 v9, 1, v9
	v_cmpx_eq_u32_e32 1, v9
	s_xor_b32 s2, exec_lo, s2
	s_cbranch_execz .LBB760_293
; %bb.292:
	s_waitcnt lgkmcnt(0)
	v_cmp_lt_i64_e32 vcc_lo, v[3:4], v[1:2]
                                        ; implicit-def: $vgpr7
                                        ; implicit-def: $vgpr8
	v_cndmask_b32_e32 v2, v2, v4, vcc_lo
	v_cndmask_b32_e32 v1, v1, v3, vcc_lo
                                        ; implicit-def: $vgpr3_vgpr4
.LBB760_293:
	s_or_saveexec_b32 s2, s2
	v_mov_b32_e32 v9, 1
	s_xor_b32 exec_lo, exec_lo, s2
	s_cbranch_execz .LBB760_295
; %bb.294:
	v_and_b32_e32 v7, 1, v7
	v_cmp_eq_u32_e32 vcc_lo, 1, v7
	v_and_b32_e32 v7, 0xff, v8
	s_waitcnt lgkmcnt(0)
	v_cndmask_b32_e32 v2, v4, v2, vcc_lo
	v_cndmask_b32_e32 v1, v3, v1, vcc_lo
	v_cndmask_b32_e64 v9, v7, 1, vcc_lo
.LBB760_295:
	s_or_b32 exec_lo, exec_lo, s2
	v_mov_b32_e32 v7, v9
.LBB760_296:
	s_or_b32 exec_lo, exec_lo, s1
	v_cmp_gt_u32_e32 vcc_lo, 24, v5
	v_add_nc_u32_e32 v9, 8, v5
	s_mov_b32 s1, exec_lo
	s_waitcnt lgkmcnt(1)
	v_cndmask_b32_e64 v3, 0, 8, vcc_lo
	s_waitcnt lgkmcnt(0)
	v_add_lshl_u32 v4, v3, v5, 2
	ds_bpermute_b32 v8, v4, v7
	ds_bpermute_b32 v3, v4, v1
	ds_bpermute_b32 v4, v4, v2
	v_cmpx_lt_u32_e64 v9, v6
	s_cbranch_execz .LBB760_302
; %bb.297:
	s_waitcnt lgkmcnt(2)
	v_and_b32_e32 v9, v7, v8
	s_mov_b32 s2, exec_lo
	v_and_b32_e32 v9, 1, v9
	v_cmpx_eq_u32_e32 1, v9
	s_xor_b32 s2, exec_lo, s2
	s_cbranch_execz .LBB760_299
; %bb.298:
	s_waitcnt lgkmcnt(0)
	v_cmp_lt_i64_e32 vcc_lo, v[3:4], v[1:2]
                                        ; implicit-def: $vgpr7
                                        ; implicit-def: $vgpr8
	v_cndmask_b32_e32 v2, v2, v4, vcc_lo
	v_cndmask_b32_e32 v1, v1, v3, vcc_lo
                                        ; implicit-def: $vgpr3_vgpr4
.LBB760_299:
	s_or_saveexec_b32 s2, s2
	v_mov_b32_e32 v9, 1
	s_xor_b32 exec_lo, exec_lo, s2
	s_cbranch_execz .LBB760_301
; %bb.300:
	v_and_b32_e32 v7, 1, v7
	v_cmp_eq_u32_e32 vcc_lo, 1, v7
	v_and_b32_e32 v7, 0xff, v8
	s_waitcnt lgkmcnt(0)
	v_cndmask_b32_e32 v2, v4, v2, vcc_lo
	v_cndmask_b32_e32 v1, v3, v1, vcc_lo
	v_cndmask_b32_e64 v9, v7, 1, vcc_lo
.LBB760_301:
	s_or_b32 exec_lo, exec_lo, s2
	v_mov_b32_e32 v7, v9
.LBB760_302:
	s_or_b32 exec_lo, exec_lo, s1
	s_waitcnt lgkmcnt(2)
	v_lshlrev_b32_e32 v8, 2, v5
	v_add_nc_u32_e32 v10, 16, v5
	s_waitcnt lgkmcnt(0)
	v_or_b32_e32 v4, 64, v8
	v_cmp_lt_u32_e32 vcc_lo, v10, v6
	v_mov_b32_e32 v6, v7
	ds_bpermute_b32 v9, v4, v7
	ds_bpermute_b32 v3, v4, v1
	;; [unrolled: 1-line block ×3, first 2 shown]
	s_and_saveexec_b32 s1, vcc_lo
	s_cbranch_execz .LBB760_308
; %bb.303:
	s_waitcnt lgkmcnt(2)
	v_and_b32_e32 v6, v7, v9
	s_mov_b32 s2, exec_lo
	v_and_b32_e32 v6, 1, v6
	v_cmpx_eq_u32_e32 1, v6
	s_xor_b32 s2, exec_lo, s2
	s_cbranch_execz .LBB760_305
; %bb.304:
	s_waitcnt lgkmcnt(0)
	v_cmp_lt_i64_e32 vcc_lo, v[3:4], v[1:2]
                                        ; implicit-def: $vgpr7
                                        ; implicit-def: $vgpr9
	v_cndmask_b32_e32 v2, v2, v4, vcc_lo
	v_cndmask_b32_e32 v1, v1, v3, vcc_lo
                                        ; implicit-def: $vgpr3_vgpr4
.LBB760_305:
	s_or_saveexec_b32 s2, s2
	v_mov_b32_e32 v6, 1
	s_xor_b32 exec_lo, exec_lo, s2
	s_cbranch_execz .LBB760_307
; %bb.306:
	v_and_b32_e32 v6, 1, v7
	v_cmp_eq_u32_e32 vcc_lo, 1, v6
	v_cndmask_b32_e64 v6, v9, 1, vcc_lo
	s_waitcnt lgkmcnt(0)
	v_cndmask_b32_e32 v2, v4, v2, vcc_lo
	v_cndmask_b32_e32 v1, v3, v1, vcc_lo
.LBB760_307:
	s_or_b32 exec_lo, exec_lo, s2
	v_and_b32_e32 v7, 0xff, v6
.LBB760_308:
	s_or_b32 exec_lo, exec_lo, s1
	s_mov_b32 s1, exec_lo
	v_cmpx_eq_u32_e32 0, v5
	s_cbranch_execz .LBB760_310
; %bb.309:
	s_waitcnt lgkmcnt(1)
	v_lshrrev_b32_e32 v3, 1, v0
	v_and_b32_e32 v3, 0x70, v3
	ds_write_b8 v3, v6 offset:512
	ds_write_b64 v3, v[1:2] offset:520
.LBB760_310:
	s_or_b32 exec_lo, exec_lo, s1
	s_mov_b32 s1, exec_lo
	s_waitcnt lgkmcnt(0)
	s_barrier
	buffer_gl0_inv
	v_cmpx_gt_u32_e32 8, v0
	s_cbranch_execz .LBB760_330
; %bb.311:
	v_lshlrev_b32_e32 v1, 4, v5
	v_and_b32_e32 v6, 7, v5
	s_add_i32 s0, s0, 31
	s_mov_b32 s2, exec_lo
	s_lshr_b32 s0, s0, 5
	ds_read_u8 v9, v1 offset:512
	ds_read_b64 v[1:2], v1 offset:520
	v_cmp_ne_u32_e32 vcc_lo, 7, v6
	v_add_nc_u32_e32 v11, 1, v6
	v_add_co_ci_u32_e64 v3, null, 0, v5, vcc_lo
	v_lshlrev_b32_e32 v4, 2, v3
	s_waitcnt lgkmcnt(1)
	v_and_b32_e32 v7, 0xff, v9
	s_waitcnt lgkmcnt(0)
	ds_bpermute_b32 v3, v4, v1
	ds_bpermute_b32 v10, v4, v7
	;; [unrolled: 1-line block ×3, first 2 shown]
	v_cmpx_gt_u32_e64 s0, v11
	s_cbranch_execz .LBB760_317
; %bb.312:
	s_waitcnt lgkmcnt(1)
	v_and_b32_e32 v7, v7, v10
	s_mov_b32 s3, exec_lo
	v_and_b32_e32 v7, 1, v7
	v_cmpx_eq_u32_e32 1, v7
	s_xor_b32 s3, exec_lo, s3
	s_cbranch_execz .LBB760_314
; %bb.313:
	s_waitcnt lgkmcnt(0)
	v_cmp_lt_i64_e32 vcc_lo, v[3:4], v[1:2]
                                        ; implicit-def: $vgpr9
                                        ; implicit-def: $vgpr10
	v_cndmask_b32_e32 v2, v2, v4, vcc_lo
	v_cndmask_b32_e32 v1, v1, v3, vcc_lo
                                        ; implicit-def: $vgpr3_vgpr4
.LBB760_314:
	s_or_saveexec_b32 s3, s3
	v_mov_b32_e32 v7, 1
	s_xor_b32 exec_lo, exec_lo, s3
	s_cbranch_execz .LBB760_316
; %bb.315:
	v_and_b32_e32 v7, 1, v9
	v_cmp_eq_u32_e32 vcc_lo, 1, v7
	v_and_b32_e32 v7, 0xff, v10
	s_waitcnt lgkmcnt(0)
	v_cndmask_b32_e32 v2, v4, v2, vcc_lo
	v_cndmask_b32_e32 v1, v3, v1, vcc_lo
	v_cndmask_b32_e64 v7, v7, 1, vcc_lo
.LBB760_316:
	s_or_b32 exec_lo, exec_lo, s3
.LBB760_317:
	s_or_b32 exec_lo, exec_lo, s2
	v_cmp_gt_u32_e32 vcc_lo, 6, v6
	v_add_nc_u32_e32 v9, 2, v6
	s_mov_b32 s2, exec_lo
	s_waitcnt lgkmcnt(2)
	v_cndmask_b32_e64 v3, 0, 2, vcc_lo
	s_waitcnt lgkmcnt(0)
	v_add_lshl_u32 v4, v3, v5, 2
	ds_bpermute_b32 v5, v4, v7
	ds_bpermute_b32 v3, v4, v1
	ds_bpermute_b32 v4, v4, v2
	v_cmpx_gt_u32_e64 s0, v9
	s_cbranch_execz .LBB760_323
; %bb.318:
	s_waitcnt lgkmcnt(2)
	v_and_b32_e32 v9, v7, v5
	s_mov_b32 s3, exec_lo
	v_and_b32_e32 v9, 1, v9
	v_cmpx_eq_u32_e32 1, v9
	s_xor_b32 s3, exec_lo, s3
	s_cbranch_execz .LBB760_320
; %bb.319:
	s_waitcnt lgkmcnt(0)
	v_cmp_lt_i64_e32 vcc_lo, v[3:4], v[1:2]
                                        ; implicit-def: $vgpr7
                                        ; implicit-def: $vgpr5
	v_cndmask_b32_e32 v2, v2, v4, vcc_lo
	v_cndmask_b32_e32 v1, v1, v3, vcc_lo
                                        ; implicit-def: $vgpr3_vgpr4
.LBB760_320:
	s_or_saveexec_b32 s3, s3
	v_mov_b32_e32 v9, 1
	s_xor_b32 exec_lo, exec_lo, s3
	s_cbranch_execz .LBB760_322
; %bb.321:
	v_and_b32_e32 v7, 1, v7
	v_and_b32_e32 v5, 0xff, v5
	v_cmp_eq_u32_e32 vcc_lo, 1, v7
	s_waitcnt lgkmcnt(0)
	v_cndmask_b32_e32 v2, v4, v2, vcc_lo
	v_cndmask_b32_e32 v1, v3, v1, vcc_lo
	v_cndmask_b32_e64 v9, v5, 1, vcc_lo
.LBB760_322:
	s_or_b32 exec_lo, exec_lo, s3
	v_mov_b32_e32 v7, v9
.LBB760_323:
	s_or_b32 exec_lo, exec_lo, s2
	s_waitcnt lgkmcnt(0)
	v_or_b32_e32 v4, 16, v8
	v_add_nc_u32_e32 v6, 4, v6
	ds_bpermute_b32 v5, v4, v7
	ds_bpermute_b32 v3, v4, v1
	ds_bpermute_b32 v4, v4, v2
	v_cmp_gt_u32_e32 vcc_lo, s0, v6
	s_and_saveexec_b32 s0, vcc_lo
	s_cbranch_execz .LBB760_329
; %bb.324:
	s_waitcnt lgkmcnt(2)
	v_and_b32_e32 v6, v7, v5
	s_mov_b32 s2, exec_lo
	v_and_b32_e32 v6, 1, v6
	v_cmpx_eq_u32_e32 1, v6
	s_xor_b32 s2, exec_lo, s2
	s_cbranch_execz .LBB760_326
; %bb.325:
	s_waitcnt lgkmcnt(0)
	v_cmp_lt_i64_e32 vcc_lo, v[3:4], v[1:2]
                                        ; implicit-def: $vgpr7
                                        ; implicit-def: $vgpr5
	v_cndmask_b32_e32 v2, v2, v4, vcc_lo
	v_cndmask_b32_e32 v1, v1, v3, vcc_lo
                                        ; implicit-def: $vgpr3_vgpr4
.LBB760_326:
	s_or_saveexec_b32 s2, s2
	v_mov_b32_e32 v6, 1
	s_xor_b32 exec_lo, exec_lo, s2
	s_cbranch_execz .LBB760_328
; %bb.327:
	v_and_b32_e32 v6, 1, v7
	v_cmp_eq_u32_e32 vcc_lo, 1, v6
	s_waitcnt lgkmcnt(0)
	v_cndmask_b32_e32 v2, v4, v2, vcc_lo
	v_cndmask_b32_e32 v1, v3, v1, vcc_lo
	v_cndmask_b32_e64 v6, v5, 1, vcc_lo
.LBB760_328:
	s_or_b32 exec_lo, exec_lo, s2
	v_mov_b32_e32 v7, v6
.LBB760_329:
	s_or_b32 exec_lo, exec_lo, s0
.LBB760_330:
	s_or_b32 exec_lo, exec_lo, s1
.LBB760_331:
                                        ; implicit-def: $vgpr3_vgpr4
                                        ; implicit-def: $vgpr5
	s_mov_b32 s0, exec_lo
	v_cmpx_eq_u32_e32 0, v0
	s_xor_b32 s2, exec_lo, s0
	s_cbranch_execz .LBB760_335
; %bb.332:
	s_waitcnt lgkmcnt(0)
	v_mov_b32_e32 v3, s20
	v_mov_b32_e32 v4, s21
	v_mov_b32_e32 v5, s24
	s_cmp_eq_u64 s[14:15], 0
	s_cbranch_scc1 .LBB760_334
; %bb.333:
	v_and_b32_e32 v3, 1, v7
	v_cmp_gt_i64_e32 vcc_lo, s[20:21], v[1:2]
	s_bitcmp1_b32 s24, 0
	s_cselect_b32 s1, -1, 0
	v_cmp_eq_u32_e64 s0, 1, v3
	v_cndmask_b32_e64 v5, v7, 1, s1
	s_and_b32 vcc_lo, s0, vcc_lo
	v_cndmask_b32_e32 v3, s20, v1, vcc_lo
	v_cndmask_b32_e32 v4, s21, v2, vcc_lo
	v_cndmask_b32_e64 v3, v1, v3, s1
	v_cndmask_b32_e64 v4, v2, v4, s1
.LBB760_334:
	s_or_b32 s10, s10, exec_lo
.LBB760_335:
	s_or_b32 exec_lo, exec_lo, s2
	v_mov_b32_e32 v1, s6
	v_mov_b32_e32 v2, s7
	s_branch .LBB760_368
.LBB760_336:
	s_cmp_eq_u32 s25, 1
	s_cbranch_scc0 .LBB760_367
; %bb.337:
	s_mov_b32 s7, 0
	s_lshr_b64 s[0:1], s[14:15], 8
	s_lshl_b32 s2, s6, 8
	s_cmp_lg_u64 s[0:1], s[6:7]
	s_cbranch_scc0 .LBB760_371
; %bb.338:
	s_add_u32 s0, s16, s2
	s_addc_u32 s1, s17, 0
	s_add_u32 s8, s18, s2
	s_addc_u32 s9, s19, 0
	s_waitcnt lgkmcnt(0)
	s_clause 0x1
	global_load_ubyte v4, v0, s[0:1]
	global_load_ubyte v5, v0, s[8:9]
	s_add_u32 s0, s12, s2
	s_addc_u32 s1, s13, 0
	v_add_co_u32 v1, s0, s0, v0
	v_add_co_ci_u32_e64 v2, null, s1, 0, s0
                                        ; implicit-def: $vgpr7
	v_mov_b32_dpp v3, v1 quad_perm:[1,0,3,2] row_mask:0xf bank_mask:0xf
	s_waitcnt vmcnt(0)
	v_cmp_ne_u16_e32 vcc_lo, v4, v5
	v_mov_b32_dpp v4, v2 quad_perm:[1,0,3,2] row_mask:0xf bank_mask:0xf
	v_cndmask_b32_e64 v5, 0, 1, vcc_lo
	v_cmp_lt_i64_e64 s0, v[1:2], v[3:4]
	v_mov_b32_dpp v5, v5 quad_perm:[1,0,3,2] row_mask:0xf bank_mask:0xf
	s_and_b32 s0, vcc_lo, s0
	v_cndmask_b32_e64 v3, v3, v1, s0
	v_and_b32_e32 v5, 1, v5
	v_cndmask_b32_e64 v4, v4, v2, s0
	v_cmp_eq_u32_e64 s0, 1, v5
	s_or_b32 s1, vcc_lo, s0
	v_cndmask_b32_e64 v4, v2, v4, s0
	v_cndmask_b32_e64 v2, 0, 1, s1
	;; [unrolled: 1-line block ×3, first 2 shown]
	v_mov_b32_dpp v6, v4 quad_perm:[2,3,0,1] row_mask:0xf bank_mask:0xf
	v_mov_b32_dpp v2, v2 quad_perm:[2,3,0,1] row_mask:0xf bank_mask:0xf
	;; [unrolled: 1-line block ×3, first 2 shown]
	v_and_b32_e32 v2, 1, v2
	v_cmp_eq_u32_e32 vcc_lo, 1, v2
                                        ; implicit-def: $vgpr1_vgpr2
	s_and_b32 s0, s1, vcc_lo
	s_xor_b32 s0, s0, -1
	s_and_saveexec_b32 s3, s0
	s_xor_b32 s0, exec_lo, s3
; %bb.339:
	s_or_b32 s1, s1, vcc_lo
	v_cndmask_b32_e32 v2, v4, v6, vcc_lo
	v_cndmask_b32_e32 v1, v3, v5, vcc_lo
	v_cndmask_b32_e64 v7, 0, 1, s1
                                        ; implicit-def: $vgpr3_vgpr4
                                        ; implicit-def: $vgpr5_vgpr6
; %bb.340:
	s_andn2_saveexec_b32 s0, s0
; %bb.341:
	v_cmp_lt_i64_e32 vcc_lo, v[3:4], v[5:6]
	v_mov_b32_e32 v7, 1
	v_cndmask_b32_e32 v2, v6, v4, vcc_lo
	v_cndmask_b32_e32 v1, v5, v3, vcc_lo
; %bb.342:
	s_or_b32 exec_lo, exec_lo, s0
	v_mov_b32_dpp v8, v7 row_ror:4 row_mask:0xf bank_mask:0xf
	v_mov_b32_dpp v5, v1 row_ror:4 row_mask:0xf bank_mask:0xf
	;; [unrolled: 1-line block ×3, first 2 shown]
	v_and_b32_e32 v3, v8, v7
	v_cmp_ne_u32_e32 vcc_lo, 0, v3
                                        ; implicit-def: $vgpr3_vgpr4
	s_and_saveexec_b32 s0, vcc_lo
	s_xor_b32 s0, exec_lo, s0
; %bb.343:
	v_cmp_lt_i64_e32 vcc_lo, v[1:2], v[5:6]
                                        ; implicit-def: $vgpr8
                                        ; implicit-def: $vgpr7
	v_cndmask_b32_e32 v4, v6, v2, vcc_lo
	v_cndmask_b32_e32 v3, v5, v1, vcc_lo
                                        ; implicit-def: $vgpr1_vgpr2
                                        ; implicit-def: $vgpr5_vgpr6
; %bb.344:
	s_or_saveexec_b32 s0, s0
	v_mov_b32_e32 v9, 1
	s_xor_b32 exec_lo, exec_lo, s0
; %bb.345:
	v_and_b32_e32 v3, 1, v8
	v_cmp_eq_u32_e32 vcc_lo, 1, v3
	v_cndmask_b32_e32 v4, v2, v6, vcc_lo
	v_cndmask_b32_e32 v3, v1, v5, vcc_lo
	v_cndmask_b32_e64 v9, v7, 1, vcc_lo
; %bb.346:
	s_or_b32 exec_lo, exec_lo, s0
	v_mov_b32_dpp v5, v9 row_ror:8 row_mask:0xf bank_mask:0xf
	v_mov_b32_dpp v1, v3 row_ror:8 row_mask:0xf bank_mask:0xf
	;; [unrolled: 1-line block ×3, first 2 shown]
	v_and_b32_e32 v6, 1, v9
	v_and_b32_e32 v5, 1, v5
	v_cmp_lt_i64_e32 vcc_lo, v[3:4], v[1:2]
	v_cmp_eq_u32_e64 s0, 1, v6
	v_cmp_eq_u32_e64 s1, 1, v5
	s_and_b32 vcc_lo, s0, vcc_lo
	v_cndmask_b32_e32 v1, v1, v3, vcc_lo
	v_cndmask_b32_e64 v7, v9, 1, s1
	v_cndmask_b32_e32 v2, v2, v4, vcc_lo
	v_cndmask_b32_e64 v3, v3, v1, s1
	ds_swizzle_b32 v8, v7 offset:swizzle(BROADCAST,32,15)
	v_cndmask_b32_e64 v4, v4, v2, s1
	ds_swizzle_b32 v5, v3 offset:swizzle(BROADCAST,32,15)
	ds_swizzle_b32 v6, v4 offset:swizzle(BROADCAST,32,15)
	s_waitcnt lgkmcnt(2)
	v_and_b32_e32 v1, v8, v7
	v_cmp_ne_u32_e32 vcc_lo, 0, v1
                                        ; implicit-def: $vgpr1_vgpr2
	s_and_saveexec_b32 s0, vcc_lo
	s_xor_b32 s0, exec_lo, s0
	s_cbranch_execz .LBB760_348
; %bb.347:
	s_waitcnt lgkmcnt(0)
	v_cmp_lt_i64_e32 vcc_lo, v[3:4], v[5:6]
                                        ; implicit-def: $vgpr8
                                        ; implicit-def: $vgpr7
	v_cndmask_b32_e32 v2, v6, v4, vcc_lo
	v_cndmask_b32_e32 v1, v5, v3, vcc_lo
                                        ; implicit-def: $vgpr3_vgpr4
                                        ; implicit-def: $vgpr5_vgpr6
.LBB760_348:
	s_or_saveexec_b32 s0, s0
	v_mov_b32_e32 v9, 1
	s_xor_b32 exec_lo, exec_lo, s0
	s_cbranch_execz .LBB760_350
; %bb.349:
	v_and_b32_e32 v1, 1, v8
	v_cmp_eq_u32_e32 vcc_lo, 1, v1
	s_waitcnt lgkmcnt(0)
	v_cndmask_b32_e32 v2, v4, v6, vcc_lo
	v_cndmask_b32_e32 v1, v3, v5, vcc_lo
	v_cndmask_b32_e64 v9, v7, 1, vcc_lo
.LBB760_350:
	s_or_b32 exec_lo, exec_lo, s0
	v_mov_b32_e32 v3, 0
	v_mbcnt_lo_u32_b32 v8, -1, 0
	s_mov_b32 s0, exec_lo
	ds_bpermute_b32 v7, v3, v9 offset:124
	ds_bpermute_b32 v1, v3, v1 offset:124
	;; [unrolled: 1-line block ×3, first 2 shown]
	v_cmpx_eq_u32_e32 0, v8
	s_cbranch_execz .LBB760_352
; %bb.351:
	v_lshrrev_b32_e32 v3, 1, v0
	v_and_b32_e32 v3, 0x70, v3
	s_waitcnt lgkmcnt(2)
	ds_write_b8 v3, v7
	s_waitcnt lgkmcnt(1)
	ds_write_b64 v3, v[1:2] offset:8
.LBB760_352:
	s_or_b32 exec_lo, exec_lo, s0
	s_mov_b32 s0, exec_lo
	s_waitcnt lgkmcnt(0)
	s_barrier
	buffer_gl0_inv
	v_cmpx_gt_u32_e32 32, v0
	s_cbranch_execz .LBB760_366
; %bb.353:
	v_and_b32_e32 v7, 7, v8
	v_lshlrev_b32_e32 v1, 4, v7
	v_cmp_ne_u32_e32 vcc_lo, 7, v7
	ds_read_u8 v10, v1
	ds_read_b64 v[3:4], v1 offset:8
	v_add_co_ci_u32_e64 v2, null, 0, v8, vcc_lo
	v_lshlrev_b32_e32 v2, 2, v2
	s_waitcnt lgkmcnt(1)
	v_and_b32_e32 v1, 0xff, v10
	s_waitcnt lgkmcnt(0)
	ds_bpermute_b32 v5, v2, v3
	ds_bpermute_b32 v6, v2, v4
	;; [unrolled: 1-line block ×3, first 2 shown]
	s_waitcnt lgkmcnt(0)
	v_and_b32_e32 v1, v10, v11
	v_and_b32_e32 v1, 1, v1
	v_cmp_eq_u32_e32 vcc_lo, 1, v1
                                        ; implicit-def: $vgpr1_vgpr2
	s_and_saveexec_b32 s1, vcc_lo
	s_xor_b32 s1, exec_lo, s1
; %bb.354:
	v_cmp_lt_i64_e32 vcc_lo, v[5:6], v[3:4]
                                        ; implicit-def: $vgpr10
                                        ; implicit-def: $vgpr11
	v_cndmask_b32_e32 v2, v4, v6, vcc_lo
	v_cndmask_b32_e32 v1, v3, v5, vcc_lo
                                        ; implicit-def: $vgpr5_vgpr6
                                        ; implicit-def: $vgpr3_vgpr4
; %bb.355:
	s_or_saveexec_b32 s1, s1
	v_mov_b32_e32 v9, 1
	s_xor_b32 exec_lo, exec_lo, s1
; %bb.356:
	v_and_b32_e32 v1, 1, v10
	v_and_b32_e32 v9, 0xff, v11
	v_cmp_eq_u32_e32 vcc_lo, 1, v1
	v_cndmask_b32_e32 v2, v6, v4, vcc_lo
	v_cndmask_b32_e32 v1, v5, v3, vcc_lo
	v_cndmask_b32_e64 v9, v9, 1, vcc_lo
; %bb.357:
	s_or_b32 exec_lo, exec_lo, s1
	v_cmp_gt_u32_e32 vcc_lo, 6, v7
	v_cndmask_b32_e64 v3, 0, 2, vcc_lo
	v_add_lshl_u32 v3, v3, v8, 2
	ds_bpermute_b32 v7, v3, v9
	ds_bpermute_b32 v5, v3, v1
	;; [unrolled: 1-line block ×3, first 2 shown]
	s_waitcnt lgkmcnt(2)
	v_and_b32_e32 v3, v9, v7
	v_and_b32_e32 v3, 1, v3
	v_cmp_eq_u32_e32 vcc_lo, 1, v3
                                        ; implicit-def: $vgpr3_vgpr4
	s_and_saveexec_b32 s1, vcc_lo
	s_xor_b32 s1, exec_lo, s1
	s_cbranch_execz .LBB760_359
; %bb.358:
	s_waitcnt lgkmcnt(0)
	v_cmp_lt_i64_e32 vcc_lo, v[5:6], v[1:2]
                                        ; implicit-def: $vgpr9
                                        ; implicit-def: $vgpr7
	v_cndmask_b32_e32 v4, v2, v6, vcc_lo
	v_cndmask_b32_e32 v3, v1, v5, vcc_lo
                                        ; implicit-def: $vgpr5_vgpr6
                                        ; implicit-def: $vgpr1_vgpr2
.LBB760_359:
	s_or_saveexec_b32 s1, s1
	v_lshlrev_b32_e32 v10, 2, v8
	v_mov_b32_e32 v8, 1
	s_xor_b32 exec_lo, exec_lo, s1
	s_cbranch_execz .LBB760_361
; %bb.360:
	v_and_b32_e32 v3, 1, v9
	v_and_b32_e32 v7, 0xff, v7
	v_cmp_eq_u32_e32 vcc_lo, 1, v3
	s_waitcnt lgkmcnt(0)
	v_cndmask_b32_e32 v4, v6, v2, vcc_lo
	v_cndmask_b32_e32 v3, v5, v1, vcc_lo
	v_cndmask_b32_e64 v8, v7, 1, vcc_lo
.LBB760_361:
	s_or_b32 exec_lo, exec_lo, s1
	v_or_b32_e32 v1, 16, v10
	ds_bpermute_b32 v9, v1, v8
	s_waitcnt lgkmcnt(2)
	ds_bpermute_b32 v5, v1, v3
	s_waitcnt lgkmcnt(2)
	;; [unrolled: 2-line block ×3, first 2 shown]
	v_and_b32_e32 v1, v8, v9
	v_and_b32_e32 v1, 1, v1
	v_cmp_eq_u32_e32 vcc_lo, 1, v1
                                        ; implicit-def: $vgpr1_vgpr2
	s_and_saveexec_b32 s1, vcc_lo
	s_xor_b32 s1, exec_lo, s1
	s_cbranch_execz .LBB760_363
; %bb.362:
	s_waitcnt lgkmcnt(0)
	v_cmp_lt_i64_e32 vcc_lo, v[5:6], v[3:4]
                                        ; implicit-def: $vgpr8
                                        ; implicit-def: $vgpr9
	v_cndmask_b32_e32 v2, v4, v6, vcc_lo
	v_cndmask_b32_e32 v1, v3, v5, vcc_lo
                                        ; implicit-def: $vgpr5_vgpr6
                                        ; implicit-def: $vgpr3_vgpr4
.LBB760_363:
	s_or_saveexec_b32 s1, s1
	v_mov_b32_e32 v7, 1
	s_xor_b32 exec_lo, exec_lo, s1
	s_cbranch_execz .LBB760_365
; %bb.364:
	v_and_b32_e32 v1, 1, v8
	v_cmp_eq_u32_e32 vcc_lo, 1, v1
	s_waitcnt lgkmcnt(0)
	v_cndmask_b32_e32 v2, v6, v4, vcc_lo
	v_cndmask_b32_e32 v1, v5, v3, vcc_lo
	v_cndmask_b32_e64 v7, v9, 1, vcc_lo
.LBB760_365:
	s_or_b32 exec_lo, exec_lo, s1
.LBB760_366:
	s_or_b32 exec_lo, exec_lo, s0
	s_branch .LBB760_427
.LBB760_367:
                                        ; implicit-def: $vgpr3_vgpr4
                                        ; implicit-def: $vgpr5
                                        ; implicit-def: $vgpr1_vgpr2
.LBB760_368:
	s_and_saveexec_b32 s0, s10
	s_cbranch_execz .LBB760_370
.LBB760_369:
	s_load_dwordx2 s[0:1], s[4:5], 0x38
	v_lshlrev_b64 v[0:1], 4, v[1:2]
	s_waitcnt lgkmcnt(0)
	v_add_co_u32 v0, vcc_lo, s0, v0
	v_add_co_ci_u32_e64 v1, null, s1, v1, vcc_lo
	global_store_byte v[0:1], v5, off
	global_store_dwordx2 v[0:1], v[3:4], off offset:8
.LBB760_370:
	s_endpgm
.LBB760_371:
                                        ; implicit-def: $vgpr1_vgpr2
                                        ; implicit-def: $vgpr7
	s_cbranch_execz .LBB760_427
; %bb.372:
	v_mov_b32_e32 v1, 0
	v_mov_b32_e32 v2, 0
	;; [unrolled: 1-line block ×3, first 2 shown]
	s_sub_i32 s0, s14, s2
	s_mov_b32 s1, exec_lo
	v_cmpx_gt_u32_e64 s0, v0
	s_cbranch_execz .LBB760_374
; %bb.373:
	s_add_u32 s8, s18, s2
	s_addc_u32 s9, s19, 0
	s_add_u32 s16, s16, s2
	s_addc_u32 s17, s17, 0
	s_add_u32 s2, s12, s2
	s_waitcnt lgkmcnt(1)
	global_load_ubyte v3, v0, s[16:17]
	s_waitcnt lgkmcnt(0)
	global_load_ubyte v4, v0, s[8:9]
	s_addc_u32 s3, s13, 0
	v_add_co_u32 v1, s2, s2, v0
	v_add_co_ci_u32_e64 v2, null, s3, 0, s2
	s_waitcnt vmcnt(0)
	v_cmp_ne_u16_e32 vcc_lo, v3, v4
	v_cndmask_b32_e64 v8, 0, 1, vcc_lo
.LBB760_374:
	s_or_b32 exec_lo, exec_lo, s1
	s_waitcnt lgkmcnt(1)
	v_mbcnt_lo_u32_b32 v5, -1, 0
	v_and_b32_e32 v7, 0xffff, v8
	s_waitcnt lgkmcnt(0)
	v_and_b32_e32 v6, 0xe0, v0
	s_min_u32 s0, s0, 0x100
	s_mov_b32 s1, exec_lo
	v_cmp_ne_u32_e32 vcc_lo, 31, v5
	v_add_nc_u32_e32 v10, 1, v5
	v_sub_nc_u32_e64 v6, s0, v6 clamp
	v_add_co_ci_u32_e64 v3, null, 0, v5, vcc_lo
	v_lshlrev_b32_e32 v4, 2, v3
	ds_bpermute_b32 v9, v4, v7
	ds_bpermute_b32 v3, v4, v1
	;; [unrolled: 1-line block ×3, first 2 shown]
	v_cmpx_lt_u32_e64 v10, v6
	s_cbranch_execz .LBB760_380
; %bb.375:
	s_waitcnt lgkmcnt(2)
	v_and_b32_e32 v7, v9, v7
	s_mov_b32 s2, exec_lo
	v_and_b32_e32 v7, 1, v7
	v_cmpx_eq_u32_e32 1, v7
	s_xor_b32 s2, exec_lo, s2
	s_cbranch_execz .LBB760_377
; %bb.376:
	s_waitcnt lgkmcnt(0)
	v_cmp_lt_i64_e32 vcc_lo, v[3:4], v[1:2]
                                        ; implicit-def: $vgpr8
                                        ; implicit-def: $vgpr9
	v_cndmask_b32_e32 v2, v2, v4, vcc_lo
	v_cndmask_b32_e32 v1, v1, v3, vcc_lo
                                        ; implicit-def: $vgpr3_vgpr4
.LBB760_377:
	s_or_saveexec_b32 s2, s2
	v_mov_b32_e32 v7, 1
	s_xor_b32 exec_lo, exec_lo, s2
	s_cbranch_execz .LBB760_379
; %bb.378:
	v_and_b32_e32 v7, 1, v8
	v_cmp_eq_u32_e32 vcc_lo, 1, v7
	v_and_b32_e32 v7, 0xff, v9
	s_waitcnt lgkmcnt(0)
	v_cndmask_b32_e32 v2, v4, v2, vcc_lo
	v_cndmask_b32_e32 v1, v3, v1, vcc_lo
	v_cndmask_b32_e64 v7, v7, 1, vcc_lo
.LBB760_379:
	s_or_b32 exec_lo, exec_lo, s2
.LBB760_380:
	s_or_b32 exec_lo, exec_lo, s1
	v_cmp_gt_u32_e32 vcc_lo, 30, v5
	s_waitcnt lgkmcnt(2)
	v_add_nc_u32_e32 v9, 2, v5
	s_mov_b32 s1, exec_lo
	s_waitcnt lgkmcnt(1)
	v_cndmask_b32_e64 v3, 0, 2, vcc_lo
	s_waitcnt lgkmcnt(0)
	v_add_lshl_u32 v4, v3, v5, 2
	ds_bpermute_b32 v8, v4, v7
	ds_bpermute_b32 v3, v4, v1
	;; [unrolled: 1-line block ×3, first 2 shown]
	v_cmpx_lt_u32_e64 v9, v6
	s_cbranch_execz .LBB760_386
; %bb.381:
	s_waitcnt lgkmcnt(2)
	v_and_b32_e32 v9, v7, v8
	s_mov_b32 s2, exec_lo
	v_and_b32_e32 v9, 1, v9
	v_cmpx_eq_u32_e32 1, v9
	s_xor_b32 s2, exec_lo, s2
	s_cbranch_execz .LBB760_383
; %bb.382:
	s_waitcnt lgkmcnt(0)
	v_cmp_lt_i64_e32 vcc_lo, v[3:4], v[1:2]
                                        ; implicit-def: $vgpr7
                                        ; implicit-def: $vgpr8
	v_cndmask_b32_e32 v2, v2, v4, vcc_lo
	v_cndmask_b32_e32 v1, v1, v3, vcc_lo
                                        ; implicit-def: $vgpr3_vgpr4
.LBB760_383:
	s_or_saveexec_b32 s2, s2
	v_mov_b32_e32 v9, 1
	s_xor_b32 exec_lo, exec_lo, s2
	s_cbranch_execz .LBB760_385
; %bb.384:
	v_and_b32_e32 v7, 1, v7
	v_cmp_eq_u32_e32 vcc_lo, 1, v7
	v_and_b32_e32 v7, 0xff, v8
	s_waitcnt lgkmcnt(0)
	v_cndmask_b32_e32 v2, v4, v2, vcc_lo
	v_cndmask_b32_e32 v1, v3, v1, vcc_lo
	v_cndmask_b32_e64 v9, v7, 1, vcc_lo
.LBB760_385:
	s_or_b32 exec_lo, exec_lo, s2
	v_mov_b32_e32 v7, v9
.LBB760_386:
	s_or_b32 exec_lo, exec_lo, s1
	v_cmp_gt_u32_e32 vcc_lo, 28, v5
	v_add_nc_u32_e32 v9, 4, v5
	s_mov_b32 s1, exec_lo
	s_waitcnt lgkmcnt(1)
	v_cndmask_b32_e64 v3, 0, 4, vcc_lo
	s_waitcnt lgkmcnt(0)
	v_add_lshl_u32 v4, v3, v5, 2
	ds_bpermute_b32 v8, v4, v7
	ds_bpermute_b32 v3, v4, v1
	;; [unrolled: 1-line block ×3, first 2 shown]
	v_cmpx_lt_u32_e64 v9, v6
	s_cbranch_execz .LBB760_392
; %bb.387:
	s_waitcnt lgkmcnt(2)
	v_and_b32_e32 v9, v7, v8
	s_mov_b32 s2, exec_lo
	v_and_b32_e32 v9, 1, v9
	v_cmpx_eq_u32_e32 1, v9
	s_xor_b32 s2, exec_lo, s2
	s_cbranch_execz .LBB760_389
; %bb.388:
	s_waitcnt lgkmcnt(0)
	v_cmp_lt_i64_e32 vcc_lo, v[3:4], v[1:2]
                                        ; implicit-def: $vgpr7
                                        ; implicit-def: $vgpr8
	v_cndmask_b32_e32 v2, v2, v4, vcc_lo
	v_cndmask_b32_e32 v1, v1, v3, vcc_lo
                                        ; implicit-def: $vgpr3_vgpr4
.LBB760_389:
	s_or_saveexec_b32 s2, s2
	v_mov_b32_e32 v9, 1
	s_xor_b32 exec_lo, exec_lo, s2
	s_cbranch_execz .LBB760_391
; %bb.390:
	v_and_b32_e32 v7, 1, v7
	v_cmp_eq_u32_e32 vcc_lo, 1, v7
	v_and_b32_e32 v7, 0xff, v8
	s_waitcnt lgkmcnt(0)
	v_cndmask_b32_e32 v2, v4, v2, vcc_lo
	v_cndmask_b32_e32 v1, v3, v1, vcc_lo
	v_cndmask_b32_e64 v9, v7, 1, vcc_lo
.LBB760_391:
	s_or_b32 exec_lo, exec_lo, s2
	v_mov_b32_e32 v7, v9
.LBB760_392:
	s_or_b32 exec_lo, exec_lo, s1
	v_cmp_gt_u32_e32 vcc_lo, 24, v5
	v_add_nc_u32_e32 v9, 8, v5
	s_mov_b32 s1, exec_lo
	s_waitcnt lgkmcnt(1)
	v_cndmask_b32_e64 v3, 0, 8, vcc_lo
	s_waitcnt lgkmcnt(0)
	v_add_lshl_u32 v4, v3, v5, 2
	ds_bpermute_b32 v8, v4, v7
	ds_bpermute_b32 v3, v4, v1
	;; [unrolled: 1-line block ×3, first 2 shown]
	v_cmpx_lt_u32_e64 v9, v6
	s_cbranch_execz .LBB760_398
; %bb.393:
	s_waitcnt lgkmcnt(2)
	v_and_b32_e32 v9, v7, v8
	s_mov_b32 s2, exec_lo
	v_and_b32_e32 v9, 1, v9
	v_cmpx_eq_u32_e32 1, v9
	s_xor_b32 s2, exec_lo, s2
	s_cbranch_execz .LBB760_395
; %bb.394:
	s_waitcnt lgkmcnt(0)
	v_cmp_lt_i64_e32 vcc_lo, v[3:4], v[1:2]
                                        ; implicit-def: $vgpr7
                                        ; implicit-def: $vgpr8
	v_cndmask_b32_e32 v2, v2, v4, vcc_lo
	v_cndmask_b32_e32 v1, v1, v3, vcc_lo
                                        ; implicit-def: $vgpr3_vgpr4
.LBB760_395:
	s_or_saveexec_b32 s2, s2
	v_mov_b32_e32 v9, 1
	s_xor_b32 exec_lo, exec_lo, s2
	s_cbranch_execz .LBB760_397
; %bb.396:
	v_and_b32_e32 v7, 1, v7
	v_cmp_eq_u32_e32 vcc_lo, 1, v7
	v_and_b32_e32 v7, 0xff, v8
	s_waitcnt lgkmcnt(0)
	v_cndmask_b32_e32 v2, v4, v2, vcc_lo
	v_cndmask_b32_e32 v1, v3, v1, vcc_lo
	v_cndmask_b32_e64 v9, v7, 1, vcc_lo
.LBB760_397:
	s_or_b32 exec_lo, exec_lo, s2
	v_mov_b32_e32 v7, v9
.LBB760_398:
	s_or_b32 exec_lo, exec_lo, s1
	s_waitcnt lgkmcnt(2)
	v_lshlrev_b32_e32 v8, 2, v5
	v_add_nc_u32_e32 v10, 16, v5
	s_waitcnt lgkmcnt(0)
	v_or_b32_e32 v4, 64, v8
	v_cmp_lt_u32_e32 vcc_lo, v10, v6
	v_mov_b32_e32 v6, v7
	ds_bpermute_b32 v9, v4, v7
	ds_bpermute_b32 v3, v4, v1
	;; [unrolled: 1-line block ×3, first 2 shown]
	s_and_saveexec_b32 s1, vcc_lo
	s_cbranch_execz .LBB760_404
; %bb.399:
	s_waitcnt lgkmcnt(2)
	v_and_b32_e32 v6, v7, v9
	s_mov_b32 s2, exec_lo
	v_and_b32_e32 v6, 1, v6
	v_cmpx_eq_u32_e32 1, v6
	s_xor_b32 s2, exec_lo, s2
	s_cbranch_execz .LBB760_401
; %bb.400:
	s_waitcnt lgkmcnt(0)
	v_cmp_lt_i64_e32 vcc_lo, v[3:4], v[1:2]
                                        ; implicit-def: $vgpr7
                                        ; implicit-def: $vgpr9
	v_cndmask_b32_e32 v2, v2, v4, vcc_lo
	v_cndmask_b32_e32 v1, v1, v3, vcc_lo
                                        ; implicit-def: $vgpr3_vgpr4
.LBB760_401:
	s_or_saveexec_b32 s2, s2
	v_mov_b32_e32 v6, 1
	s_xor_b32 exec_lo, exec_lo, s2
	s_cbranch_execz .LBB760_403
; %bb.402:
	v_and_b32_e32 v6, 1, v7
	v_cmp_eq_u32_e32 vcc_lo, 1, v6
	v_cndmask_b32_e64 v6, v9, 1, vcc_lo
	s_waitcnt lgkmcnt(0)
	v_cndmask_b32_e32 v2, v4, v2, vcc_lo
	v_cndmask_b32_e32 v1, v3, v1, vcc_lo
.LBB760_403:
	s_or_b32 exec_lo, exec_lo, s2
	v_and_b32_e32 v7, 0xff, v6
.LBB760_404:
	s_or_b32 exec_lo, exec_lo, s1
	s_mov_b32 s1, exec_lo
	v_cmpx_eq_u32_e32 0, v5
	s_cbranch_execz .LBB760_406
; %bb.405:
	s_waitcnt lgkmcnt(1)
	v_lshrrev_b32_e32 v3, 1, v0
	v_and_b32_e32 v3, 0x70, v3
	ds_write_b8 v3, v6 offset:512
	ds_write_b64 v3, v[1:2] offset:520
.LBB760_406:
	s_or_b32 exec_lo, exec_lo, s1
	s_mov_b32 s1, exec_lo
	s_waitcnt lgkmcnt(0)
	s_barrier
	buffer_gl0_inv
	v_cmpx_gt_u32_e32 8, v0
	s_cbranch_execz .LBB760_426
; %bb.407:
	v_lshlrev_b32_e32 v1, 4, v5
	v_and_b32_e32 v6, 7, v5
	s_add_i32 s0, s0, 31
	s_mov_b32 s2, exec_lo
	s_lshr_b32 s0, s0, 5
	ds_read_u8 v9, v1 offset:512
	ds_read_b64 v[1:2], v1 offset:520
	v_cmp_ne_u32_e32 vcc_lo, 7, v6
	v_add_nc_u32_e32 v11, 1, v6
	v_add_co_ci_u32_e64 v3, null, 0, v5, vcc_lo
	v_lshlrev_b32_e32 v4, 2, v3
	s_waitcnt lgkmcnt(1)
	v_and_b32_e32 v7, 0xff, v9
	s_waitcnt lgkmcnt(0)
	ds_bpermute_b32 v3, v4, v1
	ds_bpermute_b32 v10, v4, v7
	;; [unrolled: 1-line block ×3, first 2 shown]
	v_cmpx_gt_u32_e64 s0, v11
	s_cbranch_execz .LBB760_413
; %bb.408:
	s_waitcnt lgkmcnt(1)
	v_and_b32_e32 v7, v7, v10
	s_mov_b32 s3, exec_lo
	v_and_b32_e32 v7, 1, v7
	v_cmpx_eq_u32_e32 1, v7
	s_xor_b32 s3, exec_lo, s3
	s_cbranch_execz .LBB760_410
; %bb.409:
	s_waitcnt lgkmcnt(0)
	v_cmp_lt_i64_e32 vcc_lo, v[3:4], v[1:2]
                                        ; implicit-def: $vgpr9
                                        ; implicit-def: $vgpr10
	v_cndmask_b32_e32 v2, v2, v4, vcc_lo
	v_cndmask_b32_e32 v1, v1, v3, vcc_lo
                                        ; implicit-def: $vgpr3_vgpr4
.LBB760_410:
	s_or_saveexec_b32 s3, s3
	v_mov_b32_e32 v7, 1
	s_xor_b32 exec_lo, exec_lo, s3
	s_cbranch_execz .LBB760_412
; %bb.411:
	v_and_b32_e32 v7, 1, v9
	v_cmp_eq_u32_e32 vcc_lo, 1, v7
	v_and_b32_e32 v7, 0xff, v10
	s_waitcnt lgkmcnt(0)
	v_cndmask_b32_e32 v2, v4, v2, vcc_lo
	v_cndmask_b32_e32 v1, v3, v1, vcc_lo
	v_cndmask_b32_e64 v7, v7, 1, vcc_lo
.LBB760_412:
	s_or_b32 exec_lo, exec_lo, s3
.LBB760_413:
	s_or_b32 exec_lo, exec_lo, s2
	v_cmp_gt_u32_e32 vcc_lo, 6, v6
	v_add_nc_u32_e32 v9, 2, v6
	s_mov_b32 s2, exec_lo
	s_waitcnt lgkmcnt(2)
	v_cndmask_b32_e64 v3, 0, 2, vcc_lo
	s_waitcnt lgkmcnt(0)
	v_add_lshl_u32 v4, v3, v5, 2
	ds_bpermute_b32 v5, v4, v7
	ds_bpermute_b32 v3, v4, v1
	;; [unrolled: 1-line block ×3, first 2 shown]
	v_cmpx_gt_u32_e64 s0, v9
	s_cbranch_execz .LBB760_419
; %bb.414:
	s_waitcnt lgkmcnt(2)
	v_and_b32_e32 v9, v7, v5
	s_mov_b32 s3, exec_lo
	v_and_b32_e32 v9, 1, v9
	v_cmpx_eq_u32_e32 1, v9
	s_xor_b32 s3, exec_lo, s3
	s_cbranch_execz .LBB760_416
; %bb.415:
	s_waitcnt lgkmcnt(0)
	v_cmp_lt_i64_e32 vcc_lo, v[3:4], v[1:2]
                                        ; implicit-def: $vgpr7
                                        ; implicit-def: $vgpr5
	v_cndmask_b32_e32 v2, v2, v4, vcc_lo
	v_cndmask_b32_e32 v1, v1, v3, vcc_lo
                                        ; implicit-def: $vgpr3_vgpr4
.LBB760_416:
	s_or_saveexec_b32 s3, s3
	v_mov_b32_e32 v9, 1
	s_xor_b32 exec_lo, exec_lo, s3
	s_cbranch_execz .LBB760_418
; %bb.417:
	v_and_b32_e32 v7, 1, v7
	v_and_b32_e32 v5, 0xff, v5
	v_cmp_eq_u32_e32 vcc_lo, 1, v7
	s_waitcnt lgkmcnt(0)
	v_cndmask_b32_e32 v2, v4, v2, vcc_lo
	v_cndmask_b32_e32 v1, v3, v1, vcc_lo
	v_cndmask_b32_e64 v9, v5, 1, vcc_lo
.LBB760_418:
	s_or_b32 exec_lo, exec_lo, s3
	v_mov_b32_e32 v7, v9
.LBB760_419:
	s_or_b32 exec_lo, exec_lo, s2
	s_waitcnt lgkmcnt(0)
	v_or_b32_e32 v4, 16, v8
	v_add_nc_u32_e32 v6, 4, v6
	ds_bpermute_b32 v5, v4, v7
	ds_bpermute_b32 v3, v4, v1
	;; [unrolled: 1-line block ×3, first 2 shown]
	v_cmp_gt_u32_e32 vcc_lo, s0, v6
	s_and_saveexec_b32 s0, vcc_lo
	s_cbranch_execz .LBB760_425
; %bb.420:
	s_waitcnt lgkmcnt(2)
	v_and_b32_e32 v6, v7, v5
	s_mov_b32 s2, exec_lo
	v_and_b32_e32 v6, 1, v6
	v_cmpx_eq_u32_e32 1, v6
	s_xor_b32 s2, exec_lo, s2
	s_cbranch_execz .LBB760_422
; %bb.421:
	s_waitcnt lgkmcnt(0)
	v_cmp_lt_i64_e32 vcc_lo, v[3:4], v[1:2]
                                        ; implicit-def: $vgpr7
                                        ; implicit-def: $vgpr5
	v_cndmask_b32_e32 v2, v2, v4, vcc_lo
	v_cndmask_b32_e32 v1, v1, v3, vcc_lo
                                        ; implicit-def: $vgpr3_vgpr4
.LBB760_422:
	s_or_saveexec_b32 s2, s2
	v_mov_b32_e32 v6, 1
	s_xor_b32 exec_lo, exec_lo, s2
	s_cbranch_execz .LBB760_424
; %bb.423:
	v_and_b32_e32 v6, 1, v7
	v_cmp_eq_u32_e32 vcc_lo, 1, v6
	s_waitcnt lgkmcnt(0)
	v_cndmask_b32_e32 v2, v4, v2, vcc_lo
	v_cndmask_b32_e32 v1, v3, v1, vcc_lo
	v_cndmask_b32_e64 v6, v5, 1, vcc_lo
.LBB760_424:
	s_or_b32 exec_lo, exec_lo, s2
	v_mov_b32_e32 v7, v6
.LBB760_425:
	s_or_b32 exec_lo, exec_lo, s0
.LBB760_426:
	s_or_b32 exec_lo, exec_lo, s1
.LBB760_427:
	s_mov_b32 s2, exec_lo
                                        ; implicit-def: $vgpr3_vgpr4
                                        ; implicit-def: $vgpr5
	v_cmpx_eq_u32_e32 0, v0
	s_cbranch_execz .LBB760_431
; %bb.428:
	s_waitcnt lgkmcnt(0)
	v_mov_b32_e32 v3, s20
	v_mov_b32_e32 v4, s21
	;; [unrolled: 1-line block ×3, first 2 shown]
	s_cmp_eq_u64 s[14:15], 0
	s_cbranch_scc1 .LBB760_430
; %bb.429:
	v_and_b32_e32 v0, 1, v7
	v_cmp_gt_i64_e32 vcc_lo, s[20:21], v[1:2]
	s_bitcmp1_b32 s24, 0
	s_cselect_b32 s1, -1, 0
	v_cmp_eq_u32_e64 s0, 1, v0
	v_cndmask_b32_e64 v5, v7, 1, s1
	s_and_b32 vcc_lo, s0, vcc_lo
	v_cndmask_b32_e32 v0, s20, v1, vcc_lo
	v_cndmask_b32_e32 v3, s21, v2, vcc_lo
	v_cndmask_b32_e64 v4, v2, v3, s1
	v_cndmask_b32_e64 v3, v1, v0, s1
.LBB760_430:
	s_or_b32 s10, s10, exec_lo
.LBB760_431:
	s_or_b32 exec_lo, exec_lo, s2
	v_mov_b32_e32 v1, s6
	v_mov_b32_e32 v2, s7
	s_and_saveexec_b32 s0, s10
	s_cbranch_execnz .LBB760_369
	s_branch .LBB760_370
	.section	.rodata,"a",@progbits
	.p2align	6, 0x0
	.amdhsa_kernel _ZN7rocprim17ROCPRIM_400000_NS6detail17trampoline_kernelINS0_14default_configENS1_22reduce_config_selectorIN6thrust23THRUST_200600_302600_NS5tupleIblNS6_9null_typeES8_S8_S8_S8_S8_S8_S8_EEEEZNS1_11reduce_implILb1ES3_NS6_12zip_iteratorINS7_INS6_11hip_rocprim26transform_input_iterator_tIbNSD_35transform_pair_of_input_iterators_tIbNS6_6detail15normal_iteratorINS6_10device_ptrIKbEEEESL_NS6_8equal_toIbEEEENSG_9not_fun_tINSD_8identityEEEEENSD_19counting_iterator_tIlEES8_S8_S8_S8_S8_S8_S8_S8_EEEEPS9_S9_NSD_9__find_if7functorIS9_EEEE10hipError_tPvRmT1_T2_T3_mT4_P12ihipStream_tbEUlT_E1_NS1_11comp_targetILNS1_3genE8ELNS1_11target_archE1030ELNS1_3gpuE2ELNS1_3repE0EEENS1_30default_config_static_selectorELNS0_4arch9wavefront6targetE0EEEvS14_
		.amdhsa_group_segment_fixed_size 640
		.amdhsa_private_segment_fixed_size 0
		.amdhsa_kernarg_size 88
		.amdhsa_user_sgpr_count 6
		.amdhsa_user_sgpr_private_segment_buffer 1
		.amdhsa_user_sgpr_dispatch_ptr 0
		.amdhsa_user_sgpr_queue_ptr 0
		.amdhsa_user_sgpr_kernarg_segment_ptr 1
		.amdhsa_user_sgpr_dispatch_id 0
		.amdhsa_user_sgpr_flat_scratch_init 0
		.amdhsa_user_sgpr_private_segment_size 0
		.amdhsa_wavefront_size32 1
		.amdhsa_uses_dynamic_stack 0
		.amdhsa_system_sgpr_private_segment_wavefront_offset 0
		.amdhsa_system_sgpr_workgroup_id_x 1
		.amdhsa_system_sgpr_workgroup_id_y 0
		.amdhsa_system_sgpr_workgroup_id_z 0
		.amdhsa_system_sgpr_workgroup_info 0
		.amdhsa_system_vgpr_workitem_id 0
		.amdhsa_next_free_vgpr 27
		.amdhsa_next_free_sgpr 32
		.amdhsa_reserve_vcc 1
		.amdhsa_reserve_flat_scratch 0
		.amdhsa_float_round_mode_32 0
		.amdhsa_float_round_mode_16_64 0
		.amdhsa_float_denorm_mode_32 3
		.amdhsa_float_denorm_mode_16_64 3
		.amdhsa_dx10_clamp 1
		.amdhsa_ieee_mode 1
		.amdhsa_fp16_overflow 0
		.amdhsa_workgroup_processor_mode 1
		.amdhsa_memory_ordered 1
		.amdhsa_forward_progress 1
		.amdhsa_shared_vgpr_count 0
		.amdhsa_exception_fp_ieee_invalid_op 0
		.amdhsa_exception_fp_denorm_src 0
		.amdhsa_exception_fp_ieee_div_zero 0
		.amdhsa_exception_fp_ieee_overflow 0
		.amdhsa_exception_fp_ieee_underflow 0
		.amdhsa_exception_fp_ieee_inexact 0
		.amdhsa_exception_int_div_zero 0
	.end_amdhsa_kernel
	.section	.text._ZN7rocprim17ROCPRIM_400000_NS6detail17trampoline_kernelINS0_14default_configENS1_22reduce_config_selectorIN6thrust23THRUST_200600_302600_NS5tupleIblNS6_9null_typeES8_S8_S8_S8_S8_S8_S8_EEEEZNS1_11reduce_implILb1ES3_NS6_12zip_iteratorINS7_INS6_11hip_rocprim26transform_input_iterator_tIbNSD_35transform_pair_of_input_iterators_tIbNS6_6detail15normal_iteratorINS6_10device_ptrIKbEEEESL_NS6_8equal_toIbEEEENSG_9not_fun_tINSD_8identityEEEEENSD_19counting_iterator_tIlEES8_S8_S8_S8_S8_S8_S8_S8_EEEEPS9_S9_NSD_9__find_if7functorIS9_EEEE10hipError_tPvRmT1_T2_T3_mT4_P12ihipStream_tbEUlT_E1_NS1_11comp_targetILNS1_3genE8ELNS1_11target_archE1030ELNS1_3gpuE2ELNS1_3repE0EEENS1_30default_config_static_selectorELNS0_4arch9wavefront6targetE0EEEvS14_,"axG",@progbits,_ZN7rocprim17ROCPRIM_400000_NS6detail17trampoline_kernelINS0_14default_configENS1_22reduce_config_selectorIN6thrust23THRUST_200600_302600_NS5tupleIblNS6_9null_typeES8_S8_S8_S8_S8_S8_S8_EEEEZNS1_11reduce_implILb1ES3_NS6_12zip_iteratorINS7_INS6_11hip_rocprim26transform_input_iterator_tIbNSD_35transform_pair_of_input_iterators_tIbNS6_6detail15normal_iteratorINS6_10device_ptrIKbEEEESL_NS6_8equal_toIbEEEENSG_9not_fun_tINSD_8identityEEEEENSD_19counting_iterator_tIlEES8_S8_S8_S8_S8_S8_S8_S8_EEEEPS9_S9_NSD_9__find_if7functorIS9_EEEE10hipError_tPvRmT1_T2_T3_mT4_P12ihipStream_tbEUlT_E1_NS1_11comp_targetILNS1_3genE8ELNS1_11target_archE1030ELNS1_3gpuE2ELNS1_3repE0EEENS1_30default_config_static_selectorELNS0_4arch9wavefront6targetE0EEEvS14_,comdat
.Lfunc_end760:
	.size	_ZN7rocprim17ROCPRIM_400000_NS6detail17trampoline_kernelINS0_14default_configENS1_22reduce_config_selectorIN6thrust23THRUST_200600_302600_NS5tupleIblNS6_9null_typeES8_S8_S8_S8_S8_S8_S8_EEEEZNS1_11reduce_implILb1ES3_NS6_12zip_iteratorINS7_INS6_11hip_rocprim26transform_input_iterator_tIbNSD_35transform_pair_of_input_iterators_tIbNS6_6detail15normal_iteratorINS6_10device_ptrIKbEEEESL_NS6_8equal_toIbEEEENSG_9not_fun_tINSD_8identityEEEEENSD_19counting_iterator_tIlEES8_S8_S8_S8_S8_S8_S8_S8_EEEEPS9_S9_NSD_9__find_if7functorIS9_EEEE10hipError_tPvRmT1_T2_T3_mT4_P12ihipStream_tbEUlT_E1_NS1_11comp_targetILNS1_3genE8ELNS1_11target_archE1030ELNS1_3gpuE2ELNS1_3repE0EEENS1_30default_config_static_selectorELNS0_4arch9wavefront6targetE0EEEvS14_, .Lfunc_end760-_ZN7rocprim17ROCPRIM_400000_NS6detail17trampoline_kernelINS0_14default_configENS1_22reduce_config_selectorIN6thrust23THRUST_200600_302600_NS5tupleIblNS6_9null_typeES8_S8_S8_S8_S8_S8_S8_EEEEZNS1_11reduce_implILb1ES3_NS6_12zip_iteratorINS7_INS6_11hip_rocprim26transform_input_iterator_tIbNSD_35transform_pair_of_input_iterators_tIbNS6_6detail15normal_iteratorINS6_10device_ptrIKbEEEESL_NS6_8equal_toIbEEEENSG_9not_fun_tINSD_8identityEEEEENSD_19counting_iterator_tIlEES8_S8_S8_S8_S8_S8_S8_S8_EEEEPS9_S9_NSD_9__find_if7functorIS9_EEEE10hipError_tPvRmT1_T2_T3_mT4_P12ihipStream_tbEUlT_E1_NS1_11comp_targetILNS1_3genE8ELNS1_11target_archE1030ELNS1_3gpuE2ELNS1_3repE0EEENS1_30default_config_static_selectorELNS0_4arch9wavefront6targetE0EEEvS14_
                                        ; -- End function
	.set _ZN7rocprim17ROCPRIM_400000_NS6detail17trampoline_kernelINS0_14default_configENS1_22reduce_config_selectorIN6thrust23THRUST_200600_302600_NS5tupleIblNS6_9null_typeES8_S8_S8_S8_S8_S8_S8_EEEEZNS1_11reduce_implILb1ES3_NS6_12zip_iteratorINS7_INS6_11hip_rocprim26transform_input_iterator_tIbNSD_35transform_pair_of_input_iterators_tIbNS6_6detail15normal_iteratorINS6_10device_ptrIKbEEEESL_NS6_8equal_toIbEEEENSG_9not_fun_tINSD_8identityEEEEENSD_19counting_iterator_tIlEES8_S8_S8_S8_S8_S8_S8_S8_EEEEPS9_S9_NSD_9__find_if7functorIS9_EEEE10hipError_tPvRmT1_T2_T3_mT4_P12ihipStream_tbEUlT_E1_NS1_11comp_targetILNS1_3genE8ELNS1_11target_archE1030ELNS1_3gpuE2ELNS1_3repE0EEENS1_30default_config_static_selectorELNS0_4arch9wavefront6targetE0EEEvS14_.num_vgpr, 27
	.set _ZN7rocprim17ROCPRIM_400000_NS6detail17trampoline_kernelINS0_14default_configENS1_22reduce_config_selectorIN6thrust23THRUST_200600_302600_NS5tupleIblNS6_9null_typeES8_S8_S8_S8_S8_S8_S8_EEEEZNS1_11reduce_implILb1ES3_NS6_12zip_iteratorINS7_INS6_11hip_rocprim26transform_input_iterator_tIbNSD_35transform_pair_of_input_iterators_tIbNS6_6detail15normal_iteratorINS6_10device_ptrIKbEEEESL_NS6_8equal_toIbEEEENSG_9not_fun_tINSD_8identityEEEEENSD_19counting_iterator_tIlEES8_S8_S8_S8_S8_S8_S8_S8_EEEEPS9_S9_NSD_9__find_if7functorIS9_EEEE10hipError_tPvRmT1_T2_T3_mT4_P12ihipStream_tbEUlT_E1_NS1_11comp_targetILNS1_3genE8ELNS1_11target_archE1030ELNS1_3gpuE2ELNS1_3repE0EEENS1_30default_config_static_selectorELNS0_4arch9wavefront6targetE0EEEvS14_.num_agpr, 0
	.set _ZN7rocprim17ROCPRIM_400000_NS6detail17trampoline_kernelINS0_14default_configENS1_22reduce_config_selectorIN6thrust23THRUST_200600_302600_NS5tupleIblNS6_9null_typeES8_S8_S8_S8_S8_S8_S8_EEEEZNS1_11reduce_implILb1ES3_NS6_12zip_iteratorINS7_INS6_11hip_rocprim26transform_input_iterator_tIbNSD_35transform_pair_of_input_iterators_tIbNS6_6detail15normal_iteratorINS6_10device_ptrIKbEEEESL_NS6_8equal_toIbEEEENSG_9not_fun_tINSD_8identityEEEEENSD_19counting_iterator_tIlEES8_S8_S8_S8_S8_S8_S8_S8_EEEEPS9_S9_NSD_9__find_if7functorIS9_EEEE10hipError_tPvRmT1_T2_T3_mT4_P12ihipStream_tbEUlT_E1_NS1_11comp_targetILNS1_3genE8ELNS1_11target_archE1030ELNS1_3gpuE2ELNS1_3repE0EEENS1_30default_config_static_selectorELNS0_4arch9wavefront6targetE0EEEvS14_.numbered_sgpr, 32
	.set _ZN7rocprim17ROCPRIM_400000_NS6detail17trampoline_kernelINS0_14default_configENS1_22reduce_config_selectorIN6thrust23THRUST_200600_302600_NS5tupleIblNS6_9null_typeES8_S8_S8_S8_S8_S8_S8_EEEEZNS1_11reduce_implILb1ES3_NS6_12zip_iteratorINS7_INS6_11hip_rocprim26transform_input_iterator_tIbNSD_35transform_pair_of_input_iterators_tIbNS6_6detail15normal_iteratorINS6_10device_ptrIKbEEEESL_NS6_8equal_toIbEEEENSG_9not_fun_tINSD_8identityEEEEENSD_19counting_iterator_tIlEES8_S8_S8_S8_S8_S8_S8_S8_EEEEPS9_S9_NSD_9__find_if7functorIS9_EEEE10hipError_tPvRmT1_T2_T3_mT4_P12ihipStream_tbEUlT_E1_NS1_11comp_targetILNS1_3genE8ELNS1_11target_archE1030ELNS1_3gpuE2ELNS1_3repE0EEENS1_30default_config_static_selectorELNS0_4arch9wavefront6targetE0EEEvS14_.num_named_barrier, 0
	.set _ZN7rocprim17ROCPRIM_400000_NS6detail17trampoline_kernelINS0_14default_configENS1_22reduce_config_selectorIN6thrust23THRUST_200600_302600_NS5tupleIblNS6_9null_typeES8_S8_S8_S8_S8_S8_S8_EEEEZNS1_11reduce_implILb1ES3_NS6_12zip_iteratorINS7_INS6_11hip_rocprim26transform_input_iterator_tIbNSD_35transform_pair_of_input_iterators_tIbNS6_6detail15normal_iteratorINS6_10device_ptrIKbEEEESL_NS6_8equal_toIbEEEENSG_9not_fun_tINSD_8identityEEEEENSD_19counting_iterator_tIlEES8_S8_S8_S8_S8_S8_S8_S8_EEEEPS9_S9_NSD_9__find_if7functorIS9_EEEE10hipError_tPvRmT1_T2_T3_mT4_P12ihipStream_tbEUlT_E1_NS1_11comp_targetILNS1_3genE8ELNS1_11target_archE1030ELNS1_3gpuE2ELNS1_3repE0EEENS1_30default_config_static_selectorELNS0_4arch9wavefront6targetE0EEEvS14_.private_seg_size, 0
	.set _ZN7rocprim17ROCPRIM_400000_NS6detail17trampoline_kernelINS0_14default_configENS1_22reduce_config_selectorIN6thrust23THRUST_200600_302600_NS5tupleIblNS6_9null_typeES8_S8_S8_S8_S8_S8_S8_EEEEZNS1_11reduce_implILb1ES3_NS6_12zip_iteratorINS7_INS6_11hip_rocprim26transform_input_iterator_tIbNSD_35transform_pair_of_input_iterators_tIbNS6_6detail15normal_iteratorINS6_10device_ptrIKbEEEESL_NS6_8equal_toIbEEEENSG_9not_fun_tINSD_8identityEEEEENSD_19counting_iterator_tIlEES8_S8_S8_S8_S8_S8_S8_S8_EEEEPS9_S9_NSD_9__find_if7functorIS9_EEEE10hipError_tPvRmT1_T2_T3_mT4_P12ihipStream_tbEUlT_E1_NS1_11comp_targetILNS1_3genE8ELNS1_11target_archE1030ELNS1_3gpuE2ELNS1_3repE0EEENS1_30default_config_static_selectorELNS0_4arch9wavefront6targetE0EEEvS14_.uses_vcc, 1
	.set _ZN7rocprim17ROCPRIM_400000_NS6detail17trampoline_kernelINS0_14default_configENS1_22reduce_config_selectorIN6thrust23THRUST_200600_302600_NS5tupleIblNS6_9null_typeES8_S8_S8_S8_S8_S8_S8_EEEEZNS1_11reduce_implILb1ES3_NS6_12zip_iteratorINS7_INS6_11hip_rocprim26transform_input_iterator_tIbNSD_35transform_pair_of_input_iterators_tIbNS6_6detail15normal_iteratorINS6_10device_ptrIKbEEEESL_NS6_8equal_toIbEEEENSG_9not_fun_tINSD_8identityEEEEENSD_19counting_iterator_tIlEES8_S8_S8_S8_S8_S8_S8_S8_EEEEPS9_S9_NSD_9__find_if7functorIS9_EEEE10hipError_tPvRmT1_T2_T3_mT4_P12ihipStream_tbEUlT_E1_NS1_11comp_targetILNS1_3genE8ELNS1_11target_archE1030ELNS1_3gpuE2ELNS1_3repE0EEENS1_30default_config_static_selectorELNS0_4arch9wavefront6targetE0EEEvS14_.uses_flat_scratch, 0
	.set _ZN7rocprim17ROCPRIM_400000_NS6detail17trampoline_kernelINS0_14default_configENS1_22reduce_config_selectorIN6thrust23THRUST_200600_302600_NS5tupleIblNS6_9null_typeES8_S8_S8_S8_S8_S8_S8_EEEEZNS1_11reduce_implILb1ES3_NS6_12zip_iteratorINS7_INS6_11hip_rocprim26transform_input_iterator_tIbNSD_35transform_pair_of_input_iterators_tIbNS6_6detail15normal_iteratorINS6_10device_ptrIKbEEEESL_NS6_8equal_toIbEEEENSG_9not_fun_tINSD_8identityEEEEENSD_19counting_iterator_tIlEES8_S8_S8_S8_S8_S8_S8_S8_EEEEPS9_S9_NSD_9__find_if7functorIS9_EEEE10hipError_tPvRmT1_T2_T3_mT4_P12ihipStream_tbEUlT_E1_NS1_11comp_targetILNS1_3genE8ELNS1_11target_archE1030ELNS1_3gpuE2ELNS1_3repE0EEENS1_30default_config_static_selectorELNS0_4arch9wavefront6targetE0EEEvS14_.has_dyn_sized_stack, 0
	.set _ZN7rocprim17ROCPRIM_400000_NS6detail17trampoline_kernelINS0_14default_configENS1_22reduce_config_selectorIN6thrust23THRUST_200600_302600_NS5tupleIblNS6_9null_typeES8_S8_S8_S8_S8_S8_S8_EEEEZNS1_11reduce_implILb1ES3_NS6_12zip_iteratorINS7_INS6_11hip_rocprim26transform_input_iterator_tIbNSD_35transform_pair_of_input_iterators_tIbNS6_6detail15normal_iteratorINS6_10device_ptrIKbEEEESL_NS6_8equal_toIbEEEENSG_9not_fun_tINSD_8identityEEEEENSD_19counting_iterator_tIlEES8_S8_S8_S8_S8_S8_S8_S8_EEEEPS9_S9_NSD_9__find_if7functorIS9_EEEE10hipError_tPvRmT1_T2_T3_mT4_P12ihipStream_tbEUlT_E1_NS1_11comp_targetILNS1_3genE8ELNS1_11target_archE1030ELNS1_3gpuE2ELNS1_3repE0EEENS1_30default_config_static_selectorELNS0_4arch9wavefront6targetE0EEEvS14_.has_recursion, 0
	.set _ZN7rocprim17ROCPRIM_400000_NS6detail17trampoline_kernelINS0_14default_configENS1_22reduce_config_selectorIN6thrust23THRUST_200600_302600_NS5tupleIblNS6_9null_typeES8_S8_S8_S8_S8_S8_S8_EEEEZNS1_11reduce_implILb1ES3_NS6_12zip_iteratorINS7_INS6_11hip_rocprim26transform_input_iterator_tIbNSD_35transform_pair_of_input_iterators_tIbNS6_6detail15normal_iteratorINS6_10device_ptrIKbEEEESL_NS6_8equal_toIbEEEENSG_9not_fun_tINSD_8identityEEEEENSD_19counting_iterator_tIlEES8_S8_S8_S8_S8_S8_S8_S8_EEEEPS9_S9_NSD_9__find_if7functorIS9_EEEE10hipError_tPvRmT1_T2_T3_mT4_P12ihipStream_tbEUlT_E1_NS1_11comp_targetILNS1_3genE8ELNS1_11target_archE1030ELNS1_3gpuE2ELNS1_3repE0EEENS1_30default_config_static_selectorELNS0_4arch9wavefront6targetE0EEEvS14_.has_indirect_call, 0
	.section	.AMDGPU.csdata,"",@progbits
; Kernel info:
; codeLenInByte = 14580
; TotalNumSgprs: 34
; NumVgprs: 27
; ScratchSize: 0
; MemoryBound: 0
; FloatMode: 240
; IeeeMode: 1
; LDSByteSize: 640 bytes/workgroup (compile time only)
; SGPRBlocks: 0
; VGPRBlocks: 3
; NumSGPRsForWavesPerEU: 34
; NumVGPRsForWavesPerEU: 27
; Occupancy: 16
; WaveLimiterHint : 0
; COMPUTE_PGM_RSRC2:SCRATCH_EN: 0
; COMPUTE_PGM_RSRC2:USER_SGPR: 6
; COMPUTE_PGM_RSRC2:TRAP_HANDLER: 0
; COMPUTE_PGM_RSRC2:TGID_X_EN: 1
; COMPUTE_PGM_RSRC2:TGID_Y_EN: 0
; COMPUTE_PGM_RSRC2:TGID_Z_EN: 0
; COMPUTE_PGM_RSRC2:TIDIG_COMP_CNT: 0
	.section	.text._ZN7rocprim17ROCPRIM_400000_NS6detail17trampoline_kernelINS0_14default_configENS1_29binary_search_config_selectorIN6thrust23THRUST_200600_302600_NS5tupleIiiNS6_9null_typeES8_S8_S8_S8_S8_S8_S8_EEbEEZNS1_14transform_implILb0ES3_SA_NS6_6detail15normal_iteratorINS6_10device_ptrIS9_EEEENSD_INSE_IbEEEEZNS1_13binary_searchIS3_SA_SG_SG_SI_NS1_16binary_search_opENSC_16wrapped_functionINS0_4lessIvEEbEEEE10hipError_tPvRmT1_T2_T3_mmT4_T5_P12ihipStream_tbEUlRKS9_E_EESP_ST_SU_mSV_SY_bEUlT_E_NS1_11comp_targetILNS1_3genE0ELNS1_11target_archE4294967295ELNS1_3gpuE0ELNS1_3repE0EEENS1_30default_config_static_selectorELNS0_4arch9wavefront6targetE0EEEvSS_,"axG",@progbits,_ZN7rocprim17ROCPRIM_400000_NS6detail17trampoline_kernelINS0_14default_configENS1_29binary_search_config_selectorIN6thrust23THRUST_200600_302600_NS5tupleIiiNS6_9null_typeES8_S8_S8_S8_S8_S8_S8_EEbEEZNS1_14transform_implILb0ES3_SA_NS6_6detail15normal_iteratorINS6_10device_ptrIS9_EEEENSD_INSE_IbEEEEZNS1_13binary_searchIS3_SA_SG_SG_SI_NS1_16binary_search_opENSC_16wrapped_functionINS0_4lessIvEEbEEEE10hipError_tPvRmT1_T2_T3_mmT4_T5_P12ihipStream_tbEUlRKS9_E_EESP_ST_SU_mSV_SY_bEUlT_E_NS1_11comp_targetILNS1_3genE0ELNS1_11target_archE4294967295ELNS1_3gpuE0ELNS1_3repE0EEENS1_30default_config_static_selectorELNS0_4arch9wavefront6targetE0EEEvSS_,comdat
	.protected	_ZN7rocprim17ROCPRIM_400000_NS6detail17trampoline_kernelINS0_14default_configENS1_29binary_search_config_selectorIN6thrust23THRUST_200600_302600_NS5tupleIiiNS6_9null_typeES8_S8_S8_S8_S8_S8_S8_EEbEEZNS1_14transform_implILb0ES3_SA_NS6_6detail15normal_iteratorINS6_10device_ptrIS9_EEEENSD_INSE_IbEEEEZNS1_13binary_searchIS3_SA_SG_SG_SI_NS1_16binary_search_opENSC_16wrapped_functionINS0_4lessIvEEbEEEE10hipError_tPvRmT1_T2_T3_mmT4_T5_P12ihipStream_tbEUlRKS9_E_EESP_ST_SU_mSV_SY_bEUlT_E_NS1_11comp_targetILNS1_3genE0ELNS1_11target_archE4294967295ELNS1_3gpuE0ELNS1_3repE0EEENS1_30default_config_static_selectorELNS0_4arch9wavefront6targetE0EEEvSS_ ; -- Begin function _ZN7rocprim17ROCPRIM_400000_NS6detail17trampoline_kernelINS0_14default_configENS1_29binary_search_config_selectorIN6thrust23THRUST_200600_302600_NS5tupleIiiNS6_9null_typeES8_S8_S8_S8_S8_S8_S8_EEbEEZNS1_14transform_implILb0ES3_SA_NS6_6detail15normal_iteratorINS6_10device_ptrIS9_EEEENSD_INSE_IbEEEEZNS1_13binary_searchIS3_SA_SG_SG_SI_NS1_16binary_search_opENSC_16wrapped_functionINS0_4lessIvEEbEEEE10hipError_tPvRmT1_T2_T3_mmT4_T5_P12ihipStream_tbEUlRKS9_E_EESP_ST_SU_mSV_SY_bEUlT_E_NS1_11comp_targetILNS1_3genE0ELNS1_11target_archE4294967295ELNS1_3gpuE0ELNS1_3repE0EEENS1_30default_config_static_selectorELNS0_4arch9wavefront6targetE0EEEvSS_
	.globl	_ZN7rocprim17ROCPRIM_400000_NS6detail17trampoline_kernelINS0_14default_configENS1_29binary_search_config_selectorIN6thrust23THRUST_200600_302600_NS5tupleIiiNS6_9null_typeES8_S8_S8_S8_S8_S8_S8_EEbEEZNS1_14transform_implILb0ES3_SA_NS6_6detail15normal_iteratorINS6_10device_ptrIS9_EEEENSD_INSE_IbEEEEZNS1_13binary_searchIS3_SA_SG_SG_SI_NS1_16binary_search_opENSC_16wrapped_functionINS0_4lessIvEEbEEEE10hipError_tPvRmT1_T2_T3_mmT4_T5_P12ihipStream_tbEUlRKS9_E_EESP_ST_SU_mSV_SY_bEUlT_E_NS1_11comp_targetILNS1_3genE0ELNS1_11target_archE4294967295ELNS1_3gpuE0ELNS1_3repE0EEENS1_30default_config_static_selectorELNS0_4arch9wavefront6targetE0EEEvSS_
	.p2align	8
	.type	_ZN7rocprim17ROCPRIM_400000_NS6detail17trampoline_kernelINS0_14default_configENS1_29binary_search_config_selectorIN6thrust23THRUST_200600_302600_NS5tupleIiiNS6_9null_typeES8_S8_S8_S8_S8_S8_S8_EEbEEZNS1_14transform_implILb0ES3_SA_NS6_6detail15normal_iteratorINS6_10device_ptrIS9_EEEENSD_INSE_IbEEEEZNS1_13binary_searchIS3_SA_SG_SG_SI_NS1_16binary_search_opENSC_16wrapped_functionINS0_4lessIvEEbEEEE10hipError_tPvRmT1_T2_T3_mmT4_T5_P12ihipStream_tbEUlRKS9_E_EESP_ST_SU_mSV_SY_bEUlT_E_NS1_11comp_targetILNS1_3genE0ELNS1_11target_archE4294967295ELNS1_3gpuE0ELNS1_3repE0EEENS1_30default_config_static_selectorELNS0_4arch9wavefront6targetE0EEEvSS_,@function
_ZN7rocprim17ROCPRIM_400000_NS6detail17trampoline_kernelINS0_14default_configENS1_29binary_search_config_selectorIN6thrust23THRUST_200600_302600_NS5tupleIiiNS6_9null_typeES8_S8_S8_S8_S8_S8_S8_EEbEEZNS1_14transform_implILb0ES3_SA_NS6_6detail15normal_iteratorINS6_10device_ptrIS9_EEEENSD_INSE_IbEEEEZNS1_13binary_searchIS3_SA_SG_SG_SI_NS1_16binary_search_opENSC_16wrapped_functionINS0_4lessIvEEbEEEE10hipError_tPvRmT1_T2_T3_mmT4_T5_P12ihipStream_tbEUlRKS9_E_EESP_ST_SU_mSV_SY_bEUlT_E_NS1_11comp_targetILNS1_3genE0ELNS1_11target_archE4294967295ELNS1_3gpuE0ELNS1_3repE0EEENS1_30default_config_static_selectorELNS0_4arch9wavefront6targetE0EEEvSS_: ; @_ZN7rocprim17ROCPRIM_400000_NS6detail17trampoline_kernelINS0_14default_configENS1_29binary_search_config_selectorIN6thrust23THRUST_200600_302600_NS5tupleIiiNS6_9null_typeES8_S8_S8_S8_S8_S8_S8_EEbEEZNS1_14transform_implILb0ES3_SA_NS6_6detail15normal_iteratorINS6_10device_ptrIS9_EEEENSD_INSE_IbEEEEZNS1_13binary_searchIS3_SA_SG_SG_SI_NS1_16binary_search_opENSC_16wrapped_functionINS0_4lessIvEEbEEEE10hipError_tPvRmT1_T2_T3_mmT4_T5_P12ihipStream_tbEUlRKS9_E_EESP_ST_SU_mSV_SY_bEUlT_E_NS1_11comp_targetILNS1_3genE0ELNS1_11target_archE4294967295ELNS1_3gpuE0ELNS1_3repE0EEENS1_30default_config_static_selectorELNS0_4arch9wavefront6targetE0EEEvSS_
; %bb.0:
	.section	.rodata,"a",@progbits
	.p2align	6, 0x0
	.amdhsa_kernel _ZN7rocprim17ROCPRIM_400000_NS6detail17trampoline_kernelINS0_14default_configENS1_29binary_search_config_selectorIN6thrust23THRUST_200600_302600_NS5tupleIiiNS6_9null_typeES8_S8_S8_S8_S8_S8_S8_EEbEEZNS1_14transform_implILb0ES3_SA_NS6_6detail15normal_iteratorINS6_10device_ptrIS9_EEEENSD_INSE_IbEEEEZNS1_13binary_searchIS3_SA_SG_SG_SI_NS1_16binary_search_opENSC_16wrapped_functionINS0_4lessIvEEbEEEE10hipError_tPvRmT1_T2_T3_mmT4_T5_P12ihipStream_tbEUlRKS9_E_EESP_ST_SU_mSV_SY_bEUlT_E_NS1_11comp_targetILNS1_3genE0ELNS1_11target_archE4294967295ELNS1_3gpuE0ELNS1_3repE0EEENS1_30default_config_static_selectorELNS0_4arch9wavefront6targetE0EEEvSS_
		.amdhsa_group_segment_fixed_size 0
		.amdhsa_private_segment_fixed_size 0
		.amdhsa_kernarg_size 56
		.amdhsa_user_sgpr_count 6
		.amdhsa_user_sgpr_private_segment_buffer 1
		.amdhsa_user_sgpr_dispatch_ptr 0
		.amdhsa_user_sgpr_queue_ptr 0
		.amdhsa_user_sgpr_kernarg_segment_ptr 1
		.amdhsa_user_sgpr_dispatch_id 0
		.amdhsa_user_sgpr_flat_scratch_init 0
		.amdhsa_user_sgpr_private_segment_size 0
		.amdhsa_wavefront_size32 1
		.amdhsa_uses_dynamic_stack 0
		.amdhsa_system_sgpr_private_segment_wavefront_offset 0
		.amdhsa_system_sgpr_workgroup_id_x 1
		.amdhsa_system_sgpr_workgroup_id_y 0
		.amdhsa_system_sgpr_workgroup_id_z 0
		.amdhsa_system_sgpr_workgroup_info 0
		.amdhsa_system_vgpr_workitem_id 0
		.amdhsa_next_free_vgpr 1
		.amdhsa_next_free_sgpr 1
		.amdhsa_reserve_vcc 0
		.amdhsa_reserve_flat_scratch 0
		.amdhsa_float_round_mode_32 0
		.amdhsa_float_round_mode_16_64 0
		.amdhsa_float_denorm_mode_32 3
		.amdhsa_float_denorm_mode_16_64 3
		.amdhsa_dx10_clamp 1
		.amdhsa_ieee_mode 1
		.amdhsa_fp16_overflow 0
		.amdhsa_workgroup_processor_mode 1
		.amdhsa_memory_ordered 1
		.amdhsa_forward_progress 1
		.amdhsa_shared_vgpr_count 0
		.amdhsa_exception_fp_ieee_invalid_op 0
		.amdhsa_exception_fp_denorm_src 0
		.amdhsa_exception_fp_ieee_div_zero 0
		.amdhsa_exception_fp_ieee_overflow 0
		.amdhsa_exception_fp_ieee_underflow 0
		.amdhsa_exception_fp_ieee_inexact 0
		.amdhsa_exception_int_div_zero 0
	.end_amdhsa_kernel
	.section	.text._ZN7rocprim17ROCPRIM_400000_NS6detail17trampoline_kernelINS0_14default_configENS1_29binary_search_config_selectorIN6thrust23THRUST_200600_302600_NS5tupleIiiNS6_9null_typeES8_S8_S8_S8_S8_S8_S8_EEbEEZNS1_14transform_implILb0ES3_SA_NS6_6detail15normal_iteratorINS6_10device_ptrIS9_EEEENSD_INSE_IbEEEEZNS1_13binary_searchIS3_SA_SG_SG_SI_NS1_16binary_search_opENSC_16wrapped_functionINS0_4lessIvEEbEEEE10hipError_tPvRmT1_T2_T3_mmT4_T5_P12ihipStream_tbEUlRKS9_E_EESP_ST_SU_mSV_SY_bEUlT_E_NS1_11comp_targetILNS1_3genE0ELNS1_11target_archE4294967295ELNS1_3gpuE0ELNS1_3repE0EEENS1_30default_config_static_selectorELNS0_4arch9wavefront6targetE0EEEvSS_,"axG",@progbits,_ZN7rocprim17ROCPRIM_400000_NS6detail17trampoline_kernelINS0_14default_configENS1_29binary_search_config_selectorIN6thrust23THRUST_200600_302600_NS5tupleIiiNS6_9null_typeES8_S8_S8_S8_S8_S8_S8_EEbEEZNS1_14transform_implILb0ES3_SA_NS6_6detail15normal_iteratorINS6_10device_ptrIS9_EEEENSD_INSE_IbEEEEZNS1_13binary_searchIS3_SA_SG_SG_SI_NS1_16binary_search_opENSC_16wrapped_functionINS0_4lessIvEEbEEEE10hipError_tPvRmT1_T2_T3_mmT4_T5_P12ihipStream_tbEUlRKS9_E_EESP_ST_SU_mSV_SY_bEUlT_E_NS1_11comp_targetILNS1_3genE0ELNS1_11target_archE4294967295ELNS1_3gpuE0ELNS1_3repE0EEENS1_30default_config_static_selectorELNS0_4arch9wavefront6targetE0EEEvSS_,comdat
.Lfunc_end761:
	.size	_ZN7rocprim17ROCPRIM_400000_NS6detail17trampoline_kernelINS0_14default_configENS1_29binary_search_config_selectorIN6thrust23THRUST_200600_302600_NS5tupleIiiNS6_9null_typeES8_S8_S8_S8_S8_S8_S8_EEbEEZNS1_14transform_implILb0ES3_SA_NS6_6detail15normal_iteratorINS6_10device_ptrIS9_EEEENSD_INSE_IbEEEEZNS1_13binary_searchIS3_SA_SG_SG_SI_NS1_16binary_search_opENSC_16wrapped_functionINS0_4lessIvEEbEEEE10hipError_tPvRmT1_T2_T3_mmT4_T5_P12ihipStream_tbEUlRKS9_E_EESP_ST_SU_mSV_SY_bEUlT_E_NS1_11comp_targetILNS1_3genE0ELNS1_11target_archE4294967295ELNS1_3gpuE0ELNS1_3repE0EEENS1_30default_config_static_selectorELNS0_4arch9wavefront6targetE0EEEvSS_, .Lfunc_end761-_ZN7rocprim17ROCPRIM_400000_NS6detail17trampoline_kernelINS0_14default_configENS1_29binary_search_config_selectorIN6thrust23THRUST_200600_302600_NS5tupleIiiNS6_9null_typeES8_S8_S8_S8_S8_S8_S8_EEbEEZNS1_14transform_implILb0ES3_SA_NS6_6detail15normal_iteratorINS6_10device_ptrIS9_EEEENSD_INSE_IbEEEEZNS1_13binary_searchIS3_SA_SG_SG_SI_NS1_16binary_search_opENSC_16wrapped_functionINS0_4lessIvEEbEEEE10hipError_tPvRmT1_T2_T3_mmT4_T5_P12ihipStream_tbEUlRKS9_E_EESP_ST_SU_mSV_SY_bEUlT_E_NS1_11comp_targetILNS1_3genE0ELNS1_11target_archE4294967295ELNS1_3gpuE0ELNS1_3repE0EEENS1_30default_config_static_selectorELNS0_4arch9wavefront6targetE0EEEvSS_
                                        ; -- End function
	.set _ZN7rocprim17ROCPRIM_400000_NS6detail17trampoline_kernelINS0_14default_configENS1_29binary_search_config_selectorIN6thrust23THRUST_200600_302600_NS5tupleIiiNS6_9null_typeES8_S8_S8_S8_S8_S8_S8_EEbEEZNS1_14transform_implILb0ES3_SA_NS6_6detail15normal_iteratorINS6_10device_ptrIS9_EEEENSD_INSE_IbEEEEZNS1_13binary_searchIS3_SA_SG_SG_SI_NS1_16binary_search_opENSC_16wrapped_functionINS0_4lessIvEEbEEEE10hipError_tPvRmT1_T2_T3_mmT4_T5_P12ihipStream_tbEUlRKS9_E_EESP_ST_SU_mSV_SY_bEUlT_E_NS1_11comp_targetILNS1_3genE0ELNS1_11target_archE4294967295ELNS1_3gpuE0ELNS1_3repE0EEENS1_30default_config_static_selectorELNS0_4arch9wavefront6targetE0EEEvSS_.num_vgpr, 0
	.set _ZN7rocprim17ROCPRIM_400000_NS6detail17trampoline_kernelINS0_14default_configENS1_29binary_search_config_selectorIN6thrust23THRUST_200600_302600_NS5tupleIiiNS6_9null_typeES8_S8_S8_S8_S8_S8_S8_EEbEEZNS1_14transform_implILb0ES3_SA_NS6_6detail15normal_iteratorINS6_10device_ptrIS9_EEEENSD_INSE_IbEEEEZNS1_13binary_searchIS3_SA_SG_SG_SI_NS1_16binary_search_opENSC_16wrapped_functionINS0_4lessIvEEbEEEE10hipError_tPvRmT1_T2_T3_mmT4_T5_P12ihipStream_tbEUlRKS9_E_EESP_ST_SU_mSV_SY_bEUlT_E_NS1_11comp_targetILNS1_3genE0ELNS1_11target_archE4294967295ELNS1_3gpuE0ELNS1_3repE0EEENS1_30default_config_static_selectorELNS0_4arch9wavefront6targetE0EEEvSS_.num_agpr, 0
	.set _ZN7rocprim17ROCPRIM_400000_NS6detail17trampoline_kernelINS0_14default_configENS1_29binary_search_config_selectorIN6thrust23THRUST_200600_302600_NS5tupleIiiNS6_9null_typeES8_S8_S8_S8_S8_S8_S8_EEbEEZNS1_14transform_implILb0ES3_SA_NS6_6detail15normal_iteratorINS6_10device_ptrIS9_EEEENSD_INSE_IbEEEEZNS1_13binary_searchIS3_SA_SG_SG_SI_NS1_16binary_search_opENSC_16wrapped_functionINS0_4lessIvEEbEEEE10hipError_tPvRmT1_T2_T3_mmT4_T5_P12ihipStream_tbEUlRKS9_E_EESP_ST_SU_mSV_SY_bEUlT_E_NS1_11comp_targetILNS1_3genE0ELNS1_11target_archE4294967295ELNS1_3gpuE0ELNS1_3repE0EEENS1_30default_config_static_selectorELNS0_4arch9wavefront6targetE0EEEvSS_.numbered_sgpr, 0
	.set _ZN7rocprim17ROCPRIM_400000_NS6detail17trampoline_kernelINS0_14default_configENS1_29binary_search_config_selectorIN6thrust23THRUST_200600_302600_NS5tupleIiiNS6_9null_typeES8_S8_S8_S8_S8_S8_S8_EEbEEZNS1_14transform_implILb0ES3_SA_NS6_6detail15normal_iteratorINS6_10device_ptrIS9_EEEENSD_INSE_IbEEEEZNS1_13binary_searchIS3_SA_SG_SG_SI_NS1_16binary_search_opENSC_16wrapped_functionINS0_4lessIvEEbEEEE10hipError_tPvRmT1_T2_T3_mmT4_T5_P12ihipStream_tbEUlRKS9_E_EESP_ST_SU_mSV_SY_bEUlT_E_NS1_11comp_targetILNS1_3genE0ELNS1_11target_archE4294967295ELNS1_3gpuE0ELNS1_3repE0EEENS1_30default_config_static_selectorELNS0_4arch9wavefront6targetE0EEEvSS_.num_named_barrier, 0
	.set _ZN7rocprim17ROCPRIM_400000_NS6detail17trampoline_kernelINS0_14default_configENS1_29binary_search_config_selectorIN6thrust23THRUST_200600_302600_NS5tupleIiiNS6_9null_typeES8_S8_S8_S8_S8_S8_S8_EEbEEZNS1_14transform_implILb0ES3_SA_NS6_6detail15normal_iteratorINS6_10device_ptrIS9_EEEENSD_INSE_IbEEEEZNS1_13binary_searchIS3_SA_SG_SG_SI_NS1_16binary_search_opENSC_16wrapped_functionINS0_4lessIvEEbEEEE10hipError_tPvRmT1_T2_T3_mmT4_T5_P12ihipStream_tbEUlRKS9_E_EESP_ST_SU_mSV_SY_bEUlT_E_NS1_11comp_targetILNS1_3genE0ELNS1_11target_archE4294967295ELNS1_3gpuE0ELNS1_3repE0EEENS1_30default_config_static_selectorELNS0_4arch9wavefront6targetE0EEEvSS_.private_seg_size, 0
	.set _ZN7rocprim17ROCPRIM_400000_NS6detail17trampoline_kernelINS0_14default_configENS1_29binary_search_config_selectorIN6thrust23THRUST_200600_302600_NS5tupleIiiNS6_9null_typeES8_S8_S8_S8_S8_S8_S8_EEbEEZNS1_14transform_implILb0ES3_SA_NS6_6detail15normal_iteratorINS6_10device_ptrIS9_EEEENSD_INSE_IbEEEEZNS1_13binary_searchIS3_SA_SG_SG_SI_NS1_16binary_search_opENSC_16wrapped_functionINS0_4lessIvEEbEEEE10hipError_tPvRmT1_T2_T3_mmT4_T5_P12ihipStream_tbEUlRKS9_E_EESP_ST_SU_mSV_SY_bEUlT_E_NS1_11comp_targetILNS1_3genE0ELNS1_11target_archE4294967295ELNS1_3gpuE0ELNS1_3repE0EEENS1_30default_config_static_selectorELNS0_4arch9wavefront6targetE0EEEvSS_.uses_vcc, 0
	.set _ZN7rocprim17ROCPRIM_400000_NS6detail17trampoline_kernelINS0_14default_configENS1_29binary_search_config_selectorIN6thrust23THRUST_200600_302600_NS5tupleIiiNS6_9null_typeES8_S8_S8_S8_S8_S8_S8_EEbEEZNS1_14transform_implILb0ES3_SA_NS6_6detail15normal_iteratorINS6_10device_ptrIS9_EEEENSD_INSE_IbEEEEZNS1_13binary_searchIS3_SA_SG_SG_SI_NS1_16binary_search_opENSC_16wrapped_functionINS0_4lessIvEEbEEEE10hipError_tPvRmT1_T2_T3_mmT4_T5_P12ihipStream_tbEUlRKS9_E_EESP_ST_SU_mSV_SY_bEUlT_E_NS1_11comp_targetILNS1_3genE0ELNS1_11target_archE4294967295ELNS1_3gpuE0ELNS1_3repE0EEENS1_30default_config_static_selectorELNS0_4arch9wavefront6targetE0EEEvSS_.uses_flat_scratch, 0
	.set _ZN7rocprim17ROCPRIM_400000_NS6detail17trampoline_kernelINS0_14default_configENS1_29binary_search_config_selectorIN6thrust23THRUST_200600_302600_NS5tupleIiiNS6_9null_typeES8_S8_S8_S8_S8_S8_S8_EEbEEZNS1_14transform_implILb0ES3_SA_NS6_6detail15normal_iteratorINS6_10device_ptrIS9_EEEENSD_INSE_IbEEEEZNS1_13binary_searchIS3_SA_SG_SG_SI_NS1_16binary_search_opENSC_16wrapped_functionINS0_4lessIvEEbEEEE10hipError_tPvRmT1_T2_T3_mmT4_T5_P12ihipStream_tbEUlRKS9_E_EESP_ST_SU_mSV_SY_bEUlT_E_NS1_11comp_targetILNS1_3genE0ELNS1_11target_archE4294967295ELNS1_3gpuE0ELNS1_3repE0EEENS1_30default_config_static_selectorELNS0_4arch9wavefront6targetE0EEEvSS_.has_dyn_sized_stack, 0
	.set _ZN7rocprim17ROCPRIM_400000_NS6detail17trampoline_kernelINS0_14default_configENS1_29binary_search_config_selectorIN6thrust23THRUST_200600_302600_NS5tupleIiiNS6_9null_typeES8_S8_S8_S8_S8_S8_S8_EEbEEZNS1_14transform_implILb0ES3_SA_NS6_6detail15normal_iteratorINS6_10device_ptrIS9_EEEENSD_INSE_IbEEEEZNS1_13binary_searchIS3_SA_SG_SG_SI_NS1_16binary_search_opENSC_16wrapped_functionINS0_4lessIvEEbEEEE10hipError_tPvRmT1_T2_T3_mmT4_T5_P12ihipStream_tbEUlRKS9_E_EESP_ST_SU_mSV_SY_bEUlT_E_NS1_11comp_targetILNS1_3genE0ELNS1_11target_archE4294967295ELNS1_3gpuE0ELNS1_3repE0EEENS1_30default_config_static_selectorELNS0_4arch9wavefront6targetE0EEEvSS_.has_recursion, 0
	.set _ZN7rocprim17ROCPRIM_400000_NS6detail17trampoline_kernelINS0_14default_configENS1_29binary_search_config_selectorIN6thrust23THRUST_200600_302600_NS5tupleIiiNS6_9null_typeES8_S8_S8_S8_S8_S8_S8_EEbEEZNS1_14transform_implILb0ES3_SA_NS6_6detail15normal_iteratorINS6_10device_ptrIS9_EEEENSD_INSE_IbEEEEZNS1_13binary_searchIS3_SA_SG_SG_SI_NS1_16binary_search_opENSC_16wrapped_functionINS0_4lessIvEEbEEEE10hipError_tPvRmT1_T2_T3_mmT4_T5_P12ihipStream_tbEUlRKS9_E_EESP_ST_SU_mSV_SY_bEUlT_E_NS1_11comp_targetILNS1_3genE0ELNS1_11target_archE4294967295ELNS1_3gpuE0ELNS1_3repE0EEENS1_30default_config_static_selectorELNS0_4arch9wavefront6targetE0EEEvSS_.has_indirect_call, 0
	.section	.AMDGPU.csdata,"",@progbits
; Kernel info:
; codeLenInByte = 0
; TotalNumSgprs: 0
; NumVgprs: 0
; ScratchSize: 0
; MemoryBound: 0
; FloatMode: 240
; IeeeMode: 1
; LDSByteSize: 0 bytes/workgroup (compile time only)
; SGPRBlocks: 0
; VGPRBlocks: 0
; NumSGPRsForWavesPerEU: 1
; NumVGPRsForWavesPerEU: 1
; Occupancy: 16
; WaveLimiterHint : 0
; COMPUTE_PGM_RSRC2:SCRATCH_EN: 0
; COMPUTE_PGM_RSRC2:USER_SGPR: 6
; COMPUTE_PGM_RSRC2:TRAP_HANDLER: 0
; COMPUTE_PGM_RSRC2:TGID_X_EN: 1
; COMPUTE_PGM_RSRC2:TGID_Y_EN: 0
; COMPUTE_PGM_RSRC2:TGID_Z_EN: 0
; COMPUTE_PGM_RSRC2:TIDIG_COMP_CNT: 0
	.section	.text._ZN7rocprim17ROCPRIM_400000_NS6detail17trampoline_kernelINS0_14default_configENS1_29binary_search_config_selectorIN6thrust23THRUST_200600_302600_NS5tupleIiiNS6_9null_typeES8_S8_S8_S8_S8_S8_S8_EEbEEZNS1_14transform_implILb0ES3_SA_NS6_6detail15normal_iteratorINS6_10device_ptrIS9_EEEENSD_INSE_IbEEEEZNS1_13binary_searchIS3_SA_SG_SG_SI_NS1_16binary_search_opENSC_16wrapped_functionINS0_4lessIvEEbEEEE10hipError_tPvRmT1_T2_T3_mmT4_T5_P12ihipStream_tbEUlRKS9_E_EESP_ST_SU_mSV_SY_bEUlT_E_NS1_11comp_targetILNS1_3genE5ELNS1_11target_archE942ELNS1_3gpuE9ELNS1_3repE0EEENS1_30default_config_static_selectorELNS0_4arch9wavefront6targetE0EEEvSS_,"axG",@progbits,_ZN7rocprim17ROCPRIM_400000_NS6detail17trampoline_kernelINS0_14default_configENS1_29binary_search_config_selectorIN6thrust23THRUST_200600_302600_NS5tupleIiiNS6_9null_typeES8_S8_S8_S8_S8_S8_S8_EEbEEZNS1_14transform_implILb0ES3_SA_NS6_6detail15normal_iteratorINS6_10device_ptrIS9_EEEENSD_INSE_IbEEEEZNS1_13binary_searchIS3_SA_SG_SG_SI_NS1_16binary_search_opENSC_16wrapped_functionINS0_4lessIvEEbEEEE10hipError_tPvRmT1_T2_T3_mmT4_T5_P12ihipStream_tbEUlRKS9_E_EESP_ST_SU_mSV_SY_bEUlT_E_NS1_11comp_targetILNS1_3genE5ELNS1_11target_archE942ELNS1_3gpuE9ELNS1_3repE0EEENS1_30default_config_static_selectorELNS0_4arch9wavefront6targetE0EEEvSS_,comdat
	.protected	_ZN7rocprim17ROCPRIM_400000_NS6detail17trampoline_kernelINS0_14default_configENS1_29binary_search_config_selectorIN6thrust23THRUST_200600_302600_NS5tupleIiiNS6_9null_typeES8_S8_S8_S8_S8_S8_S8_EEbEEZNS1_14transform_implILb0ES3_SA_NS6_6detail15normal_iteratorINS6_10device_ptrIS9_EEEENSD_INSE_IbEEEEZNS1_13binary_searchIS3_SA_SG_SG_SI_NS1_16binary_search_opENSC_16wrapped_functionINS0_4lessIvEEbEEEE10hipError_tPvRmT1_T2_T3_mmT4_T5_P12ihipStream_tbEUlRKS9_E_EESP_ST_SU_mSV_SY_bEUlT_E_NS1_11comp_targetILNS1_3genE5ELNS1_11target_archE942ELNS1_3gpuE9ELNS1_3repE0EEENS1_30default_config_static_selectorELNS0_4arch9wavefront6targetE0EEEvSS_ ; -- Begin function _ZN7rocprim17ROCPRIM_400000_NS6detail17trampoline_kernelINS0_14default_configENS1_29binary_search_config_selectorIN6thrust23THRUST_200600_302600_NS5tupleIiiNS6_9null_typeES8_S8_S8_S8_S8_S8_S8_EEbEEZNS1_14transform_implILb0ES3_SA_NS6_6detail15normal_iteratorINS6_10device_ptrIS9_EEEENSD_INSE_IbEEEEZNS1_13binary_searchIS3_SA_SG_SG_SI_NS1_16binary_search_opENSC_16wrapped_functionINS0_4lessIvEEbEEEE10hipError_tPvRmT1_T2_T3_mmT4_T5_P12ihipStream_tbEUlRKS9_E_EESP_ST_SU_mSV_SY_bEUlT_E_NS1_11comp_targetILNS1_3genE5ELNS1_11target_archE942ELNS1_3gpuE9ELNS1_3repE0EEENS1_30default_config_static_selectorELNS0_4arch9wavefront6targetE0EEEvSS_
	.globl	_ZN7rocprim17ROCPRIM_400000_NS6detail17trampoline_kernelINS0_14default_configENS1_29binary_search_config_selectorIN6thrust23THRUST_200600_302600_NS5tupleIiiNS6_9null_typeES8_S8_S8_S8_S8_S8_S8_EEbEEZNS1_14transform_implILb0ES3_SA_NS6_6detail15normal_iteratorINS6_10device_ptrIS9_EEEENSD_INSE_IbEEEEZNS1_13binary_searchIS3_SA_SG_SG_SI_NS1_16binary_search_opENSC_16wrapped_functionINS0_4lessIvEEbEEEE10hipError_tPvRmT1_T2_T3_mmT4_T5_P12ihipStream_tbEUlRKS9_E_EESP_ST_SU_mSV_SY_bEUlT_E_NS1_11comp_targetILNS1_3genE5ELNS1_11target_archE942ELNS1_3gpuE9ELNS1_3repE0EEENS1_30default_config_static_selectorELNS0_4arch9wavefront6targetE0EEEvSS_
	.p2align	8
	.type	_ZN7rocprim17ROCPRIM_400000_NS6detail17trampoline_kernelINS0_14default_configENS1_29binary_search_config_selectorIN6thrust23THRUST_200600_302600_NS5tupleIiiNS6_9null_typeES8_S8_S8_S8_S8_S8_S8_EEbEEZNS1_14transform_implILb0ES3_SA_NS6_6detail15normal_iteratorINS6_10device_ptrIS9_EEEENSD_INSE_IbEEEEZNS1_13binary_searchIS3_SA_SG_SG_SI_NS1_16binary_search_opENSC_16wrapped_functionINS0_4lessIvEEbEEEE10hipError_tPvRmT1_T2_T3_mmT4_T5_P12ihipStream_tbEUlRKS9_E_EESP_ST_SU_mSV_SY_bEUlT_E_NS1_11comp_targetILNS1_3genE5ELNS1_11target_archE942ELNS1_3gpuE9ELNS1_3repE0EEENS1_30default_config_static_selectorELNS0_4arch9wavefront6targetE0EEEvSS_,@function
_ZN7rocprim17ROCPRIM_400000_NS6detail17trampoline_kernelINS0_14default_configENS1_29binary_search_config_selectorIN6thrust23THRUST_200600_302600_NS5tupleIiiNS6_9null_typeES8_S8_S8_S8_S8_S8_S8_EEbEEZNS1_14transform_implILb0ES3_SA_NS6_6detail15normal_iteratorINS6_10device_ptrIS9_EEEENSD_INSE_IbEEEEZNS1_13binary_searchIS3_SA_SG_SG_SI_NS1_16binary_search_opENSC_16wrapped_functionINS0_4lessIvEEbEEEE10hipError_tPvRmT1_T2_T3_mmT4_T5_P12ihipStream_tbEUlRKS9_E_EESP_ST_SU_mSV_SY_bEUlT_E_NS1_11comp_targetILNS1_3genE5ELNS1_11target_archE942ELNS1_3gpuE9ELNS1_3repE0EEENS1_30default_config_static_selectorELNS0_4arch9wavefront6targetE0EEEvSS_: ; @_ZN7rocprim17ROCPRIM_400000_NS6detail17trampoline_kernelINS0_14default_configENS1_29binary_search_config_selectorIN6thrust23THRUST_200600_302600_NS5tupleIiiNS6_9null_typeES8_S8_S8_S8_S8_S8_S8_EEbEEZNS1_14transform_implILb0ES3_SA_NS6_6detail15normal_iteratorINS6_10device_ptrIS9_EEEENSD_INSE_IbEEEEZNS1_13binary_searchIS3_SA_SG_SG_SI_NS1_16binary_search_opENSC_16wrapped_functionINS0_4lessIvEEbEEEE10hipError_tPvRmT1_T2_T3_mmT4_T5_P12ihipStream_tbEUlRKS9_E_EESP_ST_SU_mSV_SY_bEUlT_E_NS1_11comp_targetILNS1_3genE5ELNS1_11target_archE942ELNS1_3gpuE9ELNS1_3repE0EEENS1_30default_config_static_selectorELNS0_4arch9wavefront6targetE0EEEvSS_
; %bb.0:
	.section	.rodata,"a",@progbits
	.p2align	6, 0x0
	.amdhsa_kernel _ZN7rocprim17ROCPRIM_400000_NS6detail17trampoline_kernelINS0_14default_configENS1_29binary_search_config_selectorIN6thrust23THRUST_200600_302600_NS5tupleIiiNS6_9null_typeES8_S8_S8_S8_S8_S8_S8_EEbEEZNS1_14transform_implILb0ES3_SA_NS6_6detail15normal_iteratorINS6_10device_ptrIS9_EEEENSD_INSE_IbEEEEZNS1_13binary_searchIS3_SA_SG_SG_SI_NS1_16binary_search_opENSC_16wrapped_functionINS0_4lessIvEEbEEEE10hipError_tPvRmT1_T2_T3_mmT4_T5_P12ihipStream_tbEUlRKS9_E_EESP_ST_SU_mSV_SY_bEUlT_E_NS1_11comp_targetILNS1_3genE5ELNS1_11target_archE942ELNS1_3gpuE9ELNS1_3repE0EEENS1_30default_config_static_selectorELNS0_4arch9wavefront6targetE0EEEvSS_
		.amdhsa_group_segment_fixed_size 0
		.amdhsa_private_segment_fixed_size 0
		.amdhsa_kernarg_size 56
		.amdhsa_user_sgpr_count 6
		.amdhsa_user_sgpr_private_segment_buffer 1
		.amdhsa_user_sgpr_dispatch_ptr 0
		.amdhsa_user_sgpr_queue_ptr 0
		.amdhsa_user_sgpr_kernarg_segment_ptr 1
		.amdhsa_user_sgpr_dispatch_id 0
		.amdhsa_user_sgpr_flat_scratch_init 0
		.amdhsa_user_sgpr_private_segment_size 0
		.amdhsa_wavefront_size32 1
		.amdhsa_uses_dynamic_stack 0
		.amdhsa_system_sgpr_private_segment_wavefront_offset 0
		.amdhsa_system_sgpr_workgroup_id_x 1
		.amdhsa_system_sgpr_workgroup_id_y 0
		.amdhsa_system_sgpr_workgroup_id_z 0
		.amdhsa_system_sgpr_workgroup_info 0
		.amdhsa_system_vgpr_workitem_id 0
		.amdhsa_next_free_vgpr 1
		.amdhsa_next_free_sgpr 1
		.amdhsa_reserve_vcc 0
		.amdhsa_reserve_flat_scratch 0
		.amdhsa_float_round_mode_32 0
		.amdhsa_float_round_mode_16_64 0
		.amdhsa_float_denorm_mode_32 3
		.amdhsa_float_denorm_mode_16_64 3
		.amdhsa_dx10_clamp 1
		.amdhsa_ieee_mode 1
		.amdhsa_fp16_overflow 0
		.amdhsa_workgroup_processor_mode 1
		.amdhsa_memory_ordered 1
		.amdhsa_forward_progress 1
		.amdhsa_shared_vgpr_count 0
		.amdhsa_exception_fp_ieee_invalid_op 0
		.amdhsa_exception_fp_denorm_src 0
		.amdhsa_exception_fp_ieee_div_zero 0
		.amdhsa_exception_fp_ieee_overflow 0
		.amdhsa_exception_fp_ieee_underflow 0
		.amdhsa_exception_fp_ieee_inexact 0
		.amdhsa_exception_int_div_zero 0
	.end_amdhsa_kernel
	.section	.text._ZN7rocprim17ROCPRIM_400000_NS6detail17trampoline_kernelINS0_14default_configENS1_29binary_search_config_selectorIN6thrust23THRUST_200600_302600_NS5tupleIiiNS6_9null_typeES8_S8_S8_S8_S8_S8_S8_EEbEEZNS1_14transform_implILb0ES3_SA_NS6_6detail15normal_iteratorINS6_10device_ptrIS9_EEEENSD_INSE_IbEEEEZNS1_13binary_searchIS3_SA_SG_SG_SI_NS1_16binary_search_opENSC_16wrapped_functionINS0_4lessIvEEbEEEE10hipError_tPvRmT1_T2_T3_mmT4_T5_P12ihipStream_tbEUlRKS9_E_EESP_ST_SU_mSV_SY_bEUlT_E_NS1_11comp_targetILNS1_3genE5ELNS1_11target_archE942ELNS1_3gpuE9ELNS1_3repE0EEENS1_30default_config_static_selectorELNS0_4arch9wavefront6targetE0EEEvSS_,"axG",@progbits,_ZN7rocprim17ROCPRIM_400000_NS6detail17trampoline_kernelINS0_14default_configENS1_29binary_search_config_selectorIN6thrust23THRUST_200600_302600_NS5tupleIiiNS6_9null_typeES8_S8_S8_S8_S8_S8_S8_EEbEEZNS1_14transform_implILb0ES3_SA_NS6_6detail15normal_iteratorINS6_10device_ptrIS9_EEEENSD_INSE_IbEEEEZNS1_13binary_searchIS3_SA_SG_SG_SI_NS1_16binary_search_opENSC_16wrapped_functionINS0_4lessIvEEbEEEE10hipError_tPvRmT1_T2_T3_mmT4_T5_P12ihipStream_tbEUlRKS9_E_EESP_ST_SU_mSV_SY_bEUlT_E_NS1_11comp_targetILNS1_3genE5ELNS1_11target_archE942ELNS1_3gpuE9ELNS1_3repE0EEENS1_30default_config_static_selectorELNS0_4arch9wavefront6targetE0EEEvSS_,comdat
.Lfunc_end762:
	.size	_ZN7rocprim17ROCPRIM_400000_NS6detail17trampoline_kernelINS0_14default_configENS1_29binary_search_config_selectorIN6thrust23THRUST_200600_302600_NS5tupleIiiNS6_9null_typeES8_S8_S8_S8_S8_S8_S8_EEbEEZNS1_14transform_implILb0ES3_SA_NS6_6detail15normal_iteratorINS6_10device_ptrIS9_EEEENSD_INSE_IbEEEEZNS1_13binary_searchIS3_SA_SG_SG_SI_NS1_16binary_search_opENSC_16wrapped_functionINS0_4lessIvEEbEEEE10hipError_tPvRmT1_T2_T3_mmT4_T5_P12ihipStream_tbEUlRKS9_E_EESP_ST_SU_mSV_SY_bEUlT_E_NS1_11comp_targetILNS1_3genE5ELNS1_11target_archE942ELNS1_3gpuE9ELNS1_3repE0EEENS1_30default_config_static_selectorELNS0_4arch9wavefront6targetE0EEEvSS_, .Lfunc_end762-_ZN7rocprim17ROCPRIM_400000_NS6detail17trampoline_kernelINS0_14default_configENS1_29binary_search_config_selectorIN6thrust23THRUST_200600_302600_NS5tupleIiiNS6_9null_typeES8_S8_S8_S8_S8_S8_S8_EEbEEZNS1_14transform_implILb0ES3_SA_NS6_6detail15normal_iteratorINS6_10device_ptrIS9_EEEENSD_INSE_IbEEEEZNS1_13binary_searchIS3_SA_SG_SG_SI_NS1_16binary_search_opENSC_16wrapped_functionINS0_4lessIvEEbEEEE10hipError_tPvRmT1_T2_T3_mmT4_T5_P12ihipStream_tbEUlRKS9_E_EESP_ST_SU_mSV_SY_bEUlT_E_NS1_11comp_targetILNS1_3genE5ELNS1_11target_archE942ELNS1_3gpuE9ELNS1_3repE0EEENS1_30default_config_static_selectorELNS0_4arch9wavefront6targetE0EEEvSS_
                                        ; -- End function
	.set _ZN7rocprim17ROCPRIM_400000_NS6detail17trampoline_kernelINS0_14default_configENS1_29binary_search_config_selectorIN6thrust23THRUST_200600_302600_NS5tupleIiiNS6_9null_typeES8_S8_S8_S8_S8_S8_S8_EEbEEZNS1_14transform_implILb0ES3_SA_NS6_6detail15normal_iteratorINS6_10device_ptrIS9_EEEENSD_INSE_IbEEEEZNS1_13binary_searchIS3_SA_SG_SG_SI_NS1_16binary_search_opENSC_16wrapped_functionINS0_4lessIvEEbEEEE10hipError_tPvRmT1_T2_T3_mmT4_T5_P12ihipStream_tbEUlRKS9_E_EESP_ST_SU_mSV_SY_bEUlT_E_NS1_11comp_targetILNS1_3genE5ELNS1_11target_archE942ELNS1_3gpuE9ELNS1_3repE0EEENS1_30default_config_static_selectorELNS0_4arch9wavefront6targetE0EEEvSS_.num_vgpr, 0
	.set _ZN7rocprim17ROCPRIM_400000_NS6detail17trampoline_kernelINS0_14default_configENS1_29binary_search_config_selectorIN6thrust23THRUST_200600_302600_NS5tupleIiiNS6_9null_typeES8_S8_S8_S8_S8_S8_S8_EEbEEZNS1_14transform_implILb0ES3_SA_NS6_6detail15normal_iteratorINS6_10device_ptrIS9_EEEENSD_INSE_IbEEEEZNS1_13binary_searchIS3_SA_SG_SG_SI_NS1_16binary_search_opENSC_16wrapped_functionINS0_4lessIvEEbEEEE10hipError_tPvRmT1_T2_T3_mmT4_T5_P12ihipStream_tbEUlRKS9_E_EESP_ST_SU_mSV_SY_bEUlT_E_NS1_11comp_targetILNS1_3genE5ELNS1_11target_archE942ELNS1_3gpuE9ELNS1_3repE0EEENS1_30default_config_static_selectorELNS0_4arch9wavefront6targetE0EEEvSS_.num_agpr, 0
	.set _ZN7rocprim17ROCPRIM_400000_NS6detail17trampoline_kernelINS0_14default_configENS1_29binary_search_config_selectorIN6thrust23THRUST_200600_302600_NS5tupleIiiNS6_9null_typeES8_S8_S8_S8_S8_S8_S8_EEbEEZNS1_14transform_implILb0ES3_SA_NS6_6detail15normal_iteratorINS6_10device_ptrIS9_EEEENSD_INSE_IbEEEEZNS1_13binary_searchIS3_SA_SG_SG_SI_NS1_16binary_search_opENSC_16wrapped_functionINS0_4lessIvEEbEEEE10hipError_tPvRmT1_T2_T3_mmT4_T5_P12ihipStream_tbEUlRKS9_E_EESP_ST_SU_mSV_SY_bEUlT_E_NS1_11comp_targetILNS1_3genE5ELNS1_11target_archE942ELNS1_3gpuE9ELNS1_3repE0EEENS1_30default_config_static_selectorELNS0_4arch9wavefront6targetE0EEEvSS_.numbered_sgpr, 0
	.set _ZN7rocprim17ROCPRIM_400000_NS6detail17trampoline_kernelINS0_14default_configENS1_29binary_search_config_selectorIN6thrust23THRUST_200600_302600_NS5tupleIiiNS6_9null_typeES8_S8_S8_S8_S8_S8_S8_EEbEEZNS1_14transform_implILb0ES3_SA_NS6_6detail15normal_iteratorINS6_10device_ptrIS9_EEEENSD_INSE_IbEEEEZNS1_13binary_searchIS3_SA_SG_SG_SI_NS1_16binary_search_opENSC_16wrapped_functionINS0_4lessIvEEbEEEE10hipError_tPvRmT1_T2_T3_mmT4_T5_P12ihipStream_tbEUlRKS9_E_EESP_ST_SU_mSV_SY_bEUlT_E_NS1_11comp_targetILNS1_3genE5ELNS1_11target_archE942ELNS1_3gpuE9ELNS1_3repE0EEENS1_30default_config_static_selectorELNS0_4arch9wavefront6targetE0EEEvSS_.num_named_barrier, 0
	.set _ZN7rocprim17ROCPRIM_400000_NS6detail17trampoline_kernelINS0_14default_configENS1_29binary_search_config_selectorIN6thrust23THRUST_200600_302600_NS5tupleIiiNS6_9null_typeES8_S8_S8_S8_S8_S8_S8_EEbEEZNS1_14transform_implILb0ES3_SA_NS6_6detail15normal_iteratorINS6_10device_ptrIS9_EEEENSD_INSE_IbEEEEZNS1_13binary_searchIS3_SA_SG_SG_SI_NS1_16binary_search_opENSC_16wrapped_functionINS0_4lessIvEEbEEEE10hipError_tPvRmT1_T2_T3_mmT4_T5_P12ihipStream_tbEUlRKS9_E_EESP_ST_SU_mSV_SY_bEUlT_E_NS1_11comp_targetILNS1_3genE5ELNS1_11target_archE942ELNS1_3gpuE9ELNS1_3repE0EEENS1_30default_config_static_selectorELNS0_4arch9wavefront6targetE0EEEvSS_.private_seg_size, 0
	.set _ZN7rocprim17ROCPRIM_400000_NS6detail17trampoline_kernelINS0_14default_configENS1_29binary_search_config_selectorIN6thrust23THRUST_200600_302600_NS5tupleIiiNS6_9null_typeES8_S8_S8_S8_S8_S8_S8_EEbEEZNS1_14transform_implILb0ES3_SA_NS6_6detail15normal_iteratorINS6_10device_ptrIS9_EEEENSD_INSE_IbEEEEZNS1_13binary_searchIS3_SA_SG_SG_SI_NS1_16binary_search_opENSC_16wrapped_functionINS0_4lessIvEEbEEEE10hipError_tPvRmT1_T2_T3_mmT4_T5_P12ihipStream_tbEUlRKS9_E_EESP_ST_SU_mSV_SY_bEUlT_E_NS1_11comp_targetILNS1_3genE5ELNS1_11target_archE942ELNS1_3gpuE9ELNS1_3repE0EEENS1_30default_config_static_selectorELNS0_4arch9wavefront6targetE0EEEvSS_.uses_vcc, 0
	.set _ZN7rocprim17ROCPRIM_400000_NS6detail17trampoline_kernelINS0_14default_configENS1_29binary_search_config_selectorIN6thrust23THRUST_200600_302600_NS5tupleIiiNS6_9null_typeES8_S8_S8_S8_S8_S8_S8_EEbEEZNS1_14transform_implILb0ES3_SA_NS6_6detail15normal_iteratorINS6_10device_ptrIS9_EEEENSD_INSE_IbEEEEZNS1_13binary_searchIS3_SA_SG_SG_SI_NS1_16binary_search_opENSC_16wrapped_functionINS0_4lessIvEEbEEEE10hipError_tPvRmT1_T2_T3_mmT4_T5_P12ihipStream_tbEUlRKS9_E_EESP_ST_SU_mSV_SY_bEUlT_E_NS1_11comp_targetILNS1_3genE5ELNS1_11target_archE942ELNS1_3gpuE9ELNS1_3repE0EEENS1_30default_config_static_selectorELNS0_4arch9wavefront6targetE0EEEvSS_.uses_flat_scratch, 0
	.set _ZN7rocprim17ROCPRIM_400000_NS6detail17trampoline_kernelINS0_14default_configENS1_29binary_search_config_selectorIN6thrust23THRUST_200600_302600_NS5tupleIiiNS6_9null_typeES8_S8_S8_S8_S8_S8_S8_EEbEEZNS1_14transform_implILb0ES3_SA_NS6_6detail15normal_iteratorINS6_10device_ptrIS9_EEEENSD_INSE_IbEEEEZNS1_13binary_searchIS3_SA_SG_SG_SI_NS1_16binary_search_opENSC_16wrapped_functionINS0_4lessIvEEbEEEE10hipError_tPvRmT1_T2_T3_mmT4_T5_P12ihipStream_tbEUlRKS9_E_EESP_ST_SU_mSV_SY_bEUlT_E_NS1_11comp_targetILNS1_3genE5ELNS1_11target_archE942ELNS1_3gpuE9ELNS1_3repE0EEENS1_30default_config_static_selectorELNS0_4arch9wavefront6targetE0EEEvSS_.has_dyn_sized_stack, 0
	.set _ZN7rocprim17ROCPRIM_400000_NS6detail17trampoline_kernelINS0_14default_configENS1_29binary_search_config_selectorIN6thrust23THRUST_200600_302600_NS5tupleIiiNS6_9null_typeES8_S8_S8_S8_S8_S8_S8_EEbEEZNS1_14transform_implILb0ES3_SA_NS6_6detail15normal_iteratorINS6_10device_ptrIS9_EEEENSD_INSE_IbEEEEZNS1_13binary_searchIS3_SA_SG_SG_SI_NS1_16binary_search_opENSC_16wrapped_functionINS0_4lessIvEEbEEEE10hipError_tPvRmT1_T2_T3_mmT4_T5_P12ihipStream_tbEUlRKS9_E_EESP_ST_SU_mSV_SY_bEUlT_E_NS1_11comp_targetILNS1_3genE5ELNS1_11target_archE942ELNS1_3gpuE9ELNS1_3repE0EEENS1_30default_config_static_selectorELNS0_4arch9wavefront6targetE0EEEvSS_.has_recursion, 0
	.set _ZN7rocprim17ROCPRIM_400000_NS6detail17trampoline_kernelINS0_14default_configENS1_29binary_search_config_selectorIN6thrust23THRUST_200600_302600_NS5tupleIiiNS6_9null_typeES8_S8_S8_S8_S8_S8_S8_EEbEEZNS1_14transform_implILb0ES3_SA_NS6_6detail15normal_iteratorINS6_10device_ptrIS9_EEEENSD_INSE_IbEEEEZNS1_13binary_searchIS3_SA_SG_SG_SI_NS1_16binary_search_opENSC_16wrapped_functionINS0_4lessIvEEbEEEE10hipError_tPvRmT1_T2_T3_mmT4_T5_P12ihipStream_tbEUlRKS9_E_EESP_ST_SU_mSV_SY_bEUlT_E_NS1_11comp_targetILNS1_3genE5ELNS1_11target_archE942ELNS1_3gpuE9ELNS1_3repE0EEENS1_30default_config_static_selectorELNS0_4arch9wavefront6targetE0EEEvSS_.has_indirect_call, 0
	.section	.AMDGPU.csdata,"",@progbits
; Kernel info:
; codeLenInByte = 0
; TotalNumSgprs: 0
; NumVgprs: 0
; ScratchSize: 0
; MemoryBound: 0
; FloatMode: 240
; IeeeMode: 1
; LDSByteSize: 0 bytes/workgroup (compile time only)
; SGPRBlocks: 0
; VGPRBlocks: 0
; NumSGPRsForWavesPerEU: 1
; NumVGPRsForWavesPerEU: 1
; Occupancy: 16
; WaveLimiterHint : 0
; COMPUTE_PGM_RSRC2:SCRATCH_EN: 0
; COMPUTE_PGM_RSRC2:USER_SGPR: 6
; COMPUTE_PGM_RSRC2:TRAP_HANDLER: 0
; COMPUTE_PGM_RSRC2:TGID_X_EN: 1
; COMPUTE_PGM_RSRC2:TGID_Y_EN: 0
; COMPUTE_PGM_RSRC2:TGID_Z_EN: 0
; COMPUTE_PGM_RSRC2:TIDIG_COMP_CNT: 0
	.section	.text._ZN7rocprim17ROCPRIM_400000_NS6detail17trampoline_kernelINS0_14default_configENS1_29binary_search_config_selectorIN6thrust23THRUST_200600_302600_NS5tupleIiiNS6_9null_typeES8_S8_S8_S8_S8_S8_S8_EEbEEZNS1_14transform_implILb0ES3_SA_NS6_6detail15normal_iteratorINS6_10device_ptrIS9_EEEENSD_INSE_IbEEEEZNS1_13binary_searchIS3_SA_SG_SG_SI_NS1_16binary_search_opENSC_16wrapped_functionINS0_4lessIvEEbEEEE10hipError_tPvRmT1_T2_T3_mmT4_T5_P12ihipStream_tbEUlRKS9_E_EESP_ST_SU_mSV_SY_bEUlT_E_NS1_11comp_targetILNS1_3genE4ELNS1_11target_archE910ELNS1_3gpuE8ELNS1_3repE0EEENS1_30default_config_static_selectorELNS0_4arch9wavefront6targetE0EEEvSS_,"axG",@progbits,_ZN7rocprim17ROCPRIM_400000_NS6detail17trampoline_kernelINS0_14default_configENS1_29binary_search_config_selectorIN6thrust23THRUST_200600_302600_NS5tupleIiiNS6_9null_typeES8_S8_S8_S8_S8_S8_S8_EEbEEZNS1_14transform_implILb0ES3_SA_NS6_6detail15normal_iteratorINS6_10device_ptrIS9_EEEENSD_INSE_IbEEEEZNS1_13binary_searchIS3_SA_SG_SG_SI_NS1_16binary_search_opENSC_16wrapped_functionINS0_4lessIvEEbEEEE10hipError_tPvRmT1_T2_T3_mmT4_T5_P12ihipStream_tbEUlRKS9_E_EESP_ST_SU_mSV_SY_bEUlT_E_NS1_11comp_targetILNS1_3genE4ELNS1_11target_archE910ELNS1_3gpuE8ELNS1_3repE0EEENS1_30default_config_static_selectorELNS0_4arch9wavefront6targetE0EEEvSS_,comdat
	.protected	_ZN7rocprim17ROCPRIM_400000_NS6detail17trampoline_kernelINS0_14default_configENS1_29binary_search_config_selectorIN6thrust23THRUST_200600_302600_NS5tupleIiiNS6_9null_typeES8_S8_S8_S8_S8_S8_S8_EEbEEZNS1_14transform_implILb0ES3_SA_NS6_6detail15normal_iteratorINS6_10device_ptrIS9_EEEENSD_INSE_IbEEEEZNS1_13binary_searchIS3_SA_SG_SG_SI_NS1_16binary_search_opENSC_16wrapped_functionINS0_4lessIvEEbEEEE10hipError_tPvRmT1_T2_T3_mmT4_T5_P12ihipStream_tbEUlRKS9_E_EESP_ST_SU_mSV_SY_bEUlT_E_NS1_11comp_targetILNS1_3genE4ELNS1_11target_archE910ELNS1_3gpuE8ELNS1_3repE0EEENS1_30default_config_static_selectorELNS0_4arch9wavefront6targetE0EEEvSS_ ; -- Begin function _ZN7rocprim17ROCPRIM_400000_NS6detail17trampoline_kernelINS0_14default_configENS1_29binary_search_config_selectorIN6thrust23THRUST_200600_302600_NS5tupleIiiNS6_9null_typeES8_S8_S8_S8_S8_S8_S8_EEbEEZNS1_14transform_implILb0ES3_SA_NS6_6detail15normal_iteratorINS6_10device_ptrIS9_EEEENSD_INSE_IbEEEEZNS1_13binary_searchIS3_SA_SG_SG_SI_NS1_16binary_search_opENSC_16wrapped_functionINS0_4lessIvEEbEEEE10hipError_tPvRmT1_T2_T3_mmT4_T5_P12ihipStream_tbEUlRKS9_E_EESP_ST_SU_mSV_SY_bEUlT_E_NS1_11comp_targetILNS1_3genE4ELNS1_11target_archE910ELNS1_3gpuE8ELNS1_3repE0EEENS1_30default_config_static_selectorELNS0_4arch9wavefront6targetE0EEEvSS_
	.globl	_ZN7rocprim17ROCPRIM_400000_NS6detail17trampoline_kernelINS0_14default_configENS1_29binary_search_config_selectorIN6thrust23THRUST_200600_302600_NS5tupleIiiNS6_9null_typeES8_S8_S8_S8_S8_S8_S8_EEbEEZNS1_14transform_implILb0ES3_SA_NS6_6detail15normal_iteratorINS6_10device_ptrIS9_EEEENSD_INSE_IbEEEEZNS1_13binary_searchIS3_SA_SG_SG_SI_NS1_16binary_search_opENSC_16wrapped_functionINS0_4lessIvEEbEEEE10hipError_tPvRmT1_T2_T3_mmT4_T5_P12ihipStream_tbEUlRKS9_E_EESP_ST_SU_mSV_SY_bEUlT_E_NS1_11comp_targetILNS1_3genE4ELNS1_11target_archE910ELNS1_3gpuE8ELNS1_3repE0EEENS1_30default_config_static_selectorELNS0_4arch9wavefront6targetE0EEEvSS_
	.p2align	8
	.type	_ZN7rocprim17ROCPRIM_400000_NS6detail17trampoline_kernelINS0_14default_configENS1_29binary_search_config_selectorIN6thrust23THRUST_200600_302600_NS5tupleIiiNS6_9null_typeES8_S8_S8_S8_S8_S8_S8_EEbEEZNS1_14transform_implILb0ES3_SA_NS6_6detail15normal_iteratorINS6_10device_ptrIS9_EEEENSD_INSE_IbEEEEZNS1_13binary_searchIS3_SA_SG_SG_SI_NS1_16binary_search_opENSC_16wrapped_functionINS0_4lessIvEEbEEEE10hipError_tPvRmT1_T2_T3_mmT4_T5_P12ihipStream_tbEUlRKS9_E_EESP_ST_SU_mSV_SY_bEUlT_E_NS1_11comp_targetILNS1_3genE4ELNS1_11target_archE910ELNS1_3gpuE8ELNS1_3repE0EEENS1_30default_config_static_selectorELNS0_4arch9wavefront6targetE0EEEvSS_,@function
_ZN7rocprim17ROCPRIM_400000_NS6detail17trampoline_kernelINS0_14default_configENS1_29binary_search_config_selectorIN6thrust23THRUST_200600_302600_NS5tupleIiiNS6_9null_typeES8_S8_S8_S8_S8_S8_S8_EEbEEZNS1_14transform_implILb0ES3_SA_NS6_6detail15normal_iteratorINS6_10device_ptrIS9_EEEENSD_INSE_IbEEEEZNS1_13binary_searchIS3_SA_SG_SG_SI_NS1_16binary_search_opENSC_16wrapped_functionINS0_4lessIvEEbEEEE10hipError_tPvRmT1_T2_T3_mmT4_T5_P12ihipStream_tbEUlRKS9_E_EESP_ST_SU_mSV_SY_bEUlT_E_NS1_11comp_targetILNS1_3genE4ELNS1_11target_archE910ELNS1_3gpuE8ELNS1_3repE0EEENS1_30default_config_static_selectorELNS0_4arch9wavefront6targetE0EEEvSS_: ; @_ZN7rocprim17ROCPRIM_400000_NS6detail17trampoline_kernelINS0_14default_configENS1_29binary_search_config_selectorIN6thrust23THRUST_200600_302600_NS5tupleIiiNS6_9null_typeES8_S8_S8_S8_S8_S8_S8_EEbEEZNS1_14transform_implILb0ES3_SA_NS6_6detail15normal_iteratorINS6_10device_ptrIS9_EEEENSD_INSE_IbEEEEZNS1_13binary_searchIS3_SA_SG_SG_SI_NS1_16binary_search_opENSC_16wrapped_functionINS0_4lessIvEEbEEEE10hipError_tPvRmT1_T2_T3_mmT4_T5_P12ihipStream_tbEUlRKS9_E_EESP_ST_SU_mSV_SY_bEUlT_E_NS1_11comp_targetILNS1_3genE4ELNS1_11target_archE910ELNS1_3gpuE8ELNS1_3repE0EEENS1_30default_config_static_selectorELNS0_4arch9wavefront6targetE0EEEvSS_
; %bb.0:
	.section	.rodata,"a",@progbits
	.p2align	6, 0x0
	.amdhsa_kernel _ZN7rocprim17ROCPRIM_400000_NS6detail17trampoline_kernelINS0_14default_configENS1_29binary_search_config_selectorIN6thrust23THRUST_200600_302600_NS5tupleIiiNS6_9null_typeES8_S8_S8_S8_S8_S8_S8_EEbEEZNS1_14transform_implILb0ES3_SA_NS6_6detail15normal_iteratorINS6_10device_ptrIS9_EEEENSD_INSE_IbEEEEZNS1_13binary_searchIS3_SA_SG_SG_SI_NS1_16binary_search_opENSC_16wrapped_functionINS0_4lessIvEEbEEEE10hipError_tPvRmT1_T2_T3_mmT4_T5_P12ihipStream_tbEUlRKS9_E_EESP_ST_SU_mSV_SY_bEUlT_E_NS1_11comp_targetILNS1_3genE4ELNS1_11target_archE910ELNS1_3gpuE8ELNS1_3repE0EEENS1_30default_config_static_selectorELNS0_4arch9wavefront6targetE0EEEvSS_
		.amdhsa_group_segment_fixed_size 0
		.amdhsa_private_segment_fixed_size 0
		.amdhsa_kernarg_size 56
		.amdhsa_user_sgpr_count 6
		.amdhsa_user_sgpr_private_segment_buffer 1
		.amdhsa_user_sgpr_dispatch_ptr 0
		.amdhsa_user_sgpr_queue_ptr 0
		.amdhsa_user_sgpr_kernarg_segment_ptr 1
		.amdhsa_user_sgpr_dispatch_id 0
		.amdhsa_user_sgpr_flat_scratch_init 0
		.amdhsa_user_sgpr_private_segment_size 0
		.amdhsa_wavefront_size32 1
		.amdhsa_uses_dynamic_stack 0
		.amdhsa_system_sgpr_private_segment_wavefront_offset 0
		.amdhsa_system_sgpr_workgroup_id_x 1
		.amdhsa_system_sgpr_workgroup_id_y 0
		.amdhsa_system_sgpr_workgroup_id_z 0
		.amdhsa_system_sgpr_workgroup_info 0
		.amdhsa_system_vgpr_workitem_id 0
		.amdhsa_next_free_vgpr 1
		.amdhsa_next_free_sgpr 1
		.amdhsa_reserve_vcc 0
		.amdhsa_reserve_flat_scratch 0
		.amdhsa_float_round_mode_32 0
		.amdhsa_float_round_mode_16_64 0
		.amdhsa_float_denorm_mode_32 3
		.amdhsa_float_denorm_mode_16_64 3
		.amdhsa_dx10_clamp 1
		.amdhsa_ieee_mode 1
		.amdhsa_fp16_overflow 0
		.amdhsa_workgroup_processor_mode 1
		.amdhsa_memory_ordered 1
		.amdhsa_forward_progress 1
		.amdhsa_shared_vgpr_count 0
		.amdhsa_exception_fp_ieee_invalid_op 0
		.amdhsa_exception_fp_denorm_src 0
		.amdhsa_exception_fp_ieee_div_zero 0
		.amdhsa_exception_fp_ieee_overflow 0
		.amdhsa_exception_fp_ieee_underflow 0
		.amdhsa_exception_fp_ieee_inexact 0
		.amdhsa_exception_int_div_zero 0
	.end_amdhsa_kernel
	.section	.text._ZN7rocprim17ROCPRIM_400000_NS6detail17trampoline_kernelINS0_14default_configENS1_29binary_search_config_selectorIN6thrust23THRUST_200600_302600_NS5tupleIiiNS6_9null_typeES8_S8_S8_S8_S8_S8_S8_EEbEEZNS1_14transform_implILb0ES3_SA_NS6_6detail15normal_iteratorINS6_10device_ptrIS9_EEEENSD_INSE_IbEEEEZNS1_13binary_searchIS3_SA_SG_SG_SI_NS1_16binary_search_opENSC_16wrapped_functionINS0_4lessIvEEbEEEE10hipError_tPvRmT1_T2_T3_mmT4_T5_P12ihipStream_tbEUlRKS9_E_EESP_ST_SU_mSV_SY_bEUlT_E_NS1_11comp_targetILNS1_3genE4ELNS1_11target_archE910ELNS1_3gpuE8ELNS1_3repE0EEENS1_30default_config_static_selectorELNS0_4arch9wavefront6targetE0EEEvSS_,"axG",@progbits,_ZN7rocprim17ROCPRIM_400000_NS6detail17trampoline_kernelINS0_14default_configENS1_29binary_search_config_selectorIN6thrust23THRUST_200600_302600_NS5tupleIiiNS6_9null_typeES8_S8_S8_S8_S8_S8_S8_EEbEEZNS1_14transform_implILb0ES3_SA_NS6_6detail15normal_iteratorINS6_10device_ptrIS9_EEEENSD_INSE_IbEEEEZNS1_13binary_searchIS3_SA_SG_SG_SI_NS1_16binary_search_opENSC_16wrapped_functionINS0_4lessIvEEbEEEE10hipError_tPvRmT1_T2_T3_mmT4_T5_P12ihipStream_tbEUlRKS9_E_EESP_ST_SU_mSV_SY_bEUlT_E_NS1_11comp_targetILNS1_3genE4ELNS1_11target_archE910ELNS1_3gpuE8ELNS1_3repE0EEENS1_30default_config_static_selectorELNS0_4arch9wavefront6targetE0EEEvSS_,comdat
.Lfunc_end763:
	.size	_ZN7rocprim17ROCPRIM_400000_NS6detail17trampoline_kernelINS0_14default_configENS1_29binary_search_config_selectorIN6thrust23THRUST_200600_302600_NS5tupleIiiNS6_9null_typeES8_S8_S8_S8_S8_S8_S8_EEbEEZNS1_14transform_implILb0ES3_SA_NS6_6detail15normal_iteratorINS6_10device_ptrIS9_EEEENSD_INSE_IbEEEEZNS1_13binary_searchIS3_SA_SG_SG_SI_NS1_16binary_search_opENSC_16wrapped_functionINS0_4lessIvEEbEEEE10hipError_tPvRmT1_T2_T3_mmT4_T5_P12ihipStream_tbEUlRKS9_E_EESP_ST_SU_mSV_SY_bEUlT_E_NS1_11comp_targetILNS1_3genE4ELNS1_11target_archE910ELNS1_3gpuE8ELNS1_3repE0EEENS1_30default_config_static_selectorELNS0_4arch9wavefront6targetE0EEEvSS_, .Lfunc_end763-_ZN7rocprim17ROCPRIM_400000_NS6detail17trampoline_kernelINS0_14default_configENS1_29binary_search_config_selectorIN6thrust23THRUST_200600_302600_NS5tupleIiiNS6_9null_typeES8_S8_S8_S8_S8_S8_S8_EEbEEZNS1_14transform_implILb0ES3_SA_NS6_6detail15normal_iteratorINS6_10device_ptrIS9_EEEENSD_INSE_IbEEEEZNS1_13binary_searchIS3_SA_SG_SG_SI_NS1_16binary_search_opENSC_16wrapped_functionINS0_4lessIvEEbEEEE10hipError_tPvRmT1_T2_T3_mmT4_T5_P12ihipStream_tbEUlRKS9_E_EESP_ST_SU_mSV_SY_bEUlT_E_NS1_11comp_targetILNS1_3genE4ELNS1_11target_archE910ELNS1_3gpuE8ELNS1_3repE0EEENS1_30default_config_static_selectorELNS0_4arch9wavefront6targetE0EEEvSS_
                                        ; -- End function
	.set _ZN7rocprim17ROCPRIM_400000_NS6detail17trampoline_kernelINS0_14default_configENS1_29binary_search_config_selectorIN6thrust23THRUST_200600_302600_NS5tupleIiiNS6_9null_typeES8_S8_S8_S8_S8_S8_S8_EEbEEZNS1_14transform_implILb0ES3_SA_NS6_6detail15normal_iteratorINS6_10device_ptrIS9_EEEENSD_INSE_IbEEEEZNS1_13binary_searchIS3_SA_SG_SG_SI_NS1_16binary_search_opENSC_16wrapped_functionINS0_4lessIvEEbEEEE10hipError_tPvRmT1_T2_T3_mmT4_T5_P12ihipStream_tbEUlRKS9_E_EESP_ST_SU_mSV_SY_bEUlT_E_NS1_11comp_targetILNS1_3genE4ELNS1_11target_archE910ELNS1_3gpuE8ELNS1_3repE0EEENS1_30default_config_static_selectorELNS0_4arch9wavefront6targetE0EEEvSS_.num_vgpr, 0
	.set _ZN7rocprim17ROCPRIM_400000_NS6detail17trampoline_kernelINS0_14default_configENS1_29binary_search_config_selectorIN6thrust23THRUST_200600_302600_NS5tupleIiiNS6_9null_typeES8_S8_S8_S8_S8_S8_S8_EEbEEZNS1_14transform_implILb0ES3_SA_NS6_6detail15normal_iteratorINS6_10device_ptrIS9_EEEENSD_INSE_IbEEEEZNS1_13binary_searchIS3_SA_SG_SG_SI_NS1_16binary_search_opENSC_16wrapped_functionINS0_4lessIvEEbEEEE10hipError_tPvRmT1_T2_T3_mmT4_T5_P12ihipStream_tbEUlRKS9_E_EESP_ST_SU_mSV_SY_bEUlT_E_NS1_11comp_targetILNS1_3genE4ELNS1_11target_archE910ELNS1_3gpuE8ELNS1_3repE0EEENS1_30default_config_static_selectorELNS0_4arch9wavefront6targetE0EEEvSS_.num_agpr, 0
	.set _ZN7rocprim17ROCPRIM_400000_NS6detail17trampoline_kernelINS0_14default_configENS1_29binary_search_config_selectorIN6thrust23THRUST_200600_302600_NS5tupleIiiNS6_9null_typeES8_S8_S8_S8_S8_S8_S8_EEbEEZNS1_14transform_implILb0ES3_SA_NS6_6detail15normal_iteratorINS6_10device_ptrIS9_EEEENSD_INSE_IbEEEEZNS1_13binary_searchIS3_SA_SG_SG_SI_NS1_16binary_search_opENSC_16wrapped_functionINS0_4lessIvEEbEEEE10hipError_tPvRmT1_T2_T3_mmT4_T5_P12ihipStream_tbEUlRKS9_E_EESP_ST_SU_mSV_SY_bEUlT_E_NS1_11comp_targetILNS1_3genE4ELNS1_11target_archE910ELNS1_3gpuE8ELNS1_3repE0EEENS1_30default_config_static_selectorELNS0_4arch9wavefront6targetE0EEEvSS_.numbered_sgpr, 0
	.set _ZN7rocprim17ROCPRIM_400000_NS6detail17trampoline_kernelINS0_14default_configENS1_29binary_search_config_selectorIN6thrust23THRUST_200600_302600_NS5tupleIiiNS6_9null_typeES8_S8_S8_S8_S8_S8_S8_EEbEEZNS1_14transform_implILb0ES3_SA_NS6_6detail15normal_iteratorINS6_10device_ptrIS9_EEEENSD_INSE_IbEEEEZNS1_13binary_searchIS3_SA_SG_SG_SI_NS1_16binary_search_opENSC_16wrapped_functionINS0_4lessIvEEbEEEE10hipError_tPvRmT1_T2_T3_mmT4_T5_P12ihipStream_tbEUlRKS9_E_EESP_ST_SU_mSV_SY_bEUlT_E_NS1_11comp_targetILNS1_3genE4ELNS1_11target_archE910ELNS1_3gpuE8ELNS1_3repE0EEENS1_30default_config_static_selectorELNS0_4arch9wavefront6targetE0EEEvSS_.num_named_barrier, 0
	.set _ZN7rocprim17ROCPRIM_400000_NS6detail17trampoline_kernelINS0_14default_configENS1_29binary_search_config_selectorIN6thrust23THRUST_200600_302600_NS5tupleIiiNS6_9null_typeES8_S8_S8_S8_S8_S8_S8_EEbEEZNS1_14transform_implILb0ES3_SA_NS6_6detail15normal_iteratorINS6_10device_ptrIS9_EEEENSD_INSE_IbEEEEZNS1_13binary_searchIS3_SA_SG_SG_SI_NS1_16binary_search_opENSC_16wrapped_functionINS0_4lessIvEEbEEEE10hipError_tPvRmT1_T2_T3_mmT4_T5_P12ihipStream_tbEUlRKS9_E_EESP_ST_SU_mSV_SY_bEUlT_E_NS1_11comp_targetILNS1_3genE4ELNS1_11target_archE910ELNS1_3gpuE8ELNS1_3repE0EEENS1_30default_config_static_selectorELNS0_4arch9wavefront6targetE0EEEvSS_.private_seg_size, 0
	.set _ZN7rocprim17ROCPRIM_400000_NS6detail17trampoline_kernelINS0_14default_configENS1_29binary_search_config_selectorIN6thrust23THRUST_200600_302600_NS5tupleIiiNS6_9null_typeES8_S8_S8_S8_S8_S8_S8_EEbEEZNS1_14transform_implILb0ES3_SA_NS6_6detail15normal_iteratorINS6_10device_ptrIS9_EEEENSD_INSE_IbEEEEZNS1_13binary_searchIS3_SA_SG_SG_SI_NS1_16binary_search_opENSC_16wrapped_functionINS0_4lessIvEEbEEEE10hipError_tPvRmT1_T2_T3_mmT4_T5_P12ihipStream_tbEUlRKS9_E_EESP_ST_SU_mSV_SY_bEUlT_E_NS1_11comp_targetILNS1_3genE4ELNS1_11target_archE910ELNS1_3gpuE8ELNS1_3repE0EEENS1_30default_config_static_selectorELNS0_4arch9wavefront6targetE0EEEvSS_.uses_vcc, 0
	.set _ZN7rocprim17ROCPRIM_400000_NS6detail17trampoline_kernelINS0_14default_configENS1_29binary_search_config_selectorIN6thrust23THRUST_200600_302600_NS5tupleIiiNS6_9null_typeES8_S8_S8_S8_S8_S8_S8_EEbEEZNS1_14transform_implILb0ES3_SA_NS6_6detail15normal_iteratorINS6_10device_ptrIS9_EEEENSD_INSE_IbEEEEZNS1_13binary_searchIS3_SA_SG_SG_SI_NS1_16binary_search_opENSC_16wrapped_functionINS0_4lessIvEEbEEEE10hipError_tPvRmT1_T2_T3_mmT4_T5_P12ihipStream_tbEUlRKS9_E_EESP_ST_SU_mSV_SY_bEUlT_E_NS1_11comp_targetILNS1_3genE4ELNS1_11target_archE910ELNS1_3gpuE8ELNS1_3repE0EEENS1_30default_config_static_selectorELNS0_4arch9wavefront6targetE0EEEvSS_.uses_flat_scratch, 0
	.set _ZN7rocprim17ROCPRIM_400000_NS6detail17trampoline_kernelINS0_14default_configENS1_29binary_search_config_selectorIN6thrust23THRUST_200600_302600_NS5tupleIiiNS6_9null_typeES8_S8_S8_S8_S8_S8_S8_EEbEEZNS1_14transform_implILb0ES3_SA_NS6_6detail15normal_iteratorINS6_10device_ptrIS9_EEEENSD_INSE_IbEEEEZNS1_13binary_searchIS3_SA_SG_SG_SI_NS1_16binary_search_opENSC_16wrapped_functionINS0_4lessIvEEbEEEE10hipError_tPvRmT1_T2_T3_mmT4_T5_P12ihipStream_tbEUlRKS9_E_EESP_ST_SU_mSV_SY_bEUlT_E_NS1_11comp_targetILNS1_3genE4ELNS1_11target_archE910ELNS1_3gpuE8ELNS1_3repE0EEENS1_30default_config_static_selectorELNS0_4arch9wavefront6targetE0EEEvSS_.has_dyn_sized_stack, 0
	.set _ZN7rocprim17ROCPRIM_400000_NS6detail17trampoline_kernelINS0_14default_configENS1_29binary_search_config_selectorIN6thrust23THRUST_200600_302600_NS5tupleIiiNS6_9null_typeES8_S8_S8_S8_S8_S8_S8_EEbEEZNS1_14transform_implILb0ES3_SA_NS6_6detail15normal_iteratorINS6_10device_ptrIS9_EEEENSD_INSE_IbEEEEZNS1_13binary_searchIS3_SA_SG_SG_SI_NS1_16binary_search_opENSC_16wrapped_functionINS0_4lessIvEEbEEEE10hipError_tPvRmT1_T2_T3_mmT4_T5_P12ihipStream_tbEUlRKS9_E_EESP_ST_SU_mSV_SY_bEUlT_E_NS1_11comp_targetILNS1_3genE4ELNS1_11target_archE910ELNS1_3gpuE8ELNS1_3repE0EEENS1_30default_config_static_selectorELNS0_4arch9wavefront6targetE0EEEvSS_.has_recursion, 0
	.set _ZN7rocprim17ROCPRIM_400000_NS6detail17trampoline_kernelINS0_14default_configENS1_29binary_search_config_selectorIN6thrust23THRUST_200600_302600_NS5tupleIiiNS6_9null_typeES8_S8_S8_S8_S8_S8_S8_EEbEEZNS1_14transform_implILb0ES3_SA_NS6_6detail15normal_iteratorINS6_10device_ptrIS9_EEEENSD_INSE_IbEEEEZNS1_13binary_searchIS3_SA_SG_SG_SI_NS1_16binary_search_opENSC_16wrapped_functionINS0_4lessIvEEbEEEE10hipError_tPvRmT1_T2_T3_mmT4_T5_P12ihipStream_tbEUlRKS9_E_EESP_ST_SU_mSV_SY_bEUlT_E_NS1_11comp_targetILNS1_3genE4ELNS1_11target_archE910ELNS1_3gpuE8ELNS1_3repE0EEENS1_30default_config_static_selectorELNS0_4arch9wavefront6targetE0EEEvSS_.has_indirect_call, 0
	.section	.AMDGPU.csdata,"",@progbits
; Kernel info:
; codeLenInByte = 0
; TotalNumSgprs: 0
; NumVgprs: 0
; ScratchSize: 0
; MemoryBound: 0
; FloatMode: 240
; IeeeMode: 1
; LDSByteSize: 0 bytes/workgroup (compile time only)
; SGPRBlocks: 0
; VGPRBlocks: 0
; NumSGPRsForWavesPerEU: 1
; NumVGPRsForWavesPerEU: 1
; Occupancy: 16
; WaveLimiterHint : 0
; COMPUTE_PGM_RSRC2:SCRATCH_EN: 0
; COMPUTE_PGM_RSRC2:USER_SGPR: 6
; COMPUTE_PGM_RSRC2:TRAP_HANDLER: 0
; COMPUTE_PGM_RSRC2:TGID_X_EN: 1
; COMPUTE_PGM_RSRC2:TGID_Y_EN: 0
; COMPUTE_PGM_RSRC2:TGID_Z_EN: 0
; COMPUTE_PGM_RSRC2:TIDIG_COMP_CNT: 0
	.section	.text._ZN7rocprim17ROCPRIM_400000_NS6detail17trampoline_kernelINS0_14default_configENS1_29binary_search_config_selectorIN6thrust23THRUST_200600_302600_NS5tupleIiiNS6_9null_typeES8_S8_S8_S8_S8_S8_S8_EEbEEZNS1_14transform_implILb0ES3_SA_NS6_6detail15normal_iteratorINS6_10device_ptrIS9_EEEENSD_INSE_IbEEEEZNS1_13binary_searchIS3_SA_SG_SG_SI_NS1_16binary_search_opENSC_16wrapped_functionINS0_4lessIvEEbEEEE10hipError_tPvRmT1_T2_T3_mmT4_T5_P12ihipStream_tbEUlRKS9_E_EESP_ST_SU_mSV_SY_bEUlT_E_NS1_11comp_targetILNS1_3genE3ELNS1_11target_archE908ELNS1_3gpuE7ELNS1_3repE0EEENS1_30default_config_static_selectorELNS0_4arch9wavefront6targetE0EEEvSS_,"axG",@progbits,_ZN7rocprim17ROCPRIM_400000_NS6detail17trampoline_kernelINS0_14default_configENS1_29binary_search_config_selectorIN6thrust23THRUST_200600_302600_NS5tupleIiiNS6_9null_typeES8_S8_S8_S8_S8_S8_S8_EEbEEZNS1_14transform_implILb0ES3_SA_NS6_6detail15normal_iteratorINS6_10device_ptrIS9_EEEENSD_INSE_IbEEEEZNS1_13binary_searchIS3_SA_SG_SG_SI_NS1_16binary_search_opENSC_16wrapped_functionINS0_4lessIvEEbEEEE10hipError_tPvRmT1_T2_T3_mmT4_T5_P12ihipStream_tbEUlRKS9_E_EESP_ST_SU_mSV_SY_bEUlT_E_NS1_11comp_targetILNS1_3genE3ELNS1_11target_archE908ELNS1_3gpuE7ELNS1_3repE0EEENS1_30default_config_static_selectorELNS0_4arch9wavefront6targetE0EEEvSS_,comdat
	.protected	_ZN7rocprim17ROCPRIM_400000_NS6detail17trampoline_kernelINS0_14default_configENS1_29binary_search_config_selectorIN6thrust23THRUST_200600_302600_NS5tupleIiiNS6_9null_typeES8_S8_S8_S8_S8_S8_S8_EEbEEZNS1_14transform_implILb0ES3_SA_NS6_6detail15normal_iteratorINS6_10device_ptrIS9_EEEENSD_INSE_IbEEEEZNS1_13binary_searchIS3_SA_SG_SG_SI_NS1_16binary_search_opENSC_16wrapped_functionINS0_4lessIvEEbEEEE10hipError_tPvRmT1_T2_T3_mmT4_T5_P12ihipStream_tbEUlRKS9_E_EESP_ST_SU_mSV_SY_bEUlT_E_NS1_11comp_targetILNS1_3genE3ELNS1_11target_archE908ELNS1_3gpuE7ELNS1_3repE0EEENS1_30default_config_static_selectorELNS0_4arch9wavefront6targetE0EEEvSS_ ; -- Begin function _ZN7rocprim17ROCPRIM_400000_NS6detail17trampoline_kernelINS0_14default_configENS1_29binary_search_config_selectorIN6thrust23THRUST_200600_302600_NS5tupleIiiNS6_9null_typeES8_S8_S8_S8_S8_S8_S8_EEbEEZNS1_14transform_implILb0ES3_SA_NS6_6detail15normal_iteratorINS6_10device_ptrIS9_EEEENSD_INSE_IbEEEEZNS1_13binary_searchIS3_SA_SG_SG_SI_NS1_16binary_search_opENSC_16wrapped_functionINS0_4lessIvEEbEEEE10hipError_tPvRmT1_T2_T3_mmT4_T5_P12ihipStream_tbEUlRKS9_E_EESP_ST_SU_mSV_SY_bEUlT_E_NS1_11comp_targetILNS1_3genE3ELNS1_11target_archE908ELNS1_3gpuE7ELNS1_3repE0EEENS1_30default_config_static_selectorELNS0_4arch9wavefront6targetE0EEEvSS_
	.globl	_ZN7rocprim17ROCPRIM_400000_NS6detail17trampoline_kernelINS0_14default_configENS1_29binary_search_config_selectorIN6thrust23THRUST_200600_302600_NS5tupleIiiNS6_9null_typeES8_S8_S8_S8_S8_S8_S8_EEbEEZNS1_14transform_implILb0ES3_SA_NS6_6detail15normal_iteratorINS6_10device_ptrIS9_EEEENSD_INSE_IbEEEEZNS1_13binary_searchIS3_SA_SG_SG_SI_NS1_16binary_search_opENSC_16wrapped_functionINS0_4lessIvEEbEEEE10hipError_tPvRmT1_T2_T3_mmT4_T5_P12ihipStream_tbEUlRKS9_E_EESP_ST_SU_mSV_SY_bEUlT_E_NS1_11comp_targetILNS1_3genE3ELNS1_11target_archE908ELNS1_3gpuE7ELNS1_3repE0EEENS1_30default_config_static_selectorELNS0_4arch9wavefront6targetE0EEEvSS_
	.p2align	8
	.type	_ZN7rocprim17ROCPRIM_400000_NS6detail17trampoline_kernelINS0_14default_configENS1_29binary_search_config_selectorIN6thrust23THRUST_200600_302600_NS5tupleIiiNS6_9null_typeES8_S8_S8_S8_S8_S8_S8_EEbEEZNS1_14transform_implILb0ES3_SA_NS6_6detail15normal_iteratorINS6_10device_ptrIS9_EEEENSD_INSE_IbEEEEZNS1_13binary_searchIS3_SA_SG_SG_SI_NS1_16binary_search_opENSC_16wrapped_functionINS0_4lessIvEEbEEEE10hipError_tPvRmT1_T2_T3_mmT4_T5_P12ihipStream_tbEUlRKS9_E_EESP_ST_SU_mSV_SY_bEUlT_E_NS1_11comp_targetILNS1_3genE3ELNS1_11target_archE908ELNS1_3gpuE7ELNS1_3repE0EEENS1_30default_config_static_selectorELNS0_4arch9wavefront6targetE0EEEvSS_,@function
_ZN7rocprim17ROCPRIM_400000_NS6detail17trampoline_kernelINS0_14default_configENS1_29binary_search_config_selectorIN6thrust23THRUST_200600_302600_NS5tupleIiiNS6_9null_typeES8_S8_S8_S8_S8_S8_S8_EEbEEZNS1_14transform_implILb0ES3_SA_NS6_6detail15normal_iteratorINS6_10device_ptrIS9_EEEENSD_INSE_IbEEEEZNS1_13binary_searchIS3_SA_SG_SG_SI_NS1_16binary_search_opENSC_16wrapped_functionINS0_4lessIvEEbEEEE10hipError_tPvRmT1_T2_T3_mmT4_T5_P12ihipStream_tbEUlRKS9_E_EESP_ST_SU_mSV_SY_bEUlT_E_NS1_11comp_targetILNS1_3genE3ELNS1_11target_archE908ELNS1_3gpuE7ELNS1_3repE0EEENS1_30default_config_static_selectorELNS0_4arch9wavefront6targetE0EEEvSS_: ; @_ZN7rocprim17ROCPRIM_400000_NS6detail17trampoline_kernelINS0_14default_configENS1_29binary_search_config_selectorIN6thrust23THRUST_200600_302600_NS5tupleIiiNS6_9null_typeES8_S8_S8_S8_S8_S8_S8_EEbEEZNS1_14transform_implILb0ES3_SA_NS6_6detail15normal_iteratorINS6_10device_ptrIS9_EEEENSD_INSE_IbEEEEZNS1_13binary_searchIS3_SA_SG_SG_SI_NS1_16binary_search_opENSC_16wrapped_functionINS0_4lessIvEEbEEEE10hipError_tPvRmT1_T2_T3_mmT4_T5_P12ihipStream_tbEUlRKS9_E_EESP_ST_SU_mSV_SY_bEUlT_E_NS1_11comp_targetILNS1_3genE3ELNS1_11target_archE908ELNS1_3gpuE7ELNS1_3repE0EEENS1_30default_config_static_selectorELNS0_4arch9wavefront6targetE0EEEvSS_
; %bb.0:
	.section	.rodata,"a",@progbits
	.p2align	6, 0x0
	.amdhsa_kernel _ZN7rocprim17ROCPRIM_400000_NS6detail17trampoline_kernelINS0_14default_configENS1_29binary_search_config_selectorIN6thrust23THRUST_200600_302600_NS5tupleIiiNS6_9null_typeES8_S8_S8_S8_S8_S8_S8_EEbEEZNS1_14transform_implILb0ES3_SA_NS6_6detail15normal_iteratorINS6_10device_ptrIS9_EEEENSD_INSE_IbEEEEZNS1_13binary_searchIS3_SA_SG_SG_SI_NS1_16binary_search_opENSC_16wrapped_functionINS0_4lessIvEEbEEEE10hipError_tPvRmT1_T2_T3_mmT4_T5_P12ihipStream_tbEUlRKS9_E_EESP_ST_SU_mSV_SY_bEUlT_E_NS1_11comp_targetILNS1_3genE3ELNS1_11target_archE908ELNS1_3gpuE7ELNS1_3repE0EEENS1_30default_config_static_selectorELNS0_4arch9wavefront6targetE0EEEvSS_
		.amdhsa_group_segment_fixed_size 0
		.amdhsa_private_segment_fixed_size 0
		.amdhsa_kernarg_size 56
		.amdhsa_user_sgpr_count 6
		.amdhsa_user_sgpr_private_segment_buffer 1
		.amdhsa_user_sgpr_dispatch_ptr 0
		.amdhsa_user_sgpr_queue_ptr 0
		.amdhsa_user_sgpr_kernarg_segment_ptr 1
		.amdhsa_user_sgpr_dispatch_id 0
		.amdhsa_user_sgpr_flat_scratch_init 0
		.amdhsa_user_sgpr_private_segment_size 0
		.amdhsa_wavefront_size32 1
		.amdhsa_uses_dynamic_stack 0
		.amdhsa_system_sgpr_private_segment_wavefront_offset 0
		.amdhsa_system_sgpr_workgroup_id_x 1
		.amdhsa_system_sgpr_workgroup_id_y 0
		.amdhsa_system_sgpr_workgroup_id_z 0
		.amdhsa_system_sgpr_workgroup_info 0
		.amdhsa_system_vgpr_workitem_id 0
		.amdhsa_next_free_vgpr 1
		.amdhsa_next_free_sgpr 1
		.amdhsa_reserve_vcc 0
		.amdhsa_reserve_flat_scratch 0
		.amdhsa_float_round_mode_32 0
		.amdhsa_float_round_mode_16_64 0
		.amdhsa_float_denorm_mode_32 3
		.amdhsa_float_denorm_mode_16_64 3
		.amdhsa_dx10_clamp 1
		.amdhsa_ieee_mode 1
		.amdhsa_fp16_overflow 0
		.amdhsa_workgroup_processor_mode 1
		.amdhsa_memory_ordered 1
		.amdhsa_forward_progress 1
		.amdhsa_shared_vgpr_count 0
		.amdhsa_exception_fp_ieee_invalid_op 0
		.amdhsa_exception_fp_denorm_src 0
		.amdhsa_exception_fp_ieee_div_zero 0
		.amdhsa_exception_fp_ieee_overflow 0
		.amdhsa_exception_fp_ieee_underflow 0
		.amdhsa_exception_fp_ieee_inexact 0
		.amdhsa_exception_int_div_zero 0
	.end_amdhsa_kernel
	.section	.text._ZN7rocprim17ROCPRIM_400000_NS6detail17trampoline_kernelINS0_14default_configENS1_29binary_search_config_selectorIN6thrust23THRUST_200600_302600_NS5tupleIiiNS6_9null_typeES8_S8_S8_S8_S8_S8_S8_EEbEEZNS1_14transform_implILb0ES3_SA_NS6_6detail15normal_iteratorINS6_10device_ptrIS9_EEEENSD_INSE_IbEEEEZNS1_13binary_searchIS3_SA_SG_SG_SI_NS1_16binary_search_opENSC_16wrapped_functionINS0_4lessIvEEbEEEE10hipError_tPvRmT1_T2_T3_mmT4_T5_P12ihipStream_tbEUlRKS9_E_EESP_ST_SU_mSV_SY_bEUlT_E_NS1_11comp_targetILNS1_3genE3ELNS1_11target_archE908ELNS1_3gpuE7ELNS1_3repE0EEENS1_30default_config_static_selectorELNS0_4arch9wavefront6targetE0EEEvSS_,"axG",@progbits,_ZN7rocprim17ROCPRIM_400000_NS6detail17trampoline_kernelINS0_14default_configENS1_29binary_search_config_selectorIN6thrust23THRUST_200600_302600_NS5tupleIiiNS6_9null_typeES8_S8_S8_S8_S8_S8_S8_EEbEEZNS1_14transform_implILb0ES3_SA_NS6_6detail15normal_iteratorINS6_10device_ptrIS9_EEEENSD_INSE_IbEEEEZNS1_13binary_searchIS3_SA_SG_SG_SI_NS1_16binary_search_opENSC_16wrapped_functionINS0_4lessIvEEbEEEE10hipError_tPvRmT1_T2_T3_mmT4_T5_P12ihipStream_tbEUlRKS9_E_EESP_ST_SU_mSV_SY_bEUlT_E_NS1_11comp_targetILNS1_3genE3ELNS1_11target_archE908ELNS1_3gpuE7ELNS1_3repE0EEENS1_30default_config_static_selectorELNS0_4arch9wavefront6targetE0EEEvSS_,comdat
.Lfunc_end764:
	.size	_ZN7rocprim17ROCPRIM_400000_NS6detail17trampoline_kernelINS0_14default_configENS1_29binary_search_config_selectorIN6thrust23THRUST_200600_302600_NS5tupleIiiNS6_9null_typeES8_S8_S8_S8_S8_S8_S8_EEbEEZNS1_14transform_implILb0ES3_SA_NS6_6detail15normal_iteratorINS6_10device_ptrIS9_EEEENSD_INSE_IbEEEEZNS1_13binary_searchIS3_SA_SG_SG_SI_NS1_16binary_search_opENSC_16wrapped_functionINS0_4lessIvEEbEEEE10hipError_tPvRmT1_T2_T3_mmT4_T5_P12ihipStream_tbEUlRKS9_E_EESP_ST_SU_mSV_SY_bEUlT_E_NS1_11comp_targetILNS1_3genE3ELNS1_11target_archE908ELNS1_3gpuE7ELNS1_3repE0EEENS1_30default_config_static_selectorELNS0_4arch9wavefront6targetE0EEEvSS_, .Lfunc_end764-_ZN7rocprim17ROCPRIM_400000_NS6detail17trampoline_kernelINS0_14default_configENS1_29binary_search_config_selectorIN6thrust23THRUST_200600_302600_NS5tupleIiiNS6_9null_typeES8_S8_S8_S8_S8_S8_S8_EEbEEZNS1_14transform_implILb0ES3_SA_NS6_6detail15normal_iteratorINS6_10device_ptrIS9_EEEENSD_INSE_IbEEEEZNS1_13binary_searchIS3_SA_SG_SG_SI_NS1_16binary_search_opENSC_16wrapped_functionINS0_4lessIvEEbEEEE10hipError_tPvRmT1_T2_T3_mmT4_T5_P12ihipStream_tbEUlRKS9_E_EESP_ST_SU_mSV_SY_bEUlT_E_NS1_11comp_targetILNS1_3genE3ELNS1_11target_archE908ELNS1_3gpuE7ELNS1_3repE0EEENS1_30default_config_static_selectorELNS0_4arch9wavefront6targetE0EEEvSS_
                                        ; -- End function
	.set _ZN7rocprim17ROCPRIM_400000_NS6detail17trampoline_kernelINS0_14default_configENS1_29binary_search_config_selectorIN6thrust23THRUST_200600_302600_NS5tupleIiiNS6_9null_typeES8_S8_S8_S8_S8_S8_S8_EEbEEZNS1_14transform_implILb0ES3_SA_NS6_6detail15normal_iteratorINS6_10device_ptrIS9_EEEENSD_INSE_IbEEEEZNS1_13binary_searchIS3_SA_SG_SG_SI_NS1_16binary_search_opENSC_16wrapped_functionINS0_4lessIvEEbEEEE10hipError_tPvRmT1_T2_T3_mmT4_T5_P12ihipStream_tbEUlRKS9_E_EESP_ST_SU_mSV_SY_bEUlT_E_NS1_11comp_targetILNS1_3genE3ELNS1_11target_archE908ELNS1_3gpuE7ELNS1_3repE0EEENS1_30default_config_static_selectorELNS0_4arch9wavefront6targetE0EEEvSS_.num_vgpr, 0
	.set _ZN7rocprim17ROCPRIM_400000_NS6detail17trampoline_kernelINS0_14default_configENS1_29binary_search_config_selectorIN6thrust23THRUST_200600_302600_NS5tupleIiiNS6_9null_typeES8_S8_S8_S8_S8_S8_S8_EEbEEZNS1_14transform_implILb0ES3_SA_NS6_6detail15normal_iteratorINS6_10device_ptrIS9_EEEENSD_INSE_IbEEEEZNS1_13binary_searchIS3_SA_SG_SG_SI_NS1_16binary_search_opENSC_16wrapped_functionINS0_4lessIvEEbEEEE10hipError_tPvRmT1_T2_T3_mmT4_T5_P12ihipStream_tbEUlRKS9_E_EESP_ST_SU_mSV_SY_bEUlT_E_NS1_11comp_targetILNS1_3genE3ELNS1_11target_archE908ELNS1_3gpuE7ELNS1_3repE0EEENS1_30default_config_static_selectorELNS0_4arch9wavefront6targetE0EEEvSS_.num_agpr, 0
	.set _ZN7rocprim17ROCPRIM_400000_NS6detail17trampoline_kernelINS0_14default_configENS1_29binary_search_config_selectorIN6thrust23THRUST_200600_302600_NS5tupleIiiNS6_9null_typeES8_S8_S8_S8_S8_S8_S8_EEbEEZNS1_14transform_implILb0ES3_SA_NS6_6detail15normal_iteratorINS6_10device_ptrIS9_EEEENSD_INSE_IbEEEEZNS1_13binary_searchIS3_SA_SG_SG_SI_NS1_16binary_search_opENSC_16wrapped_functionINS0_4lessIvEEbEEEE10hipError_tPvRmT1_T2_T3_mmT4_T5_P12ihipStream_tbEUlRKS9_E_EESP_ST_SU_mSV_SY_bEUlT_E_NS1_11comp_targetILNS1_3genE3ELNS1_11target_archE908ELNS1_3gpuE7ELNS1_3repE0EEENS1_30default_config_static_selectorELNS0_4arch9wavefront6targetE0EEEvSS_.numbered_sgpr, 0
	.set _ZN7rocprim17ROCPRIM_400000_NS6detail17trampoline_kernelINS0_14default_configENS1_29binary_search_config_selectorIN6thrust23THRUST_200600_302600_NS5tupleIiiNS6_9null_typeES8_S8_S8_S8_S8_S8_S8_EEbEEZNS1_14transform_implILb0ES3_SA_NS6_6detail15normal_iteratorINS6_10device_ptrIS9_EEEENSD_INSE_IbEEEEZNS1_13binary_searchIS3_SA_SG_SG_SI_NS1_16binary_search_opENSC_16wrapped_functionINS0_4lessIvEEbEEEE10hipError_tPvRmT1_T2_T3_mmT4_T5_P12ihipStream_tbEUlRKS9_E_EESP_ST_SU_mSV_SY_bEUlT_E_NS1_11comp_targetILNS1_3genE3ELNS1_11target_archE908ELNS1_3gpuE7ELNS1_3repE0EEENS1_30default_config_static_selectorELNS0_4arch9wavefront6targetE0EEEvSS_.num_named_barrier, 0
	.set _ZN7rocprim17ROCPRIM_400000_NS6detail17trampoline_kernelINS0_14default_configENS1_29binary_search_config_selectorIN6thrust23THRUST_200600_302600_NS5tupleIiiNS6_9null_typeES8_S8_S8_S8_S8_S8_S8_EEbEEZNS1_14transform_implILb0ES3_SA_NS6_6detail15normal_iteratorINS6_10device_ptrIS9_EEEENSD_INSE_IbEEEEZNS1_13binary_searchIS3_SA_SG_SG_SI_NS1_16binary_search_opENSC_16wrapped_functionINS0_4lessIvEEbEEEE10hipError_tPvRmT1_T2_T3_mmT4_T5_P12ihipStream_tbEUlRKS9_E_EESP_ST_SU_mSV_SY_bEUlT_E_NS1_11comp_targetILNS1_3genE3ELNS1_11target_archE908ELNS1_3gpuE7ELNS1_3repE0EEENS1_30default_config_static_selectorELNS0_4arch9wavefront6targetE0EEEvSS_.private_seg_size, 0
	.set _ZN7rocprim17ROCPRIM_400000_NS6detail17trampoline_kernelINS0_14default_configENS1_29binary_search_config_selectorIN6thrust23THRUST_200600_302600_NS5tupleIiiNS6_9null_typeES8_S8_S8_S8_S8_S8_S8_EEbEEZNS1_14transform_implILb0ES3_SA_NS6_6detail15normal_iteratorINS6_10device_ptrIS9_EEEENSD_INSE_IbEEEEZNS1_13binary_searchIS3_SA_SG_SG_SI_NS1_16binary_search_opENSC_16wrapped_functionINS0_4lessIvEEbEEEE10hipError_tPvRmT1_T2_T3_mmT4_T5_P12ihipStream_tbEUlRKS9_E_EESP_ST_SU_mSV_SY_bEUlT_E_NS1_11comp_targetILNS1_3genE3ELNS1_11target_archE908ELNS1_3gpuE7ELNS1_3repE0EEENS1_30default_config_static_selectorELNS0_4arch9wavefront6targetE0EEEvSS_.uses_vcc, 0
	.set _ZN7rocprim17ROCPRIM_400000_NS6detail17trampoline_kernelINS0_14default_configENS1_29binary_search_config_selectorIN6thrust23THRUST_200600_302600_NS5tupleIiiNS6_9null_typeES8_S8_S8_S8_S8_S8_S8_EEbEEZNS1_14transform_implILb0ES3_SA_NS6_6detail15normal_iteratorINS6_10device_ptrIS9_EEEENSD_INSE_IbEEEEZNS1_13binary_searchIS3_SA_SG_SG_SI_NS1_16binary_search_opENSC_16wrapped_functionINS0_4lessIvEEbEEEE10hipError_tPvRmT1_T2_T3_mmT4_T5_P12ihipStream_tbEUlRKS9_E_EESP_ST_SU_mSV_SY_bEUlT_E_NS1_11comp_targetILNS1_3genE3ELNS1_11target_archE908ELNS1_3gpuE7ELNS1_3repE0EEENS1_30default_config_static_selectorELNS0_4arch9wavefront6targetE0EEEvSS_.uses_flat_scratch, 0
	.set _ZN7rocprim17ROCPRIM_400000_NS6detail17trampoline_kernelINS0_14default_configENS1_29binary_search_config_selectorIN6thrust23THRUST_200600_302600_NS5tupleIiiNS6_9null_typeES8_S8_S8_S8_S8_S8_S8_EEbEEZNS1_14transform_implILb0ES3_SA_NS6_6detail15normal_iteratorINS6_10device_ptrIS9_EEEENSD_INSE_IbEEEEZNS1_13binary_searchIS3_SA_SG_SG_SI_NS1_16binary_search_opENSC_16wrapped_functionINS0_4lessIvEEbEEEE10hipError_tPvRmT1_T2_T3_mmT4_T5_P12ihipStream_tbEUlRKS9_E_EESP_ST_SU_mSV_SY_bEUlT_E_NS1_11comp_targetILNS1_3genE3ELNS1_11target_archE908ELNS1_3gpuE7ELNS1_3repE0EEENS1_30default_config_static_selectorELNS0_4arch9wavefront6targetE0EEEvSS_.has_dyn_sized_stack, 0
	.set _ZN7rocprim17ROCPRIM_400000_NS6detail17trampoline_kernelINS0_14default_configENS1_29binary_search_config_selectorIN6thrust23THRUST_200600_302600_NS5tupleIiiNS6_9null_typeES8_S8_S8_S8_S8_S8_S8_EEbEEZNS1_14transform_implILb0ES3_SA_NS6_6detail15normal_iteratorINS6_10device_ptrIS9_EEEENSD_INSE_IbEEEEZNS1_13binary_searchIS3_SA_SG_SG_SI_NS1_16binary_search_opENSC_16wrapped_functionINS0_4lessIvEEbEEEE10hipError_tPvRmT1_T2_T3_mmT4_T5_P12ihipStream_tbEUlRKS9_E_EESP_ST_SU_mSV_SY_bEUlT_E_NS1_11comp_targetILNS1_3genE3ELNS1_11target_archE908ELNS1_3gpuE7ELNS1_3repE0EEENS1_30default_config_static_selectorELNS0_4arch9wavefront6targetE0EEEvSS_.has_recursion, 0
	.set _ZN7rocprim17ROCPRIM_400000_NS6detail17trampoline_kernelINS0_14default_configENS1_29binary_search_config_selectorIN6thrust23THRUST_200600_302600_NS5tupleIiiNS6_9null_typeES8_S8_S8_S8_S8_S8_S8_EEbEEZNS1_14transform_implILb0ES3_SA_NS6_6detail15normal_iteratorINS6_10device_ptrIS9_EEEENSD_INSE_IbEEEEZNS1_13binary_searchIS3_SA_SG_SG_SI_NS1_16binary_search_opENSC_16wrapped_functionINS0_4lessIvEEbEEEE10hipError_tPvRmT1_T2_T3_mmT4_T5_P12ihipStream_tbEUlRKS9_E_EESP_ST_SU_mSV_SY_bEUlT_E_NS1_11comp_targetILNS1_3genE3ELNS1_11target_archE908ELNS1_3gpuE7ELNS1_3repE0EEENS1_30default_config_static_selectorELNS0_4arch9wavefront6targetE0EEEvSS_.has_indirect_call, 0
	.section	.AMDGPU.csdata,"",@progbits
; Kernel info:
; codeLenInByte = 0
; TotalNumSgprs: 0
; NumVgprs: 0
; ScratchSize: 0
; MemoryBound: 0
; FloatMode: 240
; IeeeMode: 1
; LDSByteSize: 0 bytes/workgroup (compile time only)
; SGPRBlocks: 0
; VGPRBlocks: 0
; NumSGPRsForWavesPerEU: 1
; NumVGPRsForWavesPerEU: 1
; Occupancy: 16
; WaveLimiterHint : 0
; COMPUTE_PGM_RSRC2:SCRATCH_EN: 0
; COMPUTE_PGM_RSRC2:USER_SGPR: 6
; COMPUTE_PGM_RSRC2:TRAP_HANDLER: 0
; COMPUTE_PGM_RSRC2:TGID_X_EN: 1
; COMPUTE_PGM_RSRC2:TGID_Y_EN: 0
; COMPUTE_PGM_RSRC2:TGID_Z_EN: 0
; COMPUTE_PGM_RSRC2:TIDIG_COMP_CNT: 0
	.section	.text._ZN7rocprim17ROCPRIM_400000_NS6detail17trampoline_kernelINS0_14default_configENS1_29binary_search_config_selectorIN6thrust23THRUST_200600_302600_NS5tupleIiiNS6_9null_typeES8_S8_S8_S8_S8_S8_S8_EEbEEZNS1_14transform_implILb0ES3_SA_NS6_6detail15normal_iteratorINS6_10device_ptrIS9_EEEENSD_INSE_IbEEEEZNS1_13binary_searchIS3_SA_SG_SG_SI_NS1_16binary_search_opENSC_16wrapped_functionINS0_4lessIvEEbEEEE10hipError_tPvRmT1_T2_T3_mmT4_T5_P12ihipStream_tbEUlRKS9_E_EESP_ST_SU_mSV_SY_bEUlT_E_NS1_11comp_targetILNS1_3genE2ELNS1_11target_archE906ELNS1_3gpuE6ELNS1_3repE0EEENS1_30default_config_static_selectorELNS0_4arch9wavefront6targetE0EEEvSS_,"axG",@progbits,_ZN7rocprim17ROCPRIM_400000_NS6detail17trampoline_kernelINS0_14default_configENS1_29binary_search_config_selectorIN6thrust23THRUST_200600_302600_NS5tupleIiiNS6_9null_typeES8_S8_S8_S8_S8_S8_S8_EEbEEZNS1_14transform_implILb0ES3_SA_NS6_6detail15normal_iteratorINS6_10device_ptrIS9_EEEENSD_INSE_IbEEEEZNS1_13binary_searchIS3_SA_SG_SG_SI_NS1_16binary_search_opENSC_16wrapped_functionINS0_4lessIvEEbEEEE10hipError_tPvRmT1_T2_T3_mmT4_T5_P12ihipStream_tbEUlRKS9_E_EESP_ST_SU_mSV_SY_bEUlT_E_NS1_11comp_targetILNS1_3genE2ELNS1_11target_archE906ELNS1_3gpuE6ELNS1_3repE0EEENS1_30default_config_static_selectorELNS0_4arch9wavefront6targetE0EEEvSS_,comdat
	.protected	_ZN7rocprim17ROCPRIM_400000_NS6detail17trampoline_kernelINS0_14default_configENS1_29binary_search_config_selectorIN6thrust23THRUST_200600_302600_NS5tupleIiiNS6_9null_typeES8_S8_S8_S8_S8_S8_S8_EEbEEZNS1_14transform_implILb0ES3_SA_NS6_6detail15normal_iteratorINS6_10device_ptrIS9_EEEENSD_INSE_IbEEEEZNS1_13binary_searchIS3_SA_SG_SG_SI_NS1_16binary_search_opENSC_16wrapped_functionINS0_4lessIvEEbEEEE10hipError_tPvRmT1_T2_T3_mmT4_T5_P12ihipStream_tbEUlRKS9_E_EESP_ST_SU_mSV_SY_bEUlT_E_NS1_11comp_targetILNS1_3genE2ELNS1_11target_archE906ELNS1_3gpuE6ELNS1_3repE0EEENS1_30default_config_static_selectorELNS0_4arch9wavefront6targetE0EEEvSS_ ; -- Begin function _ZN7rocprim17ROCPRIM_400000_NS6detail17trampoline_kernelINS0_14default_configENS1_29binary_search_config_selectorIN6thrust23THRUST_200600_302600_NS5tupleIiiNS6_9null_typeES8_S8_S8_S8_S8_S8_S8_EEbEEZNS1_14transform_implILb0ES3_SA_NS6_6detail15normal_iteratorINS6_10device_ptrIS9_EEEENSD_INSE_IbEEEEZNS1_13binary_searchIS3_SA_SG_SG_SI_NS1_16binary_search_opENSC_16wrapped_functionINS0_4lessIvEEbEEEE10hipError_tPvRmT1_T2_T3_mmT4_T5_P12ihipStream_tbEUlRKS9_E_EESP_ST_SU_mSV_SY_bEUlT_E_NS1_11comp_targetILNS1_3genE2ELNS1_11target_archE906ELNS1_3gpuE6ELNS1_3repE0EEENS1_30default_config_static_selectorELNS0_4arch9wavefront6targetE0EEEvSS_
	.globl	_ZN7rocprim17ROCPRIM_400000_NS6detail17trampoline_kernelINS0_14default_configENS1_29binary_search_config_selectorIN6thrust23THRUST_200600_302600_NS5tupleIiiNS6_9null_typeES8_S8_S8_S8_S8_S8_S8_EEbEEZNS1_14transform_implILb0ES3_SA_NS6_6detail15normal_iteratorINS6_10device_ptrIS9_EEEENSD_INSE_IbEEEEZNS1_13binary_searchIS3_SA_SG_SG_SI_NS1_16binary_search_opENSC_16wrapped_functionINS0_4lessIvEEbEEEE10hipError_tPvRmT1_T2_T3_mmT4_T5_P12ihipStream_tbEUlRKS9_E_EESP_ST_SU_mSV_SY_bEUlT_E_NS1_11comp_targetILNS1_3genE2ELNS1_11target_archE906ELNS1_3gpuE6ELNS1_3repE0EEENS1_30default_config_static_selectorELNS0_4arch9wavefront6targetE0EEEvSS_
	.p2align	8
	.type	_ZN7rocprim17ROCPRIM_400000_NS6detail17trampoline_kernelINS0_14default_configENS1_29binary_search_config_selectorIN6thrust23THRUST_200600_302600_NS5tupleIiiNS6_9null_typeES8_S8_S8_S8_S8_S8_S8_EEbEEZNS1_14transform_implILb0ES3_SA_NS6_6detail15normal_iteratorINS6_10device_ptrIS9_EEEENSD_INSE_IbEEEEZNS1_13binary_searchIS3_SA_SG_SG_SI_NS1_16binary_search_opENSC_16wrapped_functionINS0_4lessIvEEbEEEE10hipError_tPvRmT1_T2_T3_mmT4_T5_P12ihipStream_tbEUlRKS9_E_EESP_ST_SU_mSV_SY_bEUlT_E_NS1_11comp_targetILNS1_3genE2ELNS1_11target_archE906ELNS1_3gpuE6ELNS1_3repE0EEENS1_30default_config_static_selectorELNS0_4arch9wavefront6targetE0EEEvSS_,@function
_ZN7rocprim17ROCPRIM_400000_NS6detail17trampoline_kernelINS0_14default_configENS1_29binary_search_config_selectorIN6thrust23THRUST_200600_302600_NS5tupleIiiNS6_9null_typeES8_S8_S8_S8_S8_S8_S8_EEbEEZNS1_14transform_implILb0ES3_SA_NS6_6detail15normal_iteratorINS6_10device_ptrIS9_EEEENSD_INSE_IbEEEEZNS1_13binary_searchIS3_SA_SG_SG_SI_NS1_16binary_search_opENSC_16wrapped_functionINS0_4lessIvEEbEEEE10hipError_tPvRmT1_T2_T3_mmT4_T5_P12ihipStream_tbEUlRKS9_E_EESP_ST_SU_mSV_SY_bEUlT_E_NS1_11comp_targetILNS1_3genE2ELNS1_11target_archE906ELNS1_3gpuE6ELNS1_3repE0EEENS1_30default_config_static_selectorELNS0_4arch9wavefront6targetE0EEEvSS_: ; @_ZN7rocprim17ROCPRIM_400000_NS6detail17trampoline_kernelINS0_14default_configENS1_29binary_search_config_selectorIN6thrust23THRUST_200600_302600_NS5tupleIiiNS6_9null_typeES8_S8_S8_S8_S8_S8_S8_EEbEEZNS1_14transform_implILb0ES3_SA_NS6_6detail15normal_iteratorINS6_10device_ptrIS9_EEEENSD_INSE_IbEEEEZNS1_13binary_searchIS3_SA_SG_SG_SI_NS1_16binary_search_opENSC_16wrapped_functionINS0_4lessIvEEbEEEE10hipError_tPvRmT1_T2_T3_mmT4_T5_P12ihipStream_tbEUlRKS9_E_EESP_ST_SU_mSV_SY_bEUlT_E_NS1_11comp_targetILNS1_3genE2ELNS1_11target_archE906ELNS1_3gpuE6ELNS1_3repE0EEENS1_30default_config_static_selectorELNS0_4arch9wavefront6targetE0EEEvSS_
; %bb.0:
	.section	.rodata,"a",@progbits
	.p2align	6, 0x0
	.amdhsa_kernel _ZN7rocprim17ROCPRIM_400000_NS6detail17trampoline_kernelINS0_14default_configENS1_29binary_search_config_selectorIN6thrust23THRUST_200600_302600_NS5tupleIiiNS6_9null_typeES8_S8_S8_S8_S8_S8_S8_EEbEEZNS1_14transform_implILb0ES3_SA_NS6_6detail15normal_iteratorINS6_10device_ptrIS9_EEEENSD_INSE_IbEEEEZNS1_13binary_searchIS3_SA_SG_SG_SI_NS1_16binary_search_opENSC_16wrapped_functionINS0_4lessIvEEbEEEE10hipError_tPvRmT1_T2_T3_mmT4_T5_P12ihipStream_tbEUlRKS9_E_EESP_ST_SU_mSV_SY_bEUlT_E_NS1_11comp_targetILNS1_3genE2ELNS1_11target_archE906ELNS1_3gpuE6ELNS1_3repE0EEENS1_30default_config_static_selectorELNS0_4arch9wavefront6targetE0EEEvSS_
		.amdhsa_group_segment_fixed_size 0
		.amdhsa_private_segment_fixed_size 0
		.amdhsa_kernarg_size 56
		.amdhsa_user_sgpr_count 6
		.amdhsa_user_sgpr_private_segment_buffer 1
		.amdhsa_user_sgpr_dispatch_ptr 0
		.amdhsa_user_sgpr_queue_ptr 0
		.amdhsa_user_sgpr_kernarg_segment_ptr 1
		.amdhsa_user_sgpr_dispatch_id 0
		.amdhsa_user_sgpr_flat_scratch_init 0
		.amdhsa_user_sgpr_private_segment_size 0
		.amdhsa_wavefront_size32 1
		.amdhsa_uses_dynamic_stack 0
		.amdhsa_system_sgpr_private_segment_wavefront_offset 0
		.amdhsa_system_sgpr_workgroup_id_x 1
		.amdhsa_system_sgpr_workgroup_id_y 0
		.amdhsa_system_sgpr_workgroup_id_z 0
		.amdhsa_system_sgpr_workgroup_info 0
		.amdhsa_system_vgpr_workitem_id 0
		.amdhsa_next_free_vgpr 1
		.amdhsa_next_free_sgpr 1
		.amdhsa_reserve_vcc 0
		.amdhsa_reserve_flat_scratch 0
		.amdhsa_float_round_mode_32 0
		.amdhsa_float_round_mode_16_64 0
		.amdhsa_float_denorm_mode_32 3
		.amdhsa_float_denorm_mode_16_64 3
		.amdhsa_dx10_clamp 1
		.amdhsa_ieee_mode 1
		.amdhsa_fp16_overflow 0
		.amdhsa_workgroup_processor_mode 1
		.amdhsa_memory_ordered 1
		.amdhsa_forward_progress 1
		.amdhsa_shared_vgpr_count 0
		.amdhsa_exception_fp_ieee_invalid_op 0
		.amdhsa_exception_fp_denorm_src 0
		.amdhsa_exception_fp_ieee_div_zero 0
		.amdhsa_exception_fp_ieee_overflow 0
		.amdhsa_exception_fp_ieee_underflow 0
		.amdhsa_exception_fp_ieee_inexact 0
		.amdhsa_exception_int_div_zero 0
	.end_amdhsa_kernel
	.section	.text._ZN7rocprim17ROCPRIM_400000_NS6detail17trampoline_kernelINS0_14default_configENS1_29binary_search_config_selectorIN6thrust23THRUST_200600_302600_NS5tupleIiiNS6_9null_typeES8_S8_S8_S8_S8_S8_S8_EEbEEZNS1_14transform_implILb0ES3_SA_NS6_6detail15normal_iteratorINS6_10device_ptrIS9_EEEENSD_INSE_IbEEEEZNS1_13binary_searchIS3_SA_SG_SG_SI_NS1_16binary_search_opENSC_16wrapped_functionINS0_4lessIvEEbEEEE10hipError_tPvRmT1_T2_T3_mmT4_T5_P12ihipStream_tbEUlRKS9_E_EESP_ST_SU_mSV_SY_bEUlT_E_NS1_11comp_targetILNS1_3genE2ELNS1_11target_archE906ELNS1_3gpuE6ELNS1_3repE0EEENS1_30default_config_static_selectorELNS0_4arch9wavefront6targetE0EEEvSS_,"axG",@progbits,_ZN7rocprim17ROCPRIM_400000_NS6detail17trampoline_kernelINS0_14default_configENS1_29binary_search_config_selectorIN6thrust23THRUST_200600_302600_NS5tupleIiiNS6_9null_typeES8_S8_S8_S8_S8_S8_S8_EEbEEZNS1_14transform_implILb0ES3_SA_NS6_6detail15normal_iteratorINS6_10device_ptrIS9_EEEENSD_INSE_IbEEEEZNS1_13binary_searchIS3_SA_SG_SG_SI_NS1_16binary_search_opENSC_16wrapped_functionINS0_4lessIvEEbEEEE10hipError_tPvRmT1_T2_T3_mmT4_T5_P12ihipStream_tbEUlRKS9_E_EESP_ST_SU_mSV_SY_bEUlT_E_NS1_11comp_targetILNS1_3genE2ELNS1_11target_archE906ELNS1_3gpuE6ELNS1_3repE0EEENS1_30default_config_static_selectorELNS0_4arch9wavefront6targetE0EEEvSS_,comdat
.Lfunc_end765:
	.size	_ZN7rocprim17ROCPRIM_400000_NS6detail17trampoline_kernelINS0_14default_configENS1_29binary_search_config_selectorIN6thrust23THRUST_200600_302600_NS5tupleIiiNS6_9null_typeES8_S8_S8_S8_S8_S8_S8_EEbEEZNS1_14transform_implILb0ES3_SA_NS6_6detail15normal_iteratorINS6_10device_ptrIS9_EEEENSD_INSE_IbEEEEZNS1_13binary_searchIS3_SA_SG_SG_SI_NS1_16binary_search_opENSC_16wrapped_functionINS0_4lessIvEEbEEEE10hipError_tPvRmT1_T2_T3_mmT4_T5_P12ihipStream_tbEUlRKS9_E_EESP_ST_SU_mSV_SY_bEUlT_E_NS1_11comp_targetILNS1_3genE2ELNS1_11target_archE906ELNS1_3gpuE6ELNS1_3repE0EEENS1_30default_config_static_selectorELNS0_4arch9wavefront6targetE0EEEvSS_, .Lfunc_end765-_ZN7rocprim17ROCPRIM_400000_NS6detail17trampoline_kernelINS0_14default_configENS1_29binary_search_config_selectorIN6thrust23THRUST_200600_302600_NS5tupleIiiNS6_9null_typeES8_S8_S8_S8_S8_S8_S8_EEbEEZNS1_14transform_implILb0ES3_SA_NS6_6detail15normal_iteratorINS6_10device_ptrIS9_EEEENSD_INSE_IbEEEEZNS1_13binary_searchIS3_SA_SG_SG_SI_NS1_16binary_search_opENSC_16wrapped_functionINS0_4lessIvEEbEEEE10hipError_tPvRmT1_T2_T3_mmT4_T5_P12ihipStream_tbEUlRKS9_E_EESP_ST_SU_mSV_SY_bEUlT_E_NS1_11comp_targetILNS1_3genE2ELNS1_11target_archE906ELNS1_3gpuE6ELNS1_3repE0EEENS1_30default_config_static_selectorELNS0_4arch9wavefront6targetE0EEEvSS_
                                        ; -- End function
	.set _ZN7rocprim17ROCPRIM_400000_NS6detail17trampoline_kernelINS0_14default_configENS1_29binary_search_config_selectorIN6thrust23THRUST_200600_302600_NS5tupleIiiNS6_9null_typeES8_S8_S8_S8_S8_S8_S8_EEbEEZNS1_14transform_implILb0ES3_SA_NS6_6detail15normal_iteratorINS6_10device_ptrIS9_EEEENSD_INSE_IbEEEEZNS1_13binary_searchIS3_SA_SG_SG_SI_NS1_16binary_search_opENSC_16wrapped_functionINS0_4lessIvEEbEEEE10hipError_tPvRmT1_T2_T3_mmT4_T5_P12ihipStream_tbEUlRKS9_E_EESP_ST_SU_mSV_SY_bEUlT_E_NS1_11comp_targetILNS1_3genE2ELNS1_11target_archE906ELNS1_3gpuE6ELNS1_3repE0EEENS1_30default_config_static_selectorELNS0_4arch9wavefront6targetE0EEEvSS_.num_vgpr, 0
	.set _ZN7rocprim17ROCPRIM_400000_NS6detail17trampoline_kernelINS0_14default_configENS1_29binary_search_config_selectorIN6thrust23THRUST_200600_302600_NS5tupleIiiNS6_9null_typeES8_S8_S8_S8_S8_S8_S8_EEbEEZNS1_14transform_implILb0ES3_SA_NS6_6detail15normal_iteratorINS6_10device_ptrIS9_EEEENSD_INSE_IbEEEEZNS1_13binary_searchIS3_SA_SG_SG_SI_NS1_16binary_search_opENSC_16wrapped_functionINS0_4lessIvEEbEEEE10hipError_tPvRmT1_T2_T3_mmT4_T5_P12ihipStream_tbEUlRKS9_E_EESP_ST_SU_mSV_SY_bEUlT_E_NS1_11comp_targetILNS1_3genE2ELNS1_11target_archE906ELNS1_3gpuE6ELNS1_3repE0EEENS1_30default_config_static_selectorELNS0_4arch9wavefront6targetE0EEEvSS_.num_agpr, 0
	.set _ZN7rocprim17ROCPRIM_400000_NS6detail17trampoline_kernelINS0_14default_configENS1_29binary_search_config_selectorIN6thrust23THRUST_200600_302600_NS5tupleIiiNS6_9null_typeES8_S8_S8_S8_S8_S8_S8_EEbEEZNS1_14transform_implILb0ES3_SA_NS6_6detail15normal_iteratorINS6_10device_ptrIS9_EEEENSD_INSE_IbEEEEZNS1_13binary_searchIS3_SA_SG_SG_SI_NS1_16binary_search_opENSC_16wrapped_functionINS0_4lessIvEEbEEEE10hipError_tPvRmT1_T2_T3_mmT4_T5_P12ihipStream_tbEUlRKS9_E_EESP_ST_SU_mSV_SY_bEUlT_E_NS1_11comp_targetILNS1_3genE2ELNS1_11target_archE906ELNS1_3gpuE6ELNS1_3repE0EEENS1_30default_config_static_selectorELNS0_4arch9wavefront6targetE0EEEvSS_.numbered_sgpr, 0
	.set _ZN7rocprim17ROCPRIM_400000_NS6detail17trampoline_kernelINS0_14default_configENS1_29binary_search_config_selectorIN6thrust23THRUST_200600_302600_NS5tupleIiiNS6_9null_typeES8_S8_S8_S8_S8_S8_S8_EEbEEZNS1_14transform_implILb0ES3_SA_NS6_6detail15normal_iteratorINS6_10device_ptrIS9_EEEENSD_INSE_IbEEEEZNS1_13binary_searchIS3_SA_SG_SG_SI_NS1_16binary_search_opENSC_16wrapped_functionINS0_4lessIvEEbEEEE10hipError_tPvRmT1_T2_T3_mmT4_T5_P12ihipStream_tbEUlRKS9_E_EESP_ST_SU_mSV_SY_bEUlT_E_NS1_11comp_targetILNS1_3genE2ELNS1_11target_archE906ELNS1_3gpuE6ELNS1_3repE0EEENS1_30default_config_static_selectorELNS0_4arch9wavefront6targetE0EEEvSS_.num_named_barrier, 0
	.set _ZN7rocprim17ROCPRIM_400000_NS6detail17trampoline_kernelINS0_14default_configENS1_29binary_search_config_selectorIN6thrust23THRUST_200600_302600_NS5tupleIiiNS6_9null_typeES8_S8_S8_S8_S8_S8_S8_EEbEEZNS1_14transform_implILb0ES3_SA_NS6_6detail15normal_iteratorINS6_10device_ptrIS9_EEEENSD_INSE_IbEEEEZNS1_13binary_searchIS3_SA_SG_SG_SI_NS1_16binary_search_opENSC_16wrapped_functionINS0_4lessIvEEbEEEE10hipError_tPvRmT1_T2_T3_mmT4_T5_P12ihipStream_tbEUlRKS9_E_EESP_ST_SU_mSV_SY_bEUlT_E_NS1_11comp_targetILNS1_3genE2ELNS1_11target_archE906ELNS1_3gpuE6ELNS1_3repE0EEENS1_30default_config_static_selectorELNS0_4arch9wavefront6targetE0EEEvSS_.private_seg_size, 0
	.set _ZN7rocprim17ROCPRIM_400000_NS6detail17trampoline_kernelINS0_14default_configENS1_29binary_search_config_selectorIN6thrust23THRUST_200600_302600_NS5tupleIiiNS6_9null_typeES8_S8_S8_S8_S8_S8_S8_EEbEEZNS1_14transform_implILb0ES3_SA_NS6_6detail15normal_iteratorINS6_10device_ptrIS9_EEEENSD_INSE_IbEEEEZNS1_13binary_searchIS3_SA_SG_SG_SI_NS1_16binary_search_opENSC_16wrapped_functionINS0_4lessIvEEbEEEE10hipError_tPvRmT1_T2_T3_mmT4_T5_P12ihipStream_tbEUlRKS9_E_EESP_ST_SU_mSV_SY_bEUlT_E_NS1_11comp_targetILNS1_3genE2ELNS1_11target_archE906ELNS1_3gpuE6ELNS1_3repE0EEENS1_30default_config_static_selectorELNS0_4arch9wavefront6targetE0EEEvSS_.uses_vcc, 0
	.set _ZN7rocprim17ROCPRIM_400000_NS6detail17trampoline_kernelINS0_14default_configENS1_29binary_search_config_selectorIN6thrust23THRUST_200600_302600_NS5tupleIiiNS6_9null_typeES8_S8_S8_S8_S8_S8_S8_EEbEEZNS1_14transform_implILb0ES3_SA_NS6_6detail15normal_iteratorINS6_10device_ptrIS9_EEEENSD_INSE_IbEEEEZNS1_13binary_searchIS3_SA_SG_SG_SI_NS1_16binary_search_opENSC_16wrapped_functionINS0_4lessIvEEbEEEE10hipError_tPvRmT1_T2_T3_mmT4_T5_P12ihipStream_tbEUlRKS9_E_EESP_ST_SU_mSV_SY_bEUlT_E_NS1_11comp_targetILNS1_3genE2ELNS1_11target_archE906ELNS1_3gpuE6ELNS1_3repE0EEENS1_30default_config_static_selectorELNS0_4arch9wavefront6targetE0EEEvSS_.uses_flat_scratch, 0
	.set _ZN7rocprim17ROCPRIM_400000_NS6detail17trampoline_kernelINS0_14default_configENS1_29binary_search_config_selectorIN6thrust23THRUST_200600_302600_NS5tupleIiiNS6_9null_typeES8_S8_S8_S8_S8_S8_S8_EEbEEZNS1_14transform_implILb0ES3_SA_NS6_6detail15normal_iteratorINS6_10device_ptrIS9_EEEENSD_INSE_IbEEEEZNS1_13binary_searchIS3_SA_SG_SG_SI_NS1_16binary_search_opENSC_16wrapped_functionINS0_4lessIvEEbEEEE10hipError_tPvRmT1_T2_T3_mmT4_T5_P12ihipStream_tbEUlRKS9_E_EESP_ST_SU_mSV_SY_bEUlT_E_NS1_11comp_targetILNS1_3genE2ELNS1_11target_archE906ELNS1_3gpuE6ELNS1_3repE0EEENS1_30default_config_static_selectorELNS0_4arch9wavefront6targetE0EEEvSS_.has_dyn_sized_stack, 0
	.set _ZN7rocprim17ROCPRIM_400000_NS6detail17trampoline_kernelINS0_14default_configENS1_29binary_search_config_selectorIN6thrust23THRUST_200600_302600_NS5tupleIiiNS6_9null_typeES8_S8_S8_S8_S8_S8_S8_EEbEEZNS1_14transform_implILb0ES3_SA_NS6_6detail15normal_iteratorINS6_10device_ptrIS9_EEEENSD_INSE_IbEEEEZNS1_13binary_searchIS3_SA_SG_SG_SI_NS1_16binary_search_opENSC_16wrapped_functionINS0_4lessIvEEbEEEE10hipError_tPvRmT1_T2_T3_mmT4_T5_P12ihipStream_tbEUlRKS9_E_EESP_ST_SU_mSV_SY_bEUlT_E_NS1_11comp_targetILNS1_3genE2ELNS1_11target_archE906ELNS1_3gpuE6ELNS1_3repE0EEENS1_30default_config_static_selectorELNS0_4arch9wavefront6targetE0EEEvSS_.has_recursion, 0
	.set _ZN7rocprim17ROCPRIM_400000_NS6detail17trampoline_kernelINS0_14default_configENS1_29binary_search_config_selectorIN6thrust23THRUST_200600_302600_NS5tupleIiiNS6_9null_typeES8_S8_S8_S8_S8_S8_S8_EEbEEZNS1_14transform_implILb0ES3_SA_NS6_6detail15normal_iteratorINS6_10device_ptrIS9_EEEENSD_INSE_IbEEEEZNS1_13binary_searchIS3_SA_SG_SG_SI_NS1_16binary_search_opENSC_16wrapped_functionINS0_4lessIvEEbEEEE10hipError_tPvRmT1_T2_T3_mmT4_T5_P12ihipStream_tbEUlRKS9_E_EESP_ST_SU_mSV_SY_bEUlT_E_NS1_11comp_targetILNS1_3genE2ELNS1_11target_archE906ELNS1_3gpuE6ELNS1_3repE0EEENS1_30default_config_static_selectorELNS0_4arch9wavefront6targetE0EEEvSS_.has_indirect_call, 0
	.section	.AMDGPU.csdata,"",@progbits
; Kernel info:
; codeLenInByte = 0
; TotalNumSgprs: 0
; NumVgprs: 0
; ScratchSize: 0
; MemoryBound: 0
; FloatMode: 240
; IeeeMode: 1
; LDSByteSize: 0 bytes/workgroup (compile time only)
; SGPRBlocks: 0
; VGPRBlocks: 0
; NumSGPRsForWavesPerEU: 1
; NumVGPRsForWavesPerEU: 1
; Occupancy: 16
; WaveLimiterHint : 0
; COMPUTE_PGM_RSRC2:SCRATCH_EN: 0
; COMPUTE_PGM_RSRC2:USER_SGPR: 6
; COMPUTE_PGM_RSRC2:TRAP_HANDLER: 0
; COMPUTE_PGM_RSRC2:TGID_X_EN: 1
; COMPUTE_PGM_RSRC2:TGID_Y_EN: 0
; COMPUTE_PGM_RSRC2:TGID_Z_EN: 0
; COMPUTE_PGM_RSRC2:TIDIG_COMP_CNT: 0
	.section	.text._ZN7rocprim17ROCPRIM_400000_NS6detail17trampoline_kernelINS0_14default_configENS1_29binary_search_config_selectorIN6thrust23THRUST_200600_302600_NS5tupleIiiNS6_9null_typeES8_S8_S8_S8_S8_S8_S8_EEbEEZNS1_14transform_implILb0ES3_SA_NS6_6detail15normal_iteratorINS6_10device_ptrIS9_EEEENSD_INSE_IbEEEEZNS1_13binary_searchIS3_SA_SG_SG_SI_NS1_16binary_search_opENSC_16wrapped_functionINS0_4lessIvEEbEEEE10hipError_tPvRmT1_T2_T3_mmT4_T5_P12ihipStream_tbEUlRKS9_E_EESP_ST_SU_mSV_SY_bEUlT_E_NS1_11comp_targetILNS1_3genE10ELNS1_11target_archE1201ELNS1_3gpuE5ELNS1_3repE0EEENS1_30default_config_static_selectorELNS0_4arch9wavefront6targetE0EEEvSS_,"axG",@progbits,_ZN7rocprim17ROCPRIM_400000_NS6detail17trampoline_kernelINS0_14default_configENS1_29binary_search_config_selectorIN6thrust23THRUST_200600_302600_NS5tupleIiiNS6_9null_typeES8_S8_S8_S8_S8_S8_S8_EEbEEZNS1_14transform_implILb0ES3_SA_NS6_6detail15normal_iteratorINS6_10device_ptrIS9_EEEENSD_INSE_IbEEEEZNS1_13binary_searchIS3_SA_SG_SG_SI_NS1_16binary_search_opENSC_16wrapped_functionINS0_4lessIvEEbEEEE10hipError_tPvRmT1_T2_T3_mmT4_T5_P12ihipStream_tbEUlRKS9_E_EESP_ST_SU_mSV_SY_bEUlT_E_NS1_11comp_targetILNS1_3genE10ELNS1_11target_archE1201ELNS1_3gpuE5ELNS1_3repE0EEENS1_30default_config_static_selectorELNS0_4arch9wavefront6targetE0EEEvSS_,comdat
	.protected	_ZN7rocprim17ROCPRIM_400000_NS6detail17trampoline_kernelINS0_14default_configENS1_29binary_search_config_selectorIN6thrust23THRUST_200600_302600_NS5tupleIiiNS6_9null_typeES8_S8_S8_S8_S8_S8_S8_EEbEEZNS1_14transform_implILb0ES3_SA_NS6_6detail15normal_iteratorINS6_10device_ptrIS9_EEEENSD_INSE_IbEEEEZNS1_13binary_searchIS3_SA_SG_SG_SI_NS1_16binary_search_opENSC_16wrapped_functionINS0_4lessIvEEbEEEE10hipError_tPvRmT1_T2_T3_mmT4_T5_P12ihipStream_tbEUlRKS9_E_EESP_ST_SU_mSV_SY_bEUlT_E_NS1_11comp_targetILNS1_3genE10ELNS1_11target_archE1201ELNS1_3gpuE5ELNS1_3repE0EEENS1_30default_config_static_selectorELNS0_4arch9wavefront6targetE0EEEvSS_ ; -- Begin function _ZN7rocprim17ROCPRIM_400000_NS6detail17trampoline_kernelINS0_14default_configENS1_29binary_search_config_selectorIN6thrust23THRUST_200600_302600_NS5tupleIiiNS6_9null_typeES8_S8_S8_S8_S8_S8_S8_EEbEEZNS1_14transform_implILb0ES3_SA_NS6_6detail15normal_iteratorINS6_10device_ptrIS9_EEEENSD_INSE_IbEEEEZNS1_13binary_searchIS3_SA_SG_SG_SI_NS1_16binary_search_opENSC_16wrapped_functionINS0_4lessIvEEbEEEE10hipError_tPvRmT1_T2_T3_mmT4_T5_P12ihipStream_tbEUlRKS9_E_EESP_ST_SU_mSV_SY_bEUlT_E_NS1_11comp_targetILNS1_3genE10ELNS1_11target_archE1201ELNS1_3gpuE5ELNS1_3repE0EEENS1_30default_config_static_selectorELNS0_4arch9wavefront6targetE0EEEvSS_
	.globl	_ZN7rocprim17ROCPRIM_400000_NS6detail17trampoline_kernelINS0_14default_configENS1_29binary_search_config_selectorIN6thrust23THRUST_200600_302600_NS5tupleIiiNS6_9null_typeES8_S8_S8_S8_S8_S8_S8_EEbEEZNS1_14transform_implILb0ES3_SA_NS6_6detail15normal_iteratorINS6_10device_ptrIS9_EEEENSD_INSE_IbEEEEZNS1_13binary_searchIS3_SA_SG_SG_SI_NS1_16binary_search_opENSC_16wrapped_functionINS0_4lessIvEEbEEEE10hipError_tPvRmT1_T2_T3_mmT4_T5_P12ihipStream_tbEUlRKS9_E_EESP_ST_SU_mSV_SY_bEUlT_E_NS1_11comp_targetILNS1_3genE10ELNS1_11target_archE1201ELNS1_3gpuE5ELNS1_3repE0EEENS1_30default_config_static_selectorELNS0_4arch9wavefront6targetE0EEEvSS_
	.p2align	8
	.type	_ZN7rocprim17ROCPRIM_400000_NS6detail17trampoline_kernelINS0_14default_configENS1_29binary_search_config_selectorIN6thrust23THRUST_200600_302600_NS5tupleIiiNS6_9null_typeES8_S8_S8_S8_S8_S8_S8_EEbEEZNS1_14transform_implILb0ES3_SA_NS6_6detail15normal_iteratorINS6_10device_ptrIS9_EEEENSD_INSE_IbEEEEZNS1_13binary_searchIS3_SA_SG_SG_SI_NS1_16binary_search_opENSC_16wrapped_functionINS0_4lessIvEEbEEEE10hipError_tPvRmT1_T2_T3_mmT4_T5_P12ihipStream_tbEUlRKS9_E_EESP_ST_SU_mSV_SY_bEUlT_E_NS1_11comp_targetILNS1_3genE10ELNS1_11target_archE1201ELNS1_3gpuE5ELNS1_3repE0EEENS1_30default_config_static_selectorELNS0_4arch9wavefront6targetE0EEEvSS_,@function
_ZN7rocprim17ROCPRIM_400000_NS6detail17trampoline_kernelINS0_14default_configENS1_29binary_search_config_selectorIN6thrust23THRUST_200600_302600_NS5tupleIiiNS6_9null_typeES8_S8_S8_S8_S8_S8_S8_EEbEEZNS1_14transform_implILb0ES3_SA_NS6_6detail15normal_iteratorINS6_10device_ptrIS9_EEEENSD_INSE_IbEEEEZNS1_13binary_searchIS3_SA_SG_SG_SI_NS1_16binary_search_opENSC_16wrapped_functionINS0_4lessIvEEbEEEE10hipError_tPvRmT1_T2_T3_mmT4_T5_P12ihipStream_tbEUlRKS9_E_EESP_ST_SU_mSV_SY_bEUlT_E_NS1_11comp_targetILNS1_3genE10ELNS1_11target_archE1201ELNS1_3gpuE5ELNS1_3repE0EEENS1_30default_config_static_selectorELNS0_4arch9wavefront6targetE0EEEvSS_: ; @_ZN7rocprim17ROCPRIM_400000_NS6detail17trampoline_kernelINS0_14default_configENS1_29binary_search_config_selectorIN6thrust23THRUST_200600_302600_NS5tupleIiiNS6_9null_typeES8_S8_S8_S8_S8_S8_S8_EEbEEZNS1_14transform_implILb0ES3_SA_NS6_6detail15normal_iteratorINS6_10device_ptrIS9_EEEENSD_INSE_IbEEEEZNS1_13binary_searchIS3_SA_SG_SG_SI_NS1_16binary_search_opENSC_16wrapped_functionINS0_4lessIvEEbEEEE10hipError_tPvRmT1_T2_T3_mmT4_T5_P12ihipStream_tbEUlRKS9_E_EESP_ST_SU_mSV_SY_bEUlT_E_NS1_11comp_targetILNS1_3genE10ELNS1_11target_archE1201ELNS1_3gpuE5ELNS1_3repE0EEENS1_30default_config_static_selectorELNS0_4arch9wavefront6targetE0EEEvSS_
; %bb.0:
	.section	.rodata,"a",@progbits
	.p2align	6, 0x0
	.amdhsa_kernel _ZN7rocprim17ROCPRIM_400000_NS6detail17trampoline_kernelINS0_14default_configENS1_29binary_search_config_selectorIN6thrust23THRUST_200600_302600_NS5tupleIiiNS6_9null_typeES8_S8_S8_S8_S8_S8_S8_EEbEEZNS1_14transform_implILb0ES3_SA_NS6_6detail15normal_iteratorINS6_10device_ptrIS9_EEEENSD_INSE_IbEEEEZNS1_13binary_searchIS3_SA_SG_SG_SI_NS1_16binary_search_opENSC_16wrapped_functionINS0_4lessIvEEbEEEE10hipError_tPvRmT1_T2_T3_mmT4_T5_P12ihipStream_tbEUlRKS9_E_EESP_ST_SU_mSV_SY_bEUlT_E_NS1_11comp_targetILNS1_3genE10ELNS1_11target_archE1201ELNS1_3gpuE5ELNS1_3repE0EEENS1_30default_config_static_selectorELNS0_4arch9wavefront6targetE0EEEvSS_
		.amdhsa_group_segment_fixed_size 0
		.amdhsa_private_segment_fixed_size 0
		.amdhsa_kernarg_size 56
		.amdhsa_user_sgpr_count 6
		.amdhsa_user_sgpr_private_segment_buffer 1
		.amdhsa_user_sgpr_dispatch_ptr 0
		.amdhsa_user_sgpr_queue_ptr 0
		.amdhsa_user_sgpr_kernarg_segment_ptr 1
		.amdhsa_user_sgpr_dispatch_id 0
		.amdhsa_user_sgpr_flat_scratch_init 0
		.amdhsa_user_sgpr_private_segment_size 0
		.amdhsa_wavefront_size32 1
		.amdhsa_uses_dynamic_stack 0
		.amdhsa_system_sgpr_private_segment_wavefront_offset 0
		.amdhsa_system_sgpr_workgroup_id_x 1
		.amdhsa_system_sgpr_workgroup_id_y 0
		.amdhsa_system_sgpr_workgroup_id_z 0
		.amdhsa_system_sgpr_workgroup_info 0
		.amdhsa_system_vgpr_workitem_id 0
		.amdhsa_next_free_vgpr 1
		.amdhsa_next_free_sgpr 1
		.amdhsa_reserve_vcc 0
		.amdhsa_reserve_flat_scratch 0
		.amdhsa_float_round_mode_32 0
		.amdhsa_float_round_mode_16_64 0
		.amdhsa_float_denorm_mode_32 3
		.amdhsa_float_denorm_mode_16_64 3
		.amdhsa_dx10_clamp 1
		.amdhsa_ieee_mode 1
		.amdhsa_fp16_overflow 0
		.amdhsa_workgroup_processor_mode 1
		.amdhsa_memory_ordered 1
		.amdhsa_forward_progress 1
		.amdhsa_shared_vgpr_count 0
		.amdhsa_exception_fp_ieee_invalid_op 0
		.amdhsa_exception_fp_denorm_src 0
		.amdhsa_exception_fp_ieee_div_zero 0
		.amdhsa_exception_fp_ieee_overflow 0
		.amdhsa_exception_fp_ieee_underflow 0
		.amdhsa_exception_fp_ieee_inexact 0
		.amdhsa_exception_int_div_zero 0
	.end_amdhsa_kernel
	.section	.text._ZN7rocprim17ROCPRIM_400000_NS6detail17trampoline_kernelINS0_14default_configENS1_29binary_search_config_selectorIN6thrust23THRUST_200600_302600_NS5tupleIiiNS6_9null_typeES8_S8_S8_S8_S8_S8_S8_EEbEEZNS1_14transform_implILb0ES3_SA_NS6_6detail15normal_iteratorINS6_10device_ptrIS9_EEEENSD_INSE_IbEEEEZNS1_13binary_searchIS3_SA_SG_SG_SI_NS1_16binary_search_opENSC_16wrapped_functionINS0_4lessIvEEbEEEE10hipError_tPvRmT1_T2_T3_mmT4_T5_P12ihipStream_tbEUlRKS9_E_EESP_ST_SU_mSV_SY_bEUlT_E_NS1_11comp_targetILNS1_3genE10ELNS1_11target_archE1201ELNS1_3gpuE5ELNS1_3repE0EEENS1_30default_config_static_selectorELNS0_4arch9wavefront6targetE0EEEvSS_,"axG",@progbits,_ZN7rocprim17ROCPRIM_400000_NS6detail17trampoline_kernelINS0_14default_configENS1_29binary_search_config_selectorIN6thrust23THRUST_200600_302600_NS5tupleIiiNS6_9null_typeES8_S8_S8_S8_S8_S8_S8_EEbEEZNS1_14transform_implILb0ES3_SA_NS6_6detail15normal_iteratorINS6_10device_ptrIS9_EEEENSD_INSE_IbEEEEZNS1_13binary_searchIS3_SA_SG_SG_SI_NS1_16binary_search_opENSC_16wrapped_functionINS0_4lessIvEEbEEEE10hipError_tPvRmT1_T2_T3_mmT4_T5_P12ihipStream_tbEUlRKS9_E_EESP_ST_SU_mSV_SY_bEUlT_E_NS1_11comp_targetILNS1_3genE10ELNS1_11target_archE1201ELNS1_3gpuE5ELNS1_3repE0EEENS1_30default_config_static_selectorELNS0_4arch9wavefront6targetE0EEEvSS_,comdat
.Lfunc_end766:
	.size	_ZN7rocprim17ROCPRIM_400000_NS6detail17trampoline_kernelINS0_14default_configENS1_29binary_search_config_selectorIN6thrust23THRUST_200600_302600_NS5tupleIiiNS6_9null_typeES8_S8_S8_S8_S8_S8_S8_EEbEEZNS1_14transform_implILb0ES3_SA_NS6_6detail15normal_iteratorINS6_10device_ptrIS9_EEEENSD_INSE_IbEEEEZNS1_13binary_searchIS3_SA_SG_SG_SI_NS1_16binary_search_opENSC_16wrapped_functionINS0_4lessIvEEbEEEE10hipError_tPvRmT1_T2_T3_mmT4_T5_P12ihipStream_tbEUlRKS9_E_EESP_ST_SU_mSV_SY_bEUlT_E_NS1_11comp_targetILNS1_3genE10ELNS1_11target_archE1201ELNS1_3gpuE5ELNS1_3repE0EEENS1_30default_config_static_selectorELNS0_4arch9wavefront6targetE0EEEvSS_, .Lfunc_end766-_ZN7rocprim17ROCPRIM_400000_NS6detail17trampoline_kernelINS0_14default_configENS1_29binary_search_config_selectorIN6thrust23THRUST_200600_302600_NS5tupleIiiNS6_9null_typeES8_S8_S8_S8_S8_S8_S8_EEbEEZNS1_14transform_implILb0ES3_SA_NS6_6detail15normal_iteratorINS6_10device_ptrIS9_EEEENSD_INSE_IbEEEEZNS1_13binary_searchIS3_SA_SG_SG_SI_NS1_16binary_search_opENSC_16wrapped_functionINS0_4lessIvEEbEEEE10hipError_tPvRmT1_T2_T3_mmT4_T5_P12ihipStream_tbEUlRKS9_E_EESP_ST_SU_mSV_SY_bEUlT_E_NS1_11comp_targetILNS1_3genE10ELNS1_11target_archE1201ELNS1_3gpuE5ELNS1_3repE0EEENS1_30default_config_static_selectorELNS0_4arch9wavefront6targetE0EEEvSS_
                                        ; -- End function
	.set _ZN7rocprim17ROCPRIM_400000_NS6detail17trampoline_kernelINS0_14default_configENS1_29binary_search_config_selectorIN6thrust23THRUST_200600_302600_NS5tupleIiiNS6_9null_typeES8_S8_S8_S8_S8_S8_S8_EEbEEZNS1_14transform_implILb0ES3_SA_NS6_6detail15normal_iteratorINS6_10device_ptrIS9_EEEENSD_INSE_IbEEEEZNS1_13binary_searchIS3_SA_SG_SG_SI_NS1_16binary_search_opENSC_16wrapped_functionINS0_4lessIvEEbEEEE10hipError_tPvRmT1_T2_T3_mmT4_T5_P12ihipStream_tbEUlRKS9_E_EESP_ST_SU_mSV_SY_bEUlT_E_NS1_11comp_targetILNS1_3genE10ELNS1_11target_archE1201ELNS1_3gpuE5ELNS1_3repE0EEENS1_30default_config_static_selectorELNS0_4arch9wavefront6targetE0EEEvSS_.num_vgpr, 0
	.set _ZN7rocprim17ROCPRIM_400000_NS6detail17trampoline_kernelINS0_14default_configENS1_29binary_search_config_selectorIN6thrust23THRUST_200600_302600_NS5tupleIiiNS6_9null_typeES8_S8_S8_S8_S8_S8_S8_EEbEEZNS1_14transform_implILb0ES3_SA_NS6_6detail15normal_iteratorINS6_10device_ptrIS9_EEEENSD_INSE_IbEEEEZNS1_13binary_searchIS3_SA_SG_SG_SI_NS1_16binary_search_opENSC_16wrapped_functionINS0_4lessIvEEbEEEE10hipError_tPvRmT1_T2_T3_mmT4_T5_P12ihipStream_tbEUlRKS9_E_EESP_ST_SU_mSV_SY_bEUlT_E_NS1_11comp_targetILNS1_3genE10ELNS1_11target_archE1201ELNS1_3gpuE5ELNS1_3repE0EEENS1_30default_config_static_selectorELNS0_4arch9wavefront6targetE0EEEvSS_.num_agpr, 0
	.set _ZN7rocprim17ROCPRIM_400000_NS6detail17trampoline_kernelINS0_14default_configENS1_29binary_search_config_selectorIN6thrust23THRUST_200600_302600_NS5tupleIiiNS6_9null_typeES8_S8_S8_S8_S8_S8_S8_EEbEEZNS1_14transform_implILb0ES3_SA_NS6_6detail15normal_iteratorINS6_10device_ptrIS9_EEEENSD_INSE_IbEEEEZNS1_13binary_searchIS3_SA_SG_SG_SI_NS1_16binary_search_opENSC_16wrapped_functionINS0_4lessIvEEbEEEE10hipError_tPvRmT1_T2_T3_mmT4_T5_P12ihipStream_tbEUlRKS9_E_EESP_ST_SU_mSV_SY_bEUlT_E_NS1_11comp_targetILNS1_3genE10ELNS1_11target_archE1201ELNS1_3gpuE5ELNS1_3repE0EEENS1_30default_config_static_selectorELNS0_4arch9wavefront6targetE0EEEvSS_.numbered_sgpr, 0
	.set _ZN7rocprim17ROCPRIM_400000_NS6detail17trampoline_kernelINS0_14default_configENS1_29binary_search_config_selectorIN6thrust23THRUST_200600_302600_NS5tupleIiiNS6_9null_typeES8_S8_S8_S8_S8_S8_S8_EEbEEZNS1_14transform_implILb0ES3_SA_NS6_6detail15normal_iteratorINS6_10device_ptrIS9_EEEENSD_INSE_IbEEEEZNS1_13binary_searchIS3_SA_SG_SG_SI_NS1_16binary_search_opENSC_16wrapped_functionINS0_4lessIvEEbEEEE10hipError_tPvRmT1_T2_T3_mmT4_T5_P12ihipStream_tbEUlRKS9_E_EESP_ST_SU_mSV_SY_bEUlT_E_NS1_11comp_targetILNS1_3genE10ELNS1_11target_archE1201ELNS1_3gpuE5ELNS1_3repE0EEENS1_30default_config_static_selectorELNS0_4arch9wavefront6targetE0EEEvSS_.num_named_barrier, 0
	.set _ZN7rocprim17ROCPRIM_400000_NS6detail17trampoline_kernelINS0_14default_configENS1_29binary_search_config_selectorIN6thrust23THRUST_200600_302600_NS5tupleIiiNS6_9null_typeES8_S8_S8_S8_S8_S8_S8_EEbEEZNS1_14transform_implILb0ES3_SA_NS6_6detail15normal_iteratorINS6_10device_ptrIS9_EEEENSD_INSE_IbEEEEZNS1_13binary_searchIS3_SA_SG_SG_SI_NS1_16binary_search_opENSC_16wrapped_functionINS0_4lessIvEEbEEEE10hipError_tPvRmT1_T2_T3_mmT4_T5_P12ihipStream_tbEUlRKS9_E_EESP_ST_SU_mSV_SY_bEUlT_E_NS1_11comp_targetILNS1_3genE10ELNS1_11target_archE1201ELNS1_3gpuE5ELNS1_3repE0EEENS1_30default_config_static_selectorELNS0_4arch9wavefront6targetE0EEEvSS_.private_seg_size, 0
	.set _ZN7rocprim17ROCPRIM_400000_NS6detail17trampoline_kernelINS0_14default_configENS1_29binary_search_config_selectorIN6thrust23THRUST_200600_302600_NS5tupleIiiNS6_9null_typeES8_S8_S8_S8_S8_S8_S8_EEbEEZNS1_14transform_implILb0ES3_SA_NS6_6detail15normal_iteratorINS6_10device_ptrIS9_EEEENSD_INSE_IbEEEEZNS1_13binary_searchIS3_SA_SG_SG_SI_NS1_16binary_search_opENSC_16wrapped_functionINS0_4lessIvEEbEEEE10hipError_tPvRmT1_T2_T3_mmT4_T5_P12ihipStream_tbEUlRKS9_E_EESP_ST_SU_mSV_SY_bEUlT_E_NS1_11comp_targetILNS1_3genE10ELNS1_11target_archE1201ELNS1_3gpuE5ELNS1_3repE0EEENS1_30default_config_static_selectorELNS0_4arch9wavefront6targetE0EEEvSS_.uses_vcc, 0
	.set _ZN7rocprim17ROCPRIM_400000_NS6detail17trampoline_kernelINS0_14default_configENS1_29binary_search_config_selectorIN6thrust23THRUST_200600_302600_NS5tupleIiiNS6_9null_typeES8_S8_S8_S8_S8_S8_S8_EEbEEZNS1_14transform_implILb0ES3_SA_NS6_6detail15normal_iteratorINS6_10device_ptrIS9_EEEENSD_INSE_IbEEEEZNS1_13binary_searchIS3_SA_SG_SG_SI_NS1_16binary_search_opENSC_16wrapped_functionINS0_4lessIvEEbEEEE10hipError_tPvRmT1_T2_T3_mmT4_T5_P12ihipStream_tbEUlRKS9_E_EESP_ST_SU_mSV_SY_bEUlT_E_NS1_11comp_targetILNS1_3genE10ELNS1_11target_archE1201ELNS1_3gpuE5ELNS1_3repE0EEENS1_30default_config_static_selectorELNS0_4arch9wavefront6targetE0EEEvSS_.uses_flat_scratch, 0
	.set _ZN7rocprim17ROCPRIM_400000_NS6detail17trampoline_kernelINS0_14default_configENS1_29binary_search_config_selectorIN6thrust23THRUST_200600_302600_NS5tupleIiiNS6_9null_typeES8_S8_S8_S8_S8_S8_S8_EEbEEZNS1_14transform_implILb0ES3_SA_NS6_6detail15normal_iteratorINS6_10device_ptrIS9_EEEENSD_INSE_IbEEEEZNS1_13binary_searchIS3_SA_SG_SG_SI_NS1_16binary_search_opENSC_16wrapped_functionINS0_4lessIvEEbEEEE10hipError_tPvRmT1_T2_T3_mmT4_T5_P12ihipStream_tbEUlRKS9_E_EESP_ST_SU_mSV_SY_bEUlT_E_NS1_11comp_targetILNS1_3genE10ELNS1_11target_archE1201ELNS1_3gpuE5ELNS1_3repE0EEENS1_30default_config_static_selectorELNS0_4arch9wavefront6targetE0EEEvSS_.has_dyn_sized_stack, 0
	.set _ZN7rocprim17ROCPRIM_400000_NS6detail17trampoline_kernelINS0_14default_configENS1_29binary_search_config_selectorIN6thrust23THRUST_200600_302600_NS5tupleIiiNS6_9null_typeES8_S8_S8_S8_S8_S8_S8_EEbEEZNS1_14transform_implILb0ES3_SA_NS6_6detail15normal_iteratorINS6_10device_ptrIS9_EEEENSD_INSE_IbEEEEZNS1_13binary_searchIS3_SA_SG_SG_SI_NS1_16binary_search_opENSC_16wrapped_functionINS0_4lessIvEEbEEEE10hipError_tPvRmT1_T2_T3_mmT4_T5_P12ihipStream_tbEUlRKS9_E_EESP_ST_SU_mSV_SY_bEUlT_E_NS1_11comp_targetILNS1_3genE10ELNS1_11target_archE1201ELNS1_3gpuE5ELNS1_3repE0EEENS1_30default_config_static_selectorELNS0_4arch9wavefront6targetE0EEEvSS_.has_recursion, 0
	.set _ZN7rocprim17ROCPRIM_400000_NS6detail17trampoline_kernelINS0_14default_configENS1_29binary_search_config_selectorIN6thrust23THRUST_200600_302600_NS5tupleIiiNS6_9null_typeES8_S8_S8_S8_S8_S8_S8_EEbEEZNS1_14transform_implILb0ES3_SA_NS6_6detail15normal_iteratorINS6_10device_ptrIS9_EEEENSD_INSE_IbEEEEZNS1_13binary_searchIS3_SA_SG_SG_SI_NS1_16binary_search_opENSC_16wrapped_functionINS0_4lessIvEEbEEEE10hipError_tPvRmT1_T2_T3_mmT4_T5_P12ihipStream_tbEUlRKS9_E_EESP_ST_SU_mSV_SY_bEUlT_E_NS1_11comp_targetILNS1_3genE10ELNS1_11target_archE1201ELNS1_3gpuE5ELNS1_3repE0EEENS1_30default_config_static_selectorELNS0_4arch9wavefront6targetE0EEEvSS_.has_indirect_call, 0
	.section	.AMDGPU.csdata,"",@progbits
; Kernel info:
; codeLenInByte = 0
; TotalNumSgprs: 0
; NumVgprs: 0
; ScratchSize: 0
; MemoryBound: 0
; FloatMode: 240
; IeeeMode: 1
; LDSByteSize: 0 bytes/workgroup (compile time only)
; SGPRBlocks: 0
; VGPRBlocks: 0
; NumSGPRsForWavesPerEU: 1
; NumVGPRsForWavesPerEU: 1
; Occupancy: 16
; WaveLimiterHint : 0
; COMPUTE_PGM_RSRC2:SCRATCH_EN: 0
; COMPUTE_PGM_RSRC2:USER_SGPR: 6
; COMPUTE_PGM_RSRC2:TRAP_HANDLER: 0
; COMPUTE_PGM_RSRC2:TGID_X_EN: 1
; COMPUTE_PGM_RSRC2:TGID_Y_EN: 0
; COMPUTE_PGM_RSRC2:TGID_Z_EN: 0
; COMPUTE_PGM_RSRC2:TIDIG_COMP_CNT: 0
	.section	.text._ZN7rocprim17ROCPRIM_400000_NS6detail17trampoline_kernelINS0_14default_configENS1_29binary_search_config_selectorIN6thrust23THRUST_200600_302600_NS5tupleIiiNS6_9null_typeES8_S8_S8_S8_S8_S8_S8_EEbEEZNS1_14transform_implILb0ES3_SA_NS6_6detail15normal_iteratorINS6_10device_ptrIS9_EEEENSD_INSE_IbEEEEZNS1_13binary_searchIS3_SA_SG_SG_SI_NS1_16binary_search_opENSC_16wrapped_functionINS0_4lessIvEEbEEEE10hipError_tPvRmT1_T2_T3_mmT4_T5_P12ihipStream_tbEUlRKS9_E_EESP_ST_SU_mSV_SY_bEUlT_E_NS1_11comp_targetILNS1_3genE10ELNS1_11target_archE1200ELNS1_3gpuE4ELNS1_3repE0EEENS1_30default_config_static_selectorELNS0_4arch9wavefront6targetE0EEEvSS_,"axG",@progbits,_ZN7rocprim17ROCPRIM_400000_NS6detail17trampoline_kernelINS0_14default_configENS1_29binary_search_config_selectorIN6thrust23THRUST_200600_302600_NS5tupleIiiNS6_9null_typeES8_S8_S8_S8_S8_S8_S8_EEbEEZNS1_14transform_implILb0ES3_SA_NS6_6detail15normal_iteratorINS6_10device_ptrIS9_EEEENSD_INSE_IbEEEEZNS1_13binary_searchIS3_SA_SG_SG_SI_NS1_16binary_search_opENSC_16wrapped_functionINS0_4lessIvEEbEEEE10hipError_tPvRmT1_T2_T3_mmT4_T5_P12ihipStream_tbEUlRKS9_E_EESP_ST_SU_mSV_SY_bEUlT_E_NS1_11comp_targetILNS1_3genE10ELNS1_11target_archE1200ELNS1_3gpuE4ELNS1_3repE0EEENS1_30default_config_static_selectorELNS0_4arch9wavefront6targetE0EEEvSS_,comdat
	.protected	_ZN7rocprim17ROCPRIM_400000_NS6detail17trampoline_kernelINS0_14default_configENS1_29binary_search_config_selectorIN6thrust23THRUST_200600_302600_NS5tupleIiiNS6_9null_typeES8_S8_S8_S8_S8_S8_S8_EEbEEZNS1_14transform_implILb0ES3_SA_NS6_6detail15normal_iteratorINS6_10device_ptrIS9_EEEENSD_INSE_IbEEEEZNS1_13binary_searchIS3_SA_SG_SG_SI_NS1_16binary_search_opENSC_16wrapped_functionINS0_4lessIvEEbEEEE10hipError_tPvRmT1_T2_T3_mmT4_T5_P12ihipStream_tbEUlRKS9_E_EESP_ST_SU_mSV_SY_bEUlT_E_NS1_11comp_targetILNS1_3genE10ELNS1_11target_archE1200ELNS1_3gpuE4ELNS1_3repE0EEENS1_30default_config_static_selectorELNS0_4arch9wavefront6targetE0EEEvSS_ ; -- Begin function _ZN7rocprim17ROCPRIM_400000_NS6detail17trampoline_kernelINS0_14default_configENS1_29binary_search_config_selectorIN6thrust23THRUST_200600_302600_NS5tupleIiiNS6_9null_typeES8_S8_S8_S8_S8_S8_S8_EEbEEZNS1_14transform_implILb0ES3_SA_NS6_6detail15normal_iteratorINS6_10device_ptrIS9_EEEENSD_INSE_IbEEEEZNS1_13binary_searchIS3_SA_SG_SG_SI_NS1_16binary_search_opENSC_16wrapped_functionINS0_4lessIvEEbEEEE10hipError_tPvRmT1_T2_T3_mmT4_T5_P12ihipStream_tbEUlRKS9_E_EESP_ST_SU_mSV_SY_bEUlT_E_NS1_11comp_targetILNS1_3genE10ELNS1_11target_archE1200ELNS1_3gpuE4ELNS1_3repE0EEENS1_30default_config_static_selectorELNS0_4arch9wavefront6targetE0EEEvSS_
	.globl	_ZN7rocprim17ROCPRIM_400000_NS6detail17trampoline_kernelINS0_14default_configENS1_29binary_search_config_selectorIN6thrust23THRUST_200600_302600_NS5tupleIiiNS6_9null_typeES8_S8_S8_S8_S8_S8_S8_EEbEEZNS1_14transform_implILb0ES3_SA_NS6_6detail15normal_iteratorINS6_10device_ptrIS9_EEEENSD_INSE_IbEEEEZNS1_13binary_searchIS3_SA_SG_SG_SI_NS1_16binary_search_opENSC_16wrapped_functionINS0_4lessIvEEbEEEE10hipError_tPvRmT1_T2_T3_mmT4_T5_P12ihipStream_tbEUlRKS9_E_EESP_ST_SU_mSV_SY_bEUlT_E_NS1_11comp_targetILNS1_3genE10ELNS1_11target_archE1200ELNS1_3gpuE4ELNS1_3repE0EEENS1_30default_config_static_selectorELNS0_4arch9wavefront6targetE0EEEvSS_
	.p2align	8
	.type	_ZN7rocprim17ROCPRIM_400000_NS6detail17trampoline_kernelINS0_14default_configENS1_29binary_search_config_selectorIN6thrust23THRUST_200600_302600_NS5tupleIiiNS6_9null_typeES8_S8_S8_S8_S8_S8_S8_EEbEEZNS1_14transform_implILb0ES3_SA_NS6_6detail15normal_iteratorINS6_10device_ptrIS9_EEEENSD_INSE_IbEEEEZNS1_13binary_searchIS3_SA_SG_SG_SI_NS1_16binary_search_opENSC_16wrapped_functionINS0_4lessIvEEbEEEE10hipError_tPvRmT1_T2_T3_mmT4_T5_P12ihipStream_tbEUlRKS9_E_EESP_ST_SU_mSV_SY_bEUlT_E_NS1_11comp_targetILNS1_3genE10ELNS1_11target_archE1200ELNS1_3gpuE4ELNS1_3repE0EEENS1_30default_config_static_selectorELNS0_4arch9wavefront6targetE0EEEvSS_,@function
_ZN7rocprim17ROCPRIM_400000_NS6detail17trampoline_kernelINS0_14default_configENS1_29binary_search_config_selectorIN6thrust23THRUST_200600_302600_NS5tupleIiiNS6_9null_typeES8_S8_S8_S8_S8_S8_S8_EEbEEZNS1_14transform_implILb0ES3_SA_NS6_6detail15normal_iteratorINS6_10device_ptrIS9_EEEENSD_INSE_IbEEEEZNS1_13binary_searchIS3_SA_SG_SG_SI_NS1_16binary_search_opENSC_16wrapped_functionINS0_4lessIvEEbEEEE10hipError_tPvRmT1_T2_T3_mmT4_T5_P12ihipStream_tbEUlRKS9_E_EESP_ST_SU_mSV_SY_bEUlT_E_NS1_11comp_targetILNS1_3genE10ELNS1_11target_archE1200ELNS1_3gpuE4ELNS1_3repE0EEENS1_30default_config_static_selectorELNS0_4arch9wavefront6targetE0EEEvSS_: ; @_ZN7rocprim17ROCPRIM_400000_NS6detail17trampoline_kernelINS0_14default_configENS1_29binary_search_config_selectorIN6thrust23THRUST_200600_302600_NS5tupleIiiNS6_9null_typeES8_S8_S8_S8_S8_S8_S8_EEbEEZNS1_14transform_implILb0ES3_SA_NS6_6detail15normal_iteratorINS6_10device_ptrIS9_EEEENSD_INSE_IbEEEEZNS1_13binary_searchIS3_SA_SG_SG_SI_NS1_16binary_search_opENSC_16wrapped_functionINS0_4lessIvEEbEEEE10hipError_tPvRmT1_T2_T3_mmT4_T5_P12ihipStream_tbEUlRKS9_E_EESP_ST_SU_mSV_SY_bEUlT_E_NS1_11comp_targetILNS1_3genE10ELNS1_11target_archE1200ELNS1_3gpuE4ELNS1_3repE0EEENS1_30default_config_static_selectorELNS0_4arch9wavefront6targetE0EEEvSS_
; %bb.0:
	.section	.rodata,"a",@progbits
	.p2align	6, 0x0
	.amdhsa_kernel _ZN7rocprim17ROCPRIM_400000_NS6detail17trampoline_kernelINS0_14default_configENS1_29binary_search_config_selectorIN6thrust23THRUST_200600_302600_NS5tupleIiiNS6_9null_typeES8_S8_S8_S8_S8_S8_S8_EEbEEZNS1_14transform_implILb0ES3_SA_NS6_6detail15normal_iteratorINS6_10device_ptrIS9_EEEENSD_INSE_IbEEEEZNS1_13binary_searchIS3_SA_SG_SG_SI_NS1_16binary_search_opENSC_16wrapped_functionINS0_4lessIvEEbEEEE10hipError_tPvRmT1_T2_T3_mmT4_T5_P12ihipStream_tbEUlRKS9_E_EESP_ST_SU_mSV_SY_bEUlT_E_NS1_11comp_targetILNS1_3genE10ELNS1_11target_archE1200ELNS1_3gpuE4ELNS1_3repE0EEENS1_30default_config_static_selectorELNS0_4arch9wavefront6targetE0EEEvSS_
		.amdhsa_group_segment_fixed_size 0
		.amdhsa_private_segment_fixed_size 0
		.amdhsa_kernarg_size 56
		.amdhsa_user_sgpr_count 6
		.amdhsa_user_sgpr_private_segment_buffer 1
		.amdhsa_user_sgpr_dispatch_ptr 0
		.amdhsa_user_sgpr_queue_ptr 0
		.amdhsa_user_sgpr_kernarg_segment_ptr 1
		.amdhsa_user_sgpr_dispatch_id 0
		.amdhsa_user_sgpr_flat_scratch_init 0
		.amdhsa_user_sgpr_private_segment_size 0
		.amdhsa_wavefront_size32 1
		.amdhsa_uses_dynamic_stack 0
		.amdhsa_system_sgpr_private_segment_wavefront_offset 0
		.amdhsa_system_sgpr_workgroup_id_x 1
		.amdhsa_system_sgpr_workgroup_id_y 0
		.amdhsa_system_sgpr_workgroup_id_z 0
		.amdhsa_system_sgpr_workgroup_info 0
		.amdhsa_system_vgpr_workitem_id 0
		.amdhsa_next_free_vgpr 1
		.amdhsa_next_free_sgpr 1
		.amdhsa_reserve_vcc 0
		.amdhsa_reserve_flat_scratch 0
		.amdhsa_float_round_mode_32 0
		.amdhsa_float_round_mode_16_64 0
		.amdhsa_float_denorm_mode_32 3
		.amdhsa_float_denorm_mode_16_64 3
		.amdhsa_dx10_clamp 1
		.amdhsa_ieee_mode 1
		.amdhsa_fp16_overflow 0
		.amdhsa_workgroup_processor_mode 1
		.amdhsa_memory_ordered 1
		.amdhsa_forward_progress 1
		.amdhsa_shared_vgpr_count 0
		.amdhsa_exception_fp_ieee_invalid_op 0
		.amdhsa_exception_fp_denorm_src 0
		.amdhsa_exception_fp_ieee_div_zero 0
		.amdhsa_exception_fp_ieee_overflow 0
		.amdhsa_exception_fp_ieee_underflow 0
		.amdhsa_exception_fp_ieee_inexact 0
		.amdhsa_exception_int_div_zero 0
	.end_amdhsa_kernel
	.section	.text._ZN7rocprim17ROCPRIM_400000_NS6detail17trampoline_kernelINS0_14default_configENS1_29binary_search_config_selectorIN6thrust23THRUST_200600_302600_NS5tupleIiiNS6_9null_typeES8_S8_S8_S8_S8_S8_S8_EEbEEZNS1_14transform_implILb0ES3_SA_NS6_6detail15normal_iteratorINS6_10device_ptrIS9_EEEENSD_INSE_IbEEEEZNS1_13binary_searchIS3_SA_SG_SG_SI_NS1_16binary_search_opENSC_16wrapped_functionINS0_4lessIvEEbEEEE10hipError_tPvRmT1_T2_T3_mmT4_T5_P12ihipStream_tbEUlRKS9_E_EESP_ST_SU_mSV_SY_bEUlT_E_NS1_11comp_targetILNS1_3genE10ELNS1_11target_archE1200ELNS1_3gpuE4ELNS1_3repE0EEENS1_30default_config_static_selectorELNS0_4arch9wavefront6targetE0EEEvSS_,"axG",@progbits,_ZN7rocprim17ROCPRIM_400000_NS6detail17trampoline_kernelINS0_14default_configENS1_29binary_search_config_selectorIN6thrust23THRUST_200600_302600_NS5tupleIiiNS6_9null_typeES8_S8_S8_S8_S8_S8_S8_EEbEEZNS1_14transform_implILb0ES3_SA_NS6_6detail15normal_iteratorINS6_10device_ptrIS9_EEEENSD_INSE_IbEEEEZNS1_13binary_searchIS3_SA_SG_SG_SI_NS1_16binary_search_opENSC_16wrapped_functionINS0_4lessIvEEbEEEE10hipError_tPvRmT1_T2_T3_mmT4_T5_P12ihipStream_tbEUlRKS9_E_EESP_ST_SU_mSV_SY_bEUlT_E_NS1_11comp_targetILNS1_3genE10ELNS1_11target_archE1200ELNS1_3gpuE4ELNS1_3repE0EEENS1_30default_config_static_selectorELNS0_4arch9wavefront6targetE0EEEvSS_,comdat
.Lfunc_end767:
	.size	_ZN7rocprim17ROCPRIM_400000_NS6detail17trampoline_kernelINS0_14default_configENS1_29binary_search_config_selectorIN6thrust23THRUST_200600_302600_NS5tupleIiiNS6_9null_typeES8_S8_S8_S8_S8_S8_S8_EEbEEZNS1_14transform_implILb0ES3_SA_NS6_6detail15normal_iteratorINS6_10device_ptrIS9_EEEENSD_INSE_IbEEEEZNS1_13binary_searchIS3_SA_SG_SG_SI_NS1_16binary_search_opENSC_16wrapped_functionINS0_4lessIvEEbEEEE10hipError_tPvRmT1_T2_T3_mmT4_T5_P12ihipStream_tbEUlRKS9_E_EESP_ST_SU_mSV_SY_bEUlT_E_NS1_11comp_targetILNS1_3genE10ELNS1_11target_archE1200ELNS1_3gpuE4ELNS1_3repE0EEENS1_30default_config_static_selectorELNS0_4arch9wavefront6targetE0EEEvSS_, .Lfunc_end767-_ZN7rocprim17ROCPRIM_400000_NS6detail17trampoline_kernelINS0_14default_configENS1_29binary_search_config_selectorIN6thrust23THRUST_200600_302600_NS5tupleIiiNS6_9null_typeES8_S8_S8_S8_S8_S8_S8_EEbEEZNS1_14transform_implILb0ES3_SA_NS6_6detail15normal_iteratorINS6_10device_ptrIS9_EEEENSD_INSE_IbEEEEZNS1_13binary_searchIS3_SA_SG_SG_SI_NS1_16binary_search_opENSC_16wrapped_functionINS0_4lessIvEEbEEEE10hipError_tPvRmT1_T2_T3_mmT4_T5_P12ihipStream_tbEUlRKS9_E_EESP_ST_SU_mSV_SY_bEUlT_E_NS1_11comp_targetILNS1_3genE10ELNS1_11target_archE1200ELNS1_3gpuE4ELNS1_3repE0EEENS1_30default_config_static_selectorELNS0_4arch9wavefront6targetE0EEEvSS_
                                        ; -- End function
	.set _ZN7rocprim17ROCPRIM_400000_NS6detail17trampoline_kernelINS0_14default_configENS1_29binary_search_config_selectorIN6thrust23THRUST_200600_302600_NS5tupleIiiNS6_9null_typeES8_S8_S8_S8_S8_S8_S8_EEbEEZNS1_14transform_implILb0ES3_SA_NS6_6detail15normal_iteratorINS6_10device_ptrIS9_EEEENSD_INSE_IbEEEEZNS1_13binary_searchIS3_SA_SG_SG_SI_NS1_16binary_search_opENSC_16wrapped_functionINS0_4lessIvEEbEEEE10hipError_tPvRmT1_T2_T3_mmT4_T5_P12ihipStream_tbEUlRKS9_E_EESP_ST_SU_mSV_SY_bEUlT_E_NS1_11comp_targetILNS1_3genE10ELNS1_11target_archE1200ELNS1_3gpuE4ELNS1_3repE0EEENS1_30default_config_static_selectorELNS0_4arch9wavefront6targetE0EEEvSS_.num_vgpr, 0
	.set _ZN7rocprim17ROCPRIM_400000_NS6detail17trampoline_kernelINS0_14default_configENS1_29binary_search_config_selectorIN6thrust23THRUST_200600_302600_NS5tupleIiiNS6_9null_typeES8_S8_S8_S8_S8_S8_S8_EEbEEZNS1_14transform_implILb0ES3_SA_NS6_6detail15normal_iteratorINS6_10device_ptrIS9_EEEENSD_INSE_IbEEEEZNS1_13binary_searchIS3_SA_SG_SG_SI_NS1_16binary_search_opENSC_16wrapped_functionINS0_4lessIvEEbEEEE10hipError_tPvRmT1_T2_T3_mmT4_T5_P12ihipStream_tbEUlRKS9_E_EESP_ST_SU_mSV_SY_bEUlT_E_NS1_11comp_targetILNS1_3genE10ELNS1_11target_archE1200ELNS1_3gpuE4ELNS1_3repE0EEENS1_30default_config_static_selectorELNS0_4arch9wavefront6targetE0EEEvSS_.num_agpr, 0
	.set _ZN7rocprim17ROCPRIM_400000_NS6detail17trampoline_kernelINS0_14default_configENS1_29binary_search_config_selectorIN6thrust23THRUST_200600_302600_NS5tupleIiiNS6_9null_typeES8_S8_S8_S8_S8_S8_S8_EEbEEZNS1_14transform_implILb0ES3_SA_NS6_6detail15normal_iteratorINS6_10device_ptrIS9_EEEENSD_INSE_IbEEEEZNS1_13binary_searchIS3_SA_SG_SG_SI_NS1_16binary_search_opENSC_16wrapped_functionINS0_4lessIvEEbEEEE10hipError_tPvRmT1_T2_T3_mmT4_T5_P12ihipStream_tbEUlRKS9_E_EESP_ST_SU_mSV_SY_bEUlT_E_NS1_11comp_targetILNS1_3genE10ELNS1_11target_archE1200ELNS1_3gpuE4ELNS1_3repE0EEENS1_30default_config_static_selectorELNS0_4arch9wavefront6targetE0EEEvSS_.numbered_sgpr, 0
	.set _ZN7rocprim17ROCPRIM_400000_NS6detail17trampoline_kernelINS0_14default_configENS1_29binary_search_config_selectorIN6thrust23THRUST_200600_302600_NS5tupleIiiNS6_9null_typeES8_S8_S8_S8_S8_S8_S8_EEbEEZNS1_14transform_implILb0ES3_SA_NS6_6detail15normal_iteratorINS6_10device_ptrIS9_EEEENSD_INSE_IbEEEEZNS1_13binary_searchIS3_SA_SG_SG_SI_NS1_16binary_search_opENSC_16wrapped_functionINS0_4lessIvEEbEEEE10hipError_tPvRmT1_T2_T3_mmT4_T5_P12ihipStream_tbEUlRKS9_E_EESP_ST_SU_mSV_SY_bEUlT_E_NS1_11comp_targetILNS1_3genE10ELNS1_11target_archE1200ELNS1_3gpuE4ELNS1_3repE0EEENS1_30default_config_static_selectorELNS0_4arch9wavefront6targetE0EEEvSS_.num_named_barrier, 0
	.set _ZN7rocprim17ROCPRIM_400000_NS6detail17trampoline_kernelINS0_14default_configENS1_29binary_search_config_selectorIN6thrust23THRUST_200600_302600_NS5tupleIiiNS6_9null_typeES8_S8_S8_S8_S8_S8_S8_EEbEEZNS1_14transform_implILb0ES3_SA_NS6_6detail15normal_iteratorINS6_10device_ptrIS9_EEEENSD_INSE_IbEEEEZNS1_13binary_searchIS3_SA_SG_SG_SI_NS1_16binary_search_opENSC_16wrapped_functionINS0_4lessIvEEbEEEE10hipError_tPvRmT1_T2_T3_mmT4_T5_P12ihipStream_tbEUlRKS9_E_EESP_ST_SU_mSV_SY_bEUlT_E_NS1_11comp_targetILNS1_3genE10ELNS1_11target_archE1200ELNS1_3gpuE4ELNS1_3repE0EEENS1_30default_config_static_selectorELNS0_4arch9wavefront6targetE0EEEvSS_.private_seg_size, 0
	.set _ZN7rocprim17ROCPRIM_400000_NS6detail17trampoline_kernelINS0_14default_configENS1_29binary_search_config_selectorIN6thrust23THRUST_200600_302600_NS5tupleIiiNS6_9null_typeES8_S8_S8_S8_S8_S8_S8_EEbEEZNS1_14transform_implILb0ES3_SA_NS6_6detail15normal_iteratorINS6_10device_ptrIS9_EEEENSD_INSE_IbEEEEZNS1_13binary_searchIS3_SA_SG_SG_SI_NS1_16binary_search_opENSC_16wrapped_functionINS0_4lessIvEEbEEEE10hipError_tPvRmT1_T2_T3_mmT4_T5_P12ihipStream_tbEUlRKS9_E_EESP_ST_SU_mSV_SY_bEUlT_E_NS1_11comp_targetILNS1_3genE10ELNS1_11target_archE1200ELNS1_3gpuE4ELNS1_3repE0EEENS1_30default_config_static_selectorELNS0_4arch9wavefront6targetE0EEEvSS_.uses_vcc, 0
	.set _ZN7rocprim17ROCPRIM_400000_NS6detail17trampoline_kernelINS0_14default_configENS1_29binary_search_config_selectorIN6thrust23THRUST_200600_302600_NS5tupleIiiNS6_9null_typeES8_S8_S8_S8_S8_S8_S8_EEbEEZNS1_14transform_implILb0ES3_SA_NS6_6detail15normal_iteratorINS6_10device_ptrIS9_EEEENSD_INSE_IbEEEEZNS1_13binary_searchIS3_SA_SG_SG_SI_NS1_16binary_search_opENSC_16wrapped_functionINS0_4lessIvEEbEEEE10hipError_tPvRmT1_T2_T3_mmT4_T5_P12ihipStream_tbEUlRKS9_E_EESP_ST_SU_mSV_SY_bEUlT_E_NS1_11comp_targetILNS1_3genE10ELNS1_11target_archE1200ELNS1_3gpuE4ELNS1_3repE0EEENS1_30default_config_static_selectorELNS0_4arch9wavefront6targetE0EEEvSS_.uses_flat_scratch, 0
	.set _ZN7rocprim17ROCPRIM_400000_NS6detail17trampoline_kernelINS0_14default_configENS1_29binary_search_config_selectorIN6thrust23THRUST_200600_302600_NS5tupleIiiNS6_9null_typeES8_S8_S8_S8_S8_S8_S8_EEbEEZNS1_14transform_implILb0ES3_SA_NS6_6detail15normal_iteratorINS6_10device_ptrIS9_EEEENSD_INSE_IbEEEEZNS1_13binary_searchIS3_SA_SG_SG_SI_NS1_16binary_search_opENSC_16wrapped_functionINS0_4lessIvEEbEEEE10hipError_tPvRmT1_T2_T3_mmT4_T5_P12ihipStream_tbEUlRKS9_E_EESP_ST_SU_mSV_SY_bEUlT_E_NS1_11comp_targetILNS1_3genE10ELNS1_11target_archE1200ELNS1_3gpuE4ELNS1_3repE0EEENS1_30default_config_static_selectorELNS0_4arch9wavefront6targetE0EEEvSS_.has_dyn_sized_stack, 0
	.set _ZN7rocprim17ROCPRIM_400000_NS6detail17trampoline_kernelINS0_14default_configENS1_29binary_search_config_selectorIN6thrust23THRUST_200600_302600_NS5tupleIiiNS6_9null_typeES8_S8_S8_S8_S8_S8_S8_EEbEEZNS1_14transform_implILb0ES3_SA_NS6_6detail15normal_iteratorINS6_10device_ptrIS9_EEEENSD_INSE_IbEEEEZNS1_13binary_searchIS3_SA_SG_SG_SI_NS1_16binary_search_opENSC_16wrapped_functionINS0_4lessIvEEbEEEE10hipError_tPvRmT1_T2_T3_mmT4_T5_P12ihipStream_tbEUlRKS9_E_EESP_ST_SU_mSV_SY_bEUlT_E_NS1_11comp_targetILNS1_3genE10ELNS1_11target_archE1200ELNS1_3gpuE4ELNS1_3repE0EEENS1_30default_config_static_selectorELNS0_4arch9wavefront6targetE0EEEvSS_.has_recursion, 0
	.set _ZN7rocprim17ROCPRIM_400000_NS6detail17trampoline_kernelINS0_14default_configENS1_29binary_search_config_selectorIN6thrust23THRUST_200600_302600_NS5tupleIiiNS6_9null_typeES8_S8_S8_S8_S8_S8_S8_EEbEEZNS1_14transform_implILb0ES3_SA_NS6_6detail15normal_iteratorINS6_10device_ptrIS9_EEEENSD_INSE_IbEEEEZNS1_13binary_searchIS3_SA_SG_SG_SI_NS1_16binary_search_opENSC_16wrapped_functionINS0_4lessIvEEbEEEE10hipError_tPvRmT1_T2_T3_mmT4_T5_P12ihipStream_tbEUlRKS9_E_EESP_ST_SU_mSV_SY_bEUlT_E_NS1_11comp_targetILNS1_3genE10ELNS1_11target_archE1200ELNS1_3gpuE4ELNS1_3repE0EEENS1_30default_config_static_selectorELNS0_4arch9wavefront6targetE0EEEvSS_.has_indirect_call, 0
	.section	.AMDGPU.csdata,"",@progbits
; Kernel info:
; codeLenInByte = 0
; TotalNumSgprs: 0
; NumVgprs: 0
; ScratchSize: 0
; MemoryBound: 0
; FloatMode: 240
; IeeeMode: 1
; LDSByteSize: 0 bytes/workgroup (compile time only)
; SGPRBlocks: 0
; VGPRBlocks: 0
; NumSGPRsForWavesPerEU: 1
; NumVGPRsForWavesPerEU: 1
; Occupancy: 16
; WaveLimiterHint : 0
; COMPUTE_PGM_RSRC2:SCRATCH_EN: 0
; COMPUTE_PGM_RSRC2:USER_SGPR: 6
; COMPUTE_PGM_RSRC2:TRAP_HANDLER: 0
; COMPUTE_PGM_RSRC2:TGID_X_EN: 1
; COMPUTE_PGM_RSRC2:TGID_Y_EN: 0
; COMPUTE_PGM_RSRC2:TGID_Z_EN: 0
; COMPUTE_PGM_RSRC2:TIDIG_COMP_CNT: 0
	.section	.text._ZN7rocprim17ROCPRIM_400000_NS6detail17trampoline_kernelINS0_14default_configENS1_29binary_search_config_selectorIN6thrust23THRUST_200600_302600_NS5tupleIiiNS6_9null_typeES8_S8_S8_S8_S8_S8_S8_EEbEEZNS1_14transform_implILb0ES3_SA_NS6_6detail15normal_iteratorINS6_10device_ptrIS9_EEEENSD_INSE_IbEEEEZNS1_13binary_searchIS3_SA_SG_SG_SI_NS1_16binary_search_opENSC_16wrapped_functionINS0_4lessIvEEbEEEE10hipError_tPvRmT1_T2_T3_mmT4_T5_P12ihipStream_tbEUlRKS9_E_EESP_ST_SU_mSV_SY_bEUlT_E_NS1_11comp_targetILNS1_3genE9ELNS1_11target_archE1100ELNS1_3gpuE3ELNS1_3repE0EEENS1_30default_config_static_selectorELNS0_4arch9wavefront6targetE0EEEvSS_,"axG",@progbits,_ZN7rocprim17ROCPRIM_400000_NS6detail17trampoline_kernelINS0_14default_configENS1_29binary_search_config_selectorIN6thrust23THRUST_200600_302600_NS5tupleIiiNS6_9null_typeES8_S8_S8_S8_S8_S8_S8_EEbEEZNS1_14transform_implILb0ES3_SA_NS6_6detail15normal_iteratorINS6_10device_ptrIS9_EEEENSD_INSE_IbEEEEZNS1_13binary_searchIS3_SA_SG_SG_SI_NS1_16binary_search_opENSC_16wrapped_functionINS0_4lessIvEEbEEEE10hipError_tPvRmT1_T2_T3_mmT4_T5_P12ihipStream_tbEUlRKS9_E_EESP_ST_SU_mSV_SY_bEUlT_E_NS1_11comp_targetILNS1_3genE9ELNS1_11target_archE1100ELNS1_3gpuE3ELNS1_3repE0EEENS1_30default_config_static_selectorELNS0_4arch9wavefront6targetE0EEEvSS_,comdat
	.protected	_ZN7rocprim17ROCPRIM_400000_NS6detail17trampoline_kernelINS0_14default_configENS1_29binary_search_config_selectorIN6thrust23THRUST_200600_302600_NS5tupleIiiNS6_9null_typeES8_S8_S8_S8_S8_S8_S8_EEbEEZNS1_14transform_implILb0ES3_SA_NS6_6detail15normal_iteratorINS6_10device_ptrIS9_EEEENSD_INSE_IbEEEEZNS1_13binary_searchIS3_SA_SG_SG_SI_NS1_16binary_search_opENSC_16wrapped_functionINS0_4lessIvEEbEEEE10hipError_tPvRmT1_T2_T3_mmT4_T5_P12ihipStream_tbEUlRKS9_E_EESP_ST_SU_mSV_SY_bEUlT_E_NS1_11comp_targetILNS1_3genE9ELNS1_11target_archE1100ELNS1_3gpuE3ELNS1_3repE0EEENS1_30default_config_static_selectorELNS0_4arch9wavefront6targetE0EEEvSS_ ; -- Begin function _ZN7rocprim17ROCPRIM_400000_NS6detail17trampoline_kernelINS0_14default_configENS1_29binary_search_config_selectorIN6thrust23THRUST_200600_302600_NS5tupleIiiNS6_9null_typeES8_S8_S8_S8_S8_S8_S8_EEbEEZNS1_14transform_implILb0ES3_SA_NS6_6detail15normal_iteratorINS6_10device_ptrIS9_EEEENSD_INSE_IbEEEEZNS1_13binary_searchIS3_SA_SG_SG_SI_NS1_16binary_search_opENSC_16wrapped_functionINS0_4lessIvEEbEEEE10hipError_tPvRmT1_T2_T3_mmT4_T5_P12ihipStream_tbEUlRKS9_E_EESP_ST_SU_mSV_SY_bEUlT_E_NS1_11comp_targetILNS1_3genE9ELNS1_11target_archE1100ELNS1_3gpuE3ELNS1_3repE0EEENS1_30default_config_static_selectorELNS0_4arch9wavefront6targetE0EEEvSS_
	.globl	_ZN7rocprim17ROCPRIM_400000_NS6detail17trampoline_kernelINS0_14default_configENS1_29binary_search_config_selectorIN6thrust23THRUST_200600_302600_NS5tupleIiiNS6_9null_typeES8_S8_S8_S8_S8_S8_S8_EEbEEZNS1_14transform_implILb0ES3_SA_NS6_6detail15normal_iteratorINS6_10device_ptrIS9_EEEENSD_INSE_IbEEEEZNS1_13binary_searchIS3_SA_SG_SG_SI_NS1_16binary_search_opENSC_16wrapped_functionINS0_4lessIvEEbEEEE10hipError_tPvRmT1_T2_T3_mmT4_T5_P12ihipStream_tbEUlRKS9_E_EESP_ST_SU_mSV_SY_bEUlT_E_NS1_11comp_targetILNS1_3genE9ELNS1_11target_archE1100ELNS1_3gpuE3ELNS1_3repE0EEENS1_30default_config_static_selectorELNS0_4arch9wavefront6targetE0EEEvSS_
	.p2align	8
	.type	_ZN7rocprim17ROCPRIM_400000_NS6detail17trampoline_kernelINS0_14default_configENS1_29binary_search_config_selectorIN6thrust23THRUST_200600_302600_NS5tupleIiiNS6_9null_typeES8_S8_S8_S8_S8_S8_S8_EEbEEZNS1_14transform_implILb0ES3_SA_NS6_6detail15normal_iteratorINS6_10device_ptrIS9_EEEENSD_INSE_IbEEEEZNS1_13binary_searchIS3_SA_SG_SG_SI_NS1_16binary_search_opENSC_16wrapped_functionINS0_4lessIvEEbEEEE10hipError_tPvRmT1_T2_T3_mmT4_T5_P12ihipStream_tbEUlRKS9_E_EESP_ST_SU_mSV_SY_bEUlT_E_NS1_11comp_targetILNS1_3genE9ELNS1_11target_archE1100ELNS1_3gpuE3ELNS1_3repE0EEENS1_30default_config_static_selectorELNS0_4arch9wavefront6targetE0EEEvSS_,@function
_ZN7rocprim17ROCPRIM_400000_NS6detail17trampoline_kernelINS0_14default_configENS1_29binary_search_config_selectorIN6thrust23THRUST_200600_302600_NS5tupleIiiNS6_9null_typeES8_S8_S8_S8_S8_S8_S8_EEbEEZNS1_14transform_implILb0ES3_SA_NS6_6detail15normal_iteratorINS6_10device_ptrIS9_EEEENSD_INSE_IbEEEEZNS1_13binary_searchIS3_SA_SG_SG_SI_NS1_16binary_search_opENSC_16wrapped_functionINS0_4lessIvEEbEEEE10hipError_tPvRmT1_T2_T3_mmT4_T5_P12ihipStream_tbEUlRKS9_E_EESP_ST_SU_mSV_SY_bEUlT_E_NS1_11comp_targetILNS1_3genE9ELNS1_11target_archE1100ELNS1_3gpuE3ELNS1_3repE0EEENS1_30default_config_static_selectorELNS0_4arch9wavefront6targetE0EEEvSS_: ; @_ZN7rocprim17ROCPRIM_400000_NS6detail17trampoline_kernelINS0_14default_configENS1_29binary_search_config_selectorIN6thrust23THRUST_200600_302600_NS5tupleIiiNS6_9null_typeES8_S8_S8_S8_S8_S8_S8_EEbEEZNS1_14transform_implILb0ES3_SA_NS6_6detail15normal_iteratorINS6_10device_ptrIS9_EEEENSD_INSE_IbEEEEZNS1_13binary_searchIS3_SA_SG_SG_SI_NS1_16binary_search_opENSC_16wrapped_functionINS0_4lessIvEEbEEEE10hipError_tPvRmT1_T2_T3_mmT4_T5_P12ihipStream_tbEUlRKS9_E_EESP_ST_SU_mSV_SY_bEUlT_E_NS1_11comp_targetILNS1_3genE9ELNS1_11target_archE1100ELNS1_3gpuE3ELNS1_3repE0EEENS1_30default_config_static_selectorELNS0_4arch9wavefront6targetE0EEEvSS_
; %bb.0:
	.section	.rodata,"a",@progbits
	.p2align	6, 0x0
	.amdhsa_kernel _ZN7rocprim17ROCPRIM_400000_NS6detail17trampoline_kernelINS0_14default_configENS1_29binary_search_config_selectorIN6thrust23THRUST_200600_302600_NS5tupleIiiNS6_9null_typeES8_S8_S8_S8_S8_S8_S8_EEbEEZNS1_14transform_implILb0ES3_SA_NS6_6detail15normal_iteratorINS6_10device_ptrIS9_EEEENSD_INSE_IbEEEEZNS1_13binary_searchIS3_SA_SG_SG_SI_NS1_16binary_search_opENSC_16wrapped_functionINS0_4lessIvEEbEEEE10hipError_tPvRmT1_T2_T3_mmT4_T5_P12ihipStream_tbEUlRKS9_E_EESP_ST_SU_mSV_SY_bEUlT_E_NS1_11comp_targetILNS1_3genE9ELNS1_11target_archE1100ELNS1_3gpuE3ELNS1_3repE0EEENS1_30default_config_static_selectorELNS0_4arch9wavefront6targetE0EEEvSS_
		.amdhsa_group_segment_fixed_size 0
		.amdhsa_private_segment_fixed_size 0
		.amdhsa_kernarg_size 56
		.amdhsa_user_sgpr_count 6
		.amdhsa_user_sgpr_private_segment_buffer 1
		.amdhsa_user_sgpr_dispatch_ptr 0
		.amdhsa_user_sgpr_queue_ptr 0
		.amdhsa_user_sgpr_kernarg_segment_ptr 1
		.amdhsa_user_sgpr_dispatch_id 0
		.amdhsa_user_sgpr_flat_scratch_init 0
		.amdhsa_user_sgpr_private_segment_size 0
		.amdhsa_wavefront_size32 1
		.amdhsa_uses_dynamic_stack 0
		.amdhsa_system_sgpr_private_segment_wavefront_offset 0
		.amdhsa_system_sgpr_workgroup_id_x 1
		.amdhsa_system_sgpr_workgroup_id_y 0
		.amdhsa_system_sgpr_workgroup_id_z 0
		.amdhsa_system_sgpr_workgroup_info 0
		.amdhsa_system_vgpr_workitem_id 0
		.amdhsa_next_free_vgpr 1
		.amdhsa_next_free_sgpr 1
		.amdhsa_reserve_vcc 0
		.amdhsa_reserve_flat_scratch 0
		.amdhsa_float_round_mode_32 0
		.amdhsa_float_round_mode_16_64 0
		.amdhsa_float_denorm_mode_32 3
		.amdhsa_float_denorm_mode_16_64 3
		.amdhsa_dx10_clamp 1
		.amdhsa_ieee_mode 1
		.amdhsa_fp16_overflow 0
		.amdhsa_workgroup_processor_mode 1
		.amdhsa_memory_ordered 1
		.amdhsa_forward_progress 1
		.amdhsa_shared_vgpr_count 0
		.amdhsa_exception_fp_ieee_invalid_op 0
		.amdhsa_exception_fp_denorm_src 0
		.amdhsa_exception_fp_ieee_div_zero 0
		.amdhsa_exception_fp_ieee_overflow 0
		.amdhsa_exception_fp_ieee_underflow 0
		.amdhsa_exception_fp_ieee_inexact 0
		.amdhsa_exception_int_div_zero 0
	.end_amdhsa_kernel
	.section	.text._ZN7rocprim17ROCPRIM_400000_NS6detail17trampoline_kernelINS0_14default_configENS1_29binary_search_config_selectorIN6thrust23THRUST_200600_302600_NS5tupleIiiNS6_9null_typeES8_S8_S8_S8_S8_S8_S8_EEbEEZNS1_14transform_implILb0ES3_SA_NS6_6detail15normal_iteratorINS6_10device_ptrIS9_EEEENSD_INSE_IbEEEEZNS1_13binary_searchIS3_SA_SG_SG_SI_NS1_16binary_search_opENSC_16wrapped_functionINS0_4lessIvEEbEEEE10hipError_tPvRmT1_T2_T3_mmT4_T5_P12ihipStream_tbEUlRKS9_E_EESP_ST_SU_mSV_SY_bEUlT_E_NS1_11comp_targetILNS1_3genE9ELNS1_11target_archE1100ELNS1_3gpuE3ELNS1_3repE0EEENS1_30default_config_static_selectorELNS0_4arch9wavefront6targetE0EEEvSS_,"axG",@progbits,_ZN7rocprim17ROCPRIM_400000_NS6detail17trampoline_kernelINS0_14default_configENS1_29binary_search_config_selectorIN6thrust23THRUST_200600_302600_NS5tupleIiiNS6_9null_typeES8_S8_S8_S8_S8_S8_S8_EEbEEZNS1_14transform_implILb0ES3_SA_NS6_6detail15normal_iteratorINS6_10device_ptrIS9_EEEENSD_INSE_IbEEEEZNS1_13binary_searchIS3_SA_SG_SG_SI_NS1_16binary_search_opENSC_16wrapped_functionINS0_4lessIvEEbEEEE10hipError_tPvRmT1_T2_T3_mmT4_T5_P12ihipStream_tbEUlRKS9_E_EESP_ST_SU_mSV_SY_bEUlT_E_NS1_11comp_targetILNS1_3genE9ELNS1_11target_archE1100ELNS1_3gpuE3ELNS1_3repE0EEENS1_30default_config_static_selectorELNS0_4arch9wavefront6targetE0EEEvSS_,comdat
.Lfunc_end768:
	.size	_ZN7rocprim17ROCPRIM_400000_NS6detail17trampoline_kernelINS0_14default_configENS1_29binary_search_config_selectorIN6thrust23THRUST_200600_302600_NS5tupleIiiNS6_9null_typeES8_S8_S8_S8_S8_S8_S8_EEbEEZNS1_14transform_implILb0ES3_SA_NS6_6detail15normal_iteratorINS6_10device_ptrIS9_EEEENSD_INSE_IbEEEEZNS1_13binary_searchIS3_SA_SG_SG_SI_NS1_16binary_search_opENSC_16wrapped_functionINS0_4lessIvEEbEEEE10hipError_tPvRmT1_T2_T3_mmT4_T5_P12ihipStream_tbEUlRKS9_E_EESP_ST_SU_mSV_SY_bEUlT_E_NS1_11comp_targetILNS1_3genE9ELNS1_11target_archE1100ELNS1_3gpuE3ELNS1_3repE0EEENS1_30default_config_static_selectorELNS0_4arch9wavefront6targetE0EEEvSS_, .Lfunc_end768-_ZN7rocprim17ROCPRIM_400000_NS6detail17trampoline_kernelINS0_14default_configENS1_29binary_search_config_selectorIN6thrust23THRUST_200600_302600_NS5tupleIiiNS6_9null_typeES8_S8_S8_S8_S8_S8_S8_EEbEEZNS1_14transform_implILb0ES3_SA_NS6_6detail15normal_iteratorINS6_10device_ptrIS9_EEEENSD_INSE_IbEEEEZNS1_13binary_searchIS3_SA_SG_SG_SI_NS1_16binary_search_opENSC_16wrapped_functionINS0_4lessIvEEbEEEE10hipError_tPvRmT1_T2_T3_mmT4_T5_P12ihipStream_tbEUlRKS9_E_EESP_ST_SU_mSV_SY_bEUlT_E_NS1_11comp_targetILNS1_3genE9ELNS1_11target_archE1100ELNS1_3gpuE3ELNS1_3repE0EEENS1_30default_config_static_selectorELNS0_4arch9wavefront6targetE0EEEvSS_
                                        ; -- End function
	.set _ZN7rocprim17ROCPRIM_400000_NS6detail17trampoline_kernelINS0_14default_configENS1_29binary_search_config_selectorIN6thrust23THRUST_200600_302600_NS5tupleIiiNS6_9null_typeES8_S8_S8_S8_S8_S8_S8_EEbEEZNS1_14transform_implILb0ES3_SA_NS6_6detail15normal_iteratorINS6_10device_ptrIS9_EEEENSD_INSE_IbEEEEZNS1_13binary_searchIS3_SA_SG_SG_SI_NS1_16binary_search_opENSC_16wrapped_functionINS0_4lessIvEEbEEEE10hipError_tPvRmT1_T2_T3_mmT4_T5_P12ihipStream_tbEUlRKS9_E_EESP_ST_SU_mSV_SY_bEUlT_E_NS1_11comp_targetILNS1_3genE9ELNS1_11target_archE1100ELNS1_3gpuE3ELNS1_3repE0EEENS1_30default_config_static_selectorELNS0_4arch9wavefront6targetE0EEEvSS_.num_vgpr, 0
	.set _ZN7rocprim17ROCPRIM_400000_NS6detail17trampoline_kernelINS0_14default_configENS1_29binary_search_config_selectorIN6thrust23THRUST_200600_302600_NS5tupleIiiNS6_9null_typeES8_S8_S8_S8_S8_S8_S8_EEbEEZNS1_14transform_implILb0ES3_SA_NS6_6detail15normal_iteratorINS6_10device_ptrIS9_EEEENSD_INSE_IbEEEEZNS1_13binary_searchIS3_SA_SG_SG_SI_NS1_16binary_search_opENSC_16wrapped_functionINS0_4lessIvEEbEEEE10hipError_tPvRmT1_T2_T3_mmT4_T5_P12ihipStream_tbEUlRKS9_E_EESP_ST_SU_mSV_SY_bEUlT_E_NS1_11comp_targetILNS1_3genE9ELNS1_11target_archE1100ELNS1_3gpuE3ELNS1_3repE0EEENS1_30default_config_static_selectorELNS0_4arch9wavefront6targetE0EEEvSS_.num_agpr, 0
	.set _ZN7rocprim17ROCPRIM_400000_NS6detail17trampoline_kernelINS0_14default_configENS1_29binary_search_config_selectorIN6thrust23THRUST_200600_302600_NS5tupleIiiNS6_9null_typeES8_S8_S8_S8_S8_S8_S8_EEbEEZNS1_14transform_implILb0ES3_SA_NS6_6detail15normal_iteratorINS6_10device_ptrIS9_EEEENSD_INSE_IbEEEEZNS1_13binary_searchIS3_SA_SG_SG_SI_NS1_16binary_search_opENSC_16wrapped_functionINS0_4lessIvEEbEEEE10hipError_tPvRmT1_T2_T3_mmT4_T5_P12ihipStream_tbEUlRKS9_E_EESP_ST_SU_mSV_SY_bEUlT_E_NS1_11comp_targetILNS1_3genE9ELNS1_11target_archE1100ELNS1_3gpuE3ELNS1_3repE0EEENS1_30default_config_static_selectorELNS0_4arch9wavefront6targetE0EEEvSS_.numbered_sgpr, 0
	.set _ZN7rocprim17ROCPRIM_400000_NS6detail17trampoline_kernelINS0_14default_configENS1_29binary_search_config_selectorIN6thrust23THRUST_200600_302600_NS5tupleIiiNS6_9null_typeES8_S8_S8_S8_S8_S8_S8_EEbEEZNS1_14transform_implILb0ES3_SA_NS6_6detail15normal_iteratorINS6_10device_ptrIS9_EEEENSD_INSE_IbEEEEZNS1_13binary_searchIS3_SA_SG_SG_SI_NS1_16binary_search_opENSC_16wrapped_functionINS0_4lessIvEEbEEEE10hipError_tPvRmT1_T2_T3_mmT4_T5_P12ihipStream_tbEUlRKS9_E_EESP_ST_SU_mSV_SY_bEUlT_E_NS1_11comp_targetILNS1_3genE9ELNS1_11target_archE1100ELNS1_3gpuE3ELNS1_3repE0EEENS1_30default_config_static_selectorELNS0_4arch9wavefront6targetE0EEEvSS_.num_named_barrier, 0
	.set _ZN7rocprim17ROCPRIM_400000_NS6detail17trampoline_kernelINS0_14default_configENS1_29binary_search_config_selectorIN6thrust23THRUST_200600_302600_NS5tupleIiiNS6_9null_typeES8_S8_S8_S8_S8_S8_S8_EEbEEZNS1_14transform_implILb0ES3_SA_NS6_6detail15normal_iteratorINS6_10device_ptrIS9_EEEENSD_INSE_IbEEEEZNS1_13binary_searchIS3_SA_SG_SG_SI_NS1_16binary_search_opENSC_16wrapped_functionINS0_4lessIvEEbEEEE10hipError_tPvRmT1_T2_T3_mmT4_T5_P12ihipStream_tbEUlRKS9_E_EESP_ST_SU_mSV_SY_bEUlT_E_NS1_11comp_targetILNS1_3genE9ELNS1_11target_archE1100ELNS1_3gpuE3ELNS1_3repE0EEENS1_30default_config_static_selectorELNS0_4arch9wavefront6targetE0EEEvSS_.private_seg_size, 0
	.set _ZN7rocprim17ROCPRIM_400000_NS6detail17trampoline_kernelINS0_14default_configENS1_29binary_search_config_selectorIN6thrust23THRUST_200600_302600_NS5tupleIiiNS6_9null_typeES8_S8_S8_S8_S8_S8_S8_EEbEEZNS1_14transform_implILb0ES3_SA_NS6_6detail15normal_iteratorINS6_10device_ptrIS9_EEEENSD_INSE_IbEEEEZNS1_13binary_searchIS3_SA_SG_SG_SI_NS1_16binary_search_opENSC_16wrapped_functionINS0_4lessIvEEbEEEE10hipError_tPvRmT1_T2_T3_mmT4_T5_P12ihipStream_tbEUlRKS9_E_EESP_ST_SU_mSV_SY_bEUlT_E_NS1_11comp_targetILNS1_3genE9ELNS1_11target_archE1100ELNS1_3gpuE3ELNS1_3repE0EEENS1_30default_config_static_selectorELNS0_4arch9wavefront6targetE0EEEvSS_.uses_vcc, 0
	.set _ZN7rocprim17ROCPRIM_400000_NS6detail17trampoline_kernelINS0_14default_configENS1_29binary_search_config_selectorIN6thrust23THRUST_200600_302600_NS5tupleIiiNS6_9null_typeES8_S8_S8_S8_S8_S8_S8_EEbEEZNS1_14transform_implILb0ES3_SA_NS6_6detail15normal_iteratorINS6_10device_ptrIS9_EEEENSD_INSE_IbEEEEZNS1_13binary_searchIS3_SA_SG_SG_SI_NS1_16binary_search_opENSC_16wrapped_functionINS0_4lessIvEEbEEEE10hipError_tPvRmT1_T2_T3_mmT4_T5_P12ihipStream_tbEUlRKS9_E_EESP_ST_SU_mSV_SY_bEUlT_E_NS1_11comp_targetILNS1_3genE9ELNS1_11target_archE1100ELNS1_3gpuE3ELNS1_3repE0EEENS1_30default_config_static_selectorELNS0_4arch9wavefront6targetE0EEEvSS_.uses_flat_scratch, 0
	.set _ZN7rocprim17ROCPRIM_400000_NS6detail17trampoline_kernelINS0_14default_configENS1_29binary_search_config_selectorIN6thrust23THRUST_200600_302600_NS5tupleIiiNS6_9null_typeES8_S8_S8_S8_S8_S8_S8_EEbEEZNS1_14transform_implILb0ES3_SA_NS6_6detail15normal_iteratorINS6_10device_ptrIS9_EEEENSD_INSE_IbEEEEZNS1_13binary_searchIS3_SA_SG_SG_SI_NS1_16binary_search_opENSC_16wrapped_functionINS0_4lessIvEEbEEEE10hipError_tPvRmT1_T2_T3_mmT4_T5_P12ihipStream_tbEUlRKS9_E_EESP_ST_SU_mSV_SY_bEUlT_E_NS1_11comp_targetILNS1_3genE9ELNS1_11target_archE1100ELNS1_3gpuE3ELNS1_3repE0EEENS1_30default_config_static_selectorELNS0_4arch9wavefront6targetE0EEEvSS_.has_dyn_sized_stack, 0
	.set _ZN7rocprim17ROCPRIM_400000_NS6detail17trampoline_kernelINS0_14default_configENS1_29binary_search_config_selectorIN6thrust23THRUST_200600_302600_NS5tupleIiiNS6_9null_typeES8_S8_S8_S8_S8_S8_S8_EEbEEZNS1_14transform_implILb0ES3_SA_NS6_6detail15normal_iteratorINS6_10device_ptrIS9_EEEENSD_INSE_IbEEEEZNS1_13binary_searchIS3_SA_SG_SG_SI_NS1_16binary_search_opENSC_16wrapped_functionINS0_4lessIvEEbEEEE10hipError_tPvRmT1_T2_T3_mmT4_T5_P12ihipStream_tbEUlRKS9_E_EESP_ST_SU_mSV_SY_bEUlT_E_NS1_11comp_targetILNS1_3genE9ELNS1_11target_archE1100ELNS1_3gpuE3ELNS1_3repE0EEENS1_30default_config_static_selectorELNS0_4arch9wavefront6targetE0EEEvSS_.has_recursion, 0
	.set _ZN7rocprim17ROCPRIM_400000_NS6detail17trampoline_kernelINS0_14default_configENS1_29binary_search_config_selectorIN6thrust23THRUST_200600_302600_NS5tupleIiiNS6_9null_typeES8_S8_S8_S8_S8_S8_S8_EEbEEZNS1_14transform_implILb0ES3_SA_NS6_6detail15normal_iteratorINS6_10device_ptrIS9_EEEENSD_INSE_IbEEEEZNS1_13binary_searchIS3_SA_SG_SG_SI_NS1_16binary_search_opENSC_16wrapped_functionINS0_4lessIvEEbEEEE10hipError_tPvRmT1_T2_T3_mmT4_T5_P12ihipStream_tbEUlRKS9_E_EESP_ST_SU_mSV_SY_bEUlT_E_NS1_11comp_targetILNS1_3genE9ELNS1_11target_archE1100ELNS1_3gpuE3ELNS1_3repE0EEENS1_30default_config_static_selectorELNS0_4arch9wavefront6targetE0EEEvSS_.has_indirect_call, 0
	.section	.AMDGPU.csdata,"",@progbits
; Kernel info:
; codeLenInByte = 0
; TotalNumSgprs: 0
; NumVgprs: 0
; ScratchSize: 0
; MemoryBound: 0
; FloatMode: 240
; IeeeMode: 1
; LDSByteSize: 0 bytes/workgroup (compile time only)
; SGPRBlocks: 0
; VGPRBlocks: 0
; NumSGPRsForWavesPerEU: 1
; NumVGPRsForWavesPerEU: 1
; Occupancy: 16
; WaveLimiterHint : 0
; COMPUTE_PGM_RSRC2:SCRATCH_EN: 0
; COMPUTE_PGM_RSRC2:USER_SGPR: 6
; COMPUTE_PGM_RSRC2:TRAP_HANDLER: 0
; COMPUTE_PGM_RSRC2:TGID_X_EN: 1
; COMPUTE_PGM_RSRC2:TGID_Y_EN: 0
; COMPUTE_PGM_RSRC2:TGID_Z_EN: 0
; COMPUTE_PGM_RSRC2:TIDIG_COMP_CNT: 0
	.section	.text._ZN7rocprim17ROCPRIM_400000_NS6detail17trampoline_kernelINS0_14default_configENS1_29binary_search_config_selectorIN6thrust23THRUST_200600_302600_NS5tupleIiiNS6_9null_typeES8_S8_S8_S8_S8_S8_S8_EEbEEZNS1_14transform_implILb0ES3_SA_NS6_6detail15normal_iteratorINS6_10device_ptrIS9_EEEENSD_INSE_IbEEEEZNS1_13binary_searchIS3_SA_SG_SG_SI_NS1_16binary_search_opENSC_16wrapped_functionINS0_4lessIvEEbEEEE10hipError_tPvRmT1_T2_T3_mmT4_T5_P12ihipStream_tbEUlRKS9_E_EESP_ST_SU_mSV_SY_bEUlT_E_NS1_11comp_targetILNS1_3genE8ELNS1_11target_archE1030ELNS1_3gpuE2ELNS1_3repE0EEENS1_30default_config_static_selectorELNS0_4arch9wavefront6targetE0EEEvSS_,"axG",@progbits,_ZN7rocprim17ROCPRIM_400000_NS6detail17trampoline_kernelINS0_14default_configENS1_29binary_search_config_selectorIN6thrust23THRUST_200600_302600_NS5tupleIiiNS6_9null_typeES8_S8_S8_S8_S8_S8_S8_EEbEEZNS1_14transform_implILb0ES3_SA_NS6_6detail15normal_iteratorINS6_10device_ptrIS9_EEEENSD_INSE_IbEEEEZNS1_13binary_searchIS3_SA_SG_SG_SI_NS1_16binary_search_opENSC_16wrapped_functionINS0_4lessIvEEbEEEE10hipError_tPvRmT1_T2_T3_mmT4_T5_P12ihipStream_tbEUlRKS9_E_EESP_ST_SU_mSV_SY_bEUlT_E_NS1_11comp_targetILNS1_3genE8ELNS1_11target_archE1030ELNS1_3gpuE2ELNS1_3repE0EEENS1_30default_config_static_selectorELNS0_4arch9wavefront6targetE0EEEvSS_,comdat
	.protected	_ZN7rocprim17ROCPRIM_400000_NS6detail17trampoline_kernelINS0_14default_configENS1_29binary_search_config_selectorIN6thrust23THRUST_200600_302600_NS5tupleIiiNS6_9null_typeES8_S8_S8_S8_S8_S8_S8_EEbEEZNS1_14transform_implILb0ES3_SA_NS6_6detail15normal_iteratorINS6_10device_ptrIS9_EEEENSD_INSE_IbEEEEZNS1_13binary_searchIS3_SA_SG_SG_SI_NS1_16binary_search_opENSC_16wrapped_functionINS0_4lessIvEEbEEEE10hipError_tPvRmT1_T2_T3_mmT4_T5_P12ihipStream_tbEUlRKS9_E_EESP_ST_SU_mSV_SY_bEUlT_E_NS1_11comp_targetILNS1_3genE8ELNS1_11target_archE1030ELNS1_3gpuE2ELNS1_3repE0EEENS1_30default_config_static_selectorELNS0_4arch9wavefront6targetE0EEEvSS_ ; -- Begin function _ZN7rocprim17ROCPRIM_400000_NS6detail17trampoline_kernelINS0_14default_configENS1_29binary_search_config_selectorIN6thrust23THRUST_200600_302600_NS5tupleIiiNS6_9null_typeES8_S8_S8_S8_S8_S8_S8_EEbEEZNS1_14transform_implILb0ES3_SA_NS6_6detail15normal_iteratorINS6_10device_ptrIS9_EEEENSD_INSE_IbEEEEZNS1_13binary_searchIS3_SA_SG_SG_SI_NS1_16binary_search_opENSC_16wrapped_functionINS0_4lessIvEEbEEEE10hipError_tPvRmT1_T2_T3_mmT4_T5_P12ihipStream_tbEUlRKS9_E_EESP_ST_SU_mSV_SY_bEUlT_E_NS1_11comp_targetILNS1_3genE8ELNS1_11target_archE1030ELNS1_3gpuE2ELNS1_3repE0EEENS1_30default_config_static_selectorELNS0_4arch9wavefront6targetE0EEEvSS_
	.globl	_ZN7rocprim17ROCPRIM_400000_NS6detail17trampoline_kernelINS0_14default_configENS1_29binary_search_config_selectorIN6thrust23THRUST_200600_302600_NS5tupleIiiNS6_9null_typeES8_S8_S8_S8_S8_S8_S8_EEbEEZNS1_14transform_implILb0ES3_SA_NS6_6detail15normal_iteratorINS6_10device_ptrIS9_EEEENSD_INSE_IbEEEEZNS1_13binary_searchIS3_SA_SG_SG_SI_NS1_16binary_search_opENSC_16wrapped_functionINS0_4lessIvEEbEEEE10hipError_tPvRmT1_T2_T3_mmT4_T5_P12ihipStream_tbEUlRKS9_E_EESP_ST_SU_mSV_SY_bEUlT_E_NS1_11comp_targetILNS1_3genE8ELNS1_11target_archE1030ELNS1_3gpuE2ELNS1_3repE0EEENS1_30default_config_static_selectorELNS0_4arch9wavefront6targetE0EEEvSS_
	.p2align	8
	.type	_ZN7rocprim17ROCPRIM_400000_NS6detail17trampoline_kernelINS0_14default_configENS1_29binary_search_config_selectorIN6thrust23THRUST_200600_302600_NS5tupleIiiNS6_9null_typeES8_S8_S8_S8_S8_S8_S8_EEbEEZNS1_14transform_implILb0ES3_SA_NS6_6detail15normal_iteratorINS6_10device_ptrIS9_EEEENSD_INSE_IbEEEEZNS1_13binary_searchIS3_SA_SG_SG_SI_NS1_16binary_search_opENSC_16wrapped_functionINS0_4lessIvEEbEEEE10hipError_tPvRmT1_T2_T3_mmT4_T5_P12ihipStream_tbEUlRKS9_E_EESP_ST_SU_mSV_SY_bEUlT_E_NS1_11comp_targetILNS1_3genE8ELNS1_11target_archE1030ELNS1_3gpuE2ELNS1_3repE0EEENS1_30default_config_static_selectorELNS0_4arch9wavefront6targetE0EEEvSS_,@function
_ZN7rocprim17ROCPRIM_400000_NS6detail17trampoline_kernelINS0_14default_configENS1_29binary_search_config_selectorIN6thrust23THRUST_200600_302600_NS5tupleIiiNS6_9null_typeES8_S8_S8_S8_S8_S8_S8_EEbEEZNS1_14transform_implILb0ES3_SA_NS6_6detail15normal_iteratorINS6_10device_ptrIS9_EEEENSD_INSE_IbEEEEZNS1_13binary_searchIS3_SA_SG_SG_SI_NS1_16binary_search_opENSC_16wrapped_functionINS0_4lessIvEEbEEEE10hipError_tPvRmT1_T2_T3_mmT4_T5_P12ihipStream_tbEUlRKS9_E_EESP_ST_SU_mSV_SY_bEUlT_E_NS1_11comp_targetILNS1_3genE8ELNS1_11target_archE1030ELNS1_3gpuE2ELNS1_3repE0EEENS1_30default_config_static_selectorELNS0_4arch9wavefront6targetE0EEEvSS_: ; @_ZN7rocprim17ROCPRIM_400000_NS6detail17trampoline_kernelINS0_14default_configENS1_29binary_search_config_selectorIN6thrust23THRUST_200600_302600_NS5tupleIiiNS6_9null_typeES8_S8_S8_S8_S8_S8_S8_EEbEEZNS1_14transform_implILb0ES3_SA_NS6_6detail15normal_iteratorINS6_10device_ptrIS9_EEEENSD_INSE_IbEEEEZNS1_13binary_searchIS3_SA_SG_SG_SI_NS1_16binary_search_opENSC_16wrapped_functionINS0_4lessIvEEbEEEE10hipError_tPvRmT1_T2_T3_mmT4_T5_P12ihipStream_tbEUlRKS9_E_EESP_ST_SU_mSV_SY_bEUlT_E_NS1_11comp_targetILNS1_3genE8ELNS1_11target_archE1030ELNS1_3gpuE2ELNS1_3repE0EEENS1_30default_config_static_selectorELNS0_4arch9wavefront6targetE0EEEvSS_
; %bb.0:
	s_clause 0x3
	s_load_dwordx4 s[0:3], s[4:5], 0x0
	s_load_dword s7, s[4:5], 0x38
	s_load_dwordx2 s[14:15], s[4:5], 0x28
	s_load_dwordx4 s[8:11], s[4:5], 0x18
	s_waitcnt lgkmcnt(0)
	s_lshl_b64 s[12:13], s[2:3], 3
	s_add_u32 s16, s0, s12
	s_addc_u32 s17, s1, s13
	s_add_i32 s7, s7, -1
	s_lshl_b32 s12, s6, 8
	s_mov_b32 s13, 0
	s_cmp_lg_u32 s6, s7
	s_mov_b32 s0, -1
	s_cbranch_scc0 .LBB769_6
; %bb.1:
	v_lshlrev_b32_e32 v1, 3, v0
	s_lshl_b64 s[0:1], s[12:13], 3
	v_mov_b32_e32 v3, 0
	s_add_u32 s0, s16, s0
	s_addc_u32 s1, s17, s1
	v_add_co_u32 v1, s0, s0, v1
	v_add_co_ci_u32_e64 v2, null, s1, 0, s0
	v_mov_b32_e32 v7, 0
	v_mov_b32_e32 v4, 0
	s_cmp_eq_u64 s[14:15], 0
	flat_load_dwordx2 v[1:2], v[1:2]
	s_cbranch_scc1 .LBB769_5
; %bb.2:
	v_mov_b32_e32 v5, s14
	v_mov_b32_e32 v6, s15
	s_mov_b32 s6, 0
	s_inst_prefetch 0x1
	.p2align	6
.LBB769_3:                              ; =>This Inner Loop Header: Depth=1
	v_sub_co_u32 v8, vcc_lo, v5, v3
	v_sub_co_ci_u32_e64 v9, null, v6, v4, vcc_lo
	v_lshrrev_b64 v[10:11], 1, v[8:9]
	v_lshrrev_b64 v[8:9], 6, v[8:9]
	v_add_co_u32 v10, vcc_lo, v10, v3
	v_add_co_ci_u32_e64 v11, null, v11, v4, vcc_lo
	v_add_co_u32 v8, vcc_lo, v10, v8
	v_add_co_ci_u32_e64 v9, null, v11, v9, vcc_lo
	v_lshlrev_b64 v[10:11], 3, v[8:9]
	v_add_co_u32 v10, vcc_lo, s10, v10
	v_add_co_ci_u32_e64 v11, null, s11, v11, vcc_lo
	v_add_co_u32 v12, vcc_lo, v8, 1
	v_add_co_ci_u32_e64 v13, null, 0, v9, vcc_lo
	global_load_dwordx2 v[10:11], v[10:11], off
	s_waitcnt vmcnt(0) lgkmcnt(0)
	v_cmp_ge_i32_e32 vcc_lo, v1, v10
	v_cmp_lt_i32_e64 s0, v11, v2
	v_cmp_lt_i32_e64 s1, v10, v1
	s_and_b32 s0, vcc_lo, s0
	s_or_b32 vcc_lo, s1, s0
	v_cndmask_b32_e32 v6, v9, v6, vcc_lo
	v_cndmask_b32_e32 v5, v8, v5, vcc_lo
	;; [unrolled: 1-line block ×4, first 2 shown]
	v_cmp_ge_u64_e32 vcc_lo, v[3:4], v[5:6]
	s_or_b32 s6, vcc_lo, s6
	s_andn2_b32 exec_lo, exec_lo, s6
	s_cbranch_execnz .LBB769_3
; %bb.4:
	s_inst_prefetch 0x2
	s_or_b32 exec_lo, exec_lo, s6
.LBB769_5:
	v_cmp_eq_u64_e64 s6, s[14:15], v[3:4]
	v_cmp_ne_u64_e64 s7, s[14:15], v[3:4]
	s_branch .LBB769_14
.LBB769_6:
	s_mov_b32 s7, s13
	s_mov_b32 s6, s13
                                        ; implicit-def: $vgpr2
                                        ; implicit-def: $vgpr3_vgpr4
                                        ; implicit-def: $vgpr7
	s_and_b32 vcc_lo, exec_lo, s0
	s_cbranch_vccz .LBB769_14
; %bb.7:
	s_load_dword s0, s[4:5], 0x10
	s_mov_b32 s4, exec_lo
                                        ; implicit-def: $vgpr2
                                        ; implicit-def: $vgpr3_vgpr4
	s_waitcnt lgkmcnt(0)
	s_sub_i32 s0, s0, s12
	v_cmpx_gt_u32_e64 s0, v0
                                        ; implicit-def: $vgpr7
	s_cbranch_execz .LBB769_13
; %bb.8:
	s_waitcnt vmcnt(0)
	v_lshlrev_b32_e32 v1, 3, v0
	s_lshl_b64 s[0:1], s[12:13], 3
	v_mov_b32_e32 v3, 0
	s_add_u32 s0, s16, s0
	s_addc_u32 s1, s17, s1
	v_add_co_u32 v1, s0, s0, v1
	v_add_co_ci_u32_e64 v2, null, s1, 0, s0
	v_mov_b32_e32 v7, 0
	v_mov_b32_e32 v4, 0
	s_cmp_eq_u64 s[14:15], 0
	flat_load_dwordx2 v[1:2], v[1:2]
	s_cbranch_scc1 .LBB769_12
; %bb.9:
	v_mov_b32_e32 v5, s14
	v_mov_b32_e32 v6, s15
	s_mov_b32 s5, 0
	s_inst_prefetch 0x1
	.p2align	6
.LBB769_10:                             ; =>This Inner Loop Header: Depth=1
	v_sub_co_u32 v8, vcc_lo, v5, v3
	v_sub_co_ci_u32_e64 v9, null, v6, v4, vcc_lo
	v_lshrrev_b64 v[10:11], 1, v[8:9]
	v_lshrrev_b64 v[8:9], 6, v[8:9]
	v_add_co_u32 v10, vcc_lo, v10, v3
	v_add_co_ci_u32_e64 v11, null, v11, v4, vcc_lo
	v_add_co_u32 v8, vcc_lo, v10, v8
	v_add_co_ci_u32_e64 v9, null, v11, v9, vcc_lo
	v_lshlrev_b64 v[10:11], 3, v[8:9]
	v_add_co_u32 v10, vcc_lo, s10, v10
	v_add_co_ci_u32_e64 v11, null, s11, v11, vcc_lo
	v_add_co_u32 v12, vcc_lo, v8, 1
	v_add_co_ci_u32_e64 v13, null, 0, v9, vcc_lo
	global_load_dwordx2 v[10:11], v[10:11], off
	s_waitcnt vmcnt(0) lgkmcnt(0)
	v_cmp_ge_i32_e32 vcc_lo, v1, v10
	v_cmp_lt_i32_e64 s0, v11, v2
	v_cmp_lt_i32_e64 s1, v10, v1
	s_and_b32 s0, vcc_lo, s0
	s_or_b32 vcc_lo, s1, s0
	v_cndmask_b32_e32 v6, v9, v6, vcc_lo
	v_cndmask_b32_e32 v5, v8, v5, vcc_lo
	;; [unrolled: 1-line block ×4, first 2 shown]
	v_cmp_ge_u64_e32 vcc_lo, v[3:4], v[5:6]
	s_or_b32 s5, vcc_lo, s5
	s_andn2_b32 exec_lo, exec_lo, s5
	s_cbranch_execnz .LBB769_10
; %bb.11:
	s_inst_prefetch 0x2
	s_or_b32 exec_lo, exec_lo, s5
.LBB769_12:
	v_cmp_eq_u64_e32 vcc_lo, s[14:15], v[3:4]
	v_cmp_ne_u64_e64 s0, s[14:15], v[3:4]
	s_andn2_b32 s1, s6, exec_lo
	s_andn2_b32 s5, s7, exec_lo
	s_and_b32 s6, vcc_lo, exec_lo
	s_and_b32 s0, s0, exec_lo
	s_or_b32 s6, s1, s6
	s_or_b32 s7, s5, s0
.LBB769_13:
	s_or_b32 exec_lo, exec_lo, s4
.LBB769_14:
	s_mov_b32 s0, 0
	s_and_saveexec_b32 s4, s7
	s_cbranch_execnz .LBB769_17
; %bb.15:
	s_or_b32 exec_lo, exec_lo, s4
	s_and_saveexec_b32 s1, s6
	s_cbranch_execnz .LBB769_18
.LBB769_16:
	s_endpgm
.LBB769_17:
	v_lshlrev_b64 v[3:4], 3, v[3:4]
	s_or_b32 s6, s6, exec_lo
	v_add_co_u32 v3, vcc_lo, s10, v3
	v_add_co_ci_u32_e64 v4, null, s11, v4, vcc_lo
	global_load_dwordx2 v[3:4], v[3:4], off
	s_waitcnt vmcnt(0) lgkmcnt(0)
	v_cmp_lt_i32_e32 vcc_lo, v3, v1
	v_cmp_ge_i32_e64 s0, v2, v4
	v_cmp_ge_i32_e64 s1, v1, v3
	s_or_b32 s0, vcc_lo, s0
	s_and_b32 s0, s1, s0
	s_and_b32 s0, s0, exec_lo
	s_or_b32 exec_lo, exec_lo, s4
	s_and_saveexec_b32 s1, s6
	s_cbranch_execz .LBB769_16
.LBB769_18:
	s_add_u32 s1, s8, s2
	s_addc_u32 s2, s9, s3
	s_waitcnt vmcnt(0) lgkmcnt(0)
	v_cndmask_b32_e64 v2, 0, 1, s0
	s_add_u32 s0, s1, s12
	s_addc_u32 s1, s2, 0
	v_add_co_u32 v0, vcc_lo, s0, v0
	v_add_co_ci_u32_e64 v1, null, s1, v7, vcc_lo
	flat_store_byte v[0:1], v2
	s_endpgm
	.section	.rodata,"a",@progbits
	.p2align	6, 0x0
	.amdhsa_kernel _ZN7rocprim17ROCPRIM_400000_NS6detail17trampoline_kernelINS0_14default_configENS1_29binary_search_config_selectorIN6thrust23THRUST_200600_302600_NS5tupleIiiNS6_9null_typeES8_S8_S8_S8_S8_S8_S8_EEbEEZNS1_14transform_implILb0ES3_SA_NS6_6detail15normal_iteratorINS6_10device_ptrIS9_EEEENSD_INSE_IbEEEEZNS1_13binary_searchIS3_SA_SG_SG_SI_NS1_16binary_search_opENSC_16wrapped_functionINS0_4lessIvEEbEEEE10hipError_tPvRmT1_T2_T3_mmT4_T5_P12ihipStream_tbEUlRKS9_E_EESP_ST_SU_mSV_SY_bEUlT_E_NS1_11comp_targetILNS1_3genE8ELNS1_11target_archE1030ELNS1_3gpuE2ELNS1_3repE0EEENS1_30default_config_static_selectorELNS0_4arch9wavefront6targetE0EEEvSS_
		.amdhsa_group_segment_fixed_size 0
		.amdhsa_private_segment_fixed_size 0
		.amdhsa_kernarg_size 312
		.amdhsa_user_sgpr_count 6
		.amdhsa_user_sgpr_private_segment_buffer 1
		.amdhsa_user_sgpr_dispatch_ptr 0
		.amdhsa_user_sgpr_queue_ptr 0
		.amdhsa_user_sgpr_kernarg_segment_ptr 1
		.amdhsa_user_sgpr_dispatch_id 0
		.amdhsa_user_sgpr_flat_scratch_init 0
		.amdhsa_user_sgpr_private_segment_size 0
		.amdhsa_wavefront_size32 1
		.amdhsa_uses_dynamic_stack 0
		.amdhsa_system_sgpr_private_segment_wavefront_offset 0
		.amdhsa_system_sgpr_workgroup_id_x 1
		.amdhsa_system_sgpr_workgroup_id_y 0
		.amdhsa_system_sgpr_workgroup_id_z 0
		.amdhsa_system_sgpr_workgroup_info 0
		.amdhsa_system_vgpr_workitem_id 0
		.amdhsa_next_free_vgpr 14
		.amdhsa_next_free_sgpr 18
		.amdhsa_reserve_vcc 1
		.amdhsa_reserve_flat_scratch 0
		.amdhsa_float_round_mode_32 0
		.amdhsa_float_round_mode_16_64 0
		.amdhsa_float_denorm_mode_32 3
		.amdhsa_float_denorm_mode_16_64 3
		.amdhsa_dx10_clamp 1
		.amdhsa_ieee_mode 1
		.amdhsa_fp16_overflow 0
		.amdhsa_workgroup_processor_mode 1
		.amdhsa_memory_ordered 1
		.amdhsa_forward_progress 1
		.amdhsa_shared_vgpr_count 0
		.amdhsa_exception_fp_ieee_invalid_op 0
		.amdhsa_exception_fp_denorm_src 0
		.amdhsa_exception_fp_ieee_div_zero 0
		.amdhsa_exception_fp_ieee_overflow 0
		.amdhsa_exception_fp_ieee_underflow 0
		.amdhsa_exception_fp_ieee_inexact 0
		.amdhsa_exception_int_div_zero 0
	.end_amdhsa_kernel
	.section	.text._ZN7rocprim17ROCPRIM_400000_NS6detail17trampoline_kernelINS0_14default_configENS1_29binary_search_config_selectorIN6thrust23THRUST_200600_302600_NS5tupleIiiNS6_9null_typeES8_S8_S8_S8_S8_S8_S8_EEbEEZNS1_14transform_implILb0ES3_SA_NS6_6detail15normal_iteratorINS6_10device_ptrIS9_EEEENSD_INSE_IbEEEEZNS1_13binary_searchIS3_SA_SG_SG_SI_NS1_16binary_search_opENSC_16wrapped_functionINS0_4lessIvEEbEEEE10hipError_tPvRmT1_T2_T3_mmT4_T5_P12ihipStream_tbEUlRKS9_E_EESP_ST_SU_mSV_SY_bEUlT_E_NS1_11comp_targetILNS1_3genE8ELNS1_11target_archE1030ELNS1_3gpuE2ELNS1_3repE0EEENS1_30default_config_static_selectorELNS0_4arch9wavefront6targetE0EEEvSS_,"axG",@progbits,_ZN7rocprim17ROCPRIM_400000_NS6detail17trampoline_kernelINS0_14default_configENS1_29binary_search_config_selectorIN6thrust23THRUST_200600_302600_NS5tupleIiiNS6_9null_typeES8_S8_S8_S8_S8_S8_S8_EEbEEZNS1_14transform_implILb0ES3_SA_NS6_6detail15normal_iteratorINS6_10device_ptrIS9_EEEENSD_INSE_IbEEEEZNS1_13binary_searchIS3_SA_SG_SG_SI_NS1_16binary_search_opENSC_16wrapped_functionINS0_4lessIvEEbEEEE10hipError_tPvRmT1_T2_T3_mmT4_T5_P12ihipStream_tbEUlRKS9_E_EESP_ST_SU_mSV_SY_bEUlT_E_NS1_11comp_targetILNS1_3genE8ELNS1_11target_archE1030ELNS1_3gpuE2ELNS1_3repE0EEENS1_30default_config_static_selectorELNS0_4arch9wavefront6targetE0EEEvSS_,comdat
.Lfunc_end769:
	.size	_ZN7rocprim17ROCPRIM_400000_NS6detail17trampoline_kernelINS0_14default_configENS1_29binary_search_config_selectorIN6thrust23THRUST_200600_302600_NS5tupleIiiNS6_9null_typeES8_S8_S8_S8_S8_S8_S8_EEbEEZNS1_14transform_implILb0ES3_SA_NS6_6detail15normal_iteratorINS6_10device_ptrIS9_EEEENSD_INSE_IbEEEEZNS1_13binary_searchIS3_SA_SG_SG_SI_NS1_16binary_search_opENSC_16wrapped_functionINS0_4lessIvEEbEEEE10hipError_tPvRmT1_T2_T3_mmT4_T5_P12ihipStream_tbEUlRKS9_E_EESP_ST_SU_mSV_SY_bEUlT_E_NS1_11comp_targetILNS1_3genE8ELNS1_11target_archE1030ELNS1_3gpuE2ELNS1_3repE0EEENS1_30default_config_static_selectorELNS0_4arch9wavefront6targetE0EEEvSS_, .Lfunc_end769-_ZN7rocprim17ROCPRIM_400000_NS6detail17trampoline_kernelINS0_14default_configENS1_29binary_search_config_selectorIN6thrust23THRUST_200600_302600_NS5tupleIiiNS6_9null_typeES8_S8_S8_S8_S8_S8_S8_EEbEEZNS1_14transform_implILb0ES3_SA_NS6_6detail15normal_iteratorINS6_10device_ptrIS9_EEEENSD_INSE_IbEEEEZNS1_13binary_searchIS3_SA_SG_SG_SI_NS1_16binary_search_opENSC_16wrapped_functionINS0_4lessIvEEbEEEE10hipError_tPvRmT1_T2_T3_mmT4_T5_P12ihipStream_tbEUlRKS9_E_EESP_ST_SU_mSV_SY_bEUlT_E_NS1_11comp_targetILNS1_3genE8ELNS1_11target_archE1030ELNS1_3gpuE2ELNS1_3repE0EEENS1_30default_config_static_selectorELNS0_4arch9wavefront6targetE0EEEvSS_
                                        ; -- End function
	.set _ZN7rocprim17ROCPRIM_400000_NS6detail17trampoline_kernelINS0_14default_configENS1_29binary_search_config_selectorIN6thrust23THRUST_200600_302600_NS5tupleIiiNS6_9null_typeES8_S8_S8_S8_S8_S8_S8_EEbEEZNS1_14transform_implILb0ES3_SA_NS6_6detail15normal_iteratorINS6_10device_ptrIS9_EEEENSD_INSE_IbEEEEZNS1_13binary_searchIS3_SA_SG_SG_SI_NS1_16binary_search_opENSC_16wrapped_functionINS0_4lessIvEEbEEEE10hipError_tPvRmT1_T2_T3_mmT4_T5_P12ihipStream_tbEUlRKS9_E_EESP_ST_SU_mSV_SY_bEUlT_E_NS1_11comp_targetILNS1_3genE8ELNS1_11target_archE1030ELNS1_3gpuE2ELNS1_3repE0EEENS1_30default_config_static_selectorELNS0_4arch9wavefront6targetE0EEEvSS_.num_vgpr, 14
	.set _ZN7rocprim17ROCPRIM_400000_NS6detail17trampoline_kernelINS0_14default_configENS1_29binary_search_config_selectorIN6thrust23THRUST_200600_302600_NS5tupleIiiNS6_9null_typeES8_S8_S8_S8_S8_S8_S8_EEbEEZNS1_14transform_implILb0ES3_SA_NS6_6detail15normal_iteratorINS6_10device_ptrIS9_EEEENSD_INSE_IbEEEEZNS1_13binary_searchIS3_SA_SG_SG_SI_NS1_16binary_search_opENSC_16wrapped_functionINS0_4lessIvEEbEEEE10hipError_tPvRmT1_T2_T3_mmT4_T5_P12ihipStream_tbEUlRKS9_E_EESP_ST_SU_mSV_SY_bEUlT_E_NS1_11comp_targetILNS1_3genE8ELNS1_11target_archE1030ELNS1_3gpuE2ELNS1_3repE0EEENS1_30default_config_static_selectorELNS0_4arch9wavefront6targetE0EEEvSS_.num_agpr, 0
	.set _ZN7rocprim17ROCPRIM_400000_NS6detail17trampoline_kernelINS0_14default_configENS1_29binary_search_config_selectorIN6thrust23THRUST_200600_302600_NS5tupleIiiNS6_9null_typeES8_S8_S8_S8_S8_S8_S8_EEbEEZNS1_14transform_implILb0ES3_SA_NS6_6detail15normal_iteratorINS6_10device_ptrIS9_EEEENSD_INSE_IbEEEEZNS1_13binary_searchIS3_SA_SG_SG_SI_NS1_16binary_search_opENSC_16wrapped_functionINS0_4lessIvEEbEEEE10hipError_tPvRmT1_T2_T3_mmT4_T5_P12ihipStream_tbEUlRKS9_E_EESP_ST_SU_mSV_SY_bEUlT_E_NS1_11comp_targetILNS1_3genE8ELNS1_11target_archE1030ELNS1_3gpuE2ELNS1_3repE0EEENS1_30default_config_static_selectorELNS0_4arch9wavefront6targetE0EEEvSS_.numbered_sgpr, 18
	.set _ZN7rocprim17ROCPRIM_400000_NS6detail17trampoline_kernelINS0_14default_configENS1_29binary_search_config_selectorIN6thrust23THRUST_200600_302600_NS5tupleIiiNS6_9null_typeES8_S8_S8_S8_S8_S8_S8_EEbEEZNS1_14transform_implILb0ES3_SA_NS6_6detail15normal_iteratorINS6_10device_ptrIS9_EEEENSD_INSE_IbEEEEZNS1_13binary_searchIS3_SA_SG_SG_SI_NS1_16binary_search_opENSC_16wrapped_functionINS0_4lessIvEEbEEEE10hipError_tPvRmT1_T2_T3_mmT4_T5_P12ihipStream_tbEUlRKS9_E_EESP_ST_SU_mSV_SY_bEUlT_E_NS1_11comp_targetILNS1_3genE8ELNS1_11target_archE1030ELNS1_3gpuE2ELNS1_3repE0EEENS1_30default_config_static_selectorELNS0_4arch9wavefront6targetE0EEEvSS_.num_named_barrier, 0
	.set _ZN7rocprim17ROCPRIM_400000_NS6detail17trampoline_kernelINS0_14default_configENS1_29binary_search_config_selectorIN6thrust23THRUST_200600_302600_NS5tupleIiiNS6_9null_typeES8_S8_S8_S8_S8_S8_S8_EEbEEZNS1_14transform_implILb0ES3_SA_NS6_6detail15normal_iteratorINS6_10device_ptrIS9_EEEENSD_INSE_IbEEEEZNS1_13binary_searchIS3_SA_SG_SG_SI_NS1_16binary_search_opENSC_16wrapped_functionINS0_4lessIvEEbEEEE10hipError_tPvRmT1_T2_T3_mmT4_T5_P12ihipStream_tbEUlRKS9_E_EESP_ST_SU_mSV_SY_bEUlT_E_NS1_11comp_targetILNS1_3genE8ELNS1_11target_archE1030ELNS1_3gpuE2ELNS1_3repE0EEENS1_30default_config_static_selectorELNS0_4arch9wavefront6targetE0EEEvSS_.private_seg_size, 0
	.set _ZN7rocprim17ROCPRIM_400000_NS6detail17trampoline_kernelINS0_14default_configENS1_29binary_search_config_selectorIN6thrust23THRUST_200600_302600_NS5tupleIiiNS6_9null_typeES8_S8_S8_S8_S8_S8_S8_EEbEEZNS1_14transform_implILb0ES3_SA_NS6_6detail15normal_iteratorINS6_10device_ptrIS9_EEEENSD_INSE_IbEEEEZNS1_13binary_searchIS3_SA_SG_SG_SI_NS1_16binary_search_opENSC_16wrapped_functionINS0_4lessIvEEbEEEE10hipError_tPvRmT1_T2_T3_mmT4_T5_P12ihipStream_tbEUlRKS9_E_EESP_ST_SU_mSV_SY_bEUlT_E_NS1_11comp_targetILNS1_3genE8ELNS1_11target_archE1030ELNS1_3gpuE2ELNS1_3repE0EEENS1_30default_config_static_selectorELNS0_4arch9wavefront6targetE0EEEvSS_.uses_vcc, 1
	.set _ZN7rocprim17ROCPRIM_400000_NS6detail17trampoline_kernelINS0_14default_configENS1_29binary_search_config_selectorIN6thrust23THRUST_200600_302600_NS5tupleIiiNS6_9null_typeES8_S8_S8_S8_S8_S8_S8_EEbEEZNS1_14transform_implILb0ES3_SA_NS6_6detail15normal_iteratorINS6_10device_ptrIS9_EEEENSD_INSE_IbEEEEZNS1_13binary_searchIS3_SA_SG_SG_SI_NS1_16binary_search_opENSC_16wrapped_functionINS0_4lessIvEEbEEEE10hipError_tPvRmT1_T2_T3_mmT4_T5_P12ihipStream_tbEUlRKS9_E_EESP_ST_SU_mSV_SY_bEUlT_E_NS1_11comp_targetILNS1_3genE8ELNS1_11target_archE1030ELNS1_3gpuE2ELNS1_3repE0EEENS1_30default_config_static_selectorELNS0_4arch9wavefront6targetE0EEEvSS_.uses_flat_scratch, 0
	.set _ZN7rocprim17ROCPRIM_400000_NS6detail17trampoline_kernelINS0_14default_configENS1_29binary_search_config_selectorIN6thrust23THRUST_200600_302600_NS5tupleIiiNS6_9null_typeES8_S8_S8_S8_S8_S8_S8_EEbEEZNS1_14transform_implILb0ES3_SA_NS6_6detail15normal_iteratorINS6_10device_ptrIS9_EEEENSD_INSE_IbEEEEZNS1_13binary_searchIS3_SA_SG_SG_SI_NS1_16binary_search_opENSC_16wrapped_functionINS0_4lessIvEEbEEEE10hipError_tPvRmT1_T2_T3_mmT4_T5_P12ihipStream_tbEUlRKS9_E_EESP_ST_SU_mSV_SY_bEUlT_E_NS1_11comp_targetILNS1_3genE8ELNS1_11target_archE1030ELNS1_3gpuE2ELNS1_3repE0EEENS1_30default_config_static_selectorELNS0_4arch9wavefront6targetE0EEEvSS_.has_dyn_sized_stack, 0
	.set _ZN7rocprim17ROCPRIM_400000_NS6detail17trampoline_kernelINS0_14default_configENS1_29binary_search_config_selectorIN6thrust23THRUST_200600_302600_NS5tupleIiiNS6_9null_typeES8_S8_S8_S8_S8_S8_S8_EEbEEZNS1_14transform_implILb0ES3_SA_NS6_6detail15normal_iteratorINS6_10device_ptrIS9_EEEENSD_INSE_IbEEEEZNS1_13binary_searchIS3_SA_SG_SG_SI_NS1_16binary_search_opENSC_16wrapped_functionINS0_4lessIvEEbEEEE10hipError_tPvRmT1_T2_T3_mmT4_T5_P12ihipStream_tbEUlRKS9_E_EESP_ST_SU_mSV_SY_bEUlT_E_NS1_11comp_targetILNS1_3genE8ELNS1_11target_archE1030ELNS1_3gpuE2ELNS1_3repE0EEENS1_30default_config_static_selectorELNS0_4arch9wavefront6targetE0EEEvSS_.has_recursion, 0
	.set _ZN7rocprim17ROCPRIM_400000_NS6detail17trampoline_kernelINS0_14default_configENS1_29binary_search_config_selectorIN6thrust23THRUST_200600_302600_NS5tupleIiiNS6_9null_typeES8_S8_S8_S8_S8_S8_S8_EEbEEZNS1_14transform_implILb0ES3_SA_NS6_6detail15normal_iteratorINS6_10device_ptrIS9_EEEENSD_INSE_IbEEEEZNS1_13binary_searchIS3_SA_SG_SG_SI_NS1_16binary_search_opENSC_16wrapped_functionINS0_4lessIvEEbEEEE10hipError_tPvRmT1_T2_T3_mmT4_T5_P12ihipStream_tbEUlRKS9_E_EESP_ST_SU_mSV_SY_bEUlT_E_NS1_11comp_targetILNS1_3genE8ELNS1_11target_archE1030ELNS1_3gpuE2ELNS1_3repE0EEENS1_30default_config_static_selectorELNS0_4arch9wavefront6targetE0EEEvSS_.has_indirect_call, 0
	.section	.AMDGPU.csdata,"",@progbits
; Kernel info:
; codeLenInByte = 968
; TotalNumSgprs: 20
; NumVgprs: 14
; ScratchSize: 0
; MemoryBound: 0
; FloatMode: 240
; IeeeMode: 1
; LDSByteSize: 0 bytes/workgroup (compile time only)
; SGPRBlocks: 0
; VGPRBlocks: 1
; NumSGPRsForWavesPerEU: 20
; NumVGPRsForWavesPerEU: 14
; Occupancy: 16
; WaveLimiterHint : 0
; COMPUTE_PGM_RSRC2:SCRATCH_EN: 0
; COMPUTE_PGM_RSRC2:USER_SGPR: 6
; COMPUTE_PGM_RSRC2:TRAP_HANDLER: 0
; COMPUTE_PGM_RSRC2:TGID_X_EN: 1
; COMPUTE_PGM_RSRC2:TGID_Y_EN: 0
; COMPUTE_PGM_RSRC2:TGID_Z_EN: 0
; COMPUTE_PGM_RSRC2:TIDIG_COMP_CNT: 0
	.section	.text._ZN7rocprim17ROCPRIM_400000_NS6detail17trampoline_kernelINS0_14default_configENS1_27lower_bound_config_selectorIilEEZNS1_14transform_implILb0ES3_S5_N6thrust23THRUST_200600_302600_NS6detail15normal_iteratorINS8_7pointerIiNS9_22execute_with_allocatorINS8_16device_allocatorIcEENS8_11hip_rocprim22execute_on_stream_baseEEENS8_11use_defaultESI_EEEENSA_INSB_IlSH_SI_SI_EEEEZNS1_13binary_searchIS3_S5_NSA_INS8_10device_ptrIiEEEESK_SM_NS1_21lower_bound_search_opENS9_16wrapped_functionINS8_6system6detail7generic6detail18binary_search_lessEbEEEE10hipError_tPvRmT1_T2_T3_mmT4_T5_P12ihipStream_tbEUlRKiE_EESZ_S13_S14_mS15_S18_bEUlT_E_NS1_11comp_targetILNS1_3genE0ELNS1_11target_archE4294967295ELNS1_3gpuE0ELNS1_3repE0EEENS1_30default_config_static_selectorELNS0_4arch9wavefront6targetE0EEEvS12_,"axG",@progbits,_ZN7rocprim17ROCPRIM_400000_NS6detail17trampoline_kernelINS0_14default_configENS1_27lower_bound_config_selectorIilEEZNS1_14transform_implILb0ES3_S5_N6thrust23THRUST_200600_302600_NS6detail15normal_iteratorINS8_7pointerIiNS9_22execute_with_allocatorINS8_16device_allocatorIcEENS8_11hip_rocprim22execute_on_stream_baseEEENS8_11use_defaultESI_EEEENSA_INSB_IlSH_SI_SI_EEEEZNS1_13binary_searchIS3_S5_NSA_INS8_10device_ptrIiEEEESK_SM_NS1_21lower_bound_search_opENS9_16wrapped_functionINS8_6system6detail7generic6detail18binary_search_lessEbEEEE10hipError_tPvRmT1_T2_T3_mmT4_T5_P12ihipStream_tbEUlRKiE_EESZ_S13_S14_mS15_S18_bEUlT_E_NS1_11comp_targetILNS1_3genE0ELNS1_11target_archE4294967295ELNS1_3gpuE0ELNS1_3repE0EEENS1_30default_config_static_selectorELNS0_4arch9wavefront6targetE0EEEvS12_,comdat
	.protected	_ZN7rocprim17ROCPRIM_400000_NS6detail17trampoline_kernelINS0_14default_configENS1_27lower_bound_config_selectorIilEEZNS1_14transform_implILb0ES3_S5_N6thrust23THRUST_200600_302600_NS6detail15normal_iteratorINS8_7pointerIiNS9_22execute_with_allocatorINS8_16device_allocatorIcEENS8_11hip_rocprim22execute_on_stream_baseEEENS8_11use_defaultESI_EEEENSA_INSB_IlSH_SI_SI_EEEEZNS1_13binary_searchIS3_S5_NSA_INS8_10device_ptrIiEEEESK_SM_NS1_21lower_bound_search_opENS9_16wrapped_functionINS8_6system6detail7generic6detail18binary_search_lessEbEEEE10hipError_tPvRmT1_T2_T3_mmT4_T5_P12ihipStream_tbEUlRKiE_EESZ_S13_S14_mS15_S18_bEUlT_E_NS1_11comp_targetILNS1_3genE0ELNS1_11target_archE4294967295ELNS1_3gpuE0ELNS1_3repE0EEENS1_30default_config_static_selectorELNS0_4arch9wavefront6targetE0EEEvS12_ ; -- Begin function _ZN7rocprim17ROCPRIM_400000_NS6detail17trampoline_kernelINS0_14default_configENS1_27lower_bound_config_selectorIilEEZNS1_14transform_implILb0ES3_S5_N6thrust23THRUST_200600_302600_NS6detail15normal_iteratorINS8_7pointerIiNS9_22execute_with_allocatorINS8_16device_allocatorIcEENS8_11hip_rocprim22execute_on_stream_baseEEENS8_11use_defaultESI_EEEENSA_INSB_IlSH_SI_SI_EEEEZNS1_13binary_searchIS3_S5_NSA_INS8_10device_ptrIiEEEESK_SM_NS1_21lower_bound_search_opENS9_16wrapped_functionINS8_6system6detail7generic6detail18binary_search_lessEbEEEE10hipError_tPvRmT1_T2_T3_mmT4_T5_P12ihipStream_tbEUlRKiE_EESZ_S13_S14_mS15_S18_bEUlT_E_NS1_11comp_targetILNS1_3genE0ELNS1_11target_archE4294967295ELNS1_3gpuE0ELNS1_3repE0EEENS1_30default_config_static_selectorELNS0_4arch9wavefront6targetE0EEEvS12_
	.globl	_ZN7rocprim17ROCPRIM_400000_NS6detail17trampoline_kernelINS0_14default_configENS1_27lower_bound_config_selectorIilEEZNS1_14transform_implILb0ES3_S5_N6thrust23THRUST_200600_302600_NS6detail15normal_iteratorINS8_7pointerIiNS9_22execute_with_allocatorINS8_16device_allocatorIcEENS8_11hip_rocprim22execute_on_stream_baseEEENS8_11use_defaultESI_EEEENSA_INSB_IlSH_SI_SI_EEEEZNS1_13binary_searchIS3_S5_NSA_INS8_10device_ptrIiEEEESK_SM_NS1_21lower_bound_search_opENS9_16wrapped_functionINS8_6system6detail7generic6detail18binary_search_lessEbEEEE10hipError_tPvRmT1_T2_T3_mmT4_T5_P12ihipStream_tbEUlRKiE_EESZ_S13_S14_mS15_S18_bEUlT_E_NS1_11comp_targetILNS1_3genE0ELNS1_11target_archE4294967295ELNS1_3gpuE0ELNS1_3repE0EEENS1_30default_config_static_selectorELNS0_4arch9wavefront6targetE0EEEvS12_
	.p2align	8
	.type	_ZN7rocprim17ROCPRIM_400000_NS6detail17trampoline_kernelINS0_14default_configENS1_27lower_bound_config_selectorIilEEZNS1_14transform_implILb0ES3_S5_N6thrust23THRUST_200600_302600_NS6detail15normal_iteratorINS8_7pointerIiNS9_22execute_with_allocatorINS8_16device_allocatorIcEENS8_11hip_rocprim22execute_on_stream_baseEEENS8_11use_defaultESI_EEEENSA_INSB_IlSH_SI_SI_EEEEZNS1_13binary_searchIS3_S5_NSA_INS8_10device_ptrIiEEEESK_SM_NS1_21lower_bound_search_opENS9_16wrapped_functionINS8_6system6detail7generic6detail18binary_search_lessEbEEEE10hipError_tPvRmT1_T2_T3_mmT4_T5_P12ihipStream_tbEUlRKiE_EESZ_S13_S14_mS15_S18_bEUlT_E_NS1_11comp_targetILNS1_3genE0ELNS1_11target_archE4294967295ELNS1_3gpuE0ELNS1_3repE0EEENS1_30default_config_static_selectorELNS0_4arch9wavefront6targetE0EEEvS12_,@function
_ZN7rocprim17ROCPRIM_400000_NS6detail17trampoline_kernelINS0_14default_configENS1_27lower_bound_config_selectorIilEEZNS1_14transform_implILb0ES3_S5_N6thrust23THRUST_200600_302600_NS6detail15normal_iteratorINS8_7pointerIiNS9_22execute_with_allocatorINS8_16device_allocatorIcEENS8_11hip_rocprim22execute_on_stream_baseEEENS8_11use_defaultESI_EEEENSA_INSB_IlSH_SI_SI_EEEEZNS1_13binary_searchIS3_S5_NSA_INS8_10device_ptrIiEEEESK_SM_NS1_21lower_bound_search_opENS9_16wrapped_functionINS8_6system6detail7generic6detail18binary_search_lessEbEEEE10hipError_tPvRmT1_T2_T3_mmT4_T5_P12ihipStream_tbEUlRKiE_EESZ_S13_S14_mS15_S18_bEUlT_E_NS1_11comp_targetILNS1_3genE0ELNS1_11target_archE4294967295ELNS1_3gpuE0ELNS1_3repE0EEENS1_30default_config_static_selectorELNS0_4arch9wavefront6targetE0EEEvS12_: ; @_ZN7rocprim17ROCPRIM_400000_NS6detail17trampoline_kernelINS0_14default_configENS1_27lower_bound_config_selectorIilEEZNS1_14transform_implILb0ES3_S5_N6thrust23THRUST_200600_302600_NS6detail15normal_iteratorINS8_7pointerIiNS9_22execute_with_allocatorINS8_16device_allocatorIcEENS8_11hip_rocprim22execute_on_stream_baseEEENS8_11use_defaultESI_EEEENSA_INSB_IlSH_SI_SI_EEEEZNS1_13binary_searchIS3_S5_NSA_INS8_10device_ptrIiEEEESK_SM_NS1_21lower_bound_search_opENS9_16wrapped_functionINS8_6system6detail7generic6detail18binary_search_lessEbEEEE10hipError_tPvRmT1_T2_T3_mmT4_T5_P12ihipStream_tbEUlRKiE_EESZ_S13_S14_mS15_S18_bEUlT_E_NS1_11comp_targetILNS1_3genE0ELNS1_11target_archE4294967295ELNS1_3gpuE0ELNS1_3repE0EEENS1_30default_config_static_selectorELNS0_4arch9wavefront6targetE0EEEvS12_
; %bb.0:
	.section	.rodata,"a",@progbits
	.p2align	6, 0x0
	.amdhsa_kernel _ZN7rocprim17ROCPRIM_400000_NS6detail17trampoline_kernelINS0_14default_configENS1_27lower_bound_config_selectorIilEEZNS1_14transform_implILb0ES3_S5_N6thrust23THRUST_200600_302600_NS6detail15normal_iteratorINS8_7pointerIiNS9_22execute_with_allocatorINS8_16device_allocatorIcEENS8_11hip_rocprim22execute_on_stream_baseEEENS8_11use_defaultESI_EEEENSA_INSB_IlSH_SI_SI_EEEEZNS1_13binary_searchIS3_S5_NSA_INS8_10device_ptrIiEEEESK_SM_NS1_21lower_bound_search_opENS9_16wrapped_functionINS8_6system6detail7generic6detail18binary_search_lessEbEEEE10hipError_tPvRmT1_T2_T3_mmT4_T5_P12ihipStream_tbEUlRKiE_EESZ_S13_S14_mS15_S18_bEUlT_E_NS1_11comp_targetILNS1_3genE0ELNS1_11target_archE4294967295ELNS1_3gpuE0ELNS1_3repE0EEENS1_30default_config_static_selectorELNS0_4arch9wavefront6targetE0EEEvS12_
		.amdhsa_group_segment_fixed_size 0
		.amdhsa_private_segment_fixed_size 0
		.amdhsa_kernarg_size 56
		.amdhsa_user_sgpr_count 6
		.amdhsa_user_sgpr_private_segment_buffer 1
		.amdhsa_user_sgpr_dispatch_ptr 0
		.amdhsa_user_sgpr_queue_ptr 0
		.amdhsa_user_sgpr_kernarg_segment_ptr 1
		.amdhsa_user_sgpr_dispatch_id 0
		.amdhsa_user_sgpr_flat_scratch_init 0
		.amdhsa_user_sgpr_private_segment_size 0
		.amdhsa_wavefront_size32 1
		.amdhsa_uses_dynamic_stack 0
		.amdhsa_system_sgpr_private_segment_wavefront_offset 0
		.amdhsa_system_sgpr_workgroup_id_x 1
		.amdhsa_system_sgpr_workgroup_id_y 0
		.amdhsa_system_sgpr_workgroup_id_z 0
		.amdhsa_system_sgpr_workgroup_info 0
		.amdhsa_system_vgpr_workitem_id 0
		.amdhsa_next_free_vgpr 1
		.amdhsa_next_free_sgpr 1
		.amdhsa_reserve_vcc 0
		.amdhsa_reserve_flat_scratch 0
		.amdhsa_float_round_mode_32 0
		.amdhsa_float_round_mode_16_64 0
		.amdhsa_float_denorm_mode_32 3
		.amdhsa_float_denorm_mode_16_64 3
		.amdhsa_dx10_clamp 1
		.amdhsa_ieee_mode 1
		.amdhsa_fp16_overflow 0
		.amdhsa_workgroup_processor_mode 1
		.amdhsa_memory_ordered 1
		.amdhsa_forward_progress 1
		.amdhsa_shared_vgpr_count 0
		.amdhsa_exception_fp_ieee_invalid_op 0
		.amdhsa_exception_fp_denorm_src 0
		.amdhsa_exception_fp_ieee_div_zero 0
		.amdhsa_exception_fp_ieee_overflow 0
		.amdhsa_exception_fp_ieee_underflow 0
		.amdhsa_exception_fp_ieee_inexact 0
		.amdhsa_exception_int_div_zero 0
	.end_amdhsa_kernel
	.section	.text._ZN7rocprim17ROCPRIM_400000_NS6detail17trampoline_kernelINS0_14default_configENS1_27lower_bound_config_selectorIilEEZNS1_14transform_implILb0ES3_S5_N6thrust23THRUST_200600_302600_NS6detail15normal_iteratorINS8_7pointerIiNS9_22execute_with_allocatorINS8_16device_allocatorIcEENS8_11hip_rocprim22execute_on_stream_baseEEENS8_11use_defaultESI_EEEENSA_INSB_IlSH_SI_SI_EEEEZNS1_13binary_searchIS3_S5_NSA_INS8_10device_ptrIiEEEESK_SM_NS1_21lower_bound_search_opENS9_16wrapped_functionINS8_6system6detail7generic6detail18binary_search_lessEbEEEE10hipError_tPvRmT1_T2_T3_mmT4_T5_P12ihipStream_tbEUlRKiE_EESZ_S13_S14_mS15_S18_bEUlT_E_NS1_11comp_targetILNS1_3genE0ELNS1_11target_archE4294967295ELNS1_3gpuE0ELNS1_3repE0EEENS1_30default_config_static_selectorELNS0_4arch9wavefront6targetE0EEEvS12_,"axG",@progbits,_ZN7rocprim17ROCPRIM_400000_NS6detail17trampoline_kernelINS0_14default_configENS1_27lower_bound_config_selectorIilEEZNS1_14transform_implILb0ES3_S5_N6thrust23THRUST_200600_302600_NS6detail15normal_iteratorINS8_7pointerIiNS9_22execute_with_allocatorINS8_16device_allocatorIcEENS8_11hip_rocprim22execute_on_stream_baseEEENS8_11use_defaultESI_EEEENSA_INSB_IlSH_SI_SI_EEEEZNS1_13binary_searchIS3_S5_NSA_INS8_10device_ptrIiEEEESK_SM_NS1_21lower_bound_search_opENS9_16wrapped_functionINS8_6system6detail7generic6detail18binary_search_lessEbEEEE10hipError_tPvRmT1_T2_T3_mmT4_T5_P12ihipStream_tbEUlRKiE_EESZ_S13_S14_mS15_S18_bEUlT_E_NS1_11comp_targetILNS1_3genE0ELNS1_11target_archE4294967295ELNS1_3gpuE0ELNS1_3repE0EEENS1_30default_config_static_selectorELNS0_4arch9wavefront6targetE0EEEvS12_,comdat
.Lfunc_end770:
	.size	_ZN7rocprim17ROCPRIM_400000_NS6detail17trampoline_kernelINS0_14default_configENS1_27lower_bound_config_selectorIilEEZNS1_14transform_implILb0ES3_S5_N6thrust23THRUST_200600_302600_NS6detail15normal_iteratorINS8_7pointerIiNS9_22execute_with_allocatorINS8_16device_allocatorIcEENS8_11hip_rocprim22execute_on_stream_baseEEENS8_11use_defaultESI_EEEENSA_INSB_IlSH_SI_SI_EEEEZNS1_13binary_searchIS3_S5_NSA_INS8_10device_ptrIiEEEESK_SM_NS1_21lower_bound_search_opENS9_16wrapped_functionINS8_6system6detail7generic6detail18binary_search_lessEbEEEE10hipError_tPvRmT1_T2_T3_mmT4_T5_P12ihipStream_tbEUlRKiE_EESZ_S13_S14_mS15_S18_bEUlT_E_NS1_11comp_targetILNS1_3genE0ELNS1_11target_archE4294967295ELNS1_3gpuE0ELNS1_3repE0EEENS1_30default_config_static_selectorELNS0_4arch9wavefront6targetE0EEEvS12_, .Lfunc_end770-_ZN7rocprim17ROCPRIM_400000_NS6detail17trampoline_kernelINS0_14default_configENS1_27lower_bound_config_selectorIilEEZNS1_14transform_implILb0ES3_S5_N6thrust23THRUST_200600_302600_NS6detail15normal_iteratorINS8_7pointerIiNS9_22execute_with_allocatorINS8_16device_allocatorIcEENS8_11hip_rocprim22execute_on_stream_baseEEENS8_11use_defaultESI_EEEENSA_INSB_IlSH_SI_SI_EEEEZNS1_13binary_searchIS3_S5_NSA_INS8_10device_ptrIiEEEESK_SM_NS1_21lower_bound_search_opENS9_16wrapped_functionINS8_6system6detail7generic6detail18binary_search_lessEbEEEE10hipError_tPvRmT1_T2_T3_mmT4_T5_P12ihipStream_tbEUlRKiE_EESZ_S13_S14_mS15_S18_bEUlT_E_NS1_11comp_targetILNS1_3genE0ELNS1_11target_archE4294967295ELNS1_3gpuE0ELNS1_3repE0EEENS1_30default_config_static_selectorELNS0_4arch9wavefront6targetE0EEEvS12_
                                        ; -- End function
	.set _ZN7rocprim17ROCPRIM_400000_NS6detail17trampoline_kernelINS0_14default_configENS1_27lower_bound_config_selectorIilEEZNS1_14transform_implILb0ES3_S5_N6thrust23THRUST_200600_302600_NS6detail15normal_iteratorINS8_7pointerIiNS9_22execute_with_allocatorINS8_16device_allocatorIcEENS8_11hip_rocprim22execute_on_stream_baseEEENS8_11use_defaultESI_EEEENSA_INSB_IlSH_SI_SI_EEEEZNS1_13binary_searchIS3_S5_NSA_INS8_10device_ptrIiEEEESK_SM_NS1_21lower_bound_search_opENS9_16wrapped_functionINS8_6system6detail7generic6detail18binary_search_lessEbEEEE10hipError_tPvRmT1_T2_T3_mmT4_T5_P12ihipStream_tbEUlRKiE_EESZ_S13_S14_mS15_S18_bEUlT_E_NS1_11comp_targetILNS1_3genE0ELNS1_11target_archE4294967295ELNS1_3gpuE0ELNS1_3repE0EEENS1_30default_config_static_selectorELNS0_4arch9wavefront6targetE0EEEvS12_.num_vgpr, 0
	.set _ZN7rocprim17ROCPRIM_400000_NS6detail17trampoline_kernelINS0_14default_configENS1_27lower_bound_config_selectorIilEEZNS1_14transform_implILb0ES3_S5_N6thrust23THRUST_200600_302600_NS6detail15normal_iteratorINS8_7pointerIiNS9_22execute_with_allocatorINS8_16device_allocatorIcEENS8_11hip_rocprim22execute_on_stream_baseEEENS8_11use_defaultESI_EEEENSA_INSB_IlSH_SI_SI_EEEEZNS1_13binary_searchIS3_S5_NSA_INS8_10device_ptrIiEEEESK_SM_NS1_21lower_bound_search_opENS9_16wrapped_functionINS8_6system6detail7generic6detail18binary_search_lessEbEEEE10hipError_tPvRmT1_T2_T3_mmT4_T5_P12ihipStream_tbEUlRKiE_EESZ_S13_S14_mS15_S18_bEUlT_E_NS1_11comp_targetILNS1_3genE0ELNS1_11target_archE4294967295ELNS1_3gpuE0ELNS1_3repE0EEENS1_30default_config_static_selectorELNS0_4arch9wavefront6targetE0EEEvS12_.num_agpr, 0
	.set _ZN7rocprim17ROCPRIM_400000_NS6detail17trampoline_kernelINS0_14default_configENS1_27lower_bound_config_selectorIilEEZNS1_14transform_implILb0ES3_S5_N6thrust23THRUST_200600_302600_NS6detail15normal_iteratorINS8_7pointerIiNS9_22execute_with_allocatorINS8_16device_allocatorIcEENS8_11hip_rocprim22execute_on_stream_baseEEENS8_11use_defaultESI_EEEENSA_INSB_IlSH_SI_SI_EEEEZNS1_13binary_searchIS3_S5_NSA_INS8_10device_ptrIiEEEESK_SM_NS1_21lower_bound_search_opENS9_16wrapped_functionINS8_6system6detail7generic6detail18binary_search_lessEbEEEE10hipError_tPvRmT1_T2_T3_mmT4_T5_P12ihipStream_tbEUlRKiE_EESZ_S13_S14_mS15_S18_bEUlT_E_NS1_11comp_targetILNS1_3genE0ELNS1_11target_archE4294967295ELNS1_3gpuE0ELNS1_3repE0EEENS1_30default_config_static_selectorELNS0_4arch9wavefront6targetE0EEEvS12_.numbered_sgpr, 0
	.set _ZN7rocprim17ROCPRIM_400000_NS6detail17trampoline_kernelINS0_14default_configENS1_27lower_bound_config_selectorIilEEZNS1_14transform_implILb0ES3_S5_N6thrust23THRUST_200600_302600_NS6detail15normal_iteratorINS8_7pointerIiNS9_22execute_with_allocatorINS8_16device_allocatorIcEENS8_11hip_rocprim22execute_on_stream_baseEEENS8_11use_defaultESI_EEEENSA_INSB_IlSH_SI_SI_EEEEZNS1_13binary_searchIS3_S5_NSA_INS8_10device_ptrIiEEEESK_SM_NS1_21lower_bound_search_opENS9_16wrapped_functionINS8_6system6detail7generic6detail18binary_search_lessEbEEEE10hipError_tPvRmT1_T2_T3_mmT4_T5_P12ihipStream_tbEUlRKiE_EESZ_S13_S14_mS15_S18_bEUlT_E_NS1_11comp_targetILNS1_3genE0ELNS1_11target_archE4294967295ELNS1_3gpuE0ELNS1_3repE0EEENS1_30default_config_static_selectorELNS0_4arch9wavefront6targetE0EEEvS12_.num_named_barrier, 0
	.set _ZN7rocprim17ROCPRIM_400000_NS6detail17trampoline_kernelINS0_14default_configENS1_27lower_bound_config_selectorIilEEZNS1_14transform_implILb0ES3_S5_N6thrust23THRUST_200600_302600_NS6detail15normal_iteratorINS8_7pointerIiNS9_22execute_with_allocatorINS8_16device_allocatorIcEENS8_11hip_rocprim22execute_on_stream_baseEEENS8_11use_defaultESI_EEEENSA_INSB_IlSH_SI_SI_EEEEZNS1_13binary_searchIS3_S5_NSA_INS8_10device_ptrIiEEEESK_SM_NS1_21lower_bound_search_opENS9_16wrapped_functionINS8_6system6detail7generic6detail18binary_search_lessEbEEEE10hipError_tPvRmT1_T2_T3_mmT4_T5_P12ihipStream_tbEUlRKiE_EESZ_S13_S14_mS15_S18_bEUlT_E_NS1_11comp_targetILNS1_3genE0ELNS1_11target_archE4294967295ELNS1_3gpuE0ELNS1_3repE0EEENS1_30default_config_static_selectorELNS0_4arch9wavefront6targetE0EEEvS12_.private_seg_size, 0
	.set _ZN7rocprim17ROCPRIM_400000_NS6detail17trampoline_kernelINS0_14default_configENS1_27lower_bound_config_selectorIilEEZNS1_14transform_implILb0ES3_S5_N6thrust23THRUST_200600_302600_NS6detail15normal_iteratorINS8_7pointerIiNS9_22execute_with_allocatorINS8_16device_allocatorIcEENS8_11hip_rocprim22execute_on_stream_baseEEENS8_11use_defaultESI_EEEENSA_INSB_IlSH_SI_SI_EEEEZNS1_13binary_searchIS3_S5_NSA_INS8_10device_ptrIiEEEESK_SM_NS1_21lower_bound_search_opENS9_16wrapped_functionINS8_6system6detail7generic6detail18binary_search_lessEbEEEE10hipError_tPvRmT1_T2_T3_mmT4_T5_P12ihipStream_tbEUlRKiE_EESZ_S13_S14_mS15_S18_bEUlT_E_NS1_11comp_targetILNS1_3genE0ELNS1_11target_archE4294967295ELNS1_3gpuE0ELNS1_3repE0EEENS1_30default_config_static_selectorELNS0_4arch9wavefront6targetE0EEEvS12_.uses_vcc, 0
	.set _ZN7rocprim17ROCPRIM_400000_NS6detail17trampoline_kernelINS0_14default_configENS1_27lower_bound_config_selectorIilEEZNS1_14transform_implILb0ES3_S5_N6thrust23THRUST_200600_302600_NS6detail15normal_iteratorINS8_7pointerIiNS9_22execute_with_allocatorINS8_16device_allocatorIcEENS8_11hip_rocprim22execute_on_stream_baseEEENS8_11use_defaultESI_EEEENSA_INSB_IlSH_SI_SI_EEEEZNS1_13binary_searchIS3_S5_NSA_INS8_10device_ptrIiEEEESK_SM_NS1_21lower_bound_search_opENS9_16wrapped_functionINS8_6system6detail7generic6detail18binary_search_lessEbEEEE10hipError_tPvRmT1_T2_T3_mmT4_T5_P12ihipStream_tbEUlRKiE_EESZ_S13_S14_mS15_S18_bEUlT_E_NS1_11comp_targetILNS1_3genE0ELNS1_11target_archE4294967295ELNS1_3gpuE0ELNS1_3repE0EEENS1_30default_config_static_selectorELNS0_4arch9wavefront6targetE0EEEvS12_.uses_flat_scratch, 0
	.set _ZN7rocprim17ROCPRIM_400000_NS6detail17trampoline_kernelINS0_14default_configENS1_27lower_bound_config_selectorIilEEZNS1_14transform_implILb0ES3_S5_N6thrust23THRUST_200600_302600_NS6detail15normal_iteratorINS8_7pointerIiNS9_22execute_with_allocatorINS8_16device_allocatorIcEENS8_11hip_rocprim22execute_on_stream_baseEEENS8_11use_defaultESI_EEEENSA_INSB_IlSH_SI_SI_EEEEZNS1_13binary_searchIS3_S5_NSA_INS8_10device_ptrIiEEEESK_SM_NS1_21lower_bound_search_opENS9_16wrapped_functionINS8_6system6detail7generic6detail18binary_search_lessEbEEEE10hipError_tPvRmT1_T2_T3_mmT4_T5_P12ihipStream_tbEUlRKiE_EESZ_S13_S14_mS15_S18_bEUlT_E_NS1_11comp_targetILNS1_3genE0ELNS1_11target_archE4294967295ELNS1_3gpuE0ELNS1_3repE0EEENS1_30default_config_static_selectorELNS0_4arch9wavefront6targetE0EEEvS12_.has_dyn_sized_stack, 0
	.set _ZN7rocprim17ROCPRIM_400000_NS6detail17trampoline_kernelINS0_14default_configENS1_27lower_bound_config_selectorIilEEZNS1_14transform_implILb0ES3_S5_N6thrust23THRUST_200600_302600_NS6detail15normal_iteratorINS8_7pointerIiNS9_22execute_with_allocatorINS8_16device_allocatorIcEENS8_11hip_rocprim22execute_on_stream_baseEEENS8_11use_defaultESI_EEEENSA_INSB_IlSH_SI_SI_EEEEZNS1_13binary_searchIS3_S5_NSA_INS8_10device_ptrIiEEEESK_SM_NS1_21lower_bound_search_opENS9_16wrapped_functionINS8_6system6detail7generic6detail18binary_search_lessEbEEEE10hipError_tPvRmT1_T2_T3_mmT4_T5_P12ihipStream_tbEUlRKiE_EESZ_S13_S14_mS15_S18_bEUlT_E_NS1_11comp_targetILNS1_3genE0ELNS1_11target_archE4294967295ELNS1_3gpuE0ELNS1_3repE0EEENS1_30default_config_static_selectorELNS0_4arch9wavefront6targetE0EEEvS12_.has_recursion, 0
	.set _ZN7rocprim17ROCPRIM_400000_NS6detail17trampoline_kernelINS0_14default_configENS1_27lower_bound_config_selectorIilEEZNS1_14transform_implILb0ES3_S5_N6thrust23THRUST_200600_302600_NS6detail15normal_iteratorINS8_7pointerIiNS9_22execute_with_allocatorINS8_16device_allocatorIcEENS8_11hip_rocprim22execute_on_stream_baseEEENS8_11use_defaultESI_EEEENSA_INSB_IlSH_SI_SI_EEEEZNS1_13binary_searchIS3_S5_NSA_INS8_10device_ptrIiEEEESK_SM_NS1_21lower_bound_search_opENS9_16wrapped_functionINS8_6system6detail7generic6detail18binary_search_lessEbEEEE10hipError_tPvRmT1_T2_T3_mmT4_T5_P12ihipStream_tbEUlRKiE_EESZ_S13_S14_mS15_S18_bEUlT_E_NS1_11comp_targetILNS1_3genE0ELNS1_11target_archE4294967295ELNS1_3gpuE0ELNS1_3repE0EEENS1_30default_config_static_selectorELNS0_4arch9wavefront6targetE0EEEvS12_.has_indirect_call, 0
	.section	.AMDGPU.csdata,"",@progbits
; Kernel info:
; codeLenInByte = 0
; TotalNumSgprs: 0
; NumVgprs: 0
; ScratchSize: 0
; MemoryBound: 0
; FloatMode: 240
; IeeeMode: 1
; LDSByteSize: 0 bytes/workgroup (compile time only)
; SGPRBlocks: 0
; VGPRBlocks: 0
; NumSGPRsForWavesPerEU: 1
; NumVGPRsForWavesPerEU: 1
; Occupancy: 16
; WaveLimiterHint : 0
; COMPUTE_PGM_RSRC2:SCRATCH_EN: 0
; COMPUTE_PGM_RSRC2:USER_SGPR: 6
; COMPUTE_PGM_RSRC2:TRAP_HANDLER: 0
; COMPUTE_PGM_RSRC2:TGID_X_EN: 1
; COMPUTE_PGM_RSRC2:TGID_Y_EN: 0
; COMPUTE_PGM_RSRC2:TGID_Z_EN: 0
; COMPUTE_PGM_RSRC2:TIDIG_COMP_CNT: 0
	.section	.text._ZN7rocprim17ROCPRIM_400000_NS6detail17trampoline_kernelINS0_14default_configENS1_27lower_bound_config_selectorIilEEZNS1_14transform_implILb0ES3_S5_N6thrust23THRUST_200600_302600_NS6detail15normal_iteratorINS8_7pointerIiNS9_22execute_with_allocatorINS8_16device_allocatorIcEENS8_11hip_rocprim22execute_on_stream_baseEEENS8_11use_defaultESI_EEEENSA_INSB_IlSH_SI_SI_EEEEZNS1_13binary_searchIS3_S5_NSA_INS8_10device_ptrIiEEEESK_SM_NS1_21lower_bound_search_opENS9_16wrapped_functionINS8_6system6detail7generic6detail18binary_search_lessEbEEEE10hipError_tPvRmT1_T2_T3_mmT4_T5_P12ihipStream_tbEUlRKiE_EESZ_S13_S14_mS15_S18_bEUlT_E_NS1_11comp_targetILNS1_3genE5ELNS1_11target_archE942ELNS1_3gpuE9ELNS1_3repE0EEENS1_30default_config_static_selectorELNS0_4arch9wavefront6targetE0EEEvS12_,"axG",@progbits,_ZN7rocprim17ROCPRIM_400000_NS6detail17trampoline_kernelINS0_14default_configENS1_27lower_bound_config_selectorIilEEZNS1_14transform_implILb0ES3_S5_N6thrust23THRUST_200600_302600_NS6detail15normal_iteratorINS8_7pointerIiNS9_22execute_with_allocatorINS8_16device_allocatorIcEENS8_11hip_rocprim22execute_on_stream_baseEEENS8_11use_defaultESI_EEEENSA_INSB_IlSH_SI_SI_EEEEZNS1_13binary_searchIS3_S5_NSA_INS8_10device_ptrIiEEEESK_SM_NS1_21lower_bound_search_opENS9_16wrapped_functionINS8_6system6detail7generic6detail18binary_search_lessEbEEEE10hipError_tPvRmT1_T2_T3_mmT4_T5_P12ihipStream_tbEUlRKiE_EESZ_S13_S14_mS15_S18_bEUlT_E_NS1_11comp_targetILNS1_3genE5ELNS1_11target_archE942ELNS1_3gpuE9ELNS1_3repE0EEENS1_30default_config_static_selectorELNS0_4arch9wavefront6targetE0EEEvS12_,comdat
	.protected	_ZN7rocprim17ROCPRIM_400000_NS6detail17trampoline_kernelINS0_14default_configENS1_27lower_bound_config_selectorIilEEZNS1_14transform_implILb0ES3_S5_N6thrust23THRUST_200600_302600_NS6detail15normal_iteratorINS8_7pointerIiNS9_22execute_with_allocatorINS8_16device_allocatorIcEENS8_11hip_rocprim22execute_on_stream_baseEEENS8_11use_defaultESI_EEEENSA_INSB_IlSH_SI_SI_EEEEZNS1_13binary_searchIS3_S5_NSA_INS8_10device_ptrIiEEEESK_SM_NS1_21lower_bound_search_opENS9_16wrapped_functionINS8_6system6detail7generic6detail18binary_search_lessEbEEEE10hipError_tPvRmT1_T2_T3_mmT4_T5_P12ihipStream_tbEUlRKiE_EESZ_S13_S14_mS15_S18_bEUlT_E_NS1_11comp_targetILNS1_3genE5ELNS1_11target_archE942ELNS1_3gpuE9ELNS1_3repE0EEENS1_30default_config_static_selectorELNS0_4arch9wavefront6targetE0EEEvS12_ ; -- Begin function _ZN7rocprim17ROCPRIM_400000_NS6detail17trampoline_kernelINS0_14default_configENS1_27lower_bound_config_selectorIilEEZNS1_14transform_implILb0ES3_S5_N6thrust23THRUST_200600_302600_NS6detail15normal_iteratorINS8_7pointerIiNS9_22execute_with_allocatorINS8_16device_allocatorIcEENS8_11hip_rocprim22execute_on_stream_baseEEENS8_11use_defaultESI_EEEENSA_INSB_IlSH_SI_SI_EEEEZNS1_13binary_searchIS3_S5_NSA_INS8_10device_ptrIiEEEESK_SM_NS1_21lower_bound_search_opENS9_16wrapped_functionINS8_6system6detail7generic6detail18binary_search_lessEbEEEE10hipError_tPvRmT1_T2_T3_mmT4_T5_P12ihipStream_tbEUlRKiE_EESZ_S13_S14_mS15_S18_bEUlT_E_NS1_11comp_targetILNS1_3genE5ELNS1_11target_archE942ELNS1_3gpuE9ELNS1_3repE0EEENS1_30default_config_static_selectorELNS0_4arch9wavefront6targetE0EEEvS12_
	.globl	_ZN7rocprim17ROCPRIM_400000_NS6detail17trampoline_kernelINS0_14default_configENS1_27lower_bound_config_selectorIilEEZNS1_14transform_implILb0ES3_S5_N6thrust23THRUST_200600_302600_NS6detail15normal_iteratorINS8_7pointerIiNS9_22execute_with_allocatorINS8_16device_allocatorIcEENS8_11hip_rocprim22execute_on_stream_baseEEENS8_11use_defaultESI_EEEENSA_INSB_IlSH_SI_SI_EEEEZNS1_13binary_searchIS3_S5_NSA_INS8_10device_ptrIiEEEESK_SM_NS1_21lower_bound_search_opENS9_16wrapped_functionINS8_6system6detail7generic6detail18binary_search_lessEbEEEE10hipError_tPvRmT1_T2_T3_mmT4_T5_P12ihipStream_tbEUlRKiE_EESZ_S13_S14_mS15_S18_bEUlT_E_NS1_11comp_targetILNS1_3genE5ELNS1_11target_archE942ELNS1_3gpuE9ELNS1_3repE0EEENS1_30default_config_static_selectorELNS0_4arch9wavefront6targetE0EEEvS12_
	.p2align	8
	.type	_ZN7rocprim17ROCPRIM_400000_NS6detail17trampoline_kernelINS0_14default_configENS1_27lower_bound_config_selectorIilEEZNS1_14transform_implILb0ES3_S5_N6thrust23THRUST_200600_302600_NS6detail15normal_iteratorINS8_7pointerIiNS9_22execute_with_allocatorINS8_16device_allocatorIcEENS8_11hip_rocprim22execute_on_stream_baseEEENS8_11use_defaultESI_EEEENSA_INSB_IlSH_SI_SI_EEEEZNS1_13binary_searchIS3_S5_NSA_INS8_10device_ptrIiEEEESK_SM_NS1_21lower_bound_search_opENS9_16wrapped_functionINS8_6system6detail7generic6detail18binary_search_lessEbEEEE10hipError_tPvRmT1_T2_T3_mmT4_T5_P12ihipStream_tbEUlRKiE_EESZ_S13_S14_mS15_S18_bEUlT_E_NS1_11comp_targetILNS1_3genE5ELNS1_11target_archE942ELNS1_3gpuE9ELNS1_3repE0EEENS1_30default_config_static_selectorELNS0_4arch9wavefront6targetE0EEEvS12_,@function
_ZN7rocprim17ROCPRIM_400000_NS6detail17trampoline_kernelINS0_14default_configENS1_27lower_bound_config_selectorIilEEZNS1_14transform_implILb0ES3_S5_N6thrust23THRUST_200600_302600_NS6detail15normal_iteratorINS8_7pointerIiNS9_22execute_with_allocatorINS8_16device_allocatorIcEENS8_11hip_rocprim22execute_on_stream_baseEEENS8_11use_defaultESI_EEEENSA_INSB_IlSH_SI_SI_EEEEZNS1_13binary_searchIS3_S5_NSA_INS8_10device_ptrIiEEEESK_SM_NS1_21lower_bound_search_opENS9_16wrapped_functionINS8_6system6detail7generic6detail18binary_search_lessEbEEEE10hipError_tPvRmT1_T2_T3_mmT4_T5_P12ihipStream_tbEUlRKiE_EESZ_S13_S14_mS15_S18_bEUlT_E_NS1_11comp_targetILNS1_3genE5ELNS1_11target_archE942ELNS1_3gpuE9ELNS1_3repE0EEENS1_30default_config_static_selectorELNS0_4arch9wavefront6targetE0EEEvS12_: ; @_ZN7rocprim17ROCPRIM_400000_NS6detail17trampoline_kernelINS0_14default_configENS1_27lower_bound_config_selectorIilEEZNS1_14transform_implILb0ES3_S5_N6thrust23THRUST_200600_302600_NS6detail15normal_iteratorINS8_7pointerIiNS9_22execute_with_allocatorINS8_16device_allocatorIcEENS8_11hip_rocprim22execute_on_stream_baseEEENS8_11use_defaultESI_EEEENSA_INSB_IlSH_SI_SI_EEEEZNS1_13binary_searchIS3_S5_NSA_INS8_10device_ptrIiEEEESK_SM_NS1_21lower_bound_search_opENS9_16wrapped_functionINS8_6system6detail7generic6detail18binary_search_lessEbEEEE10hipError_tPvRmT1_T2_T3_mmT4_T5_P12ihipStream_tbEUlRKiE_EESZ_S13_S14_mS15_S18_bEUlT_E_NS1_11comp_targetILNS1_3genE5ELNS1_11target_archE942ELNS1_3gpuE9ELNS1_3repE0EEENS1_30default_config_static_selectorELNS0_4arch9wavefront6targetE0EEEvS12_
; %bb.0:
	.section	.rodata,"a",@progbits
	.p2align	6, 0x0
	.amdhsa_kernel _ZN7rocprim17ROCPRIM_400000_NS6detail17trampoline_kernelINS0_14default_configENS1_27lower_bound_config_selectorIilEEZNS1_14transform_implILb0ES3_S5_N6thrust23THRUST_200600_302600_NS6detail15normal_iteratorINS8_7pointerIiNS9_22execute_with_allocatorINS8_16device_allocatorIcEENS8_11hip_rocprim22execute_on_stream_baseEEENS8_11use_defaultESI_EEEENSA_INSB_IlSH_SI_SI_EEEEZNS1_13binary_searchIS3_S5_NSA_INS8_10device_ptrIiEEEESK_SM_NS1_21lower_bound_search_opENS9_16wrapped_functionINS8_6system6detail7generic6detail18binary_search_lessEbEEEE10hipError_tPvRmT1_T2_T3_mmT4_T5_P12ihipStream_tbEUlRKiE_EESZ_S13_S14_mS15_S18_bEUlT_E_NS1_11comp_targetILNS1_3genE5ELNS1_11target_archE942ELNS1_3gpuE9ELNS1_3repE0EEENS1_30default_config_static_selectorELNS0_4arch9wavefront6targetE0EEEvS12_
		.amdhsa_group_segment_fixed_size 0
		.amdhsa_private_segment_fixed_size 0
		.amdhsa_kernarg_size 56
		.amdhsa_user_sgpr_count 6
		.amdhsa_user_sgpr_private_segment_buffer 1
		.amdhsa_user_sgpr_dispatch_ptr 0
		.amdhsa_user_sgpr_queue_ptr 0
		.amdhsa_user_sgpr_kernarg_segment_ptr 1
		.amdhsa_user_sgpr_dispatch_id 0
		.amdhsa_user_sgpr_flat_scratch_init 0
		.amdhsa_user_sgpr_private_segment_size 0
		.amdhsa_wavefront_size32 1
		.amdhsa_uses_dynamic_stack 0
		.amdhsa_system_sgpr_private_segment_wavefront_offset 0
		.amdhsa_system_sgpr_workgroup_id_x 1
		.amdhsa_system_sgpr_workgroup_id_y 0
		.amdhsa_system_sgpr_workgroup_id_z 0
		.amdhsa_system_sgpr_workgroup_info 0
		.amdhsa_system_vgpr_workitem_id 0
		.amdhsa_next_free_vgpr 1
		.amdhsa_next_free_sgpr 1
		.amdhsa_reserve_vcc 0
		.amdhsa_reserve_flat_scratch 0
		.amdhsa_float_round_mode_32 0
		.amdhsa_float_round_mode_16_64 0
		.amdhsa_float_denorm_mode_32 3
		.amdhsa_float_denorm_mode_16_64 3
		.amdhsa_dx10_clamp 1
		.amdhsa_ieee_mode 1
		.amdhsa_fp16_overflow 0
		.amdhsa_workgroup_processor_mode 1
		.amdhsa_memory_ordered 1
		.amdhsa_forward_progress 1
		.amdhsa_shared_vgpr_count 0
		.amdhsa_exception_fp_ieee_invalid_op 0
		.amdhsa_exception_fp_denorm_src 0
		.amdhsa_exception_fp_ieee_div_zero 0
		.amdhsa_exception_fp_ieee_overflow 0
		.amdhsa_exception_fp_ieee_underflow 0
		.amdhsa_exception_fp_ieee_inexact 0
		.amdhsa_exception_int_div_zero 0
	.end_amdhsa_kernel
	.section	.text._ZN7rocprim17ROCPRIM_400000_NS6detail17trampoline_kernelINS0_14default_configENS1_27lower_bound_config_selectorIilEEZNS1_14transform_implILb0ES3_S5_N6thrust23THRUST_200600_302600_NS6detail15normal_iteratorINS8_7pointerIiNS9_22execute_with_allocatorINS8_16device_allocatorIcEENS8_11hip_rocprim22execute_on_stream_baseEEENS8_11use_defaultESI_EEEENSA_INSB_IlSH_SI_SI_EEEEZNS1_13binary_searchIS3_S5_NSA_INS8_10device_ptrIiEEEESK_SM_NS1_21lower_bound_search_opENS9_16wrapped_functionINS8_6system6detail7generic6detail18binary_search_lessEbEEEE10hipError_tPvRmT1_T2_T3_mmT4_T5_P12ihipStream_tbEUlRKiE_EESZ_S13_S14_mS15_S18_bEUlT_E_NS1_11comp_targetILNS1_3genE5ELNS1_11target_archE942ELNS1_3gpuE9ELNS1_3repE0EEENS1_30default_config_static_selectorELNS0_4arch9wavefront6targetE0EEEvS12_,"axG",@progbits,_ZN7rocprim17ROCPRIM_400000_NS6detail17trampoline_kernelINS0_14default_configENS1_27lower_bound_config_selectorIilEEZNS1_14transform_implILb0ES3_S5_N6thrust23THRUST_200600_302600_NS6detail15normal_iteratorINS8_7pointerIiNS9_22execute_with_allocatorINS8_16device_allocatorIcEENS8_11hip_rocprim22execute_on_stream_baseEEENS8_11use_defaultESI_EEEENSA_INSB_IlSH_SI_SI_EEEEZNS1_13binary_searchIS3_S5_NSA_INS8_10device_ptrIiEEEESK_SM_NS1_21lower_bound_search_opENS9_16wrapped_functionINS8_6system6detail7generic6detail18binary_search_lessEbEEEE10hipError_tPvRmT1_T2_T3_mmT4_T5_P12ihipStream_tbEUlRKiE_EESZ_S13_S14_mS15_S18_bEUlT_E_NS1_11comp_targetILNS1_3genE5ELNS1_11target_archE942ELNS1_3gpuE9ELNS1_3repE0EEENS1_30default_config_static_selectorELNS0_4arch9wavefront6targetE0EEEvS12_,comdat
.Lfunc_end771:
	.size	_ZN7rocprim17ROCPRIM_400000_NS6detail17trampoline_kernelINS0_14default_configENS1_27lower_bound_config_selectorIilEEZNS1_14transform_implILb0ES3_S5_N6thrust23THRUST_200600_302600_NS6detail15normal_iteratorINS8_7pointerIiNS9_22execute_with_allocatorINS8_16device_allocatorIcEENS8_11hip_rocprim22execute_on_stream_baseEEENS8_11use_defaultESI_EEEENSA_INSB_IlSH_SI_SI_EEEEZNS1_13binary_searchIS3_S5_NSA_INS8_10device_ptrIiEEEESK_SM_NS1_21lower_bound_search_opENS9_16wrapped_functionINS8_6system6detail7generic6detail18binary_search_lessEbEEEE10hipError_tPvRmT1_T2_T3_mmT4_T5_P12ihipStream_tbEUlRKiE_EESZ_S13_S14_mS15_S18_bEUlT_E_NS1_11comp_targetILNS1_3genE5ELNS1_11target_archE942ELNS1_3gpuE9ELNS1_3repE0EEENS1_30default_config_static_selectorELNS0_4arch9wavefront6targetE0EEEvS12_, .Lfunc_end771-_ZN7rocprim17ROCPRIM_400000_NS6detail17trampoline_kernelINS0_14default_configENS1_27lower_bound_config_selectorIilEEZNS1_14transform_implILb0ES3_S5_N6thrust23THRUST_200600_302600_NS6detail15normal_iteratorINS8_7pointerIiNS9_22execute_with_allocatorINS8_16device_allocatorIcEENS8_11hip_rocprim22execute_on_stream_baseEEENS8_11use_defaultESI_EEEENSA_INSB_IlSH_SI_SI_EEEEZNS1_13binary_searchIS3_S5_NSA_INS8_10device_ptrIiEEEESK_SM_NS1_21lower_bound_search_opENS9_16wrapped_functionINS8_6system6detail7generic6detail18binary_search_lessEbEEEE10hipError_tPvRmT1_T2_T3_mmT4_T5_P12ihipStream_tbEUlRKiE_EESZ_S13_S14_mS15_S18_bEUlT_E_NS1_11comp_targetILNS1_3genE5ELNS1_11target_archE942ELNS1_3gpuE9ELNS1_3repE0EEENS1_30default_config_static_selectorELNS0_4arch9wavefront6targetE0EEEvS12_
                                        ; -- End function
	.set _ZN7rocprim17ROCPRIM_400000_NS6detail17trampoline_kernelINS0_14default_configENS1_27lower_bound_config_selectorIilEEZNS1_14transform_implILb0ES3_S5_N6thrust23THRUST_200600_302600_NS6detail15normal_iteratorINS8_7pointerIiNS9_22execute_with_allocatorINS8_16device_allocatorIcEENS8_11hip_rocprim22execute_on_stream_baseEEENS8_11use_defaultESI_EEEENSA_INSB_IlSH_SI_SI_EEEEZNS1_13binary_searchIS3_S5_NSA_INS8_10device_ptrIiEEEESK_SM_NS1_21lower_bound_search_opENS9_16wrapped_functionINS8_6system6detail7generic6detail18binary_search_lessEbEEEE10hipError_tPvRmT1_T2_T3_mmT4_T5_P12ihipStream_tbEUlRKiE_EESZ_S13_S14_mS15_S18_bEUlT_E_NS1_11comp_targetILNS1_3genE5ELNS1_11target_archE942ELNS1_3gpuE9ELNS1_3repE0EEENS1_30default_config_static_selectorELNS0_4arch9wavefront6targetE0EEEvS12_.num_vgpr, 0
	.set _ZN7rocprim17ROCPRIM_400000_NS6detail17trampoline_kernelINS0_14default_configENS1_27lower_bound_config_selectorIilEEZNS1_14transform_implILb0ES3_S5_N6thrust23THRUST_200600_302600_NS6detail15normal_iteratorINS8_7pointerIiNS9_22execute_with_allocatorINS8_16device_allocatorIcEENS8_11hip_rocprim22execute_on_stream_baseEEENS8_11use_defaultESI_EEEENSA_INSB_IlSH_SI_SI_EEEEZNS1_13binary_searchIS3_S5_NSA_INS8_10device_ptrIiEEEESK_SM_NS1_21lower_bound_search_opENS9_16wrapped_functionINS8_6system6detail7generic6detail18binary_search_lessEbEEEE10hipError_tPvRmT1_T2_T3_mmT4_T5_P12ihipStream_tbEUlRKiE_EESZ_S13_S14_mS15_S18_bEUlT_E_NS1_11comp_targetILNS1_3genE5ELNS1_11target_archE942ELNS1_3gpuE9ELNS1_3repE0EEENS1_30default_config_static_selectorELNS0_4arch9wavefront6targetE0EEEvS12_.num_agpr, 0
	.set _ZN7rocprim17ROCPRIM_400000_NS6detail17trampoline_kernelINS0_14default_configENS1_27lower_bound_config_selectorIilEEZNS1_14transform_implILb0ES3_S5_N6thrust23THRUST_200600_302600_NS6detail15normal_iteratorINS8_7pointerIiNS9_22execute_with_allocatorINS8_16device_allocatorIcEENS8_11hip_rocprim22execute_on_stream_baseEEENS8_11use_defaultESI_EEEENSA_INSB_IlSH_SI_SI_EEEEZNS1_13binary_searchIS3_S5_NSA_INS8_10device_ptrIiEEEESK_SM_NS1_21lower_bound_search_opENS9_16wrapped_functionINS8_6system6detail7generic6detail18binary_search_lessEbEEEE10hipError_tPvRmT1_T2_T3_mmT4_T5_P12ihipStream_tbEUlRKiE_EESZ_S13_S14_mS15_S18_bEUlT_E_NS1_11comp_targetILNS1_3genE5ELNS1_11target_archE942ELNS1_3gpuE9ELNS1_3repE0EEENS1_30default_config_static_selectorELNS0_4arch9wavefront6targetE0EEEvS12_.numbered_sgpr, 0
	.set _ZN7rocprim17ROCPRIM_400000_NS6detail17trampoline_kernelINS0_14default_configENS1_27lower_bound_config_selectorIilEEZNS1_14transform_implILb0ES3_S5_N6thrust23THRUST_200600_302600_NS6detail15normal_iteratorINS8_7pointerIiNS9_22execute_with_allocatorINS8_16device_allocatorIcEENS8_11hip_rocprim22execute_on_stream_baseEEENS8_11use_defaultESI_EEEENSA_INSB_IlSH_SI_SI_EEEEZNS1_13binary_searchIS3_S5_NSA_INS8_10device_ptrIiEEEESK_SM_NS1_21lower_bound_search_opENS9_16wrapped_functionINS8_6system6detail7generic6detail18binary_search_lessEbEEEE10hipError_tPvRmT1_T2_T3_mmT4_T5_P12ihipStream_tbEUlRKiE_EESZ_S13_S14_mS15_S18_bEUlT_E_NS1_11comp_targetILNS1_3genE5ELNS1_11target_archE942ELNS1_3gpuE9ELNS1_3repE0EEENS1_30default_config_static_selectorELNS0_4arch9wavefront6targetE0EEEvS12_.num_named_barrier, 0
	.set _ZN7rocprim17ROCPRIM_400000_NS6detail17trampoline_kernelINS0_14default_configENS1_27lower_bound_config_selectorIilEEZNS1_14transform_implILb0ES3_S5_N6thrust23THRUST_200600_302600_NS6detail15normal_iteratorINS8_7pointerIiNS9_22execute_with_allocatorINS8_16device_allocatorIcEENS8_11hip_rocprim22execute_on_stream_baseEEENS8_11use_defaultESI_EEEENSA_INSB_IlSH_SI_SI_EEEEZNS1_13binary_searchIS3_S5_NSA_INS8_10device_ptrIiEEEESK_SM_NS1_21lower_bound_search_opENS9_16wrapped_functionINS8_6system6detail7generic6detail18binary_search_lessEbEEEE10hipError_tPvRmT1_T2_T3_mmT4_T5_P12ihipStream_tbEUlRKiE_EESZ_S13_S14_mS15_S18_bEUlT_E_NS1_11comp_targetILNS1_3genE5ELNS1_11target_archE942ELNS1_3gpuE9ELNS1_3repE0EEENS1_30default_config_static_selectorELNS0_4arch9wavefront6targetE0EEEvS12_.private_seg_size, 0
	.set _ZN7rocprim17ROCPRIM_400000_NS6detail17trampoline_kernelINS0_14default_configENS1_27lower_bound_config_selectorIilEEZNS1_14transform_implILb0ES3_S5_N6thrust23THRUST_200600_302600_NS6detail15normal_iteratorINS8_7pointerIiNS9_22execute_with_allocatorINS8_16device_allocatorIcEENS8_11hip_rocprim22execute_on_stream_baseEEENS8_11use_defaultESI_EEEENSA_INSB_IlSH_SI_SI_EEEEZNS1_13binary_searchIS3_S5_NSA_INS8_10device_ptrIiEEEESK_SM_NS1_21lower_bound_search_opENS9_16wrapped_functionINS8_6system6detail7generic6detail18binary_search_lessEbEEEE10hipError_tPvRmT1_T2_T3_mmT4_T5_P12ihipStream_tbEUlRKiE_EESZ_S13_S14_mS15_S18_bEUlT_E_NS1_11comp_targetILNS1_3genE5ELNS1_11target_archE942ELNS1_3gpuE9ELNS1_3repE0EEENS1_30default_config_static_selectorELNS0_4arch9wavefront6targetE0EEEvS12_.uses_vcc, 0
	.set _ZN7rocprim17ROCPRIM_400000_NS6detail17trampoline_kernelINS0_14default_configENS1_27lower_bound_config_selectorIilEEZNS1_14transform_implILb0ES3_S5_N6thrust23THRUST_200600_302600_NS6detail15normal_iteratorINS8_7pointerIiNS9_22execute_with_allocatorINS8_16device_allocatorIcEENS8_11hip_rocprim22execute_on_stream_baseEEENS8_11use_defaultESI_EEEENSA_INSB_IlSH_SI_SI_EEEEZNS1_13binary_searchIS3_S5_NSA_INS8_10device_ptrIiEEEESK_SM_NS1_21lower_bound_search_opENS9_16wrapped_functionINS8_6system6detail7generic6detail18binary_search_lessEbEEEE10hipError_tPvRmT1_T2_T3_mmT4_T5_P12ihipStream_tbEUlRKiE_EESZ_S13_S14_mS15_S18_bEUlT_E_NS1_11comp_targetILNS1_3genE5ELNS1_11target_archE942ELNS1_3gpuE9ELNS1_3repE0EEENS1_30default_config_static_selectorELNS0_4arch9wavefront6targetE0EEEvS12_.uses_flat_scratch, 0
	.set _ZN7rocprim17ROCPRIM_400000_NS6detail17trampoline_kernelINS0_14default_configENS1_27lower_bound_config_selectorIilEEZNS1_14transform_implILb0ES3_S5_N6thrust23THRUST_200600_302600_NS6detail15normal_iteratorINS8_7pointerIiNS9_22execute_with_allocatorINS8_16device_allocatorIcEENS8_11hip_rocprim22execute_on_stream_baseEEENS8_11use_defaultESI_EEEENSA_INSB_IlSH_SI_SI_EEEEZNS1_13binary_searchIS3_S5_NSA_INS8_10device_ptrIiEEEESK_SM_NS1_21lower_bound_search_opENS9_16wrapped_functionINS8_6system6detail7generic6detail18binary_search_lessEbEEEE10hipError_tPvRmT1_T2_T3_mmT4_T5_P12ihipStream_tbEUlRKiE_EESZ_S13_S14_mS15_S18_bEUlT_E_NS1_11comp_targetILNS1_3genE5ELNS1_11target_archE942ELNS1_3gpuE9ELNS1_3repE0EEENS1_30default_config_static_selectorELNS0_4arch9wavefront6targetE0EEEvS12_.has_dyn_sized_stack, 0
	.set _ZN7rocprim17ROCPRIM_400000_NS6detail17trampoline_kernelINS0_14default_configENS1_27lower_bound_config_selectorIilEEZNS1_14transform_implILb0ES3_S5_N6thrust23THRUST_200600_302600_NS6detail15normal_iteratorINS8_7pointerIiNS9_22execute_with_allocatorINS8_16device_allocatorIcEENS8_11hip_rocprim22execute_on_stream_baseEEENS8_11use_defaultESI_EEEENSA_INSB_IlSH_SI_SI_EEEEZNS1_13binary_searchIS3_S5_NSA_INS8_10device_ptrIiEEEESK_SM_NS1_21lower_bound_search_opENS9_16wrapped_functionINS8_6system6detail7generic6detail18binary_search_lessEbEEEE10hipError_tPvRmT1_T2_T3_mmT4_T5_P12ihipStream_tbEUlRKiE_EESZ_S13_S14_mS15_S18_bEUlT_E_NS1_11comp_targetILNS1_3genE5ELNS1_11target_archE942ELNS1_3gpuE9ELNS1_3repE0EEENS1_30default_config_static_selectorELNS0_4arch9wavefront6targetE0EEEvS12_.has_recursion, 0
	.set _ZN7rocprim17ROCPRIM_400000_NS6detail17trampoline_kernelINS0_14default_configENS1_27lower_bound_config_selectorIilEEZNS1_14transform_implILb0ES3_S5_N6thrust23THRUST_200600_302600_NS6detail15normal_iteratorINS8_7pointerIiNS9_22execute_with_allocatorINS8_16device_allocatorIcEENS8_11hip_rocprim22execute_on_stream_baseEEENS8_11use_defaultESI_EEEENSA_INSB_IlSH_SI_SI_EEEEZNS1_13binary_searchIS3_S5_NSA_INS8_10device_ptrIiEEEESK_SM_NS1_21lower_bound_search_opENS9_16wrapped_functionINS8_6system6detail7generic6detail18binary_search_lessEbEEEE10hipError_tPvRmT1_T2_T3_mmT4_T5_P12ihipStream_tbEUlRKiE_EESZ_S13_S14_mS15_S18_bEUlT_E_NS1_11comp_targetILNS1_3genE5ELNS1_11target_archE942ELNS1_3gpuE9ELNS1_3repE0EEENS1_30default_config_static_selectorELNS0_4arch9wavefront6targetE0EEEvS12_.has_indirect_call, 0
	.section	.AMDGPU.csdata,"",@progbits
; Kernel info:
; codeLenInByte = 0
; TotalNumSgprs: 0
; NumVgprs: 0
; ScratchSize: 0
; MemoryBound: 0
; FloatMode: 240
; IeeeMode: 1
; LDSByteSize: 0 bytes/workgroup (compile time only)
; SGPRBlocks: 0
; VGPRBlocks: 0
; NumSGPRsForWavesPerEU: 1
; NumVGPRsForWavesPerEU: 1
; Occupancy: 16
; WaveLimiterHint : 0
; COMPUTE_PGM_RSRC2:SCRATCH_EN: 0
; COMPUTE_PGM_RSRC2:USER_SGPR: 6
; COMPUTE_PGM_RSRC2:TRAP_HANDLER: 0
; COMPUTE_PGM_RSRC2:TGID_X_EN: 1
; COMPUTE_PGM_RSRC2:TGID_Y_EN: 0
; COMPUTE_PGM_RSRC2:TGID_Z_EN: 0
; COMPUTE_PGM_RSRC2:TIDIG_COMP_CNT: 0
	.section	.text._ZN7rocprim17ROCPRIM_400000_NS6detail17trampoline_kernelINS0_14default_configENS1_27lower_bound_config_selectorIilEEZNS1_14transform_implILb0ES3_S5_N6thrust23THRUST_200600_302600_NS6detail15normal_iteratorINS8_7pointerIiNS9_22execute_with_allocatorINS8_16device_allocatorIcEENS8_11hip_rocprim22execute_on_stream_baseEEENS8_11use_defaultESI_EEEENSA_INSB_IlSH_SI_SI_EEEEZNS1_13binary_searchIS3_S5_NSA_INS8_10device_ptrIiEEEESK_SM_NS1_21lower_bound_search_opENS9_16wrapped_functionINS8_6system6detail7generic6detail18binary_search_lessEbEEEE10hipError_tPvRmT1_T2_T3_mmT4_T5_P12ihipStream_tbEUlRKiE_EESZ_S13_S14_mS15_S18_bEUlT_E_NS1_11comp_targetILNS1_3genE4ELNS1_11target_archE910ELNS1_3gpuE8ELNS1_3repE0EEENS1_30default_config_static_selectorELNS0_4arch9wavefront6targetE0EEEvS12_,"axG",@progbits,_ZN7rocprim17ROCPRIM_400000_NS6detail17trampoline_kernelINS0_14default_configENS1_27lower_bound_config_selectorIilEEZNS1_14transform_implILb0ES3_S5_N6thrust23THRUST_200600_302600_NS6detail15normal_iteratorINS8_7pointerIiNS9_22execute_with_allocatorINS8_16device_allocatorIcEENS8_11hip_rocprim22execute_on_stream_baseEEENS8_11use_defaultESI_EEEENSA_INSB_IlSH_SI_SI_EEEEZNS1_13binary_searchIS3_S5_NSA_INS8_10device_ptrIiEEEESK_SM_NS1_21lower_bound_search_opENS9_16wrapped_functionINS8_6system6detail7generic6detail18binary_search_lessEbEEEE10hipError_tPvRmT1_T2_T3_mmT4_T5_P12ihipStream_tbEUlRKiE_EESZ_S13_S14_mS15_S18_bEUlT_E_NS1_11comp_targetILNS1_3genE4ELNS1_11target_archE910ELNS1_3gpuE8ELNS1_3repE0EEENS1_30default_config_static_selectorELNS0_4arch9wavefront6targetE0EEEvS12_,comdat
	.protected	_ZN7rocprim17ROCPRIM_400000_NS6detail17trampoline_kernelINS0_14default_configENS1_27lower_bound_config_selectorIilEEZNS1_14transform_implILb0ES3_S5_N6thrust23THRUST_200600_302600_NS6detail15normal_iteratorINS8_7pointerIiNS9_22execute_with_allocatorINS8_16device_allocatorIcEENS8_11hip_rocprim22execute_on_stream_baseEEENS8_11use_defaultESI_EEEENSA_INSB_IlSH_SI_SI_EEEEZNS1_13binary_searchIS3_S5_NSA_INS8_10device_ptrIiEEEESK_SM_NS1_21lower_bound_search_opENS9_16wrapped_functionINS8_6system6detail7generic6detail18binary_search_lessEbEEEE10hipError_tPvRmT1_T2_T3_mmT4_T5_P12ihipStream_tbEUlRKiE_EESZ_S13_S14_mS15_S18_bEUlT_E_NS1_11comp_targetILNS1_3genE4ELNS1_11target_archE910ELNS1_3gpuE8ELNS1_3repE0EEENS1_30default_config_static_selectorELNS0_4arch9wavefront6targetE0EEEvS12_ ; -- Begin function _ZN7rocprim17ROCPRIM_400000_NS6detail17trampoline_kernelINS0_14default_configENS1_27lower_bound_config_selectorIilEEZNS1_14transform_implILb0ES3_S5_N6thrust23THRUST_200600_302600_NS6detail15normal_iteratorINS8_7pointerIiNS9_22execute_with_allocatorINS8_16device_allocatorIcEENS8_11hip_rocprim22execute_on_stream_baseEEENS8_11use_defaultESI_EEEENSA_INSB_IlSH_SI_SI_EEEEZNS1_13binary_searchIS3_S5_NSA_INS8_10device_ptrIiEEEESK_SM_NS1_21lower_bound_search_opENS9_16wrapped_functionINS8_6system6detail7generic6detail18binary_search_lessEbEEEE10hipError_tPvRmT1_T2_T3_mmT4_T5_P12ihipStream_tbEUlRKiE_EESZ_S13_S14_mS15_S18_bEUlT_E_NS1_11comp_targetILNS1_3genE4ELNS1_11target_archE910ELNS1_3gpuE8ELNS1_3repE0EEENS1_30default_config_static_selectorELNS0_4arch9wavefront6targetE0EEEvS12_
	.globl	_ZN7rocprim17ROCPRIM_400000_NS6detail17trampoline_kernelINS0_14default_configENS1_27lower_bound_config_selectorIilEEZNS1_14transform_implILb0ES3_S5_N6thrust23THRUST_200600_302600_NS6detail15normal_iteratorINS8_7pointerIiNS9_22execute_with_allocatorINS8_16device_allocatorIcEENS8_11hip_rocprim22execute_on_stream_baseEEENS8_11use_defaultESI_EEEENSA_INSB_IlSH_SI_SI_EEEEZNS1_13binary_searchIS3_S5_NSA_INS8_10device_ptrIiEEEESK_SM_NS1_21lower_bound_search_opENS9_16wrapped_functionINS8_6system6detail7generic6detail18binary_search_lessEbEEEE10hipError_tPvRmT1_T2_T3_mmT4_T5_P12ihipStream_tbEUlRKiE_EESZ_S13_S14_mS15_S18_bEUlT_E_NS1_11comp_targetILNS1_3genE4ELNS1_11target_archE910ELNS1_3gpuE8ELNS1_3repE0EEENS1_30default_config_static_selectorELNS0_4arch9wavefront6targetE0EEEvS12_
	.p2align	8
	.type	_ZN7rocprim17ROCPRIM_400000_NS6detail17trampoline_kernelINS0_14default_configENS1_27lower_bound_config_selectorIilEEZNS1_14transform_implILb0ES3_S5_N6thrust23THRUST_200600_302600_NS6detail15normal_iteratorINS8_7pointerIiNS9_22execute_with_allocatorINS8_16device_allocatorIcEENS8_11hip_rocprim22execute_on_stream_baseEEENS8_11use_defaultESI_EEEENSA_INSB_IlSH_SI_SI_EEEEZNS1_13binary_searchIS3_S5_NSA_INS8_10device_ptrIiEEEESK_SM_NS1_21lower_bound_search_opENS9_16wrapped_functionINS8_6system6detail7generic6detail18binary_search_lessEbEEEE10hipError_tPvRmT1_T2_T3_mmT4_T5_P12ihipStream_tbEUlRKiE_EESZ_S13_S14_mS15_S18_bEUlT_E_NS1_11comp_targetILNS1_3genE4ELNS1_11target_archE910ELNS1_3gpuE8ELNS1_3repE0EEENS1_30default_config_static_selectorELNS0_4arch9wavefront6targetE0EEEvS12_,@function
_ZN7rocprim17ROCPRIM_400000_NS6detail17trampoline_kernelINS0_14default_configENS1_27lower_bound_config_selectorIilEEZNS1_14transform_implILb0ES3_S5_N6thrust23THRUST_200600_302600_NS6detail15normal_iteratorINS8_7pointerIiNS9_22execute_with_allocatorINS8_16device_allocatorIcEENS8_11hip_rocprim22execute_on_stream_baseEEENS8_11use_defaultESI_EEEENSA_INSB_IlSH_SI_SI_EEEEZNS1_13binary_searchIS3_S5_NSA_INS8_10device_ptrIiEEEESK_SM_NS1_21lower_bound_search_opENS9_16wrapped_functionINS8_6system6detail7generic6detail18binary_search_lessEbEEEE10hipError_tPvRmT1_T2_T3_mmT4_T5_P12ihipStream_tbEUlRKiE_EESZ_S13_S14_mS15_S18_bEUlT_E_NS1_11comp_targetILNS1_3genE4ELNS1_11target_archE910ELNS1_3gpuE8ELNS1_3repE0EEENS1_30default_config_static_selectorELNS0_4arch9wavefront6targetE0EEEvS12_: ; @_ZN7rocprim17ROCPRIM_400000_NS6detail17trampoline_kernelINS0_14default_configENS1_27lower_bound_config_selectorIilEEZNS1_14transform_implILb0ES3_S5_N6thrust23THRUST_200600_302600_NS6detail15normal_iteratorINS8_7pointerIiNS9_22execute_with_allocatorINS8_16device_allocatorIcEENS8_11hip_rocprim22execute_on_stream_baseEEENS8_11use_defaultESI_EEEENSA_INSB_IlSH_SI_SI_EEEEZNS1_13binary_searchIS3_S5_NSA_INS8_10device_ptrIiEEEESK_SM_NS1_21lower_bound_search_opENS9_16wrapped_functionINS8_6system6detail7generic6detail18binary_search_lessEbEEEE10hipError_tPvRmT1_T2_T3_mmT4_T5_P12ihipStream_tbEUlRKiE_EESZ_S13_S14_mS15_S18_bEUlT_E_NS1_11comp_targetILNS1_3genE4ELNS1_11target_archE910ELNS1_3gpuE8ELNS1_3repE0EEENS1_30default_config_static_selectorELNS0_4arch9wavefront6targetE0EEEvS12_
; %bb.0:
	.section	.rodata,"a",@progbits
	.p2align	6, 0x0
	.amdhsa_kernel _ZN7rocprim17ROCPRIM_400000_NS6detail17trampoline_kernelINS0_14default_configENS1_27lower_bound_config_selectorIilEEZNS1_14transform_implILb0ES3_S5_N6thrust23THRUST_200600_302600_NS6detail15normal_iteratorINS8_7pointerIiNS9_22execute_with_allocatorINS8_16device_allocatorIcEENS8_11hip_rocprim22execute_on_stream_baseEEENS8_11use_defaultESI_EEEENSA_INSB_IlSH_SI_SI_EEEEZNS1_13binary_searchIS3_S5_NSA_INS8_10device_ptrIiEEEESK_SM_NS1_21lower_bound_search_opENS9_16wrapped_functionINS8_6system6detail7generic6detail18binary_search_lessEbEEEE10hipError_tPvRmT1_T2_T3_mmT4_T5_P12ihipStream_tbEUlRKiE_EESZ_S13_S14_mS15_S18_bEUlT_E_NS1_11comp_targetILNS1_3genE4ELNS1_11target_archE910ELNS1_3gpuE8ELNS1_3repE0EEENS1_30default_config_static_selectorELNS0_4arch9wavefront6targetE0EEEvS12_
		.amdhsa_group_segment_fixed_size 0
		.amdhsa_private_segment_fixed_size 0
		.amdhsa_kernarg_size 56
		.amdhsa_user_sgpr_count 6
		.amdhsa_user_sgpr_private_segment_buffer 1
		.amdhsa_user_sgpr_dispatch_ptr 0
		.amdhsa_user_sgpr_queue_ptr 0
		.amdhsa_user_sgpr_kernarg_segment_ptr 1
		.amdhsa_user_sgpr_dispatch_id 0
		.amdhsa_user_sgpr_flat_scratch_init 0
		.amdhsa_user_sgpr_private_segment_size 0
		.amdhsa_wavefront_size32 1
		.amdhsa_uses_dynamic_stack 0
		.amdhsa_system_sgpr_private_segment_wavefront_offset 0
		.amdhsa_system_sgpr_workgroup_id_x 1
		.amdhsa_system_sgpr_workgroup_id_y 0
		.amdhsa_system_sgpr_workgroup_id_z 0
		.amdhsa_system_sgpr_workgroup_info 0
		.amdhsa_system_vgpr_workitem_id 0
		.amdhsa_next_free_vgpr 1
		.amdhsa_next_free_sgpr 1
		.amdhsa_reserve_vcc 0
		.amdhsa_reserve_flat_scratch 0
		.amdhsa_float_round_mode_32 0
		.amdhsa_float_round_mode_16_64 0
		.amdhsa_float_denorm_mode_32 3
		.amdhsa_float_denorm_mode_16_64 3
		.amdhsa_dx10_clamp 1
		.amdhsa_ieee_mode 1
		.amdhsa_fp16_overflow 0
		.amdhsa_workgroup_processor_mode 1
		.amdhsa_memory_ordered 1
		.amdhsa_forward_progress 1
		.amdhsa_shared_vgpr_count 0
		.amdhsa_exception_fp_ieee_invalid_op 0
		.amdhsa_exception_fp_denorm_src 0
		.amdhsa_exception_fp_ieee_div_zero 0
		.amdhsa_exception_fp_ieee_overflow 0
		.amdhsa_exception_fp_ieee_underflow 0
		.amdhsa_exception_fp_ieee_inexact 0
		.amdhsa_exception_int_div_zero 0
	.end_amdhsa_kernel
	.section	.text._ZN7rocprim17ROCPRIM_400000_NS6detail17trampoline_kernelINS0_14default_configENS1_27lower_bound_config_selectorIilEEZNS1_14transform_implILb0ES3_S5_N6thrust23THRUST_200600_302600_NS6detail15normal_iteratorINS8_7pointerIiNS9_22execute_with_allocatorINS8_16device_allocatorIcEENS8_11hip_rocprim22execute_on_stream_baseEEENS8_11use_defaultESI_EEEENSA_INSB_IlSH_SI_SI_EEEEZNS1_13binary_searchIS3_S5_NSA_INS8_10device_ptrIiEEEESK_SM_NS1_21lower_bound_search_opENS9_16wrapped_functionINS8_6system6detail7generic6detail18binary_search_lessEbEEEE10hipError_tPvRmT1_T2_T3_mmT4_T5_P12ihipStream_tbEUlRKiE_EESZ_S13_S14_mS15_S18_bEUlT_E_NS1_11comp_targetILNS1_3genE4ELNS1_11target_archE910ELNS1_3gpuE8ELNS1_3repE0EEENS1_30default_config_static_selectorELNS0_4arch9wavefront6targetE0EEEvS12_,"axG",@progbits,_ZN7rocprim17ROCPRIM_400000_NS6detail17trampoline_kernelINS0_14default_configENS1_27lower_bound_config_selectorIilEEZNS1_14transform_implILb0ES3_S5_N6thrust23THRUST_200600_302600_NS6detail15normal_iteratorINS8_7pointerIiNS9_22execute_with_allocatorINS8_16device_allocatorIcEENS8_11hip_rocprim22execute_on_stream_baseEEENS8_11use_defaultESI_EEEENSA_INSB_IlSH_SI_SI_EEEEZNS1_13binary_searchIS3_S5_NSA_INS8_10device_ptrIiEEEESK_SM_NS1_21lower_bound_search_opENS9_16wrapped_functionINS8_6system6detail7generic6detail18binary_search_lessEbEEEE10hipError_tPvRmT1_T2_T3_mmT4_T5_P12ihipStream_tbEUlRKiE_EESZ_S13_S14_mS15_S18_bEUlT_E_NS1_11comp_targetILNS1_3genE4ELNS1_11target_archE910ELNS1_3gpuE8ELNS1_3repE0EEENS1_30default_config_static_selectorELNS0_4arch9wavefront6targetE0EEEvS12_,comdat
.Lfunc_end772:
	.size	_ZN7rocprim17ROCPRIM_400000_NS6detail17trampoline_kernelINS0_14default_configENS1_27lower_bound_config_selectorIilEEZNS1_14transform_implILb0ES3_S5_N6thrust23THRUST_200600_302600_NS6detail15normal_iteratorINS8_7pointerIiNS9_22execute_with_allocatorINS8_16device_allocatorIcEENS8_11hip_rocprim22execute_on_stream_baseEEENS8_11use_defaultESI_EEEENSA_INSB_IlSH_SI_SI_EEEEZNS1_13binary_searchIS3_S5_NSA_INS8_10device_ptrIiEEEESK_SM_NS1_21lower_bound_search_opENS9_16wrapped_functionINS8_6system6detail7generic6detail18binary_search_lessEbEEEE10hipError_tPvRmT1_T2_T3_mmT4_T5_P12ihipStream_tbEUlRKiE_EESZ_S13_S14_mS15_S18_bEUlT_E_NS1_11comp_targetILNS1_3genE4ELNS1_11target_archE910ELNS1_3gpuE8ELNS1_3repE0EEENS1_30default_config_static_selectorELNS0_4arch9wavefront6targetE0EEEvS12_, .Lfunc_end772-_ZN7rocprim17ROCPRIM_400000_NS6detail17trampoline_kernelINS0_14default_configENS1_27lower_bound_config_selectorIilEEZNS1_14transform_implILb0ES3_S5_N6thrust23THRUST_200600_302600_NS6detail15normal_iteratorINS8_7pointerIiNS9_22execute_with_allocatorINS8_16device_allocatorIcEENS8_11hip_rocprim22execute_on_stream_baseEEENS8_11use_defaultESI_EEEENSA_INSB_IlSH_SI_SI_EEEEZNS1_13binary_searchIS3_S5_NSA_INS8_10device_ptrIiEEEESK_SM_NS1_21lower_bound_search_opENS9_16wrapped_functionINS8_6system6detail7generic6detail18binary_search_lessEbEEEE10hipError_tPvRmT1_T2_T3_mmT4_T5_P12ihipStream_tbEUlRKiE_EESZ_S13_S14_mS15_S18_bEUlT_E_NS1_11comp_targetILNS1_3genE4ELNS1_11target_archE910ELNS1_3gpuE8ELNS1_3repE0EEENS1_30default_config_static_selectorELNS0_4arch9wavefront6targetE0EEEvS12_
                                        ; -- End function
	.set _ZN7rocprim17ROCPRIM_400000_NS6detail17trampoline_kernelINS0_14default_configENS1_27lower_bound_config_selectorIilEEZNS1_14transform_implILb0ES3_S5_N6thrust23THRUST_200600_302600_NS6detail15normal_iteratorINS8_7pointerIiNS9_22execute_with_allocatorINS8_16device_allocatorIcEENS8_11hip_rocprim22execute_on_stream_baseEEENS8_11use_defaultESI_EEEENSA_INSB_IlSH_SI_SI_EEEEZNS1_13binary_searchIS3_S5_NSA_INS8_10device_ptrIiEEEESK_SM_NS1_21lower_bound_search_opENS9_16wrapped_functionINS8_6system6detail7generic6detail18binary_search_lessEbEEEE10hipError_tPvRmT1_T2_T3_mmT4_T5_P12ihipStream_tbEUlRKiE_EESZ_S13_S14_mS15_S18_bEUlT_E_NS1_11comp_targetILNS1_3genE4ELNS1_11target_archE910ELNS1_3gpuE8ELNS1_3repE0EEENS1_30default_config_static_selectorELNS0_4arch9wavefront6targetE0EEEvS12_.num_vgpr, 0
	.set _ZN7rocprim17ROCPRIM_400000_NS6detail17trampoline_kernelINS0_14default_configENS1_27lower_bound_config_selectorIilEEZNS1_14transform_implILb0ES3_S5_N6thrust23THRUST_200600_302600_NS6detail15normal_iteratorINS8_7pointerIiNS9_22execute_with_allocatorINS8_16device_allocatorIcEENS8_11hip_rocprim22execute_on_stream_baseEEENS8_11use_defaultESI_EEEENSA_INSB_IlSH_SI_SI_EEEEZNS1_13binary_searchIS3_S5_NSA_INS8_10device_ptrIiEEEESK_SM_NS1_21lower_bound_search_opENS9_16wrapped_functionINS8_6system6detail7generic6detail18binary_search_lessEbEEEE10hipError_tPvRmT1_T2_T3_mmT4_T5_P12ihipStream_tbEUlRKiE_EESZ_S13_S14_mS15_S18_bEUlT_E_NS1_11comp_targetILNS1_3genE4ELNS1_11target_archE910ELNS1_3gpuE8ELNS1_3repE0EEENS1_30default_config_static_selectorELNS0_4arch9wavefront6targetE0EEEvS12_.num_agpr, 0
	.set _ZN7rocprim17ROCPRIM_400000_NS6detail17trampoline_kernelINS0_14default_configENS1_27lower_bound_config_selectorIilEEZNS1_14transform_implILb0ES3_S5_N6thrust23THRUST_200600_302600_NS6detail15normal_iteratorINS8_7pointerIiNS9_22execute_with_allocatorINS8_16device_allocatorIcEENS8_11hip_rocprim22execute_on_stream_baseEEENS8_11use_defaultESI_EEEENSA_INSB_IlSH_SI_SI_EEEEZNS1_13binary_searchIS3_S5_NSA_INS8_10device_ptrIiEEEESK_SM_NS1_21lower_bound_search_opENS9_16wrapped_functionINS8_6system6detail7generic6detail18binary_search_lessEbEEEE10hipError_tPvRmT1_T2_T3_mmT4_T5_P12ihipStream_tbEUlRKiE_EESZ_S13_S14_mS15_S18_bEUlT_E_NS1_11comp_targetILNS1_3genE4ELNS1_11target_archE910ELNS1_3gpuE8ELNS1_3repE0EEENS1_30default_config_static_selectorELNS0_4arch9wavefront6targetE0EEEvS12_.numbered_sgpr, 0
	.set _ZN7rocprim17ROCPRIM_400000_NS6detail17trampoline_kernelINS0_14default_configENS1_27lower_bound_config_selectorIilEEZNS1_14transform_implILb0ES3_S5_N6thrust23THRUST_200600_302600_NS6detail15normal_iteratorINS8_7pointerIiNS9_22execute_with_allocatorINS8_16device_allocatorIcEENS8_11hip_rocprim22execute_on_stream_baseEEENS8_11use_defaultESI_EEEENSA_INSB_IlSH_SI_SI_EEEEZNS1_13binary_searchIS3_S5_NSA_INS8_10device_ptrIiEEEESK_SM_NS1_21lower_bound_search_opENS9_16wrapped_functionINS8_6system6detail7generic6detail18binary_search_lessEbEEEE10hipError_tPvRmT1_T2_T3_mmT4_T5_P12ihipStream_tbEUlRKiE_EESZ_S13_S14_mS15_S18_bEUlT_E_NS1_11comp_targetILNS1_3genE4ELNS1_11target_archE910ELNS1_3gpuE8ELNS1_3repE0EEENS1_30default_config_static_selectorELNS0_4arch9wavefront6targetE0EEEvS12_.num_named_barrier, 0
	.set _ZN7rocprim17ROCPRIM_400000_NS6detail17trampoline_kernelINS0_14default_configENS1_27lower_bound_config_selectorIilEEZNS1_14transform_implILb0ES3_S5_N6thrust23THRUST_200600_302600_NS6detail15normal_iteratorINS8_7pointerIiNS9_22execute_with_allocatorINS8_16device_allocatorIcEENS8_11hip_rocprim22execute_on_stream_baseEEENS8_11use_defaultESI_EEEENSA_INSB_IlSH_SI_SI_EEEEZNS1_13binary_searchIS3_S5_NSA_INS8_10device_ptrIiEEEESK_SM_NS1_21lower_bound_search_opENS9_16wrapped_functionINS8_6system6detail7generic6detail18binary_search_lessEbEEEE10hipError_tPvRmT1_T2_T3_mmT4_T5_P12ihipStream_tbEUlRKiE_EESZ_S13_S14_mS15_S18_bEUlT_E_NS1_11comp_targetILNS1_3genE4ELNS1_11target_archE910ELNS1_3gpuE8ELNS1_3repE0EEENS1_30default_config_static_selectorELNS0_4arch9wavefront6targetE0EEEvS12_.private_seg_size, 0
	.set _ZN7rocprim17ROCPRIM_400000_NS6detail17trampoline_kernelINS0_14default_configENS1_27lower_bound_config_selectorIilEEZNS1_14transform_implILb0ES3_S5_N6thrust23THRUST_200600_302600_NS6detail15normal_iteratorINS8_7pointerIiNS9_22execute_with_allocatorINS8_16device_allocatorIcEENS8_11hip_rocprim22execute_on_stream_baseEEENS8_11use_defaultESI_EEEENSA_INSB_IlSH_SI_SI_EEEEZNS1_13binary_searchIS3_S5_NSA_INS8_10device_ptrIiEEEESK_SM_NS1_21lower_bound_search_opENS9_16wrapped_functionINS8_6system6detail7generic6detail18binary_search_lessEbEEEE10hipError_tPvRmT1_T2_T3_mmT4_T5_P12ihipStream_tbEUlRKiE_EESZ_S13_S14_mS15_S18_bEUlT_E_NS1_11comp_targetILNS1_3genE4ELNS1_11target_archE910ELNS1_3gpuE8ELNS1_3repE0EEENS1_30default_config_static_selectorELNS0_4arch9wavefront6targetE0EEEvS12_.uses_vcc, 0
	.set _ZN7rocprim17ROCPRIM_400000_NS6detail17trampoline_kernelINS0_14default_configENS1_27lower_bound_config_selectorIilEEZNS1_14transform_implILb0ES3_S5_N6thrust23THRUST_200600_302600_NS6detail15normal_iteratorINS8_7pointerIiNS9_22execute_with_allocatorINS8_16device_allocatorIcEENS8_11hip_rocprim22execute_on_stream_baseEEENS8_11use_defaultESI_EEEENSA_INSB_IlSH_SI_SI_EEEEZNS1_13binary_searchIS3_S5_NSA_INS8_10device_ptrIiEEEESK_SM_NS1_21lower_bound_search_opENS9_16wrapped_functionINS8_6system6detail7generic6detail18binary_search_lessEbEEEE10hipError_tPvRmT1_T2_T3_mmT4_T5_P12ihipStream_tbEUlRKiE_EESZ_S13_S14_mS15_S18_bEUlT_E_NS1_11comp_targetILNS1_3genE4ELNS1_11target_archE910ELNS1_3gpuE8ELNS1_3repE0EEENS1_30default_config_static_selectorELNS0_4arch9wavefront6targetE0EEEvS12_.uses_flat_scratch, 0
	.set _ZN7rocprim17ROCPRIM_400000_NS6detail17trampoline_kernelINS0_14default_configENS1_27lower_bound_config_selectorIilEEZNS1_14transform_implILb0ES3_S5_N6thrust23THRUST_200600_302600_NS6detail15normal_iteratorINS8_7pointerIiNS9_22execute_with_allocatorINS8_16device_allocatorIcEENS8_11hip_rocprim22execute_on_stream_baseEEENS8_11use_defaultESI_EEEENSA_INSB_IlSH_SI_SI_EEEEZNS1_13binary_searchIS3_S5_NSA_INS8_10device_ptrIiEEEESK_SM_NS1_21lower_bound_search_opENS9_16wrapped_functionINS8_6system6detail7generic6detail18binary_search_lessEbEEEE10hipError_tPvRmT1_T2_T3_mmT4_T5_P12ihipStream_tbEUlRKiE_EESZ_S13_S14_mS15_S18_bEUlT_E_NS1_11comp_targetILNS1_3genE4ELNS1_11target_archE910ELNS1_3gpuE8ELNS1_3repE0EEENS1_30default_config_static_selectorELNS0_4arch9wavefront6targetE0EEEvS12_.has_dyn_sized_stack, 0
	.set _ZN7rocprim17ROCPRIM_400000_NS6detail17trampoline_kernelINS0_14default_configENS1_27lower_bound_config_selectorIilEEZNS1_14transform_implILb0ES3_S5_N6thrust23THRUST_200600_302600_NS6detail15normal_iteratorINS8_7pointerIiNS9_22execute_with_allocatorINS8_16device_allocatorIcEENS8_11hip_rocprim22execute_on_stream_baseEEENS8_11use_defaultESI_EEEENSA_INSB_IlSH_SI_SI_EEEEZNS1_13binary_searchIS3_S5_NSA_INS8_10device_ptrIiEEEESK_SM_NS1_21lower_bound_search_opENS9_16wrapped_functionINS8_6system6detail7generic6detail18binary_search_lessEbEEEE10hipError_tPvRmT1_T2_T3_mmT4_T5_P12ihipStream_tbEUlRKiE_EESZ_S13_S14_mS15_S18_bEUlT_E_NS1_11comp_targetILNS1_3genE4ELNS1_11target_archE910ELNS1_3gpuE8ELNS1_3repE0EEENS1_30default_config_static_selectorELNS0_4arch9wavefront6targetE0EEEvS12_.has_recursion, 0
	.set _ZN7rocprim17ROCPRIM_400000_NS6detail17trampoline_kernelINS0_14default_configENS1_27lower_bound_config_selectorIilEEZNS1_14transform_implILb0ES3_S5_N6thrust23THRUST_200600_302600_NS6detail15normal_iteratorINS8_7pointerIiNS9_22execute_with_allocatorINS8_16device_allocatorIcEENS8_11hip_rocprim22execute_on_stream_baseEEENS8_11use_defaultESI_EEEENSA_INSB_IlSH_SI_SI_EEEEZNS1_13binary_searchIS3_S5_NSA_INS8_10device_ptrIiEEEESK_SM_NS1_21lower_bound_search_opENS9_16wrapped_functionINS8_6system6detail7generic6detail18binary_search_lessEbEEEE10hipError_tPvRmT1_T2_T3_mmT4_T5_P12ihipStream_tbEUlRKiE_EESZ_S13_S14_mS15_S18_bEUlT_E_NS1_11comp_targetILNS1_3genE4ELNS1_11target_archE910ELNS1_3gpuE8ELNS1_3repE0EEENS1_30default_config_static_selectorELNS0_4arch9wavefront6targetE0EEEvS12_.has_indirect_call, 0
	.section	.AMDGPU.csdata,"",@progbits
; Kernel info:
; codeLenInByte = 0
; TotalNumSgprs: 0
; NumVgprs: 0
; ScratchSize: 0
; MemoryBound: 0
; FloatMode: 240
; IeeeMode: 1
; LDSByteSize: 0 bytes/workgroup (compile time only)
; SGPRBlocks: 0
; VGPRBlocks: 0
; NumSGPRsForWavesPerEU: 1
; NumVGPRsForWavesPerEU: 1
; Occupancy: 16
; WaveLimiterHint : 0
; COMPUTE_PGM_RSRC2:SCRATCH_EN: 0
; COMPUTE_PGM_RSRC2:USER_SGPR: 6
; COMPUTE_PGM_RSRC2:TRAP_HANDLER: 0
; COMPUTE_PGM_RSRC2:TGID_X_EN: 1
; COMPUTE_PGM_RSRC2:TGID_Y_EN: 0
; COMPUTE_PGM_RSRC2:TGID_Z_EN: 0
; COMPUTE_PGM_RSRC2:TIDIG_COMP_CNT: 0
	.section	.text._ZN7rocprim17ROCPRIM_400000_NS6detail17trampoline_kernelINS0_14default_configENS1_27lower_bound_config_selectorIilEEZNS1_14transform_implILb0ES3_S5_N6thrust23THRUST_200600_302600_NS6detail15normal_iteratorINS8_7pointerIiNS9_22execute_with_allocatorINS8_16device_allocatorIcEENS8_11hip_rocprim22execute_on_stream_baseEEENS8_11use_defaultESI_EEEENSA_INSB_IlSH_SI_SI_EEEEZNS1_13binary_searchIS3_S5_NSA_INS8_10device_ptrIiEEEESK_SM_NS1_21lower_bound_search_opENS9_16wrapped_functionINS8_6system6detail7generic6detail18binary_search_lessEbEEEE10hipError_tPvRmT1_T2_T3_mmT4_T5_P12ihipStream_tbEUlRKiE_EESZ_S13_S14_mS15_S18_bEUlT_E_NS1_11comp_targetILNS1_3genE3ELNS1_11target_archE908ELNS1_3gpuE7ELNS1_3repE0EEENS1_30default_config_static_selectorELNS0_4arch9wavefront6targetE0EEEvS12_,"axG",@progbits,_ZN7rocprim17ROCPRIM_400000_NS6detail17trampoline_kernelINS0_14default_configENS1_27lower_bound_config_selectorIilEEZNS1_14transform_implILb0ES3_S5_N6thrust23THRUST_200600_302600_NS6detail15normal_iteratorINS8_7pointerIiNS9_22execute_with_allocatorINS8_16device_allocatorIcEENS8_11hip_rocprim22execute_on_stream_baseEEENS8_11use_defaultESI_EEEENSA_INSB_IlSH_SI_SI_EEEEZNS1_13binary_searchIS3_S5_NSA_INS8_10device_ptrIiEEEESK_SM_NS1_21lower_bound_search_opENS9_16wrapped_functionINS8_6system6detail7generic6detail18binary_search_lessEbEEEE10hipError_tPvRmT1_T2_T3_mmT4_T5_P12ihipStream_tbEUlRKiE_EESZ_S13_S14_mS15_S18_bEUlT_E_NS1_11comp_targetILNS1_3genE3ELNS1_11target_archE908ELNS1_3gpuE7ELNS1_3repE0EEENS1_30default_config_static_selectorELNS0_4arch9wavefront6targetE0EEEvS12_,comdat
	.protected	_ZN7rocprim17ROCPRIM_400000_NS6detail17trampoline_kernelINS0_14default_configENS1_27lower_bound_config_selectorIilEEZNS1_14transform_implILb0ES3_S5_N6thrust23THRUST_200600_302600_NS6detail15normal_iteratorINS8_7pointerIiNS9_22execute_with_allocatorINS8_16device_allocatorIcEENS8_11hip_rocprim22execute_on_stream_baseEEENS8_11use_defaultESI_EEEENSA_INSB_IlSH_SI_SI_EEEEZNS1_13binary_searchIS3_S5_NSA_INS8_10device_ptrIiEEEESK_SM_NS1_21lower_bound_search_opENS9_16wrapped_functionINS8_6system6detail7generic6detail18binary_search_lessEbEEEE10hipError_tPvRmT1_T2_T3_mmT4_T5_P12ihipStream_tbEUlRKiE_EESZ_S13_S14_mS15_S18_bEUlT_E_NS1_11comp_targetILNS1_3genE3ELNS1_11target_archE908ELNS1_3gpuE7ELNS1_3repE0EEENS1_30default_config_static_selectorELNS0_4arch9wavefront6targetE0EEEvS12_ ; -- Begin function _ZN7rocprim17ROCPRIM_400000_NS6detail17trampoline_kernelINS0_14default_configENS1_27lower_bound_config_selectorIilEEZNS1_14transform_implILb0ES3_S5_N6thrust23THRUST_200600_302600_NS6detail15normal_iteratorINS8_7pointerIiNS9_22execute_with_allocatorINS8_16device_allocatorIcEENS8_11hip_rocprim22execute_on_stream_baseEEENS8_11use_defaultESI_EEEENSA_INSB_IlSH_SI_SI_EEEEZNS1_13binary_searchIS3_S5_NSA_INS8_10device_ptrIiEEEESK_SM_NS1_21lower_bound_search_opENS9_16wrapped_functionINS8_6system6detail7generic6detail18binary_search_lessEbEEEE10hipError_tPvRmT1_T2_T3_mmT4_T5_P12ihipStream_tbEUlRKiE_EESZ_S13_S14_mS15_S18_bEUlT_E_NS1_11comp_targetILNS1_3genE3ELNS1_11target_archE908ELNS1_3gpuE7ELNS1_3repE0EEENS1_30default_config_static_selectorELNS0_4arch9wavefront6targetE0EEEvS12_
	.globl	_ZN7rocprim17ROCPRIM_400000_NS6detail17trampoline_kernelINS0_14default_configENS1_27lower_bound_config_selectorIilEEZNS1_14transform_implILb0ES3_S5_N6thrust23THRUST_200600_302600_NS6detail15normal_iteratorINS8_7pointerIiNS9_22execute_with_allocatorINS8_16device_allocatorIcEENS8_11hip_rocprim22execute_on_stream_baseEEENS8_11use_defaultESI_EEEENSA_INSB_IlSH_SI_SI_EEEEZNS1_13binary_searchIS3_S5_NSA_INS8_10device_ptrIiEEEESK_SM_NS1_21lower_bound_search_opENS9_16wrapped_functionINS8_6system6detail7generic6detail18binary_search_lessEbEEEE10hipError_tPvRmT1_T2_T3_mmT4_T5_P12ihipStream_tbEUlRKiE_EESZ_S13_S14_mS15_S18_bEUlT_E_NS1_11comp_targetILNS1_3genE3ELNS1_11target_archE908ELNS1_3gpuE7ELNS1_3repE0EEENS1_30default_config_static_selectorELNS0_4arch9wavefront6targetE0EEEvS12_
	.p2align	8
	.type	_ZN7rocprim17ROCPRIM_400000_NS6detail17trampoline_kernelINS0_14default_configENS1_27lower_bound_config_selectorIilEEZNS1_14transform_implILb0ES3_S5_N6thrust23THRUST_200600_302600_NS6detail15normal_iteratorINS8_7pointerIiNS9_22execute_with_allocatorINS8_16device_allocatorIcEENS8_11hip_rocprim22execute_on_stream_baseEEENS8_11use_defaultESI_EEEENSA_INSB_IlSH_SI_SI_EEEEZNS1_13binary_searchIS3_S5_NSA_INS8_10device_ptrIiEEEESK_SM_NS1_21lower_bound_search_opENS9_16wrapped_functionINS8_6system6detail7generic6detail18binary_search_lessEbEEEE10hipError_tPvRmT1_T2_T3_mmT4_T5_P12ihipStream_tbEUlRKiE_EESZ_S13_S14_mS15_S18_bEUlT_E_NS1_11comp_targetILNS1_3genE3ELNS1_11target_archE908ELNS1_3gpuE7ELNS1_3repE0EEENS1_30default_config_static_selectorELNS0_4arch9wavefront6targetE0EEEvS12_,@function
_ZN7rocprim17ROCPRIM_400000_NS6detail17trampoline_kernelINS0_14default_configENS1_27lower_bound_config_selectorIilEEZNS1_14transform_implILb0ES3_S5_N6thrust23THRUST_200600_302600_NS6detail15normal_iteratorINS8_7pointerIiNS9_22execute_with_allocatorINS8_16device_allocatorIcEENS8_11hip_rocprim22execute_on_stream_baseEEENS8_11use_defaultESI_EEEENSA_INSB_IlSH_SI_SI_EEEEZNS1_13binary_searchIS3_S5_NSA_INS8_10device_ptrIiEEEESK_SM_NS1_21lower_bound_search_opENS9_16wrapped_functionINS8_6system6detail7generic6detail18binary_search_lessEbEEEE10hipError_tPvRmT1_T2_T3_mmT4_T5_P12ihipStream_tbEUlRKiE_EESZ_S13_S14_mS15_S18_bEUlT_E_NS1_11comp_targetILNS1_3genE3ELNS1_11target_archE908ELNS1_3gpuE7ELNS1_3repE0EEENS1_30default_config_static_selectorELNS0_4arch9wavefront6targetE0EEEvS12_: ; @_ZN7rocprim17ROCPRIM_400000_NS6detail17trampoline_kernelINS0_14default_configENS1_27lower_bound_config_selectorIilEEZNS1_14transform_implILb0ES3_S5_N6thrust23THRUST_200600_302600_NS6detail15normal_iteratorINS8_7pointerIiNS9_22execute_with_allocatorINS8_16device_allocatorIcEENS8_11hip_rocprim22execute_on_stream_baseEEENS8_11use_defaultESI_EEEENSA_INSB_IlSH_SI_SI_EEEEZNS1_13binary_searchIS3_S5_NSA_INS8_10device_ptrIiEEEESK_SM_NS1_21lower_bound_search_opENS9_16wrapped_functionINS8_6system6detail7generic6detail18binary_search_lessEbEEEE10hipError_tPvRmT1_T2_T3_mmT4_T5_P12ihipStream_tbEUlRKiE_EESZ_S13_S14_mS15_S18_bEUlT_E_NS1_11comp_targetILNS1_3genE3ELNS1_11target_archE908ELNS1_3gpuE7ELNS1_3repE0EEENS1_30default_config_static_selectorELNS0_4arch9wavefront6targetE0EEEvS12_
; %bb.0:
	.section	.rodata,"a",@progbits
	.p2align	6, 0x0
	.amdhsa_kernel _ZN7rocprim17ROCPRIM_400000_NS6detail17trampoline_kernelINS0_14default_configENS1_27lower_bound_config_selectorIilEEZNS1_14transform_implILb0ES3_S5_N6thrust23THRUST_200600_302600_NS6detail15normal_iteratorINS8_7pointerIiNS9_22execute_with_allocatorINS8_16device_allocatorIcEENS8_11hip_rocprim22execute_on_stream_baseEEENS8_11use_defaultESI_EEEENSA_INSB_IlSH_SI_SI_EEEEZNS1_13binary_searchIS3_S5_NSA_INS8_10device_ptrIiEEEESK_SM_NS1_21lower_bound_search_opENS9_16wrapped_functionINS8_6system6detail7generic6detail18binary_search_lessEbEEEE10hipError_tPvRmT1_T2_T3_mmT4_T5_P12ihipStream_tbEUlRKiE_EESZ_S13_S14_mS15_S18_bEUlT_E_NS1_11comp_targetILNS1_3genE3ELNS1_11target_archE908ELNS1_3gpuE7ELNS1_3repE0EEENS1_30default_config_static_selectorELNS0_4arch9wavefront6targetE0EEEvS12_
		.amdhsa_group_segment_fixed_size 0
		.amdhsa_private_segment_fixed_size 0
		.amdhsa_kernarg_size 56
		.amdhsa_user_sgpr_count 6
		.amdhsa_user_sgpr_private_segment_buffer 1
		.amdhsa_user_sgpr_dispatch_ptr 0
		.amdhsa_user_sgpr_queue_ptr 0
		.amdhsa_user_sgpr_kernarg_segment_ptr 1
		.amdhsa_user_sgpr_dispatch_id 0
		.amdhsa_user_sgpr_flat_scratch_init 0
		.amdhsa_user_sgpr_private_segment_size 0
		.amdhsa_wavefront_size32 1
		.amdhsa_uses_dynamic_stack 0
		.amdhsa_system_sgpr_private_segment_wavefront_offset 0
		.amdhsa_system_sgpr_workgroup_id_x 1
		.amdhsa_system_sgpr_workgroup_id_y 0
		.amdhsa_system_sgpr_workgroup_id_z 0
		.amdhsa_system_sgpr_workgroup_info 0
		.amdhsa_system_vgpr_workitem_id 0
		.amdhsa_next_free_vgpr 1
		.amdhsa_next_free_sgpr 1
		.amdhsa_reserve_vcc 0
		.amdhsa_reserve_flat_scratch 0
		.amdhsa_float_round_mode_32 0
		.amdhsa_float_round_mode_16_64 0
		.amdhsa_float_denorm_mode_32 3
		.amdhsa_float_denorm_mode_16_64 3
		.amdhsa_dx10_clamp 1
		.amdhsa_ieee_mode 1
		.amdhsa_fp16_overflow 0
		.amdhsa_workgroup_processor_mode 1
		.amdhsa_memory_ordered 1
		.amdhsa_forward_progress 1
		.amdhsa_shared_vgpr_count 0
		.amdhsa_exception_fp_ieee_invalid_op 0
		.amdhsa_exception_fp_denorm_src 0
		.amdhsa_exception_fp_ieee_div_zero 0
		.amdhsa_exception_fp_ieee_overflow 0
		.amdhsa_exception_fp_ieee_underflow 0
		.amdhsa_exception_fp_ieee_inexact 0
		.amdhsa_exception_int_div_zero 0
	.end_amdhsa_kernel
	.section	.text._ZN7rocprim17ROCPRIM_400000_NS6detail17trampoline_kernelINS0_14default_configENS1_27lower_bound_config_selectorIilEEZNS1_14transform_implILb0ES3_S5_N6thrust23THRUST_200600_302600_NS6detail15normal_iteratorINS8_7pointerIiNS9_22execute_with_allocatorINS8_16device_allocatorIcEENS8_11hip_rocprim22execute_on_stream_baseEEENS8_11use_defaultESI_EEEENSA_INSB_IlSH_SI_SI_EEEEZNS1_13binary_searchIS3_S5_NSA_INS8_10device_ptrIiEEEESK_SM_NS1_21lower_bound_search_opENS9_16wrapped_functionINS8_6system6detail7generic6detail18binary_search_lessEbEEEE10hipError_tPvRmT1_T2_T3_mmT4_T5_P12ihipStream_tbEUlRKiE_EESZ_S13_S14_mS15_S18_bEUlT_E_NS1_11comp_targetILNS1_3genE3ELNS1_11target_archE908ELNS1_3gpuE7ELNS1_3repE0EEENS1_30default_config_static_selectorELNS0_4arch9wavefront6targetE0EEEvS12_,"axG",@progbits,_ZN7rocprim17ROCPRIM_400000_NS6detail17trampoline_kernelINS0_14default_configENS1_27lower_bound_config_selectorIilEEZNS1_14transform_implILb0ES3_S5_N6thrust23THRUST_200600_302600_NS6detail15normal_iteratorINS8_7pointerIiNS9_22execute_with_allocatorINS8_16device_allocatorIcEENS8_11hip_rocprim22execute_on_stream_baseEEENS8_11use_defaultESI_EEEENSA_INSB_IlSH_SI_SI_EEEEZNS1_13binary_searchIS3_S5_NSA_INS8_10device_ptrIiEEEESK_SM_NS1_21lower_bound_search_opENS9_16wrapped_functionINS8_6system6detail7generic6detail18binary_search_lessEbEEEE10hipError_tPvRmT1_T2_T3_mmT4_T5_P12ihipStream_tbEUlRKiE_EESZ_S13_S14_mS15_S18_bEUlT_E_NS1_11comp_targetILNS1_3genE3ELNS1_11target_archE908ELNS1_3gpuE7ELNS1_3repE0EEENS1_30default_config_static_selectorELNS0_4arch9wavefront6targetE0EEEvS12_,comdat
.Lfunc_end773:
	.size	_ZN7rocprim17ROCPRIM_400000_NS6detail17trampoline_kernelINS0_14default_configENS1_27lower_bound_config_selectorIilEEZNS1_14transform_implILb0ES3_S5_N6thrust23THRUST_200600_302600_NS6detail15normal_iteratorINS8_7pointerIiNS9_22execute_with_allocatorINS8_16device_allocatorIcEENS8_11hip_rocprim22execute_on_stream_baseEEENS8_11use_defaultESI_EEEENSA_INSB_IlSH_SI_SI_EEEEZNS1_13binary_searchIS3_S5_NSA_INS8_10device_ptrIiEEEESK_SM_NS1_21lower_bound_search_opENS9_16wrapped_functionINS8_6system6detail7generic6detail18binary_search_lessEbEEEE10hipError_tPvRmT1_T2_T3_mmT4_T5_P12ihipStream_tbEUlRKiE_EESZ_S13_S14_mS15_S18_bEUlT_E_NS1_11comp_targetILNS1_3genE3ELNS1_11target_archE908ELNS1_3gpuE7ELNS1_3repE0EEENS1_30default_config_static_selectorELNS0_4arch9wavefront6targetE0EEEvS12_, .Lfunc_end773-_ZN7rocprim17ROCPRIM_400000_NS6detail17trampoline_kernelINS0_14default_configENS1_27lower_bound_config_selectorIilEEZNS1_14transform_implILb0ES3_S5_N6thrust23THRUST_200600_302600_NS6detail15normal_iteratorINS8_7pointerIiNS9_22execute_with_allocatorINS8_16device_allocatorIcEENS8_11hip_rocprim22execute_on_stream_baseEEENS8_11use_defaultESI_EEEENSA_INSB_IlSH_SI_SI_EEEEZNS1_13binary_searchIS3_S5_NSA_INS8_10device_ptrIiEEEESK_SM_NS1_21lower_bound_search_opENS9_16wrapped_functionINS8_6system6detail7generic6detail18binary_search_lessEbEEEE10hipError_tPvRmT1_T2_T3_mmT4_T5_P12ihipStream_tbEUlRKiE_EESZ_S13_S14_mS15_S18_bEUlT_E_NS1_11comp_targetILNS1_3genE3ELNS1_11target_archE908ELNS1_3gpuE7ELNS1_3repE0EEENS1_30default_config_static_selectorELNS0_4arch9wavefront6targetE0EEEvS12_
                                        ; -- End function
	.set _ZN7rocprim17ROCPRIM_400000_NS6detail17trampoline_kernelINS0_14default_configENS1_27lower_bound_config_selectorIilEEZNS1_14transform_implILb0ES3_S5_N6thrust23THRUST_200600_302600_NS6detail15normal_iteratorINS8_7pointerIiNS9_22execute_with_allocatorINS8_16device_allocatorIcEENS8_11hip_rocprim22execute_on_stream_baseEEENS8_11use_defaultESI_EEEENSA_INSB_IlSH_SI_SI_EEEEZNS1_13binary_searchIS3_S5_NSA_INS8_10device_ptrIiEEEESK_SM_NS1_21lower_bound_search_opENS9_16wrapped_functionINS8_6system6detail7generic6detail18binary_search_lessEbEEEE10hipError_tPvRmT1_T2_T3_mmT4_T5_P12ihipStream_tbEUlRKiE_EESZ_S13_S14_mS15_S18_bEUlT_E_NS1_11comp_targetILNS1_3genE3ELNS1_11target_archE908ELNS1_3gpuE7ELNS1_3repE0EEENS1_30default_config_static_selectorELNS0_4arch9wavefront6targetE0EEEvS12_.num_vgpr, 0
	.set _ZN7rocprim17ROCPRIM_400000_NS6detail17trampoline_kernelINS0_14default_configENS1_27lower_bound_config_selectorIilEEZNS1_14transform_implILb0ES3_S5_N6thrust23THRUST_200600_302600_NS6detail15normal_iteratorINS8_7pointerIiNS9_22execute_with_allocatorINS8_16device_allocatorIcEENS8_11hip_rocprim22execute_on_stream_baseEEENS8_11use_defaultESI_EEEENSA_INSB_IlSH_SI_SI_EEEEZNS1_13binary_searchIS3_S5_NSA_INS8_10device_ptrIiEEEESK_SM_NS1_21lower_bound_search_opENS9_16wrapped_functionINS8_6system6detail7generic6detail18binary_search_lessEbEEEE10hipError_tPvRmT1_T2_T3_mmT4_T5_P12ihipStream_tbEUlRKiE_EESZ_S13_S14_mS15_S18_bEUlT_E_NS1_11comp_targetILNS1_3genE3ELNS1_11target_archE908ELNS1_3gpuE7ELNS1_3repE0EEENS1_30default_config_static_selectorELNS0_4arch9wavefront6targetE0EEEvS12_.num_agpr, 0
	.set _ZN7rocprim17ROCPRIM_400000_NS6detail17trampoline_kernelINS0_14default_configENS1_27lower_bound_config_selectorIilEEZNS1_14transform_implILb0ES3_S5_N6thrust23THRUST_200600_302600_NS6detail15normal_iteratorINS8_7pointerIiNS9_22execute_with_allocatorINS8_16device_allocatorIcEENS8_11hip_rocprim22execute_on_stream_baseEEENS8_11use_defaultESI_EEEENSA_INSB_IlSH_SI_SI_EEEEZNS1_13binary_searchIS3_S5_NSA_INS8_10device_ptrIiEEEESK_SM_NS1_21lower_bound_search_opENS9_16wrapped_functionINS8_6system6detail7generic6detail18binary_search_lessEbEEEE10hipError_tPvRmT1_T2_T3_mmT4_T5_P12ihipStream_tbEUlRKiE_EESZ_S13_S14_mS15_S18_bEUlT_E_NS1_11comp_targetILNS1_3genE3ELNS1_11target_archE908ELNS1_3gpuE7ELNS1_3repE0EEENS1_30default_config_static_selectorELNS0_4arch9wavefront6targetE0EEEvS12_.numbered_sgpr, 0
	.set _ZN7rocprim17ROCPRIM_400000_NS6detail17trampoline_kernelINS0_14default_configENS1_27lower_bound_config_selectorIilEEZNS1_14transform_implILb0ES3_S5_N6thrust23THRUST_200600_302600_NS6detail15normal_iteratorINS8_7pointerIiNS9_22execute_with_allocatorINS8_16device_allocatorIcEENS8_11hip_rocprim22execute_on_stream_baseEEENS8_11use_defaultESI_EEEENSA_INSB_IlSH_SI_SI_EEEEZNS1_13binary_searchIS3_S5_NSA_INS8_10device_ptrIiEEEESK_SM_NS1_21lower_bound_search_opENS9_16wrapped_functionINS8_6system6detail7generic6detail18binary_search_lessEbEEEE10hipError_tPvRmT1_T2_T3_mmT4_T5_P12ihipStream_tbEUlRKiE_EESZ_S13_S14_mS15_S18_bEUlT_E_NS1_11comp_targetILNS1_3genE3ELNS1_11target_archE908ELNS1_3gpuE7ELNS1_3repE0EEENS1_30default_config_static_selectorELNS0_4arch9wavefront6targetE0EEEvS12_.num_named_barrier, 0
	.set _ZN7rocprim17ROCPRIM_400000_NS6detail17trampoline_kernelINS0_14default_configENS1_27lower_bound_config_selectorIilEEZNS1_14transform_implILb0ES3_S5_N6thrust23THRUST_200600_302600_NS6detail15normal_iteratorINS8_7pointerIiNS9_22execute_with_allocatorINS8_16device_allocatorIcEENS8_11hip_rocprim22execute_on_stream_baseEEENS8_11use_defaultESI_EEEENSA_INSB_IlSH_SI_SI_EEEEZNS1_13binary_searchIS3_S5_NSA_INS8_10device_ptrIiEEEESK_SM_NS1_21lower_bound_search_opENS9_16wrapped_functionINS8_6system6detail7generic6detail18binary_search_lessEbEEEE10hipError_tPvRmT1_T2_T3_mmT4_T5_P12ihipStream_tbEUlRKiE_EESZ_S13_S14_mS15_S18_bEUlT_E_NS1_11comp_targetILNS1_3genE3ELNS1_11target_archE908ELNS1_3gpuE7ELNS1_3repE0EEENS1_30default_config_static_selectorELNS0_4arch9wavefront6targetE0EEEvS12_.private_seg_size, 0
	.set _ZN7rocprim17ROCPRIM_400000_NS6detail17trampoline_kernelINS0_14default_configENS1_27lower_bound_config_selectorIilEEZNS1_14transform_implILb0ES3_S5_N6thrust23THRUST_200600_302600_NS6detail15normal_iteratorINS8_7pointerIiNS9_22execute_with_allocatorINS8_16device_allocatorIcEENS8_11hip_rocprim22execute_on_stream_baseEEENS8_11use_defaultESI_EEEENSA_INSB_IlSH_SI_SI_EEEEZNS1_13binary_searchIS3_S5_NSA_INS8_10device_ptrIiEEEESK_SM_NS1_21lower_bound_search_opENS9_16wrapped_functionINS8_6system6detail7generic6detail18binary_search_lessEbEEEE10hipError_tPvRmT1_T2_T3_mmT4_T5_P12ihipStream_tbEUlRKiE_EESZ_S13_S14_mS15_S18_bEUlT_E_NS1_11comp_targetILNS1_3genE3ELNS1_11target_archE908ELNS1_3gpuE7ELNS1_3repE0EEENS1_30default_config_static_selectorELNS0_4arch9wavefront6targetE0EEEvS12_.uses_vcc, 0
	.set _ZN7rocprim17ROCPRIM_400000_NS6detail17trampoline_kernelINS0_14default_configENS1_27lower_bound_config_selectorIilEEZNS1_14transform_implILb0ES3_S5_N6thrust23THRUST_200600_302600_NS6detail15normal_iteratorINS8_7pointerIiNS9_22execute_with_allocatorINS8_16device_allocatorIcEENS8_11hip_rocprim22execute_on_stream_baseEEENS8_11use_defaultESI_EEEENSA_INSB_IlSH_SI_SI_EEEEZNS1_13binary_searchIS3_S5_NSA_INS8_10device_ptrIiEEEESK_SM_NS1_21lower_bound_search_opENS9_16wrapped_functionINS8_6system6detail7generic6detail18binary_search_lessEbEEEE10hipError_tPvRmT1_T2_T3_mmT4_T5_P12ihipStream_tbEUlRKiE_EESZ_S13_S14_mS15_S18_bEUlT_E_NS1_11comp_targetILNS1_3genE3ELNS1_11target_archE908ELNS1_3gpuE7ELNS1_3repE0EEENS1_30default_config_static_selectorELNS0_4arch9wavefront6targetE0EEEvS12_.uses_flat_scratch, 0
	.set _ZN7rocprim17ROCPRIM_400000_NS6detail17trampoline_kernelINS0_14default_configENS1_27lower_bound_config_selectorIilEEZNS1_14transform_implILb0ES3_S5_N6thrust23THRUST_200600_302600_NS6detail15normal_iteratorINS8_7pointerIiNS9_22execute_with_allocatorINS8_16device_allocatorIcEENS8_11hip_rocprim22execute_on_stream_baseEEENS8_11use_defaultESI_EEEENSA_INSB_IlSH_SI_SI_EEEEZNS1_13binary_searchIS3_S5_NSA_INS8_10device_ptrIiEEEESK_SM_NS1_21lower_bound_search_opENS9_16wrapped_functionINS8_6system6detail7generic6detail18binary_search_lessEbEEEE10hipError_tPvRmT1_T2_T3_mmT4_T5_P12ihipStream_tbEUlRKiE_EESZ_S13_S14_mS15_S18_bEUlT_E_NS1_11comp_targetILNS1_3genE3ELNS1_11target_archE908ELNS1_3gpuE7ELNS1_3repE0EEENS1_30default_config_static_selectorELNS0_4arch9wavefront6targetE0EEEvS12_.has_dyn_sized_stack, 0
	.set _ZN7rocprim17ROCPRIM_400000_NS6detail17trampoline_kernelINS0_14default_configENS1_27lower_bound_config_selectorIilEEZNS1_14transform_implILb0ES3_S5_N6thrust23THRUST_200600_302600_NS6detail15normal_iteratorINS8_7pointerIiNS9_22execute_with_allocatorINS8_16device_allocatorIcEENS8_11hip_rocprim22execute_on_stream_baseEEENS8_11use_defaultESI_EEEENSA_INSB_IlSH_SI_SI_EEEEZNS1_13binary_searchIS3_S5_NSA_INS8_10device_ptrIiEEEESK_SM_NS1_21lower_bound_search_opENS9_16wrapped_functionINS8_6system6detail7generic6detail18binary_search_lessEbEEEE10hipError_tPvRmT1_T2_T3_mmT4_T5_P12ihipStream_tbEUlRKiE_EESZ_S13_S14_mS15_S18_bEUlT_E_NS1_11comp_targetILNS1_3genE3ELNS1_11target_archE908ELNS1_3gpuE7ELNS1_3repE0EEENS1_30default_config_static_selectorELNS0_4arch9wavefront6targetE0EEEvS12_.has_recursion, 0
	.set _ZN7rocprim17ROCPRIM_400000_NS6detail17trampoline_kernelINS0_14default_configENS1_27lower_bound_config_selectorIilEEZNS1_14transform_implILb0ES3_S5_N6thrust23THRUST_200600_302600_NS6detail15normal_iteratorINS8_7pointerIiNS9_22execute_with_allocatorINS8_16device_allocatorIcEENS8_11hip_rocprim22execute_on_stream_baseEEENS8_11use_defaultESI_EEEENSA_INSB_IlSH_SI_SI_EEEEZNS1_13binary_searchIS3_S5_NSA_INS8_10device_ptrIiEEEESK_SM_NS1_21lower_bound_search_opENS9_16wrapped_functionINS8_6system6detail7generic6detail18binary_search_lessEbEEEE10hipError_tPvRmT1_T2_T3_mmT4_T5_P12ihipStream_tbEUlRKiE_EESZ_S13_S14_mS15_S18_bEUlT_E_NS1_11comp_targetILNS1_3genE3ELNS1_11target_archE908ELNS1_3gpuE7ELNS1_3repE0EEENS1_30default_config_static_selectorELNS0_4arch9wavefront6targetE0EEEvS12_.has_indirect_call, 0
	.section	.AMDGPU.csdata,"",@progbits
; Kernel info:
; codeLenInByte = 0
; TotalNumSgprs: 0
; NumVgprs: 0
; ScratchSize: 0
; MemoryBound: 0
; FloatMode: 240
; IeeeMode: 1
; LDSByteSize: 0 bytes/workgroup (compile time only)
; SGPRBlocks: 0
; VGPRBlocks: 0
; NumSGPRsForWavesPerEU: 1
; NumVGPRsForWavesPerEU: 1
; Occupancy: 16
; WaveLimiterHint : 0
; COMPUTE_PGM_RSRC2:SCRATCH_EN: 0
; COMPUTE_PGM_RSRC2:USER_SGPR: 6
; COMPUTE_PGM_RSRC2:TRAP_HANDLER: 0
; COMPUTE_PGM_RSRC2:TGID_X_EN: 1
; COMPUTE_PGM_RSRC2:TGID_Y_EN: 0
; COMPUTE_PGM_RSRC2:TGID_Z_EN: 0
; COMPUTE_PGM_RSRC2:TIDIG_COMP_CNT: 0
	.section	.text._ZN7rocprim17ROCPRIM_400000_NS6detail17trampoline_kernelINS0_14default_configENS1_27lower_bound_config_selectorIilEEZNS1_14transform_implILb0ES3_S5_N6thrust23THRUST_200600_302600_NS6detail15normal_iteratorINS8_7pointerIiNS9_22execute_with_allocatorINS8_16device_allocatorIcEENS8_11hip_rocprim22execute_on_stream_baseEEENS8_11use_defaultESI_EEEENSA_INSB_IlSH_SI_SI_EEEEZNS1_13binary_searchIS3_S5_NSA_INS8_10device_ptrIiEEEESK_SM_NS1_21lower_bound_search_opENS9_16wrapped_functionINS8_6system6detail7generic6detail18binary_search_lessEbEEEE10hipError_tPvRmT1_T2_T3_mmT4_T5_P12ihipStream_tbEUlRKiE_EESZ_S13_S14_mS15_S18_bEUlT_E_NS1_11comp_targetILNS1_3genE2ELNS1_11target_archE906ELNS1_3gpuE6ELNS1_3repE0EEENS1_30default_config_static_selectorELNS0_4arch9wavefront6targetE0EEEvS12_,"axG",@progbits,_ZN7rocprim17ROCPRIM_400000_NS6detail17trampoline_kernelINS0_14default_configENS1_27lower_bound_config_selectorIilEEZNS1_14transform_implILb0ES3_S5_N6thrust23THRUST_200600_302600_NS6detail15normal_iteratorINS8_7pointerIiNS9_22execute_with_allocatorINS8_16device_allocatorIcEENS8_11hip_rocprim22execute_on_stream_baseEEENS8_11use_defaultESI_EEEENSA_INSB_IlSH_SI_SI_EEEEZNS1_13binary_searchIS3_S5_NSA_INS8_10device_ptrIiEEEESK_SM_NS1_21lower_bound_search_opENS9_16wrapped_functionINS8_6system6detail7generic6detail18binary_search_lessEbEEEE10hipError_tPvRmT1_T2_T3_mmT4_T5_P12ihipStream_tbEUlRKiE_EESZ_S13_S14_mS15_S18_bEUlT_E_NS1_11comp_targetILNS1_3genE2ELNS1_11target_archE906ELNS1_3gpuE6ELNS1_3repE0EEENS1_30default_config_static_selectorELNS0_4arch9wavefront6targetE0EEEvS12_,comdat
	.protected	_ZN7rocprim17ROCPRIM_400000_NS6detail17trampoline_kernelINS0_14default_configENS1_27lower_bound_config_selectorIilEEZNS1_14transform_implILb0ES3_S5_N6thrust23THRUST_200600_302600_NS6detail15normal_iteratorINS8_7pointerIiNS9_22execute_with_allocatorINS8_16device_allocatorIcEENS8_11hip_rocprim22execute_on_stream_baseEEENS8_11use_defaultESI_EEEENSA_INSB_IlSH_SI_SI_EEEEZNS1_13binary_searchIS3_S5_NSA_INS8_10device_ptrIiEEEESK_SM_NS1_21lower_bound_search_opENS9_16wrapped_functionINS8_6system6detail7generic6detail18binary_search_lessEbEEEE10hipError_tPvRmT1_T2_T3_mmT4_T5_P12ihipStream_tbEUlRKiE_EESZ_S13_S14_mS15_S18_bEUlT_E_NS1_11comp_targetILNS1_3genE2ELNS1_11target_archE906ELNS1_3gpuE6ELNS1_3repE0EEENS1_30default_config_static_selectorELNS0_4arch9wavefront6targetE0EEEvS12_ ; -- Begin function _ZN7rocprim17ROCPRIM_400000_NS6detail17trampoline_kernelINS0_14default_configENS1_27lower_bound_config_selectorIilEEZNS1_14transform_implILb0ES3_S5_N6thrust23THRUST_200600_302600_NS6detail15normal_iteratorINS8_7pointerIiNS9_22execute_with_allocatorINS8_16device_allocatorIcEENS8_11hip_rocprim22execute_on_stream_baseEEENS8_11use_defaultESI_EEEENSA_INSB_IlSH_SI_SI_EEEEZNS1_13binary_searchIS3_S5_NSA_INS8_10device_ptrIiEEEESK_SM_NS1_21lower_bound_search_opENS9_16wrapped_functionINS8_6system6detail7generic6detail18binary_search_lessEbEEEE10hipError_tPvRmT1_T2_T3_mmT4_T5_P12ihipStream_tbEUlRKiE_EESZ_S13_S14_mS15_S18_bEUlT_E_NS1_11comp_targetILNS1_3genE2ELNS1_11target_archE906ELNS1_3gpuE6ELNS1_3repE0EEENS1_30default_config_static_selectorELNS0_4arch9wavefront6targetE0EEEvS12_
	.globl	_ZN7rocprim17ROCPRIM_400000_NS6detail17trampoline_kernelINS0_14default_configENS1_27lower_bound_config_selectorIilEEZNS1_14transform_implILb0ES3_S5_N6thrust23THRUST_200600_302600_NS6detail15normal_iteratorINS8_7pointerIiNS9_22execute_with_allocatorINS8_16device_allocatorIcEENS8_11hip_rocprim22execute_on_stream_baseEEENS8_11use_defaultESI_EEEENSA_INSB_IlSH_SI_SI_EEEEZNS1_13binary_searchIS3_S5_NSA_INS8_10device_ptrIiEEEESK_SM_NS1_21lower_bound_search_opENS9_16wrapped_functionINS8_6system6detail7generic6detail18binary_search_lessEbEEEE10hipError_tPvRmT1_T2_T3_mmT4_T5_P12ihipStream_tbEUlRKiE_EESZ_S13_S14_mS15_S18_bEUlT_E_NS1_11comp_targetILNS1_3genE2ELNS1_11target_archE906ELNS1_3gpuE6ELNS1_3repE0EEENS1_30default_config_static_selectorELNS0_4arch9wavefront6targetE0EEEvS12_
	.p2align	8
	.type	_ZN7rocprim17ROCPRIM_400000_NS6detail17trampoline_kernelINS0_14default_configENS1_27lower_bound_config_selectorIilEEZNS1_14transform_implILb0ES3_S5_N6thrust23THRUST_200600_302600_NS6detail15normal_iteratorINS8_7pointerIiNS9_22execute_with_allocatorINS8_16device_allocatorIcEENS8_11hip_rocprim22execute_on_stream_baseEEENS8_11use_defaultESI_EEEENSA_INSB_IlSH_SI_SI_EEEEZNS1_13binary_searchIS3_S5_NSA_INS8_10device_ptrIiEEEESK_SM_NS1_21lower_bound_search_opENS9_16wrapped_functionINS8_6system6detail7generic6detail18binary_search_lessEbEEEE10hipError_tPvRmT1_T2_T3_mmT4_T5_P12ihipStream_tbEUlRKiE_EESZ_S13_S14_mS15_S18_bEUlT_E_NS1_11comp_targetILNS1_3genE2ELNS1_11target_archE906ELNS1_3gpuE6ELNS1_3repE0EEENS1_30default_config_static_selectorELNS0_4arch9wavefront6targetE0EEEvS12_,@function
_ZN7rocprim17ROCPRIM_400000_NS6detail17trampoline_kernelINS0_14default_configENS1_27lower_bound_config_selectorIilEEZNS1_14transform_implILb0ES3_S5_N6thrust23THRUST_200600_302600_NS6detail15normal_iteratorINS8_7pointerIiNS9_22execute_with_allocatorINS8_16device_allocatorIcEENS8_11hip_rocprim22execute_on_stream_baseEEENS8_11use_defaultESI_EEEENSA_INSB_IlSH_SI_SI_EEEEZNS1_13binary_searchIS3_S5_NSA_INS8_10device_ptrIiEEEESK_SM_NS1_21lower_bound_search_opENS9_16wrapped_functionINS8_6system6detail7generic6detail18binary_search_lessEbEEEE10hipError_tPvRmT1_T2_T3_mmT4_T5_P12ihipStream_tbEUlRKiE_EESZ_S13_S14_mS15_S18_bEUlT_E_NS1_11comp_targetILNS1_3genE2ELNS1_11target_archE906ELNS1_3gpuE6ELNS1_3repE0EEENS1_30default_config_static_selectorELNS0_4arch9wavefront6targetE0EEEvS12_: ; @_ZN7rocprim17ROCPRIM_400000_NS6detail17trampoline_kernelINS0_14default_configENS1_27lower_bound_config_selectorIilEEZNS1_14transform_implILb0ES3_S5_N6thrust23THRUST_200600_302600_NS6detail15normal_iteratorINS8_7pointerIiNS9_22execute_with_allocatorINS8_16device_allocatorIcEENS8_11hip_rocprim22execute_on_stream_baseEEENS8_11use_defaultESI_EEEENSA_INSB_IlSH_SI_SI_EEEEZNS1_13binary_searchIS3_S5_NSA_INS8_10device_ptrIiEEEESK_SM_NS1_21lower_bound_search_opENS9_16wrapped_functionINS8_6system6detail7generic6detail18binary_search_lessEbEEEE10hipError_tPvRmT1_T2_T3_mmT4_T5_P12ihipStream_tbEUlRKiE_EESZ_S13_S14_mS15_S18_bEUlT_E_NS1_11comp_targetILNS1_3genE2ELNS1_11target_archE906ELNS1_3gpuE6ELNS1_3repE0EEENS1_30default_config_static_selectorELNS0_4arch9wavefront6targetE0EEEvS12_
; %bb.0:
	.section	.rodata,"a",@progbits
	.p2align	6, 0x0
	.amdhsa_kernel _ZN7rocprim17ROCPRIM_400000_NS6detail17trampoline_kernelINS0_14default_configENS1_27lower_bound_config_selectorIilEEZNS1_14transform_implILb0ES3_S5_N6thrust23THRUST_200600_302600_NS6detail15normal_iteratorINS8_7pointerIiNS9_22execute_with_allocatorINS8_16device_allocatorIcEENS8_11hip_rocprim22execute_on_stream_baseEEENS8_11use_defaultESI_EEEENSA_INSB_IlSH_SI_SI_EEEEZNS1_13binary_searchIS3_S5_NSA_INS8_10device_ptrIiEEEESK_SM_NS1_21lower_bound_search_opENS9_16wrapped_functionINS8_6system6detail7generic6detail18binary_search_lessEbEEEE10hipError_tPvRmT1_T2_T3_mmT4_T5_P12ihipStream_tbEUlRKiE_EESZ_S13_S14_mS15_S18_bEUlT_E_NS1_11comp_targetILNS1_3genE2ELNS1_11target_archE906ELNS1_3gpuE6ELNS1_3repE0EEENS1_30default_config_static_selectorELNS0_4arch9wavefront6targetE0EEEvS12_
		.amdhsa_group_segment_fixed_size 0
		.amdhsa_private_segment_fixed_size 0
		.amdhsa_kernarg_size 56
		.amdhsa_user_sgpr_count 6
		.amdhsa_user_sgpr_private_segment_buffer 1
		.amdhsa_user_sgpr_dispatch_ptr 0
		.amdhsa_user_sgpr_queue_ptr 0
		.amdhsa_user_sgpr_kernarg_segment_ptr 1
		.amdhsa_user_sgpr_dispatch_id 0
		.amdhsa_user_sgpr_flat_scratch_init 0
		.amdhsa_user_sgpr_private_segment_size 0
		.amdhsa_wavefront_size32 1
		.amdhsa_uses_dynamic_stack 0
		.amdhsa_system_sgpr_private_segment_wavefront_offset 0
		.amdhsa_system_sgpr_workgroup_id_x 1
		.amdhsa_system_sgpr_workgroup_id_y 0
		.amdhsa_system_sgpr_workgroup_id_z 0
		.amdhsa_system_sgpr_workgroup_info 0
		.amdhsa_system_vgpr_workitem_id 0
		.amdhsa_next_free_vgpr 1
		.amdhsa_next_free_sgpr 1
		.amdhsa_reserve_vcc 0
		.amdhsa_reserve_flat_scratch 0
		.amdhsa_float_round_mode_32 0
		.amdhsa_float_round_mode_16_64 0
		.amdhsa_float_denorm_mode_32 3
		.amdhsa_float_denorm_mode_16_64 3
		.amdhsa_dx10_clamp 1
		.amdhsa_ieee_mode 1
		.amdhsa_fp16_overflow 0
		.amdhsa_workgroup_processor_mode 1
		.amdhsa_memory_ordered 1
		.amdhsa_forward_progress 1
		.amdhsa_shared_vgpr_count 0
		.amdhsa_exception_fp_ieee_invalid_op 0
		.amdhsa_exception_fp_denorm_src 0
		.amdhsa_exception_fp_ieee_div_zero 0
		.amdhsa_exception_fp_ieee_overflow 0
		.amdhsa_exception_fp_ieee_underflow 0
		.amdhsa_exception_fp_ieee_inexact 0
		.amdhsa_exception_int_div_zero 0
	.end_amdhsa_kernel
	.section	.text._ZN7rocprim17ROCPRIM_400000_NS6detail17trampoline_kernelINS0_14default_configENS1_27lower_bound_config_selectorIilEEZNS1_14transform_implILb0ES3_S5_N6thrust23THRUST_200600_302600_NS6detail15normal_iteratorINS8_7pointerIiNS9_22execute_with_allocatorINS8_16device_allocatorIcEENS8_11hip_rocprim22execute_on_stream_baseEEENS8_11use_defaultESI_EEEENSA_INSB_IlSH_SI_SI_EEEEZNS1_13binary_searchIS3_S5_NSA_INS8_10device_ptrIiEEEESK_SM_NS1_21lower_bound_search_opENS9_16wrapped_functionINS8_6system6detail7generic6detail18binary_search_lessEbEEEE10hipError_tPvRmT1_T2_T3_mmT4_T5_P12ihipStream_tbEUlRKiE_EESZ_S13_S14_mS15_S18_bEUlT_E_NS1_11comp_targetILNS1_3genE2ELNS1_11target_archE906ELNS1_3gpuE6ELNS1_3repE0EEENS1_30default_config_static_selectorELNS0_4arch9wavefront6targetE0EEEvS12_,"axG",@progbits,_ZN7rocprim17ROCPRIM_400000_NS6detail17trampoline_kernelINS0_14default_configENS1_27lower_bound_config_selectorIilEEZNS1_14transform_implILb0ES3_S5_N6thrust23THRUST_200600_302600_NS6detail15normal_iteratorINS8_7pointerIiNS9_22execute_with_allocatorINS8_16device_allocatorIcEENS8_11hip_rocprim22execute_on_stream_baseEEENS8_11use_defaultESI_EEEENSA_INSB_IlSH_SI_SI_EEEEZNS1_13binary_searchIS3_S5_NSA_INS8_10device_ptrIiEEEESK_SM_NS1_21lower_bound_search_opENS9_16wrapped_functionINS8_6system6detail7generic6detail18binary_search_lessEbEEEE10hipError_tPvRmT1_T2_T3_mmT4_T5_P12ihipStream_tbEUlRKiE_EESZ_S13_S14_mS15_S18_bEUlT_E_NS1_11comp_targetILNS1_3genE2ELNS1_11target_archE906ELNS1_3gpuE6ELNS1_3repE0EEENS1_30default_config_static_selectorELNS0_4arch9wavefront6targetE0EEEvS12_,comdat
.Lfunc_end774:
	.size	_ZN7rocprim17ROCPRIM_400000_NS6detail17trampoline_kernelINS0_14default_configENS1_27lower_bound_config_selectorIilEEZNS1_14transform_implILb0ES3_S5_N6thrust23THRUST_200600_302600_NS6detail15normal_iteratorINS8_7pointerIiNS9_22execute_with_allocatorINS8_16device_allocatorIcEENS8_11hip_rocprim22execute_on_stream_baseEEENS8_11use_defaultESI_EEEENSA_INSB_IlSH_SI_SI_EEEEZNS1_13binary_searchIS3_S5_NSA_INS8_10device_ptrIiEEEESK_SM_NS1_21lower_bound_search_opENS9_16wrapped_functionINS8_6system6detail7generic6detail18binary_search_lessEbEEEE10hipError_tPvRmT1_T2_T3_mmT4_T5_P12ihipStream_tbEUlRKiE_EESZ_S13_S14_mS15_S18_bEUlT_E_NS1_11comp_targetILNS1_3genE2ELNS1_11target_archE906ELNS1_3gpuE6ELNS1_3repE0EEENS1_30default_config_static_selectorELNS0_4arch9wavefront6targetE0EEEvS12_, .Lfunc_end774-_ZN7rocprim17ROCPRIM_400000_NS6detail17trampoline_kernelINS0_14default_configENS1_27lower_bound_config_selectorIilEEZNS1_14transform_implILb0ES3_S5_N6thrust23THRUST_200600_302600_NS6detail15normal_iteratorINS8_7pointerIiNS9_22execute_with_allocatorINS8_16device_allocatorIcEENS8_11hip_rocprim22execute_on_stream_baseEEENS8_11use_defaultESI_EEEENSA_INSB_IlSH_SI_SI_EEEEZNS1_13binary_searchIS3_S5_NSA_INS8_10device_ptrIiEEEESK_SM_NS1_21lower_bound_search_opENS9_16wrapped_functionINS8_6system6detail7generic6detail18binary_search_lessEbEEEE10hipError_tPvRmT1_T2_T3_mmT4_T5_P12ihipStream_tbEUlRKiE_EESZ_S13_S14_mS15_S18_bEUlT_E_NS1_11comp_targetILNS1_3genE2ELNS1_11target_archE906ELNS1_3gpuE6ELNS1_3repE0EEENS1_30default_config_static_selectorELNS0_4arch9wavefront6targetE0EEEvS12_
                                        ; -- End function
	.set _ZN7rocprim17ROCPRIM_400000_NS6detail17trampoline_kernelINS0_14default_configENS1_27lower_bound_config_selectorIilEEZNS1_14transform_implILb0ES3_S5_N6thrust23THRUST_200600_302600_NS6detail15normal_iteratorINS8_7pointerIiNS9_22execute_with_allocatorINS8_16device_allocatorIcEENS8_11hip_rocprim22execute_on_stream_baseEEENS8_11use_defaultESI_EEEENSA_INSB_IlSH_SI_SI_EEEEZNS1_13binary_searchIS3_S5_NSA_INS8_10device_ptrIiEEEESK_SM_NS1_21lower_bound_search_opENS9_16wrapped_functionINS8_6system6detail7generic6detail18binary_search_lessEbEEEE10hipError_tPvRmT1_T2_T3_mmT4_T5_P12ihipStream_tbEUlRKiE_EESZ_S13_S14_mS15_S18_bEUlT_E_NS1_11comp_targetILNS1_3genE2ELNS1_11target_archE906ELNS1_3gpuE6ELNS1_3repE0EEENS1_30default_config_static_selectorELNS0_4arch9wavefront6targetE0EEEvS12_.num_vgpr, 0
	.set _ZN7rocprim17ROCPRIM_400000_NS6detail17trampoline_kernelINS0_14default_configENS1_27lower_bound_config_selectorIilEEZNS1_14transform_implILb0ES3_S5_N6thrust23THRUST_200600_302600_NS6detail15normal_iteratorINS8_7pointerIiNS9_22execute_with_allocatorINS8_16device_allocatorIcEENS8_11hip_rocprim22execute_on_stream_baseEEENS8_11use_defaultESI_EEEENSA_INSB_IlSH_SI_SI_EEEEZNS1_13binary_searchIS3_S5_NSA_INS8_10device_ptrIiEEEESK_SM_NS1_21lower_bound_search_opENS9_16wrapped_functionINS8_6system6detail7generic6detail18binary_search_lessEbEEEE10hipError_tPvRmT1_T2_T3_mmT4_T5_P12ihipStream_tbEUlRKiE_EESZ_S13_S14_mS15_S18_bEUlT_E_NS1_11comp_targetILNS1_3genE2ELNS1_11target_archE906ELNS1_3gpuE6ELNS1_3repE0EEENS1_30default_config_static_selectorELNS0_4arch9wavefront6targetE0EEEvS12_.num_agpr, 0
	.set _ZN7rocprim17ROCPRIM_400000_NS6detail17trampoline_kernelINS0_14default_configENS1_27lower_bound_config_selectorIilEEZNS1_14transform_implILb0ES3_S5_N6thrust23THRUST_200600_302600_NS6detail15normal_iteratorINS8_7pointerIiNS9_22execute_with_allocatorINS8_16device_allocatorIcEENS8_11hip_rocprim22execute_on_stream_baseEEENS8_11use_defaultESI_EEEENSA_INSB_IlSH_SI_SI_EEEEZNS1_13binary_searchIS3_S5_NSA_INS8_10device_ptrIiEEEESK_SM_NS1_21lower_bound_search_opENS9_16wrapped_functionINS8_6system6detail7generic6detail18binary_search_lessEbEEEE10hipError_tPvRmT1_T2_T3_mmT4_T5_P12ihipStream_tbEUlRKiE_EESZ_S13_S14_mS15_S18_bEUlT_E_NS1_11comp_targetILNS1_3genE2ELNS1_11target_archE906ELNS1_3gpuE6ELNS1_3repE0EEENS1_30default_config_static_selectorELNS0_4arch9wavefront6targetE0EEEvS12_.numbered_sgpr, 0
	.set _ZN7rocprim17ROCPRIM_400000_NS6detail17trampoline_kernelINS0_14default_configENS1_27lower_bound_config_selectorIilEEZNS1_14transform_implILb0ES3_S5_N6thrust23THRUST_200600_302600_NS6detail15normal_iteratorINS8_7pointerIiNS9_22execute_with_allocatorINS8_16device_allocatorIcEENS8_11hip_rocprim22execute_on_stream_baseEEENS8_11use_defaultESI_EEEENSA_INSB_IlSH_SI_SI_EEEEZNS1_13binary_searchIS3_S5_NSA_INS8_10device_ptrIiEEEESK_SM_NS1_21lower_bound_search_opENS9_16wrapped_functionINS8_6system6detail7generic6detail18binary_search_lessEbEEEE10hipError_tPvRmT1_T2_T3_mmT4_T5_P12ihipStream_tbEUlRKiE_EESZ_S13_S14_mS15_S18_bEUlT_E_NS1_11comp_targetILNS1_3genE2ELNS1_11target_archE906ELNS1_3gpuE6ELNS1_3repE0EEENS1_30default_config_static_selectorELNS0_4arch9wavefront6targetE0EEEvS12_.num_named_barrier, 0
	.set _ZN7rocprim17ROCPRIM_400000_NS6detail17trampoline_kernelINS0_14default_configENS1_27lower_bound_config_selectorIilEEZNS1_14transform_implILb0ES3_S5_N6thrust23THRUST_200600_302600_NS6detail15normal_iteratorINS8_7pointerIiNS9_22execute_with_allocatorINS8_16device_allocatorIcEENS8_11hip_rocprim22execute_on_stream_baseEEENS8_11use_defaultESI_EEEENSA_INSB_IlSH_SI_SI_EEEEZNS1_13binary_searchIS3_S5_NSA_INS8_10device_ptrIiEEEESK_SM_NS1_21lower_bound_search_opENS9_16wrapped_functionINS8_6system6detail7generic6detail18binary_search_lessEbEEEE10hipError_tPvRmT1_T2_T3_mmT4_T5_P12ihipStream_tbEUlRKiE_EESZ_S13_S14_mS15_S18_bEUlT_E_NS1_11comp_targetILNS1_3genE2ELNS1_11target_archE906ELNS1_3gpuE6ELNS1_3repE0EEENS1_30default_config_static_selectorELNS0_4arch9wavefront6targetE0EEEvS12_.private_seg_size, 0
	.set _ZN7rocprim17ROCPRIM_400000_NS6detail17trampoline_kernelINS0_14default_configENS1_27lower_bound_config_selectorIilEEZNS1_14transform_implILb0ES3_S5_N6thrust23THRUST_200600_302600_NS6detail15normal_iteratorINS8_7pointerIiNS9_22execute_with_allocatorINS8_16device_allocatorIcEENS8_11hip_rocprim22execute_on_stream_baseEEENS8_11use_defaultESI_EEEENSA_INSB_IlSH_SI_SI_EEEEZNS1_13binary_searchIS3_S5_NSA_INS8_10device_ptrIiEEEESK_SM_NS1_21lower_bound_search_opENS9_16wrapped_functionINS8_6system6detail7generic6detail18binary_search_lessEbEEEE10hipError_tPvRmT1_T2_T3_mmT4_T5_P12ihipStream_tbEUlRKiE_EESZ_S13_S14_mS15_S18_bEUlT_E_NS1_11comp_targetILNS1_3genE2ELNS1_11target_archE906ELNS1_3gpuE6ELNS1_3repE0EEENS1_30default_config_static_selectorELNS0_4arch9wavefront6targetE0EEEvS12_.uses_vcc, 0
	.set _ZN7rocprim17ROCPRIM_400000_NS6detail17trampoline_kernelINS0_14default_configENS1_27lower_bound_config_selectorIilEEZNS1_14transform_implILb0ES3_S5_N6thrust23THRUST_200600_302600_NS6detail15normal_iteratorINS8_7pointerIiNS9_22execute_with_allocatorINS8_16device_allocatorIcEENS8_11hip_rocprim22execute_on_stream_baseEEENS8_11use_defaultESI_EEEENSA_INSB_IlSH_SI_SI_EEEEZNS1_13binary_searchIS3_S5_NSA_INS8_10device_ptrIiEEEESK_SM_NS1_21lower_bound_search_opENS9_16wrapped_functionINS8_6system6detail7generic6detail18binary_search_lessEbEEEE10hipError_tPvRmT1_T2_T3_mmT4_T5_P12ihipStream_tbEUlRKiE_EESZ_S13_S14_mS15_S18_bEUlT_E_NS1_11comp_targetILNS1_3genE2ELNS1_11target_archE906ELNS1_3gpuE6ELNS1_3repE0EEENS1_30default_config_static_selectorELNS0_4arch9wavefront6targetE0EEEvS12_.uses_flat_scratch, 0
	.set _ZN7rocprim17ROCPRIM_400000_NS6detail17trampoline_kernelINS0_14default_configENS1_27lower_bound_config_selectorIilEEZNS1_14transform_implILb0ES3_S5_N6thrust23THRUST_200600_302600_NS6detail15normal_iteratorINS8_7pointerIiNS9_22execute_with_allocatorINS8_16device_allocatorIcEENS8_11hip_rocprim22execute_on_stream_baseEEENS8_11use_defaultESI_EEEENSA_INSB_IlSH_SI_SI_EEEEZNS1_13binary_searchIS3_S5_NSA_INS8_10device_ptrIiEEEESK_SM_NS1_21lower_bound_search_opENS9_16wrapped_functionINS8_6system6detail7generic6detail18binary_search_lessEbEEEE10hipError_tPvRmT1_T2_T3_mmT4_T5_P12ihipStream_tbEUlRKiE_EESZ_S13_S14_mS15_S18_bEUlT_E_NS1_11comp_targetILNS1_3genE2ELNS1_11target_archE906ELNS1_3gpuE6ELNS1_3repE0EEENS1_30default_config_static_selectorELNS0_4arch9wavefront6targetE0EEEvS12_.has_dyn_sized_stack, 0
	.set _ZN7rocprim17ROCPRIM_400000_NS6detail17trampoline_kernelINS0_14default_configENS1_27lower_bound_config_selectorIilEEZNS1_14transform_implILb0ES3_S5_N6thrust23THRUST_200600_302600_NS6detail15normal_iteratorINS8_7pointerIiNS9_22execute_with_allocatorINS8_16device_allocatorIcEENS8_11hip_rocprim22execute_on_stream_baseEEENS8_11use_defaultESI_EEEENSA_INSB_IlSH_SI_SI_EEEEZNS1_13binary_searchIS3_S5_NSA_INS8_10device_ptrIiEEEESK_SM_NS1_21lower_bound_search_opENS9_16wrapped_functionINS8_6system6detail7generic6detail18binary_search_lessEbEEEE10hipError_tPvRmT1_T2_T3_mmT4_T5_P12ihipStream_tbEUlRKiE_EESZ_S13_S14_mS15_S18_bEUlT_E_NS1_11comp_targetILNS1_3genE2ELNS1_11target_archE906ELNS1_3gpuE6ELNS1_3repE0EEENS1_30default_config_static_selectorELNS0_4arch9wavefront6targetE0EEEvS12_.has_recursion, 0
	.set _ZN7rocprim17ROCPRIM_400000_NS6detail17trampoline_kernelINS0_14default_configENS1_27lower_bound_config_selectorIilEEZNS1_14transform_implILb0ES3_S5_N6thrust23THRUST_200600_302600_NS6detail15normal_iteratorINS8_7pointerIiNS9_22execute_with_allocatorINS8_16device_allocatorIcEENS8_11hip_rocprim22execute_on_stream_baseEEENS8_11use_defaultESI_EEEENSA_INSB_IlSH_SI_SI_EEEEZNS1_13binary_searchIS3_S5_NSA_INS8_10device_ptrIiEEEESK_SM_NS1_21lower_bound_search_opENS9_16wrapped_functionINS8_6system6detail7generic6detail18binary_search_lessEbEEEE10hipError_tPvRmT1_T2_T3_mmT4_T5_P12ihipStream_tbEUlRKiE_EESZ_S13_S14_mS15_S18_bEUlT_E_NS1_11comp_targetILNS1_3genE2ELNS1_11target_archE906ELNS1_3gpuE6ELNS1_3repE0EEENS1_30default_config_static_selectorELNS0_4arch9wavefront6targetE0EEEvS12_.has_indirect_call, 0
	.section	.AMDGPU.csdata,"",@progbits
; Kernel info:
; codeLenInByte = 0
; TotalNumSgprs: 0
; NumVgprs: 0
; ScratchSize: 0
; MemoryBound: 0
; FloatMode: 240
; IeeeMode: 1
; LDSByteSize: 0 bytes/workgroup (compile time only)
; SGPRBlocks: 0
; VGPRBlocks: 0
; NumSGPRsForWavesPerEU: 1
; NumVGPRsForWavesPerEU: 1
; Occupancy: 16
; WaveLimiterHint : 0
; COMPUTE_PGM_RSRC2:SCRATCH_EN: 0
; COMPUTE_PGM_RSRC2:USER_SGPR: 6
; COMPUTE_PGM_RSRC2:TRAP_HANDLER: 0
; COMPUTE_PGM_RSRC2:TGID_X_EN: 1
; COMPUTE_PGM_RSRC2:TGID_Y_EN: 0
; COMPUTE_PGM_RSRC2:TGID_Z_EN: 0
; COMPUTE_PGM_RSRC2:TIDIG_COMP_CNT: 0
	.section	.text._ZN7rocprim17ROCPRIM_400000_NS6detail17trampoline_kernelINS0_14default_configENS1_27lower_bound_config_selectorIilEEZNS1_14transform_implILb0ES3_S5_N6thrust23THRUST_200600_302600_NS6detail15normal_iteratorINS8_7pointerIiNS9_22execute_with_allocatorINS8_16device_allocatorIcEENS8_11hip_rocprim22execute_on_stream_baseEEENS8_11use_defaultESI_EEEENSA_INSB_IlSH_SI_SI_EEEEZNS1_13binary_searchIS3_S5_NSA_INS8_10device_ptrIiEEEESK_SM_NS1_21lower_bound_search_opENS9_16wrapped_functionINS8_6system6detail7generic6detail18binary_search_lessEbEEEE10hipError_tPvRmT1_T2_T3_mmT4_T5_P12ihipStream_tbEUlRKiE_EESZ_S13_S14_mS15_S18_bEUlT_E_NS1_11comp_targetILNS1_3genE10ELNS1_11target_archE1201ELNS1_3gpuE5ELNS1_3repE0EEENS1_30default_config_static_selectorELNS0_4arch9wavefront6targetE0EEEvS12_,"axG",@progbits,_ZN7rocprim17ROCPRIM_400000_NS6detail17trampoline_kernelINS0_14default_configENS1_27lower_bound_config_selectorIilEEZNS1_14transform_implILb0ES3_S5_N6thrust23THRUST_200600_302600_NS6detail15normal_iteratorINS8_7pointerIiNS9_22execute_with_allocatorINS8_16device_allocatorIcEENS8_11hip_rocprim22execute_on_stream_baseEEENS8_11use_defaultESI_EEEENSA_INSB_IlSH_SI_SI_EEEEZNS1_13binary_searchIS3_S5_NSA_INS8_10device_ptrIiEEEESK_SM_NS1_21lower_bound_search_opENS9_16wrapped_functionINS8_6system6detail7generic6detail18binary_search_lessEbEEEE10hipError_tPvRmT1_T2_T3_mmT4_T5_P12ihipStream_tbEUlRKiE_EESZ_S13_S14_mS15_S18_bEUlT_E_NS1_11comp_targetILNS1_3genE10ELNS1_11target_archE1201ELNS1_3gpuE5ELNS1_3repE0EEENS1_30default_config_static_selectorELNS0_4arch9wavefront6targetE0EEEvS12_,comdat
	.protected	_ZN7rocprim17ROCPRIM_400000_NS6detail17trampoline_kernelINS0_14default_configENS1_27lower_bound_config_selectorIilEEZNS1_14transform_implILb0ES3_S5_N6thrust23THRUST_200600_302600_NS6detail15normal_iteratorINS8_7pointerIiNS9_22execute_with_allocatorINS8_16device_allocatorIcEENS8_11hip_rocprim22execute_on_stream_baseEEENS8_11use_defaultESI_EEEENSA_INSB_IlSH_SI_SI_EEEEZNS1_13binary_searchIS3_S5_NSA_INS8_10device_ptrIiEEEESK_SM_NS1_21lower_bound_search_opENS9_16wrapped_functionINS8_6system6detail7generic6detail18binary_search_lessEbEEEE10hipError_tPvRmT1_T2_T3_mmT4_T5_P12ihipStream_tbEUlRKiE_EESZ_S13_S14_mS15_S18_bEUlT_E_NS1_11comp_targetILNS1_3genE10ELNS1_11target_archE1201ELNS1_3gpuE5ELNS1_3repE0EEENS1_30default_config_static_selectorELNS0_4arch9wavefront6targetE0EEEvS12_ ; -- Begin function _ZN7rocprim17ROCPRIM_400000_NS6detail17trampoline_kernelINS0_14default_configENS1_27lower_bound_config_selectorIilEEZNS1_14transform_implILb0ES3_S5_N6thrust23THRUST_200600_302600_NS6detail15normal_iteratorINS8_7pointerIiNS9_22execute_with_allocatorINS8_16device_allocatorIcEENS8_11hip_rocprim22execute_on_stream_baseEEENS8_11use_defaultESI_EEEENSA_INSB_IlSH_SI_SI_EEEEZNS1_13binary_searchIS3_S5_NSA_INS8_10device_ptrIiEEEESK_SM_NS1_21lower_bound_search_opENS9_16wrapped_functionINS8_6system6detail7generic6detail18binary_search_lessEbEEEE10hipError_tPvRmT1_T2_T3_mmT4_T5_P12ihipStream_tbEUlRKiE_EESZ_S13_S14_mS15_S18_bEUlT_E_NS1_11comp_targetILNS1_3genE10ELNS1_11target_archE1201ELNS1_3gpuE5ELNS1_3repE0EEENS1_30default_config_static_selectorELNS0_4arch9wavefront6targetE0EEEvS12_
	.globl	_ZN7rocprim17ROCPRIM_400000_NS6detail17trampoline_kernelINS0_14default_configENS1_27lower_bound_config_selectorIilEEZNS1_14transform_implILb0ES3_S5_N6thrust23THRUST_200600_302600_NS6detail15normal_iteratorINS8_7pointerIiNS9_22execute_with_allocatorINS8_16device_allocatorIcEENS8_11hip_rocprim22execute_on_stream_baseEEENS8_11use_defaultESI_EEEENSA_INSB_IlSH_SI_SI_EEEEZNS1_13binary_searchIS3_S5_NSA_INS8_10device_ptrIiEEEESK_SM_NS1_21lower_bound_search_opENS9_16wrapped_functionINS8_6system6detail7generic6detail18binary_search_lessEbEEEE10hipError_tPvRmT1_T2_T3_mmT4_T5_P12ihipStream_tbEUlRKiE_EESZ_S13_S14_mS15_S18_bEUlT_E_NS1_11comp_targetILNS1_3genE10ELNS1_11target_archE1201ELNS1_3gpuE5ELNS1_3repE0EEENS1_30default_config_static_selectorELNS0_4arch9wavefront6targetE0EEEvS12_
	.p2align	8
	.type	_ZN7rocprim17ROCPRIM_400000_NS6detail17trampoline_kernelINS0_14default_configENS1_27lower_bound_config_selectorIilEEZNS1_14transform_implILb0ES3_S5_N6thrust23THRUST_200600_302600_NS6detail15normal_iteratorINS8_7pointerIiNS9_22execute_with_allocatorINS8_16device_allocatorIcEENS8_11hip_rocprim22execute_on_stream_baseEEENS8_11use_defaultESI_EEEENSA_INSB_IlSH_SI_SI_EEEEZNS1_13binary_searchIS3_S5_NSA_INS8_10device_ptrIiEEEESK_SM_NS1_21lower_bound_search_opENS9_16wrapped_functionINS8_6system6detail7generic6detail18binary_search_lessEbEEEE10hipError_tPvRmT1_T2_T3_mmT4_T5_P12ihipStream_tbEUlRKiE_EESZ_S13_S14_mS15_S18_bEUlT_E_NS1_11comp_targetILNS1_3genE10ELNS1_11target_archE1201ELNS1_3gpuE5ELNS1_3repE0EEENS1_30default_config_static_selectorELNS0_4arch9wavefront6targetE0EEEvS12_,@function
_ZN7rocprim17ROCPRIM_400000_NS6detail17trampoline_kernelINS0_14default_configENS1_27lower_bound_config_selectorIilEEZNS1_14transform_implILb0ES3_S5_N6thrust23THRUST_200600_302600_NS6detail15normal_iteratorINS8_7pointerIiNS9_22execute_with_allocatorINS8_16device_allocatorIcEENS8_11hip_rocprim22execute_on_stream_baseEEENS8_11use_defaultESI_EEEENSA_INSB_IlSH_SI_SI_EEEEZNS1_13binary_searchIS3_S5_NSA_INS8_10device_ptrIiEEEESK_SM_NS1_21lower_bound_search_opENS9_16wrapped_functionINS8_6system6detail7generic6detail18binary_search_lessEbEEEE10hipError_tPvRmT1_T2_T3_mmT4_T5_P12ihipStream_tbEUlRKiE_EESZ_S13_S14_mS15_S18_bEUlT_E_NS1_11comp_targetILNS1_3genE10ELNS1_11target_archE1201ELNS1_3gpuE5ELNS1_3repE0EEENS1_30default_config_static_selectorELNS0_4arch9wavefront6targetE0EEEvS12_: ; @_ZN7rocprim17ROCPRIM_400000_NS6detail17trampoline_kernelINS0_14default_configENS1_27lower_bound_config_selectorIilEEZNS1_14transform_implILb0ES3_S5_N6thrust23THRUST_200600_302600_NS6detail15normal_iteratorINS8_7pointerIiNS9_22execute_with_allocatorINS8_16device_allocatorIcEENS8_11hip_rocprim22execute_on_stream_baseEEENS8_11use_defaultESI_EEEENSA_INSB_IlSH_SI_SI_EEEEZNS1_13binary_searchIS3_S5_NSA_INS8_10device_ptrIiEEEESK_SM_NS1_21lower_bound_search_opENS9_16wrapped_functionINS8_6system6detail7generic6detail18binary_search_lessEbEEEE10hipError_tPvRmT1_T2_T3_mmT4_T5_P12ihipStream_tbEUlRKiE_EESZ_S13_S14_mS15_S18_bEUlT_E_NS1_11comp_targetILNS1_3genE10ELNS1_11target_archE1201ELNS1_3gpuE5ELNS1_3repE0EEENS1_30default_config_static_selectorELNS0_4arch9wavefront6targetE0EEEvS12_
; %bb.0:
	.section	.rodata,"a",@progbits
	.p2align	6, 0x0
	.amdhsa_kernel _ZN7rocprim17ROCPRIM_400000_NS6detail17trampoline_kernelINS0_14default_configENS1_27lower_bound_config_selectorIilEEZNS1_14transform_implILb0ES3_S5_N6thrust23THRUST_200600_302600_NS6detail15normal_iteratorINS8_7pointerIiNS9_22execute_with_allocatorINS8_16device_allocatorIcEENS8_11hip_rocprim22execute_on_stream_baseEEENS8_11use_defaultESI_EEEENSA_INSB_IlSH_SI_SI_EEEEZNS1_13binary_searchIS3_S5_NSA_INS8_10device_ptrIiEEEESK_SM_NS1_21lower_bound_search_opENS9_16wrapped_functionINS8_6system6detail7generic6detail18binary_search_lessEbEEEE10hipError_tPvRmT1_T2_T3_mmT4_T5_P12ihipStream_tbEUlRKiE_EESZ_S13_S14_mS15_S18_bEUlT_E_NS1_11comp_targetILNS1_3genE10ELNS1_11target_archE1201ELNS1_3gpuE5ELNS1_3repE0EEENS1_30default_config_static_selectorELNS0_4arch9wavefront6targetE0EEEvS12_
		.amdhsa_group_segment_fixed_size 0
		.amdhsa_private_segment_fixed_size 0
		.amdhsa_kernarg_size 56
		.amdhsa_user_sgpr_count 6
		.amdhsa_user_sgpr_private_segment_buffer 1
		.amdhsa_user_sgpr_dispatch_ptr 0
		.amdhsa_user_sgpr_queue_ptr 0
		.amdhsa_user_sgpr_kernarg_segment_ptr 1
		.amdhsa_user_sgpr_dispatch_id 0
		.amdhsa_user_sgpr_flat_scratch_init 0
		.amdhsa_user_sgpr_private_segment_size 0
		.amdhsa_wavefront_size32 1
		.amdhsa_uses_dynamic_stack 0
		.amdhsa_system_sgpr_private_segment_wavefront_offset 0
		.amdhsa_system_sgpr_workgroup_id_x 1
		.amdhsa_system_sgpr_workgroup_id_y 0
		.amdhsa_system_sgpr_workgroup_id_z 0
		.amdhsa_system_sgpr_workgroup_info 0
		.amdhsa_system_vgpr_workitem_id 0
		.amdhsa_next_free_vgpr 1
		.amdhsa_next_free_sgpr 1
		.amdhsa_reserve_vcc 0
		.amdhsa_reserve_flat_scratch 0
		.amdhsa_float_round_mode_32 0
		.amdhsa_float_round_mode_16_64 0
		.amdhsa_float_denorm_mode_32 3
		.amdhsa_float_denorm_mode_16_64 3
		.amdhsa_dx10_clamp 1
		.amdhsa_ieee_mode 1
		.amdhsa_fp16_overflow 0
		.amdhsa_workgroup_processor_mode 1
		.amdhsa_memory_ordered 1
		.amdhsa_forward_progress 1
		.amdhsa_shared_vgpr_count 0
		.amdhsa_exception_fp_ieee_invalid_op 0
		.amdhsa_exception_fp_denorm_src 0
		.amdhsa_exception_fp_ieee_div_zero 0
		.amdhsa_exception_fp_ieee_overflow 0
		.amdhsa_exception_fp_ieee_underflow 0
		.amdhsa_exception_fp_ieee_inexact 0
		.amdhsa_exception_int_div_zero 0
	.end_amdhsa_kernel
	.section	.text._ZN7rocprim17ROCPRIM_400000_NS6detail17trampoline_kernelINS0_14default_configENS1_27lower_bound_config_selectorIilEEZNS1_14transform_implILb0ES3_S5_N6thrust23THRUST_200600_302600_NS6detail15normal_iteratorINS8_7pointerIiNS9_22execute_with_allocatorINS8_16device_allocatorIcEENS8_11hip_rocprim22execute_on_stream_baseEEENS8_11use_defaultESI_EEEENSA_INSB_IlSH_SI_SI_EEEEZNS1_13binary_searchIS3_S5_NSA_INS8_10device_ptrIiEEEESK_SM_NS1_21lower_bound_search_opENS9_16wrapped_functionINS8_6system6detail7generic6detail18binary_search_lessEbEEEE10hipError_tPvRmT1_T2_T3_mmT4_T5_P12ihipStream_tbEUlRKiE_EESZ_S13_S14_mS15_S18_bEUlT_E_NS1_11comp_targetILNS1_3genE10ELNS1_11target_archE1201ELNS1_3gpuE5ELNS1_3repE0EEENS1_30default_config_static_selectorELNS0_4arch9wavefront6targetE0EEEvS12_,"axG",@progbits,_ZN7rocprim17ROCPRIM_400000_NS6detail17trampoline_kernelINS0_14default_configENS1_27lower_bound_config_selectorIilEEZNS1_14transform_implILb0ES3_S5_N6thrust23THRUST_200600_302600_NS6detail15normal_iteratorINS8_7pointerIiNS9_22execute_with_allocatorINS8_16device_allocatorIcEENS8_11hip_rocprim22execute_on_stream_baseEEENS8_11use_defaultESI_EEEENSA_INSB_IlSH_SI_SI_EEEEZNS1_13binary_searchIS3_S5_NSA_INS8_10device_ptrIiEEEESK_SM_NS1_21lower_bound_search_opENS9_16wrapped_functionINS8_6system6detail7generic6detail18binary_search_lessEbEEEE10hipError_tPvRmT1_T2_T3_mmT4_T5_P12ihipStream_tbEUlRKiE_EESZ_S13_S14_mS15_S18_bEUlT_E_NS1_11comp_targetILNS1_3genE10ELNS1_11target_archE1201ELNS1_3gpuE5ELNS1_3repE0EEENS1_30default_config_static_selectorELNS0_4arch9wavefront6targetE0EEEvS12_,comdat
.Lfunc_end775:
	.size	_ZN7rocprim17ROCPRIM_400000_NS6detail17trampoline_kernelINS0_14default_configENS1_27lower_bound_config_selectorIilEEZNS1_14transform_implILb0ES3_S5_N6thrust23THRUST_200600_302600_NS6detail15normal_iteratorINS8_7pointerIiNS9_22execute_with_allocatorINS8_16device_allocatorIcEENS8_11hip_rocprim22execute_on_stream_baseEEENS8_11use_defaultESI_EEEENSA_INSB_IlSH_SI_SI_EEEEZNS1_13binary_searchIS3_S5_NSA_INS8_10device_ptrIiEEEESK_SM_NS1_21lower_bound_search_opENS9_16wrapped_functionINS8_6system6detail7generic6detail18binary_search_lessEbEEEE10hipError_tPvRmT1_T2_T3_mmT4_T5_P12ihipStream_tbEUlRKiE_EESZ_S13_S14_mS15_S18_bEUlT_E_NS1_11comp_targetILNS1_3genE10ELNS1_11target_archE1201ELNS1_3gpuE5ELNS1_3repE0EEENS1_30default_config_static_selectorELNS0_4arch9wavefront6targetE0EEEvS12_, .Lfunc_end775-_ZN7rocprim17ROCPRIM_400000_NS6detail17trampoline_kernelINS0_14default_configENS1_27lower_bound_config_selectorIilEEZNS1_14transform_implILb0ES3_S5_N6thrust23THRUST_200600_302600_NS6detail15normal_iteratorINS8_7pointerIiNS9_22execute_with_allocatorINS8_16device_allocatorIcEENS8_11hip_rocprim22execute_on_stream_baseEEENS8_11use_defaultESI_EEEENSA_INSB_IlSH_SI_SI_EEEEZNS1_13binary_searchIS3_S5_NSA_INS8_10device_ptrIiEEEESK_SM_NS1_21lower_bound_search_opENS9_16wrapped_functionINS8_6system6detail7generic6detail18binary_search_lessEbEEEE10hipError_tPvRmT1_T2_T3_mmT4_T5_P12ihipStream_tbEUlRKiE_EESZ_S13_S14_mS15_S18_bEUlT_E_NS1_11comp_targetILNS1_3genE10ELNS1_11target_archE1201ELNS1_3gpuE5ELNS1_3repE0EEENS1_30default_config_static_selectorELNS0_4arch9wavefront6targetE0EEEvS12_
                                        ; -- End function
	.set _ZN7rocprim17ROCPRIM_400000_NS6detail17trampoline_kernelINS0_14default_configENS1_27lower_bound_config_selectorIilEEZNS1_14transform_implILb0ES3_S5_N6thrust23THRUST_200600_302600_NS6detail15normal_iteratorINS8_7pointerIiNS9_22execute_with_allocatorINS8_16device_allocatorIcEENS8_11hip_rocprim22execute_on_stream_baseEEENS8_11use_defaultESI_EEEENSA_INSB_IlSH_SI_SI_EEEEZNS1_13binary_searchIS3_S5_NSA_INS8_10device_ptrIiEEEESK_SM_NS1_21lower_bound_search_opENS9_16wrapped_functionINS8_6system6detail7generic6detail18binary_search_lessEbEEEE10hipError_tPvRmT1_T2_T3_mmT4_T5_P12ihipStream_tbEUlRKiE_EESZ_S13_S14_mS15_S18_bEUlT_E_NS1_11comp_targetILNS1_3genE10ELNS1_11target_archE1201ELNS1_3gpuE5ELNS1_3repE0EEENS1_30default_config_static_selectorELNS0_4arch9wavefront6targetE0EEEvS12_.num_vgpr, 0
	.set _ZN7rocprim17ROCPRIM_400000_NS6detail17trampoline_kernelINS0_14default_configENS1_27lower_bound_config_selectorIilEEZNS1_14transform_implILb0ES3_S5_N6thrust23THRUST_200600_302600_NS6detail15normal_iteratorINS8_7pointerIiNS9_22execute_with_allocatorINS8_16device_allocatorIcEENS8_11hip_rocprim22execute_on_stream_baseEEENS8_11use_defaultESI_EEEENSA_INSB_IlSH_SI_SI_EEEEZNS1_13binary_searchIS3_S5_NSA_INS8_10device_ptrIiEEEESK_SM_NS1_21lower_bound_search_opENS9_16wrapped_functionINS8_6system6detail7generic6detail18binary_search_lessEbEEEE10hipError_tPvRmT1_T2_T3_mmT4_T5_P12ihipStream_tbEUlRKiE_EESZ_S13_S14_mS15_S18_bEUlT_E_NS1_11comp_targetILNS1_3genE10ELNS1_11target_archE1201ELNS1_3gpuE5ELNS1_3repE0EEENS1_30default_config_static_selectorELNS0_4arch9wavefront6targetE0EEEvS12_.num_agpr, 0
	.set _ZN7rocprim17ROCPRIM_400000_NS6detail17trampoline_kernelINS0_14default_configENS1_27lower_bound_config_selectorIilEEZNS1_14transform_implILb0ES3_S5_N6thrust23THRUST_200600_302600_NS6detail15normal_iteratorINS8_7pointerIiNS9_22execute_with_allocatorINS8_16device_allocatorIcEENS8_11hip_rocprim22execute_on_stream_baseEEENS8_11use_defaultESI_EEEENSA_INSB_IlSH_SI_SI_EEEEZNS1_13binary_searchIS3_S5_NSA_INS8_10device_ptrIiEEEESK_SM_NS1_21lower_bound_search_opENS9_16wrapped_functionINS8_6system6detail7generic6detail18binary_search_lessEbEEEE10hipError_tPvRmT1_T2_T3_mmT4_T5_P12ihipStream_tbEUlRKiE_EESZ_S13_S14_mS15_S18_bEUlT_E_NS1_11comp_targetILNS1_3genE10ELNS1_11target_archE1201ELNS1_3gpuE5ELNS1_3repE0EEENS1_30default_config_static_selectorELNS0_4arch9wavefront6targetE0EEEvS12_.numbered_sgpr, 0
	.set _ZN7rocprim17ROCPRIM_400000_NS6detail17trampoline_kernelINS0_14default_configENS1_27lower_bound_config_selectorIilEEZNS1_14transform_implILb0ES3_S5_N6thrust23THRUST_200600_302600_NS6detail15normal_iteratorINS8_7pointerIiNS9_22execute_with_allocatorINS8_16device_allocatorIcEENS8_11hip_rocprim22execute_on_stream_baseEEENS8_11use_defaultESI_EEEENSA_INSB_IlSH_SI_SI_EEEEZNS1_13binary_searchIS3_S5_NSA_INS8_10device_ptrIiEEEESK_SM_NS1_21lower_bound_search_opENS9_16wrapped_functionINS8_6system6detail7generic6detail18binary_search_lessEbEEEE10hipError_tPvRmT1_T2_T3_mmT4_T5_P12ihipStream_tbEUlRKiE_EESZ_S13_S14_mS15_S18_bEUlT_E_NS1_11comp_targetILNS1_3genE10ELNS1_11target_archE1201ELNS1_3gpuE5ELNS1_3repE0EEENS1_30default_config_static_selectorELNS0_4arch9wavefront6targetE0EEEvS12_.num_named_barrier, 0
	.set _ZN7rocprim17ROCPRIM_400000_NS6detail17trampoline_kernelINS0_14default_configENS1_27lower_bound_config_selectorIilEEZNS1_14transform_implILb0ES3_S5_N6thrust23THRUST_200600_302600_NS6detail15normal_iteratorINS8_7pointerIiNS9_22execute_with_allocatorINS8_16device_allocatorIcEENS8_11hip_rocprim22execute_on_stream_baseEEENS8_11use_defaultESI_EEEENSA_INSB_IlSH_SI_SI_EEEEZNS1_13binary_searchIS3_S5_NSA_INS8_10device_ptrIiEEEESK_SM_NS1_21lower_bound_search_opENS9_16wrapped_functionINS8_6system6detail7generic6detail18binary_search_lessEbEEEE10hipError_tPvRmT1_T2_T3_mmT4_T5_P12ihipStream_tbEUlRKiE_EESZ_S13_S14_mS15_S18_bEUlT_E_NS1_11comp_targetILNS1_3genE10ELNS1_11target_archE1201ELNS1_3gpuE5ELNS1_3repE0EEENS1_30default_config_static_selectorELNS0_4arch9wavefront6targetE0EEEvS12_.private_seg_size, 0
	.set _ZN7rocprim17ROCPRIM_400000_NS6detail17trampoline_kernelINS0_14default_configENS1_27lower_bound_config_selectorIilEEZNS1_14transform_implILb0ES3_S5_N6thrust23THRUST_200600_302600_NS6detail15normal_iteratorINS8_7pointerIiNS9_22execute_with_allocatorINS8_16device_allocatorIcEENS8_11hip_rocprim22execute_on_stream_baseEEENS8_11use_defaultESI_EEEENSA_INSB_IlSH_SI_SI_EEEEZNS1_13binary_searchIS3_S5_NSA_INS8_10device_ptrIiEEEESK_SM_NS1_21lower_bound_search_opENS9_16wrapped_functionINS8_6system6detail7generic6detail18binary_search_lessEbEEEE10hipError_tPvRmT1_T2_T3_mmT4_T5_P12ihipStream_tbEUlRKiE_EESZ_S13_S14_mS15_S18_bEUlT_E_NS1_11comp_targetILNS1_3genE10ELNS1_11target_archE1201ELNS1_3gpuE5ELNS1_3repE0EEENS1_30default_config_static_selectorELNS0_4arch9wavefront6targetE0EEEvS12_.uses_vcc, 0
	.set _ZN7rocprim17ROCPRIM_400000_NS6detail17trampoline_kernelINS0_14default_configENS1_27lower_bound_config_selectorIilEEZNS1_14transform_implILb0ES3_S5_N6thrust23THRUST_200600_302600_NS6detail15normal_iteratorINS8_7pointerIiNS9_22execute_with_allocatorINS8_16device_allocatorIcEENS8_11hip_rocprim22execute_on_stream_baseEEENS8_11use_defaultESI_EEEENSA_INSB_IlSH_SI_SI_EEEEZNS1_13binary_searchIS3_S5_NSA_INS8_10device_ptrIiEEEESK_SM_NS1_21lower_bound_search_opENS9_16wrapped_functionINS8_6system6detail7generic6detail18binary_search_lessEbEEEE10hipError_tPvRmT1_T2_T3_mmT4_T5_P12ihipStream_tbEUlRKiE_EESZ_S13_S14_mS15_S18_bEUlT_E_NS1_11comp_targetILNS1_3genE10ELNS1_11target_archE1201ELNS1_3gpuE5ELNS1_3repE0EEENS1_30default_config_static_selectorELNS0_4arch9wavefront6targetE0EEEvS12_.uses_flat_scratch, 0
	.set _ZN7rocprim17ROCPRIM_400000_NS6detail17trampoline_kernelINS0_14default_configENS1_27lower_bound_config_selectorIilEEZNS1_14transform_implILb0ES3_S5_N6thrust23THRUST_200600_302600_NS6detail15normal_iteratorINS8_7pointerIiNS9_22execute_with_allocatorINS8_16device_allocatorIcEENS8_11hip_rocprim22execute_on_stream_baseEEENS8_11use_defaultESI_EEEENSA_INSB_IlSH_SI_SI_EEEEZNS1_13binary_searchIS3_S5_NSA_INS8_10device_ptrIiEEEESK_SM_NS1_21lower_bound_search_opENS9_16wrapped_functionINS8_6system6detail7generic6detail18binary_search_lessEbEEEE10hipError_tPvRmT1_T2_T3_mmT4_T5_P12ihipStream_tbEUlRKiE_EESZ_S13_S14_mS15_S18_bEUlT_E_NS1_11comp_targetILNS1_3genE10ELNS1_11target_archE1201ELNS1_3gpuE5ELNS1_3repE0EEENS1_30default_config_static_selectorELNS0_4arch9wavefront6targetE0EEEvS12_.has_dyn_sized_stack, 0
	.set _ZN7rocprim17ROCPRIM_400000_NS6detail17trampoline_kernelINS0_14default_configENS1_27lower_bound_config_selectorIilEEZNS1_14transform_implILb0ES3_S5_N6thrust23THRUST_200600_302600_NS6detail15normal_iteratorINS8_7pointerIiNS9_22execute_with_allocatorINS8_16device_allocatorIcEENS8_11hip_rocprim22execute_on_stream_baseEEENS8_11use_defaultESI_EEEENSA_INSB_IlSH_SI_SI_EEEEZNS1_13binary_searchIS3_S5_NSA_INS8_10device_ptrIiEEEESK_SM_NS1_21lower_bound_search_opENS9_16wrapped_functionINS8_6system6detail7generic6detail18binary_search_lessEbEEEE10hipError_tPvRmT1_T2_T3_mmT4_T5_P12ihipStream_tbEUlRKiE_EESZ_S13_S14_mS15_S18_bEUlT_E_NS1_11comp_targetILNS1_3genE10ELNS1_11target_archE1201ELNS1_3gpuE5ELNS1_3repE0EEENS1_30default_config_static_selectorELNS0_4arch9wavefront6targetE0EEEvS12_.has_recursion, 0
	.set _ZN7rocprim17ROCPRIM_400000_NS6detail17trampoline_kernelINS0_14default_configENS1_27lower_bound_config_selectorIilEEZNS1_14transform_implILb0ES3_S5_N6thrust23THRUST_200600_302600_NS6detail15normal_iteratorINS8_7pointerIiNS9_22execute_with_allocatorINS8_16device_allocatorIcEENS8_11hip_rocprim22execute_on_stream_baseEEENS8_11use_defaultESI_EEEENSA_INSB_IlSH_SI_SI_EEEEZNS1_13binary_searchIS3_S5_NSA_INS8_10device_ptrIiEEEESK_SM_NS1_21lower_bound_search_opENS9_16wrapped_functionINS8_6system6detail7generic6detail18binary_search_lessEbEEEE10hipError_tPvRmT1_T2_T3_mmT4_T5_P12ihipStream_tbEUlRKiE_EESZ_S13_S14_mS15_S18_bEUlT_E_NS1_11comp_targetILNS1_3genE10ELNS1_11target_archE1201ELNS1_3gpuE5ELNS1_3repE0EEENS1_30default_config_static_selectorELNS0_4arch9wavefront6targetE0EEEvS12_.has_indirect_call, 0
	.section	.AMDGPU.csdata,"",@progbits
; Kernel info:
; codeLenInByte = 0
; TotalNumSgprs: 0
; NumVgprs: 0
; ScratchSize: 0
; MemoryBound: 0
; FloatMode: 240
; IeeeMode: 1
; LDSByteSize: 0 bytes/workgroup (compile time only)
; SGPRBlocks: 0
; VGPRBlocks: 0
; NumSGPRsForWavesPerEU: 1
; NumVGPRsForWavesPerEU: 1
; Occupancy: 16
; WaveLimiterHint : 0
; COMPUTE_PGM_RSRC2:SCRATCH_EN: 0
; COMPUTE_PGM_RSRC2:USER_SGPR: 6
; COMPUTE_PGM_RSRC2:TRAP_HANDLER: 0
; COMPUTE_PGM_RSRC2:TGID_X_EN: 1
; COMPUTE_PGM_RSRC2:TGID_Y_EN: 0
; COMPUTE_PGM_RSRC2:TGID_Z_EN: 0
; COMPUTE_PGM_RSRC2:TIDIG_COMP_CNT: 0
	.section	.text._ZN7rocprim17ROCPRIM_400000_NS6detail17trampoline_kernelINS0_14default_configENS1_27lower_bound_config_selectorIilEEZNS1_14transform_implILb0ES3_S5_N6thrust23THRUST_200600_302600_NS6detail15normal_iteratorINS8_7pointerIiNS9_22execute_with_allocatorINS8_16device_allocatorIcEENS8_11hip_rocprim22execute_on_stream_baseEEENS8_11use_defaultESI_EEEENSA_INSB_IlSH_SI_SI_EEEEZNS1_13binary_searchIS3_S5_NSA_INS8_10device_ptrIiEEEESK_SM_NS1_21lower_bound_search_opENS9_16wrapped_functionINS8_6system6detail7generic6detail18binary_search_lessEbEEEE10hipError_tPvRmT1_T2_T3_mmT4_T5_P12ihipStream_tbEUlRKiE_EESZ_S13_S14_mS15_S18_bEUlT_E_NS1_11comp_targetILNS1_3genE10ELNS1_11target_archE1200ELNS1_3gpuE4ELNS1_3repE0EEENS1_30default_config_static_selectorELNS0_4arch9wavefront6targetE0EEEvS12_,"axG",@progbits,_ZN7rocprim17ROCPRIM_400000_NS6detail17trampoline_kernelINS0_14default_configENS1_27lower_bound_config_selectorIilEEZNS1_14transform_implILb0ES3_S5_N6thrust23THRUST_200600_302600_NS6detail15normal_iteratorINS8_7pointerIiNS9_22execute_with_allocatorINS8_16device_allocatorIcEENS8_11hip_rocprim22execute_on_stream_baseEEENS8_11use_defaultESI_EEEENSA_INSB_IlSH_SI_SI_EEEEZNS1_13binary_searchIS3_S5_NSA_INS8_10device_ptrIiEEEESK_SM_NS1_21lower_bound_search_opENS9_16wrapped_functionINS8_6system6detail7generic6detail18binary_search_lessEbEEEE10hipError_tPvRmT1_T2_T3_mmT4_T5_P12ihipStream_tbEUlRKiE_EESZ_S13_S14_mS15_S18_bEUlT_E_NS1_11comp_targetILNS1_3genE10ELNS1_11target_archE1200ELNS1_3gpuE4ELNS1_3repE0EEENS1_30default_config_static_selectorELNS0_4arch9wavefront6targetE0EEEvS12_,comdat
	.protected	_ZN7rocprim17ROCPRIM_400000_NS6detail17trampoline_kernelINS0_14default_configENS1_27lower_bound_config_selectorIilEEZNS1_14transform_implILb0ES3_S5_N6thrust23THRUST_200600_302600_NS6detail15normal_iteratorINS8_7pointerIiNS9_22execute_with_allocatorINS8_16device_allocatorIcEENS8_11hip_rocprim22execute_on_stream_baseEEENS8_11use_defaultESI_EEEENSA_INSB_IlSH_SI_SI_EEEEZNS1_13binary_searchIS3_S5_NSA_INS8_10device_ptrIiEEEESK_SM_NS1_21lower_bound_search_opENS9_16wrapped_functionINS8_6system6detail7generic6detail18binary_search_lessEbEEEE10hipError_tPvRmT1_T2_T3_mmT4_T5_P12ihipStream_tbEUlRKiE_EESZ_S13_S14_mS15_S18_bEUlT_E_NS1_11comp_targetILNS1_3genE10ELNS1_11target_archE1200ELNS1_3gpuE4ELNS1_3repE0EEENS1_30default_config_static_selectorELNS0_4arch9wavefront6targetE0EEEvS12_ ; -- Begin function _ZN7rocprim17ROCPRIM_400000_NS6detail17trampoline_kernelINS0_14default_configENS1_27lower_bound_config_selectorIilEEZNS1_14transform_implILb0ES3_S5_N6thrust23THRUST_200600_302600_NS6detail15normal_iteratorINS8_7pointerIiNS9_22execute_with_allocatorINS8_16device_allocatorIcEENS8_11hip_rocprim22execute_on_stream_baseEEENS8_11use_defaultESI_EEEENSA_INSB_IlSH_SI_SI_EEEEZNS1_13binary_searchIS3_S5_NSA_INS8_10device_ptrIiEEEESK_SM_NS1_21lower_bound_search_opENS9_16wrapped_functionINS8_6system6detail7generic6detail18binary_search_lessEbEEEE10hipError_tPvRmT1_T2_T3_mmT4_T5_P12ihipStream_tbEUlRKiE_EESZ_S13_S14_mS15_S18_bEUlT_E_NS1_11comp_targetILNS1_3genE10ELNS1_11target_archE1200ELNS1_3gpuE4ELNS1_3repE0EEENS1_30default_config_static_selectorELNS0_4arch9wavefront6targetE0EEEvS12_
	.globl	_ZN7rocprim17ROCPRIM_400000_NS6detail17trampoline_kernelINS0_14default_configENS1_27lower_bound_config_selectorIilEEZNS1_14transform_implILb0ES3_S5_N6thrust23THRUST_200600_302600_NS6detail15normal_iteratorINS8_7pointerIiNS9_22execute_with_allocatorINS8_16device_allocatorIcEENS8_11hip_rocprim22execute_on_stream_baseEEENS8_11use_defaultESI_EEEENSA_INSB_IlSH_SI_SI_EEEEZNS1_13binary_searchIS3_S5_NSA_INS8_10device_ptrIiEEEESK_SM_NS1_21lower_bound_search_opENS9_16wrapped_functionINS8_6system6detail7generic6detail18binary_search_lessEbEEEE10hipError_tPvRmT1_T2_T3_mmT4_T5_P12ihipStream_tbEUlRKiE_EESZ_S13_S14_mS15_S18_bEUlT_E_NS1_11comp_targetILNS1_3genE10ELNS1_11target_archE1200ELNS1_3gpuE4ELNS1_3repE0EEENS1_30default_config_static_selectorELNS0_4arch9wavefront6targetE0EEEvS12_
	.p2align	8
	.type	_ZN7rocprim17ROCPRIM_400000_NS6detail17trampoline_kernelINS0_14default_configENS1_27lower_bound_config_selectorIilEEZNS1_14transform_implILb0ES3_S5_N6thrust23THRUST_200600_302600_NS6detail15normal_iteratorINS8_7pointerIiNS9_22execute_with_allocatorINS8_16device_allocatorIcEENS8_11hip_rocprim22execute_on_stream_baseEEENS8_11use_defaultESI_EEEENSA_INSB_IlSH_SI_SI_EEEEZNS1_13binary_searchIS3_S5_NSA_INS8_10device_ptrIiEEEESK_SM_NS1_21lower_bound_search_opENS9_16wrapped_functionINS8_6system6detail7generic6detail18binary_search_lessEbEEEE10hipError_tPvRmT1_T2_T3_mmT4_T5_P12ihipStream_tbEUlRKiE_EESZ_S13_S14_mS15_S18_bEUlT_E_NS1_11comp_targetILNS1_3genE10ELNS1_11target_archE1200ELNS1_3gpuE4ELNS1_3repE0EEENS1_30default_config_static_selectorELNS0_4arch9wavefront6targetE0EEEvS12_,@function
_ZN7rocprim17ROCPRIM_400000_NS6detail17trampoline_kernelINS0_14default_configENS1_27lower_bound_config_selectorIilEEZNS1_14transform_implILb0ES3_S5_N6thrust23THRUST_200600_302600_NS6detail15normal_iteratorINS8_7pointerIiNS9_22execute_with_allocatorINS8_16device_allocatorIcEENS8_11hip_rocprim22execute_on_stream_baseEEENS8_11use_defaultESI_EEEENSA_INSB_IlSH_SI_SI_EEEEZNS1_13binary_searchIS3_S5_NSA_INS8_10device_ptrIiEEEESK_SM_NS1_21lower_bound_search_opENS9_16wrapped_functionINS8_6system6detail7generic6detail18binary_search_lessEbEEEE10hipError_tPvRmT1_T2_T3_mmT4_T5_P12ihipStream_tbEUlRKiE_EESZ_S13_S14_mS15_S18_bEUlT_E_NS1_11comp_targetILNS1_3genE10ELNS1_11target_archE1200ELNS1_3gpuE4ELNS1_3repE0EEENS1_30default_config_static_selectorELNS0_4arch9wavefront6targetE0EEEvS12_: ; @_ZN7rocprim17ROCPRIM_400000_NS6detail17trampoline_kernelINS0_14default_configENS1_27lower_bound_config_selectorIilEEZNS1_14transform_implILb0ES3_S5_N6thrust23THRUST_200600_302600_NS6detail15normal_iteratorINS8_7pointerIiNS9_22execute_with_allocatorINS8_16device_allocatorIcEENS8_11hip_rocprim22execute_on_stream_baseEEENS8_11use_defaultESI_EEEENSA_INSB_IlSH_SI_SI_EEEEZNS1_13binary_searchIS3_S5_NSA_INS8_10device_ptrIiEEEESK_SM_NS1_21lower_bound_search_opENS9_16wrapped_functionINS8_6system6detail7generic6detail18binary_search_lessEbEEEE10hipError_tPvRmT1_T2_T3_mmT4_T5_P12ihipStream_tbEUlRKiE_EESZ_S13_S14_mS15_S18_bEUlT_E_NS1_11comp_targetILNS1_3genE10ELNS1_11target_archE1200ELNS1_3gpuE4ELNS1_3repE0EEENS1_30default_config_static_selectorELNS0_4arch9wavefront6targetE0EEEvS12_
; %bb.0:
	.section	.rodata,"a",@progbits
	.p2align	6, 0x0
	.amdhsa_kernel _ZN7rocprim17ROCPRIM_400000_NS6detail17trampoline_kernelINS0_14default_configENS1_27lower_bound_config_selectorIilEEZNS1_14transform_implILb0ES3_S5_N6thrust23THRUST_200600_302600_NS6detail15normal_iteratorINS8_7pointerIiNS9_22execute_with_allocatorINS8_16device_allocatorIcEENS8_11hip_rocprim22execute_on_stream_baseEEENS8_11use_defaultESI_EEEENSA_INSB_IlSH_SI_SI_EEEEZNS1_13binary_searchIS3_S5_NSA_INS8_10device_ptrIiEEEESK_SM_NS1_21lower_bound_search_opENS9_16wrapped_functionINS8_6system6detail7generic6detail18binary_search_lessEbEEEE10hipError_tPvRmT1_T2_T3_mmT4_T5_P12ihipStream_tbEUlRKiE_EESZ_S13_S14_mS15_S18_bEUlT_E_NS1_11comp_targetILNS1_3genE10ELNS1_11target_archE1200ELNS1_3gpuE4ELNS1_3repE0EEENS1_30default_config_static_selectorELNS0_4arch9wavefront6targetE0EEEvS12_
		.amdhsa_group_segment_fixed_size 0
		.amdhsa_private_segment_fixed_size 0
		.amdhsa_kernarg_size 56
		.amdhsa_user_sgpr_count 6
		.amdhsa_user_sgpr_private_segment_buffer 1
		.amdhsa_user_sgpr_dispatch_ptr 0
		.amdhsa_user_sgpr_queue_ptr 0
		.amdhsa_user_sgpr_kernarg_segment_ptr 1
		.amdhsa_user_sgpr_dispatch_id 0
		.amdhsa_user_sgpr_flat_scratch_init 0
		.amdhsa_user_sgpr_private_segment_size 0
		.amdhsa_wavefront_size32 1
		.amdhsa_uses_dynamic_stack 0
		.amdhsa_system_sgpr_private_segment_wavefront_offset 0
		.amdhsa_system_sgpr_workgroup_id_x 1
		.amdhsa_system_sgpr_workgroup_id_y 0
		.amdhsa_system_sgpr_workgroup_id_z 0
		.amdhsa_system_sgpr_workgroup_info 0
		.amdhsa_system_vgpr_workitem_id 0
		.amdhsa_next_free_vgpr 1
		.amdhsa_next_free_sgpr 1
		.amdhsa_reserve_vcc 0
		.amdhsa_reserve_flat_scratch 0
		.amdhsa_float_round_mode_32 0
		.amdhsa_float_round_mode_16_64 0
		.amdhsa_float_denorm_mode_32 3
		.amdhsa_float_denorm_mode_16_64 3
		.amdhsa_dx10_clamp 1
		.amdhsa_ieee_mode 1
		.amdhsa_fp16_overflow 0
		.amdhsa_workgroup_processor_mode 1
		.amdhsa_memory_ordered 1
		.amdhsa_forward_progress 1
		.amdhsa_shared_vgpr_count 0
		.amdhsa_exception_fp_ieee_invalid_op 0
		.amdhsa_exception_fp_denorm_src 0
		.amdhsa_exception_fp_ieee_div_zero 0
		.amdhsa_exception_fp_ieee_overflow 0
		.amdhsa_exception_fp_ieee_underflow 0
		.amdhsa_exception_fp_ieee_inexact 0
		.amdhsa_exception_int_div_zero 0
	.end_amdhsa_kernel
	.section	.text._ZN7rocprim17ROCPRIM_400000_NS6detail17trampoline_kernelINS0_14default_configENS1_27lower_bound_config_selectorIilEEZNS1_14transform_implILb0ES3_S5_N6thrust23THRUST_200600_302600_NS6detail15normal_iteratorINS8_7pointerIiNS9_22execute_with_allocatorINS8_16device_allocatorIcEENS8_11hip_rocprim22execute_on_stream_baseEEENS8_11use_defaultESI_EEEENSA_INSB_IlSH_SI_SI_EEEEZNS1_13binary_searchIS3_S5_NSA_INS8_10device_ptrIiEEEESK_SM_NS1_21lower_bound_search_opENS9_16wrapped_functionINS8_6system6detail7generic6detail18binary_search_lessEbEEEE10hipError_tPvRmT1_T2_T3_mmT4_T5_P12ihipStream_tbEUlRKiE_EESZ_S13_S14_mS15_S18_bEUlT_E_NS1_11comp_targetILNS1_3genE10ELNS1_11target_archE1200ELNS1_3gpuE4ELNS1_3repE0EEENS1_30default_config_static_selectorELNS0_4arch9wavefront6targetE0EEEvS12_,"axG",@progbits,_ZN7rocprim17ROCPRIM_400000_NS6detail17trampoline_kernelINS0_14default_configENS1_27lower_bound_config_selectorIilEEZNS1_14transform_implILb0ES3_S5_N6thrust23THRUST_200600_302600_NS6detail15normal_iteratorINS8_7pointerIiNS9_22execute_with_allocatorINS8_16device_allocatorIcEENS8_11hip_rocprim22execute_on_stream_baseEEENS8_11use_defaultESI_EEEENSA_INSB_IlSH_SI_SI_EEEEZNS1_13binary_searchIS3_S5_NSA_INS8_10device_ptrIiEEEESK_SM_NS1_21lower_bound_search_opENS9_16wrapped_functionINS8_6system6detail7generic6detail18binary_search_lessEbEEEE10hipError_tPvRmT1_T2_T3_mmT4_T5_P12ihipStream_tbEUlRKiE_EESZ_S13_S14_mS15_S18_bEUlT_E_NS1_11comp_targetILNS1_3genE10ELNS1_11target_archE1200ELNS1_3gpuE4ELNS1_3repE0EEENS1_30default_config_static_selectorELNS0_4arch9wavefront6targetE0EEEvS12_,comdat
.Lfunc_end776:
	.size	_ZN7rocprim17ROCPRIM_400000_NS6detail17trampoline_kernelINS0_14default_configENS1_27lower_bound_config_selectorIilEEZNS1_14transform_implILb0ES3_S5_N6thrust23THRUST_200600_302600_NS6detail15normal_iteratorINS8_7pointerIiNS9_22execute_with_allocatorINS8_16device_allocatorIcEENS8_11hip_rocprim22execute_on_stream_baseEEENS8_11use_defaultESI_EEEENSA_INSB_IlSH_SI_SI_EEEEZNS1_13binary_searchIS3_S5_NSA_INS8_10device_ptrIiEEEESK_SM_NS1_21lower_bound_search_opENS9_16wrapped_functionINS8_6system6detail7generic6detail18binary_search_lessEbEEEE10hipError_tPvRmT1_T2_T3_mmT4_T5_P12ihipStream_tbEUlRKiE_EESZ_S13_S14_mS15_S18_bEUlT_E_NS1_11comp_targetILNS1_3genE10ELNS1_11target_archE1200ELNS1_3gpuE4ELNS1_3repE0EEENS1_30default_config_static_selectorELNS0_4arch9wavefront6targetE0EEEvS12_, .Lfunc_end776-_ZN7rocprim17ROCPRIM_400000_NS6detail17trampoline_kernelINS0_14default_configENS1_27lower_bound_config_selectorIilEEZNS1_14transform_implILb0ES3_S5_N6thrust23THRUST_200600_302600_NS6detail15normal_iteratorINS8_7pointerIiNS9_22execute_with_allocatorINS8_16device_allocatorIcEENS8_11hip_rocprim22execute_on_stream_baseEEENS8_11use_defaultESI_EEEENSA_INSB_IlSH_SI_SI_EEEEZNS1_13binary_searchIS3_S5_NSA_INS8_10device_ptrIiEEEESK_SM_NS1_21lower_bound_search_opENS9_16wrapped_functionINS8_6system6detail7generic6detail18binary_search_lessEbEEEE10hipError_tPvRmT1_T2_T3_mmT4_T5_P12ihipStream_tbEUlRKiE_EESZ_S13_S14_mS15_S18_bEUlT_E_NS1_11comp_targetILNS1_3genE10ELNS1_11target_archE1200ELNS1_3gpuE4ELNS1_3repE0EEENS1_30default_config_static_selectorELNS0_4arch9wavefront6targetE0EEEvS12_
                                        ; -- End function
	.set _ZN7rocprim17ROCPRIM_400000_NS6detail17trampoline_kernelINS0_14default_configENS1_27lower_bound_config_selectorIilEEZNS1_14transform_implILb0ES3_S5_N6thrust23THRUST_200600_302600_NS6detail15normal_iteratorINS8_7pointerIiNS9_22execute_with_allocatorINS8_16device_allocatorIcEENS8_11hip_rocprim22execute_on_stream_baseEEENS8_11use_defaultESI_EEEENSA_INSB_IlSH_SI_SI_EEEEZNS1_13binary_searchIS3_S5_NSA_INS8_10device_ptrIiEEEESK_SM_NS1_21lower_bound_search_opENS9_16wrapped_functionINS8_6system6detail7generic6detail18binary_search_lessEbEEEE10hipError_tPvRmT1_T2_T3_mmT4_T5_P12ihipStream_tbEUlRKiE_EESZ_S13_S14_mS15_S18_bEUlT_E_NS1_11comp_targetILNS1_3genE10ELNS1_11target_archE1200ELNS1_3gpuE4ELNS1_3repE0EEENS1_30default_config_static_selectorELNS0_4arch9wavefront6targetE0EEEvS12_.num_vgpr, 0
	.set _ZN7rocprim17ROCPRIM_400000_NS6detail17trampoline_kernelINS0_14default_configENS1_27lower_bound_config_selectorIilEEZNS1_14transform_implILb0ES3_S5_N6thrust23THRUST_200600_302600_NS6detail15normal_iteratorINS8_7pointerIiNS9_22execute_with_allocatorINS8_16device_allocatorIcEENS8_11hip_rocprim22execute_on_stream_baseEEENS8_11use_defaultESI_EEEENSA_INSB_IlSH_SI_SI_EEEEZNS1_13binary_searchIS3_S5_NSA_INS8_10device_ptrIiEEEESK_SM_NS1_21lower_bound_search_opENS9_16wrapped_functionINS8_6system6detail7generic6detail18binary_search_lessEbEEEE10hipError_tPvRmT1_T2_T3_mmT4_T5_P12ihipStream_tbEUlRKiE_EESZ_S13_S14_mS15_S18_bEUlT_E_NS1_11comp_targetILNS1_3genE10ELNS1_11target_archE1200ELNS1_3gpuE4ELNS1_3repE0EEENS1_30default_config_static_selectorELNS0_4arch9wavefront6targetE0EEEvS12_.num_agpr, 0
	.set _ZN7rocprim17ROCPRIM_400000_NS6detail17trampoline_kernelINS0_14default_configENS1_27lower_bound_config_selectorIilEEZNS1_14transform_implILb0ES3_S5_N6thrust23THRUST_200600_302600_NS6detail15normal_iteratorINS8_7pointerIiNS9_22execute_with_allocatorINS8_16device_allocatorIcEENS8_11hip_rocprim22execute_on_stream_baseEEENS8_11use_defaultESI_EEEENSA_INSB_IlSH_SI_SI_EEEEZNS1_13binary_searchIS3_S5_NSA_INS8_10device_ptrIiEEEESK_SM_NS1_21lower_bound_search_opENS9_16wrapped_functionINS8_6system6detail7generic6detail18binary_search_lessEbEEEE10hipError_tPvRmT1_T2_T3_mmT4_T5_P12ihipStream_tbEUlRKiE_EESZ_S13_S14_mS15_S18_bEUlT_E_NS1_11comp_targetILNS1_3genE10ELNS1_11target_archE1200ELNS1_3gpuE4ELNS1_3repE0EEENS1_30default_config_static_selectorELNS0_4arch9wavefront6targetE0EEEvS12_.numbered_sgpr, 0
	.set _ZN7rocprim17ROCPRIM_400000_NS6detail17trampoline_kernelINS0_14default_configENS1_27lower_bound_config_selectorIilEEZNS1_14transform_implILb0ES3_S5_N6thrust23THRUST_200600_302600_NS6detail15normal_iteratorINS8_7pointerIiNS9_22execute_with_allocatorINS8_16device_allocatorIcEENS8_11hip_rocprim22execute_on_stream_baseEEENS8_11use_defaultESI_EEEENSA_INSB_IlSH_SI_SI_EEEEZNS1_13binary_searchIS3_S5_NSA_INS8_10device_ptrIiEEEESK_SM_NS1_21lower_bound_search_opENS9_16wrapped_functionINS8_6system6detail7generic6detail18binary_search_lessEbEEEE10hipError_tPvRmT1_T2_T3_mmT4_T5_P12ihipStream_tbEUlRKiE_EESZ_S13_S14_mS15_S18_bEUlT_E_NS1_11comp_targetILNS1_3genE10ELNS1_11target_archE1200ELNS1_3gpuE4ELNS1_3repE0EEENS1_30default_config_static_selectorELNS0_4arch9wavefront6targetE0EEEvS12_.num_named_barrier, 0
	.set _ZN7rocprim17ROCPRIM_400000_NS6detail17trampoline_kernelINS0_14default_configENS1_27lower_bound_config_selectorIilEEZNS1_14transform_implILb0ES3_S5_N6thrust23THRUST_200600_302600_NS6detail15normal_iteratorINS8_7pointerIiNS9_22execute_with_allocatorINS8_16device_allocatorIcEENS8_11hip_rocprim22execute_on_stream_baseEEENS8_11use_defaultESI_EEEENSA_INSB_IlSH_SI_SI_EEEEZNS1_13binary_searchIS3_S5_NSA_INS8_10device_ptrIiEEEESK_SM_NS1_21lower_bound_search_opENS9_16wrapped_functionINS8_6system6detail7generic6detail18binary_search_lessEbEEEE10hipError_tPvRmT1_T2_T3_mmT4_T5_P12ihipStream_tbEUlRKiE_EESZ_S13_S14_mS15_S18_bEUlT_E_NS1_11comp_targetILNS1_3genE10ELNS1_11target_archE1200ELNS1_3gpuE4ELNS1_3repE0EEENS1_30default_config_static_selectorELNS0_4arch9wavefront6targetE0EEEvS12_.private_seg_size, 0
	.set _ZN7rocprim17ROCPRIM_400000_NS6detail17trampoline_kernelINS0_14default_configENS1_27lower_bound_config_selectorIilEEZNS1_14transform_implILb0ES3_S5_N6thrust23THRUST_200600_302600_NS6detail15normal_iteratorINS8_7pointerIiNS9_22execute_with_allocatorINS8_16device_allocatorIcEENS8_11hip_rocprim22execute_on_stream_baseEEENS8_11use_defaultESI_EEEENSA_INSB_IlSH_SI_SI_EEEEZNS1_13binary_searchIS3_S5_NSA_INS8_10device_ptrIiEEEESK_SM_NS1_21lower_bound_search_opENS9_16wrapped_functionINS8_6system6detail7generic6detail18binary_search_lessEbEEEE10hipError_tPvRmT1_T2_T3_mmT4_T5_P12ihipStream_tbEUlRKiE_EESZ_S13_S14_mS15_S18_bEUlT_E_NS1_11comp_targetILNS1_3genE10ELNS1_11target_archE1200ELNS1_3gpuE4ELNS1_3repE0EEENS1_30default_config_static_selectorELNS0_4arch9wavefront6targetE0EEEvS12_.uses_vcc, 0
	.set _ZN7rocprim17ROCPRIM_400000_NS6detail17trampoline_kernelINS0_14default_configENS1_27lower_bound_config_selectorIilEEZNS1_14transform_implILb0ES3_S5_N6thrust23THRUST_200600_302600_NS6detail15normal_iteratorINS8_7pointerIiNS9_22execute_with_allocatorINS8_16device_allocatorIcEENS8_11hip_rocprim22execute_on_stream_baseEEENS8_11use_defaultESI_EEEENSA_INSB_IlSH_SI_SI_EEEEZNS1_13binary_searchIS3_S5_NSA_INS8_10device_ptrIiEEEESK_SM_NS1_21lower_bound_search_opENS9_16wrapped_functionINS8_6system6detail7generic6detail18binary_search_lessEbEEEE10hipError_tPvRmT1_T2_T3_mmT4_T5_P12ihipStream_tbEUlRKiE_EESZ_S13_S14_mS15_S18_bEUlT_E_NS1_11comp_targetILNS1_3genE10ELNS1_11target_archE1200ELNS1_3gpuE4ELNS1_3repE0EEENS1_30default_config_static_selectorELNS0_4arch9wavefront6targetE0EEEvS12_.uses_flat_scratch, 0
	.set _ZN7rocprim17ROCPRIM_400000_NS6detail17trampoline_kernelINS0_14default_configENS1_27lower_bound_config_selectorIilEEZNS1_14transform_implILb0ES3_S5_N6thrust23THRUST_200600_302600_NS6detail15normal_iteratorINS8_7pointerIiNS9_22execute_with_allocatorINS8_16device_allocatorIcEENS8_11hip_rocprim22execute_on_stream_baseEEENS8_11use_defaultESI_EEEENSA_INSB_IlSH_SI_SI_EEEEZNS1_13binary_searchIS3_S5_NSA_INS8_10device_ptrIiEEEESK_SM_NS1_21lower_bound_search_opENS9_16wrapped_functionINS8_6system6detail7generic6detail18binary_search_lessEbEEEE10hipError_tPvRmT1_T2_T3_mmT4_T5_P12ihipStream_tbEUlRKiE_EESZ_S13_S14_mS15_S18_bEUlT_E_NS1_11comp_targetILNS1_3genE10ELNS1_11target_archE1200ELNS1_3gpuE4ELNS1_3repE0EEENS1_30default_config_static_selectorELNS0_4arch9wavefront6targetE0EEEvS12_.has_dyn_sized_stack, 0
	.set _ZN7rocprim17ROCPRIM_400000_NS6detail17trampoline_kernelINS0_14default_configENS1_27lower_bound_config_selectorIilEEZNS1_14transform_implILb0ES3_S5_N6thrust23THRUST_200600_302600_NS6detail15normal_iteratorINS8_7pointerIiNS9_22execute_with_allocatorINS8_16device_allocatorIcEENS8_11hip_rocprim22execute_on_stream_baseEEENS8_11use_defaultESI_EEEENSA_INSB_IlSH_SI_SI_EEEEZNS1_13binary_searchIS3_S5_NSA_INS8_10device_ptrIiEEEESK_SM_NS1_21lower_bound_search_opENS9_16wrapped_functionINS8_6system6detail7generic6detail18binary_search_lessEbEEEE10hipError_tPvRmT1_T2_T3_mmT4_T5_P12ihipStream_tbEUlRKiE_EESZ_S13_S14_mS15_S18_bEUlT_E_NS1_11comp_targetILNS1_3genE10ELNS1_11target_archE1200ELNS1_3gpuE4ELNS1_3repE0EEENS1_30default_config_static_selectorELNS0_4arch9wavefront6targetE0EEEvS12_.has_recursion, 0
	.set _ZN7rocprim17ROCPRIM_400000_NS6detail17trampoline_kernelINS0_14default_configENS1_27lower_bound_config_selectorIilEEZNS1_14transform_implILb0ES3_S5_N6thrust23THRUST_200600_302600_NS6detail15normal_iteratorINS8_7pointerIiNS9_22execute_with_allocatorINS8_16device_allocatorIcEENS8_11hip_rocprim22execute_on_stream_baseEEENS8_11use_defaultESI_EEEENSA_INSB_IlSH_SI_SI_EEEEZNS1_13binary_searchIS3_S5_NSA_INS8_10device_ptrIiEEEESK_SM_NS1_21lower_bound_search_opENS9_16wrapped_functionINS8_6system6detail7generic6detail18binary_search_lessEbEEEE10hipError_tPvRmT1_T2_T3_mmT4_T5_P12ihipStream_tbEUlRKiE_EESZ_S13_S14_mS15_S18_bEUlT_E_NS1_11comp_targetILNS1_3genE10ELNS1_11target_archE1200ELNS1_3gpuE4ELNS1_3repE0EEENS1_30default_config_static_selectorELNS0_4arch9wavefront6targetE0EEEvS12_.has_indirect_call, 0
	.section	.AMDGPU.csdata,"",@progbits
; Kernel info:
; codeLenInByte = 0
; TotalNumSgprs: 0
; NumVgprs: 0
; ScratchSize: 0
; MemoryBound: 0
; FloatMode: 240
; IeeeMode: 1
; LDSByteSize: 0 bytes/workgroup (compile time only)
; SGPRBlocks: 0
; VGPRBlocks: 0
; NumSGPRsForWavesPerEU: 1
; NumVGPRsForWavesPerEU: 1
; Occupancy: 16
; WaveLimiterHint : 0
; COMPUTE_PGM_RSRC2:SCRATCH_EN: 0
; COMPUTE_PGM_RSRC2:USER_SGPR: 6
; COMPUTE_PGM_RSRC2:TRAP_HANDLER: 0
; COMPUTE_PGM_RSRC2:TGID_X_EN: 1
; COMPUTE_PGM_RSRC2:TGID_Y_EN: 0
; COMPUTE_PGM_RSRC2:TGID_Z_EN: 0
; COMPUTE_PGM_RSRC2:TIDIG_COMP_CNT: 0
	.section	.text._ZN7rocprim17ROCPRIM_400000_NS6detail17trampoline_kernelINS0_14default_configENS1_27lower_bound_config_selectorIilEEZNS1_14transform_implILb0ES3_S5_N6thrust23THRUST_200600_302600_NS6detail15normal_iteratorINS8_7pointerIiNS9_22execute_with_allocatorINS8_16device_allocatorIcEENS8_11hip_rocprim22execute_on_stream_baseEEENS8_11use_defaultESI_EEEENSA_INSB_IlSH_SI_SI_EEEEZNS1_13binary_searchIS3_S5_NSA_INS8_10device_ptrIiEEEESK_SM_NS1_21lower_bound_search_opENS9_16wrapped_functionINS8_6system6detail7generic6detail18binary_search_lessEbEEEE10hipError_tPvRmT1_T2_T3_mmT4_T5_P12ihipStream_tbEUlRKiE_EESZ_S13_S14_mS15_S18_bEUlT_E_NS1_11comp_targetILNS1_3genE9ELNS1_11target_archE1100ELNS1_3gpuE3ELNS1_3repE0EEENS1_30default_config_static_selectorELNS0_4arch9wavefront6targetE0EEEvS12_,"axG",@progbits,_ZN7rocprim17ROCPRIM_400000_NS6detail17trampoline_kernelINS0_14default_configENS1_27lower_bound_config_selectorIilEEZNS1_14transform_implILb0ES3_S5_N6thrust23THRUST_200600_302600_NS6detail15normal_iteratorINS8_7pointerIiNS9_22execute_with_allocatorINS8_16device_allocatorIcEENS8_11hip_rocprim22execute_on_stream_baseEEENS8_11use_defaultESI_EEEENSA_INSB_IlSH_SI_SI_EEEEZNS1_13binary_searchIS3_S5_NSA_INS8_10device_ptrIiEEEESK_SM_NS1_21lower_bound_search_opENS9_16wrapped_functionINS8_6system6detail7generic6detail18binary_search_lessEbEEEE10hipError_tPvRmT1_T2_T3_mmT4_T5_P12ihipStream_tbEUlRKiE_EESZ_S13_S14_mS15_S18_bEUlT_E_NS1_11comp_targetILNS1_3genE9ELNS1_11target_archE1100ELNS1_3gpuE3ELNS1_3repE0EEENS1_30default_config_static_selectorELNS0_4arch9wavefront6targetE0EEEvS12_,comdat
	.protected	_ZN7rocprim17ROCPRIM_400000_NS6detail17trampoline_kernelINS0_14default_configENS1_27lower_bound_config_selectorIilEEZNS1_14transform_implILb0ES3_S5_N6thrust23THRUST_200600_302600_NS6detail15normal_iteratorINS8_7pointerIiNS9_22execute_with_allocatorINS8_16device_allocatorIcEENS8_11hip_rocprim22execute_on_stream_baseEEENS8_11use_defaultESI_EEEENSA_INSB_IlSH_SI_SI_EEEEZNS1_13binary_searchIS3_S5_NSA_INS8_10device_ptrIiEEEESK_SM_NS1_21lower_bound_search_opENS9_16wrapped_functionINS8_6system6detail7generic6detail18binary_search_lessEbEEEE10hipError_tPvRmT1_T2_T3_mmT4_T5_P12ihipStream_tbEUlRKiE_EESZ_S13_S14_mS15_S18_bEUlT_E_NS1_11comp_targetILNS1_3genE9ELNS1_11target_archE1100ELNS1_3gpuE3ELNS1_3repE0EEENS1_30default_config_static_selectorELNS0_4arch9wavefront6targetE0EEEvS12_ ; -- Begin function _ZN7rocprim17ROCPRIM_400000_NS6detail17trampoline_kernelINS0_14default_configENS1_27lower_bound_config_selectorIilEEZNS1_14transform_implILb0ES3_S5_N6thrust23THRUST_200600_302600_NS6detail15normal_iteratorINS8_7pointerIiNS9_22execute_with_allocatorINS8_16device_allocatorIcEENS8_11hip_rocprim22execute_on_stream_baseEEENS8_11use_defaultESI_EEEENSA_INSB_IlSH_SI_SI_EEEEZNS1_13binary_searchIS3_S5_NSA_INS8_10device_ptrIiEEEESK_SM_NS1_21lower_bound_search_opENS9_16wrapped_functionINS8_6system6detail7generic6detail18binary_search_lessEbEEEE10hipError_tPvRmT1_T2_T3_mmT4_T5_P12ihipStream_tbEUlRKiE_EESZ_S13_S14_mS15_S18_bEUlT_E_NS1_11comp_targetILNS1_3genE9ELNS1_11target_archE1100ELNS1_3gpuE3ELNS1_3repE0EEENS1_30default_config_static_selectorELNS0_4arch9wavefront6targetE0EEEvS12_
	.globl	_ZN7rocprim17ROCPRIM_400000_NS6detail17trampoline_kernelINS0_14default_configENS1_27lower_bound_config_selectorIilEEZNS1_14transform_implILb0ES3_S5_N6thrust23THRUST_200600_302600_NS6detail15normal_iteratorINS8_7pointerIiNS9_22execute_with_allocatorINS8_16device_allocatorIcEENS8_11hip_rocprim22execute_on_stream_baseEEENS8_11use_defaultESI_EEEENSA_INSB_IlSH_SI_SI_EEEEZNS1_13binary_searchIS3_S5_NSA_INS8_10device_ptrIiEEEESK_SM_NS1_21lower_bound_search_opENS9_16wrapped_functionINS8_6system6detail7generic6detail18binary_search_lessEbEEEE10hipError_tPvRmT1_T2_T3_mmT4_T5_P12ihipStream_tbEUlRKiE_EESZ_S13_S14_mS15_S18_bEUlT_E_NS1_11comp_targetILNS1_3genE9ELNS1_11target_archE1100ELNS1_3gpuE3ELNS1_3repE0EEENS1_30default_config_static_selectorELNS0_4arch9wavefront6targetE0EEEvS12_
	.p2align	8
	.type	_ZN7rocprim17ROCPRIM_400000_NS6detail17trampoline_kernelINS0_14default_configENS1_27lower_bound_config_selectorIilEEZNS1_14transform_implILb0ES3_S5_N6thrust23THRUST_200600_302600_NS6detail15normal_iteratorINS8_7pointerIiNS9_22execute_with_allocatorINS8_16device_allocatorIcEENS8_11hip_rocprim22execute_on_stream_baseEEENS8_11use_defaultESI_EEEENSA_INSB_IlSH_SI_SI_EEEEZNS1_13binary_searchIS3_S5_NSA_INS8_10device_ptrIiEEEESK_SM_NS1_21lower_bound_search_opENS9_16wrapped_functionINS8_6system6detail7generic6detail18binary_search_lessEbEEEE10hipError_tPvRmT1_T2_T3_mmT4_T5_P12ihipStream_tbEUlRKiE_EESZ_S13_S14_mS15_S18_bEUlT_E_NS1_11comp_targetILNS1_3genE9ELNS1_11target_archE1100ELNS1_3gpuE3ELNS1_3repE0EEENS1_30default_config_static_selectorELNS0_4arch9wavefront6targetE0EEEvS12_,@function
_ZN7rocprim17ROCPRIM_400000_NS6detail17trampoline_kernelINS0_14default_configENS1_27lower_bound_config_selectorIilEEZNS1_14transform_implILb0ES3_S5_N6thrust23THRUST_200600_302600_NS6detail15normal_iteratorINS8_7pointerIiNS9_22execute_with_allocatorINS8_16device_allocatorIcEENS8_11hip_rocprim22execute_on_stream_baseEEENS8_11use_defaultESI_EEEENSA_INSB_IlSH_SI_SI_EEEEZNS1_13binary_searchIS3_S5_NSA_INS8_10device_ptrIiEEEESK_SM_NS1_21lower_bound_search_opENS9_16wrapped_functionINS8_6system6detail7generic6detail18binary_search_lessEbEEEE10hipError_tPvRmT1_T2_T3_mmT4_T5_P12ihipStream_tbEUlRKiE_EESZ_S13_S14_mS15_S18_bEUlT_E_NS1_11comp_targetILNS1_3genE9ELNS1_11target_archE1100ELNS1_3gpuE3ELNS1_3repE0EEENS1_30default_config_static_selectorELNS0_4arch9wavefront6targetE0EEEvS12_: ; @_ZN7rocprim17ROCPRIM_400000_NS6detail17trampoline_kernelINS0_14default_configENS1_27lower_bound_config_selectorIilEEZNS1_14transform_implILb0ES3_S5_N6thrust23THRUST_200600_302600_NS6detail15normal_iteratorINS8_7pointerIiNS9_22execute_with_allocatorINS8_16device_allocatorIcEENS8_11hip_rocprim22execute_on_stream_baseEEENS8_11use_defaultESI_EEEENSA_INSB_IlSH_SI_SI_EEEEZNS1_13binary_searchIS3_S5_NSA_INS8_10device_ptrIiEEEESK_SM_NS1_21lower_bound_search_opENS9_16wrapped_functionINS8_6system6detail7generic6detail18binary_search_lessEbEEEE10hipError_tPvRmT1_T2_T3_mmT4_T5_P12ihipStream_tbEUlRKiE_EESZ_S13_S14_mS15_S18_bEUlT_E_NS1_11comp_targetILNS1_3genE9ELNS1_11target_archE1100ELNS1_3gpuE3ELNS1_3repE0EEENS1_30default_config_static_selectorELNS0_4arch9wavefront6targetE0EEEvS12_
; %bb.0:
	.section	.rodata,"a",@progbits
	.p2align	6, 0x0
	.amdhsa_kernel _ZN7rocprim17ROCPRIM_400000_NS6detail17trampoline_kernelINS0_14default_configENS1_27lower_bound_config_selectorIilEEZNS1_14transform_implILb0ES3_S5_N6thrust23THRUST_200600_302600_NS6detail15normal_iteratorINS8_7pointerIiNS9_22execute_with_allocatorINS8_16device_allocatorIcEENS8_11hip_rocprim22execute_on_stream_baseEEENS8_11use_defaultESI_EEEENSA_INSB_IlSH_SI_SI_EEEEZNS1_13binary_searchIS3_S5_NSA_INS8_10device_ptrIiEEEESK_SM_NS1_21lower_bound_search_opENS9_16wrapped_functionINS8_6system6detail7generic6detail18binary_search_lessEbEEEE10hipError_tPvRmT1_T2_T3_mmT4_T5_P12ihipStream_tbEUlRKiE_EESZ_S13_S14_mS15_S18_bEUlT_E_NS1_11comp_targetILNS1_3genE9ELNS1_11target_archE1100ELNS1_3gpuE3ELNS1_3repE0EEENS1_30default_config_static_selectorELNS0_4arch9wavefront6targetE0EEEvS12_
		.amdhsa_group_segment_fixed_size 0
		.amdhsa_private_segment_fixed_size 0
		.amdhsa_kernarg_size 56
		.amdhsa_user_sgpr_count 6
		.amdhsa_user_sgpr_private_segment_buffer 1
		.amdhsa_user_sgpr_dispatch_ptr 0
		.amdhsa_user_sgpr_queue_ptr 0
		.amdhsa_user_sgpr_kernarg_segment_ptr 1
		.amdhsa_user_sgpr_dispatch_id 0
		.amdhsa_user_sgpr_flat_scratch_init 0
		.amdhsa_user_sgpr_private_segment_size 0
		.amdhsa_wavefront_size32 1
		.amdhsa_uses_dynamic_stack 0
		.amdhsa_system_sgpr_private_segment_wavefront_offset 0
		.amdhsa_system_sgpr_workgroup_id_x 1
		.amdhsa_system_sgpr_workgroup_id_y 0
		.amdhsa_system_sgpr_workgroup_id_z 0
		.amdhsa_system_sgpr_workgroup_info 0
		.amdhsa_system_vgpr_workitem_id 0
		.amdhsa_next_free_vgpr 1
		.amdhsa_next_free_sgpr 1
		.amdhsa_reserve_vcc 0
		.amdhsa_reserve_flat_scratch 0
		.amdhsa_float_round_mode_32 0
		.amdhsa_float_round_mode_16_64 0
		.amdhsa_float_denorm_mode_32 3
		.amdhsa_float_denorm_mode_16_64 3
		.amdhsa_dx10_clamp 1
		.amdhsa_ieee_mode 1
		.amdhsa_fp16_overflow 0
		.amdhsa_workgroup_processor_mode 1
		.amdhsa_memory_ordered 1
		.amdhsa_forward_progress 1
		.amdhsa_shared_vgpr_count 0
		.amdhsa_exception_fp_ieee_invalid_op 0
		.amdhsa_exception_fp_denorm_src 0
		.amdhsa_exception_fp_ieee_div_zero 0
		.amdhsa_exception_fp_ieee_overflow 0
		.amdhsa_exception_fp_ieee_underflow 0
		.amdhsa_exception_fp_ieee_inexact 0
		.amdhsa_exception_int_div_zero 0
	.end_amdhsa_kernel
	.section	.text._ZN7rocprim17ROCPRIM_400000_NS6detail17trampoline_kernelINS0_14default_configENS1_27lower_bound_config_selectorIilEEZNS1_14transform_implILb0ES3_S5_N6thrust23THRUST_200600_302600_NS6detail15normal_iteratorINS8_7pointerIiNS9_22execute_with_allocatorINS8_16device_allocatorIcEENS8_11hip_rocprim22execute_on_stream_baseEEENS8_11use_defaultESI_EEEENSA_INSB_IlSH_SI_SI_EEEEZNS1_13binary_searchIS3_S5_NSA_INS8_10device_ptrIiEEEESK_SM_NS1_21lower_bound_search_opENS9_16wrapped_functionINS8_6system6detail7generic6detail18binary_search_lessEbEEEE10hipError_tPvRmT1_T2_T3_mmT4_T5_P12ihipStream_tbEUlRKiE_EESZ_S13_S14_mS15_S18_bEUlT_E_NS1_11comp_targetILNS1_3genE9ELNS1_11target_archE1100ELNS1_3gpuE3ELNS1_3repE0EEENS1_30default_config_static_selectorELNS0_4arch9wavefront6targetE0EEEvS12_,"axG",@progbits,_ZN7rocprim17ROCPRIM_400000_NS6detail17trampoline_kernelINS0_14default_configENS1_27lower_bound_config_selectorIilEEZNS1_14transform_implILb0ES3_S5_N6thrust23THRUST_200600_302600_NS6detail15normal_iteratorINS8_7pointerIiNS9_22execute_with_allocatorINS8_16device_allocatorIcEENS8_11hip_rocprim22execute_on_stream_baseEEENS8_11use_defaultESI_EEEENSA_INSB_IlSH_SI_SI_EEEEZNS1_13binary_searchIS3_S5_NSA_INS8_10device_ptrIiEEEESK_SM_NS1_21lower_bound_search_opENS9_16wrapped_functionINS8_6system6detail7generic6detail18binary_search_lessEbEEEE10hipError_tPvRmT1_T2_T3_mmT4_T5_P12ihipStream_tbEUlRKiE_EESZ_S13_S14_mS15_S18_bEUlT_E_NS1_11comp_targetILNS1_3genE9ELNS1_11target_archE1100ELNS1_3gpuE3ELNS1_3repE0EEENS1_30default_config_static_selectorELNS0_4arch9wavefront6targetE0EEEvS12_,comdat
.Lfunc_end777:
	.size	_ZN7rocprim17ROCPRIM_400000_NS6detail17trampoline_kernelINS0_14default_configENS1_27lower_bound_config_selectorIilEEZNS1_14transform_implILb0ES3_S5_N6thrust23THRUST_200600_302600_NS6detail15normal_iteratorINS8_7pointerIiNS9_22execute_with_allocatorINS8_16device_allocatorIcEENS8_11hip_rocprim22execute_on_stream_baseEEENS8_11use_defaultESI_EEEENSA_INSB_IlSH_SI_SI_EEEEZNS1_13binary_searchIS3_S5_NSA_INS8_10device_ptrIiEEEESK_SM_NS1_21lower_bound_search_opENS9_16wrapped_functionINS8_6system6detail7generic6detail18binary_search_lessEbEEEE10hipError_tPvRmT1_T2_T3_mmT4_T5_P12ihipStream_tbEUlRKiE_EESZ_S13_S14_mS15_S18_bEUlT_E_NS1_11comp_targetILNS1_3genE9ELNS1_11target_archE1100ELNS1_3gpuE3ELNS1_3repE0EEENS1_30default_config_static_selectorELNS0_4arch9wavefront6targetE0EEEvS12_, .Lfunc_end777-_ZN7rocprim17ROCPRIM_400000_NS6detail17trampoline_kernelINS0_14default_configENS1_27lower_bound_config_selectorIilEEZNS1_14transform_implILb0ES3_S5_N6thrust23THRUST_200600_302600_NS6detail15normal_iteratorINS8_7pointerIiNS9_22execute_with_allocatorINS8_16device_allocatorIcEENS8_11hip_rocprim22execute_on_stream_baseEEENS8_11use_defaultESI_EEEENSA_INSB_IlSH_SI_SI_EEEEZNS1_13binary_searchIS3_S5_NSA_INS8_10device_ptrIiEEEESK_SM_NS1_21lower_bound_search_opENS9_16wrapped_functionINS8_6system6detail7generic6detail18binary_search_lessEbEEEE10hipError_tPvRmT1_T2_T3_mmT4_T5_P12ihipStream_tbEUlRKiE_EESZ_S13_S14_mS15_S18_bEUlT_E_NS1_11comp_targetILNS1_3genE9ELNS1_11target_archE1100ELNS1_3gpuE3ELNS1_3repE0EEENS1_30default_config_static_selectorELNS0_4arch9wavefront6targetE0EEEvS12_
                                        ; -- End function
	.set _ZN7rocprim17ROCPRIM_400000_NS6detail17trampoline_kernelINS0_14default_configENS1_27lower_bound_config_selectorIilEEZNS1_14transform_implILb0ES3_S5_N6thrust23THRUST_200600_302600_NS6detail15normal_iteratorINS8_7pointerIiNS9_22execute_with_allocatorINS8_16device_allocatorIcEENS8_11hip_rocprim22execute_on_stream_baseEEENS8_11use_defaultESI_EEEENSA_INSB_IlSH_SI_SI_EEEEZNS1_13binary_searchIS3_S5_NSA_INS8_10device_ptrIiEEEESK_SM_NS1_21lower_bound_search_opENS9_16wrapped_functionINS8_6system6detail7generic6detail18binary_search_lessEbEEEE10hipError_tPvRmT1_T2_T3_mmT4_T5_P12ihipStream_tbEUlRKiE_EESZ_S13_S14_mS15_S18_bEUlT_E_NS1_11comp_targetILNS1_3genE9ELNS1_11target_archE1100ELNS1_3gpuE3ELNS1_3repE0EEENS1_30default_config_static_selectorELNS0_4arch9wavefront6targetE0EEEvS12_.num_vgpr, 0
	.set _ZN7rocprim17ROCPRIM_400000_NS6detail17trampoline_kernelINS0_14default_configENS1_27lower_bound_config_selectorIilEEZNS1_14transform_implILb0ES3_S5_N6thrust23THRUST_200600_302600_NS6detail15normal_iteratorINS8_7pointerIiNS9_22execute_with_allocatorINS8_16device_allocatorIcEENS8_11hip_rocprim22execute_on_stream_baseEEENS8_11use_defaultESI_EEEENSA_INSB_IlSH_SI_SI_EEEEZNS1_13binary_searchIS3_S5_NSA_INS8_10device_ptrIiEEEESK_SM_NS1_21lower_bound_search_opENS9_16wrapped_functionINS8_6system6detail7generic6detail18binary_search_lessEbEEEE10hipError_tPvRmT1_T2_T3_mmT4_T5_P12ihipStream_tbEUlRKiE_EESZ_S13_S14_mS15_S18_bEUlT_E_NS1_11comp_targetILNS1_3genE9ELNS1_11target_archE1100ELNS1_3gpuE3ELNS1_3repE0EEENS1_30default_config_static_selectorELNS0_4arch9wavefront6targetE0EEEvS12_.num_agpr, 0
	.set _ZN7rocprim17ROCPRIM_400000_NS6detail17trampoline_kernelINS0_14default_configENS1_27lower_bound_config_selectorIilEEZNS1_14transform_implILb0ES3_S5_N6thrust23THRUST_200600_302600_NS6detail15normal_iteratorINS8_7pointerIiNS9_22execute_with_allocatorINS8_16device_allocatorIcEENS8_11hip_rocprim22execute_on_stream_baseEEENS8_11use_defaultESI_EEEENSA_INSB_IlSH_SI_SI_EEEEZNS1_13binary_searchIS3_S5_NSA_INS8_10device_ptrIiEEEESK_SM_NS1_21lower_bound_search_opENS9_16wrapped_functionINS8_6system6detail7generic6detail18binary_search_lessEbEEEE10hipError_tPvRmT1_T2_T3_mmT4_T5_P12ihipStream_tbEUlRKiE_EESZ_S13_S14_mS15_S18_bEUlT_E_NS1_11comp_targetILNS1_3genE9ELNS1_11target_archE1100ELNS1_3gpuE3ELNS1_3repE0EEENS1_30default_config_static_selectorELNS0_4arch9wavefront6targetE0EEEvS12_.numbered_sgpr, 0
	.set _ZN7rocprim17ROCPRIM_400000_NS6detail17trampoline_kernelINS0_14default_configENS1_27lower_bound_config_selectorIilEEZNS1_14transform_implILb0ES3_S5_N6thrust23THRUST_200600_302600_NS6detail15normal_iteratorINS8_7pointerIiNS9_22execute_with_allocatorINS8_16device_allocatorIcEENS8_11hip_rocprim22execute_on_stream_baseEEENS8_11use_defaultESI_EEEENSA_INSB_IlSH_SI_SI_EEEEZNS1_13binary_searchIS3_S5_NSA_INS8_10device_ptrIiEEEESK_SM_NS1_21lower_bound_search_opENS9_16wrapped_functionINS8_6system6detail7generic6detail18binary_search_lessEbEEEE10hipError_tPvRmT1_T2_T3_mmT4_T5_P12ihipStream_tbEUlRKiE_EESZ_S13_S14_mS15_S18_bEUlT_E_NS1_11comp_targetILNS1_3genE9ELNS1_11target_archE1100ELNS1_3gpuE3ELNS1_3repE0EEENS1_30default_config_static_selectorELNS0_4arch9wavefront6targetE0EEEvS12_.num_named_barrier, 0
	.set _ZN7rocprim17ROCPRIM_400000_NS6detail17trampoline_kernelINS0_14default_configENS1_27lower_bound_config_selectorIilEEZNS1_14transform_implILb0ES3_S5_N6thrust23THRUST_200600_302600_NS6detail15normal_iteratorINS8_7pointerIiNS9_22execute_with_allocatorINS8_16device_allocatorIcEENS8_11hip_rocprim22execute_on_stream_baseEEENS8_11use_defaultESI_EEEENSA_INSB_IlSH_SI_SI_EEEEZNS1_13binary_searchIS3_S5_NSA_INS8_10device_ptrIiEEEESK_SM_NS1_21lower_bound_search_opENS9_16wrapped_functionINS8_6system6detail7generic6detail18binary_search_lessEbEEEE10hipError_tPvRmT1_T2_T3_mmT4_T5_P12ihipStream_tbEUlRKiE_EESZ_S13_S14_mS15_S18_bEUlT_E_NS1_11comp_targetILNS1_3genE9ELNS1_11target_archE1100ELNS1_3gpuE3ELNS1_3repE0EEENS1_30default_config_static_selectorELNS0_4arch9wavefront6targetE0EEEvS12_.private_seg_size, 0
	.set _ZN7rocprim17ROCPRIM_400000_NS6detail17trampoline_kernelINS0_14default_configENS1_27lower_bound_config_selectorIilEEZNS1_14transform_implILb0ES3_S5_N6thrust23THRUST_200600_302600_NS6detail15normal_iteratorINS8_7pointerIiNS9_22execute_with_allocatorINS8_16device_allocatorIcEENS8_11hip_rocprim22execute_on_stream_baseEEENS8_11use_defaultESI_EEEENSA_INSB_IlSH_SI_SI_EEEEZNS1_13binary_searchIS3_S5_NSA_INS8_10device_ptrIiEEEESK_SM_NS1_21lower_bound_search_opENS9_16wrapped_functionINS8_6system6detail7generic6detail18binary_search_lessEbEEEE10hipError_tPvRmT1_T2_T3_mmT4_T5_P12ihipStream_tbEUlRKiE_EESZ_S13_S14_mS15_S18_bEUlT_E_NS1_11comp_targetILNS1_3genE9ELNS1_11target_archE1100ELNS1_3gpuE3ELNS1_3repE0EEENS1_30default_config_static_selectorELNS0_4arch9wavefront6targetE0EEEvS12_.uses_vcc, 0
	.set _ZN7rocprim17ROCPRIM_400000_NS6detail17trampoline_kernelINS0_14default_configENS1_27lower_bound_config_selectorIilEEZNS1_14transform_implILb0ES3_S5_N6thrust23THRUST_200600_302600_NS6detail15normal_iteratorINS8_7pointerIiNS9_22execute_with_allocatorINS8_16device_allocatorIcEENS8_11hip_rocprim22execute_on_stream_baseEEENS8_11use_defaultESI_EEEENSA_INSB_IlSH_SI_SI_EEEEZNS1_13binary_searchIS3_S5_NSA_INS8_10device_ptrIiEEEESK_SM_NS1_21lower_bound_search_opENS9_16wrapped_functionINS8_6system6detail7generic6detail18binary_search_lessEbEEEE10hipError_tPvRmT1_T2_T3_mmT4_T5_P12ihipStream_tbEUlRKiE_EESZ_S13_S14_mS15_S18_bEUlT_E_NS1_11comp_targetILNS1_3genE9ELNS1_11target_archE1100ELNS1_3gpuE3ELNS1_3repE0EEENS1_30default_config_static_selectorELNS0_4arch9wavefront6targetE0EEEvS12_.uses_flat_scratch, 0
	.set _ZN7rocprim17ROCPRIM_400000_NS6detail17trampoline_kernelINS0_14default_configENS1_27lower_bound_config_selectorIilEEZNS1_14transform_implILb0ES3_S5_N6thrust23THRUST_200600_302600_NS6detail15normal_iteratorINS8_7pointerIiNS9_22execute_with_allocatorINS8_16device_allocatorIcEENS8_11hip_rocprim22execute_on_stream_baseEEENS8_11use_defaultESI_EEEENSA_INSB_IlSH_SI_SI_EEEEZNS1_13binary_searchIS3_S5_NSA_INS8_10device_ptrIiEEEESK_SM_NS1_21lower_bound_search_opENS9_16wrapped_functionINS8_6system6detail7generic6detail18binary_search_lessEbEEEE10hipError_tPvRmT1_T2_T3_mmT4_T5_P12ihipStream_tbEUlRKiE_EESZ_S13_S14_mS15_S18_bEUlT_E_NS1_11comp_targetILNS1_3genE9ELNS1_11target_archE1100ELNS1_3gpuE3ELNS1_3repE0EEENS1_30default_config_static_selectorELNS0_4arch9wavefront6targetE0EEEvS12_.has_dyn_sized_stack, 0
	.set _ZN7rocprim17ROCPRIM_400000_NS6detail17trampoline_kernelINS0_14default_configENS1_27lower_bound_config_selectorIilEEZNS1_14transform_implILb0ES3_S5_N6thrust23THRUST_200600_302600_NS6detail15normal_iteratorINS8_7pointerIiNS9_22execute_with_allocatorINS8_16device_allocatorIcEENS8_11hip_rocprim22execute_on_stream_baseEEENS8_11use_defaultESI_EEEENSA_INSB_IlSH_SI_SI_EEEEZNS1_13binary_searchIS3_S5_NSA_INS8_10device_ptrIiEEEESK_SM_NS1_21lower_bound_search_opENS9_16wrapped_functionINS8_6system6detail7generic6detail18binary_search_lessEbEEEE10hipError_tPvRmT1_T2_T3_mmT4_T5_P12ihipStream_tbEUlRKiE_EESZ_S13_S14_mS15_S18_bEUlT_E_NS1_11comp_targetILNS1_3genE9ELNS1_11target_archE1100ELNS1_3gpuE3ELNS1_3repE0EEENS1_30default_config_static_selectorELNS0_4arch9wavefront6targetE0EEEvS12_.has_recursion, 0
	.set _ZN7rocprim17ROCPRIM_400000_NS6detail17trampoline_kernelINS0_14default_configENS1_27lower_bound_config_selectorIilEEZNS1_14transform_implILb0ES3_S5_N6thrust23THRUST_200600_302600_NS6detail15normal_iteratorINS8_7pointerIiNS9_22execute_with_allocatorINS8_16device_allocatorIcEENS8_11hip_rocprim22execute_on_stream_baseEEENS8_11use_defaultESI_EEEENSA_INSB_IlSH_SI_SI_EEEEZNS1_13binary_searchIS3_S5_NSA_INS8_10device_ptrIiEEEESK_SM_NS1_21lower_bound_search_opENS9_16wrapped_functionINS8_6system6detail7generic6detail18binary_search_lessEbEEEE10hipError_tPvRmT1_T2_T3_mmT4_T5_P12ihipStream_tbEUlRKiE_EESZ_S13_S14_mS15_S18_bEUlT_E_NS1_11comp_targetILNS1_3genE9ELNS1_11target_archE1100ELNS1_3gpuE3ELNS1_3repE0EEENS1_30default_config_static_selectorELNS0_4arch9wavefront6targetE0EEEvS12_.has_indirect_call, 0
	.section	.AMDGPU.csdata,"",@progbits
; Kernel info:
; codeLenInByte = 0
; TotalNumSgprs: 0
; NumVgprs: 0
; ScratchSize: 0
; MemoryBound: 0
; FloatMode: 240
; IeeeMode: 1
; LDSByteSize: 0 bytes/workgroup (compile time only)
; SGPRBlocks: 0
; VGPRBlocks: 0
; NumSGPRsForWavesPerEU: 1
; NumVGPRsForWavesPerEU: 1
; Occupancy: 16
; WaveLimiterHint : 0
; COMPUTE_PGM_RSRC2:SCRATCH_EN: 0
; COMPUTE_PGM_RSRC2:USER_SGPR: 6
; COMPUTE_PGM_RSRC2:TRAP_HANDLER: 0
; COMPUTE_PGM_RSRC2:TGID_X_EN: 1
; COMPUTE_PGM_RSRC2:TGID_Y_EN: 0
; COMPUTE_PGM_RSRC2:TGID_Z_EN: 0
; COMPUTE_PGM_RSRC2:TIDIG_COMP_CNT: 0
	.section	.text._ZN7rocprim17ROCPRIM_400000_NS6detail17trampoline_kernelINS0_14default_configENS1_27lower_bound_config_selectorIilEEZNS1_14transform_implILb0ES3_S5_N6thrust23THRUST_200600_302600_NS6detail15normal_iteratorINS8_7pointerIiNS9_22execute_with_allocatorINS8_16device_allocatorIcEENS8_11hip_rocprim22execute_on_stream_baseEEENS8_11use_defaultESI_EEEENSA_INSB_IlSH_SI_SI_EEEEZNS1_13binary_searchIS3_S5_NSA_INS8_10device_ptrIiEEEESK_SM_NS1_21lower_bound_search_opENS9_16wrapped_functionINS8_6system6detail7generic6detail18binary_search_lessEbEEEE10hipError_tPvRmT1_T2_T3_mmT4_T5_P12ihipStream_tbEUlRKiE_EESZ_S13_S14_mS15_S18_bEUlT_E_NS1_11comp_targetILNS1_3genE8ELNS1_11target_archE1030ELNS1_3gpuE2ELNS1_3repE0EEENS1_30default_config_static_selectorELNS0_4arch9wavefront6targetE0EEEvS12_,"axG",@progbits,_ZN7rocprim17ROCPRIM_400000_NS6detail17trampoline_kernelINS0_14default_configENS1_27lower_bound_config_selectorIilEEZNS1_14transform_implILb0ES3_S5_N6thrust23THRUST_200600_302600_NS6detail15normal_iteratorINS8_7pointerIiNS9_22execute_with_allocatorINS8_16device_allocatorIcEENS8_11hip_rocprim22execute_on_stream_baseEEENS8_11use_defaultESI_EEEENSA_INSB_IlSH_SI_SI_EEEEZNS1_13binary_searchIS3_S5_NSA_INS8_10device_ptrIiEEEESK_SM_NS1_21lower_bound_search_opENS9_16wrapped_functionINS8_6system6detail7generic6detail18binary_search_lessEbEEEE10hipError_tPvRmT1_T2_T3_mmT4_T5_P12ihipStream_tbEUlRKiE_EESZ_S13_S14_mS15_S18_bEUlT_E_NS1_11comp_targetILNS1_3genE8ELNS1_11target_archE1030ELNS1_3gpuE2ELNS1_3repE0EEENS1_30default_config_static_selectorELNS0_4arch9wavefront6targetE0EEEvS12_,comdat
	.protected	_ZN7rocprim17ROCPRIM_400000_NS6detail17trampoline_kernelINS0_14default_configENS1_27lower_bound_config_selectorIilEEZNS1_14transform_implILb0ES3_S5_N6thrust23THRUST_200600_302600_NS6detail15normal_iteratorINS8_7pointerIiNS9_22execute_with_allocatorINS8_16device_allocatorIcEENS8_11hip_rocprim22execute_on_stream_baseEEENS8_11use_defaultESI_EEEENSA_INSB_IlSH_SI_SI_EEEEZNS1_13binary_searchIS3_S5_NSA_INS8_10device_ptrIiEEEESK_SM_NS1_21lower_bound_search_opENS9_16wrapped_functionINS8_6system6detail7generic6detail18binary_search_lessEbEEEE10hipError_tPvRmT1_T2_T3_mmT4_T5_P12ihipStream_tbEUlRKiE_EESZ_S13_S14_mS15_S18_bEUlT_E_NS1_11comp_targetILNS1_3genE8ELNS1_11target_archE1030ELNS1_3gpuE2ELNS1_3repE0EEENS1_30default_config_static_selectorELNS0_4arch9wavefront6targetE0EEEvS12_ ; -- Begin function _ZN7rocprim17ROCPRIM_400000_NS6detail17trampoline_kernelINS0_14default_configENS1_27lower_bound_config_selectorIilEEZNS1_14transform_implILb0ES3_S5_N6thrust23THRUST_200600_302600_NS6detail15normal_iteratorINS8_7pointerIiNS9_22execute_with_allocatorINS8_16device_allocatorIcEENS8_11hip_rocprim22execute_on_stream_baseEEENS8_11use_defaultESI_EEEENSA_INSB_IlSH_SI_SI_EEEEZNS1_13binary_searchIS3_S5_NSA_INS8_10device_ptrIiEEEESK_SM_NS1_21lower_bound_search_opENS9_16wrapped_functionINS8_6system6detail7generic6detail18binary_search_lessEbEEEE10hipError_tPvRmT1_T2_T3_mmT4_T5_P12ihipStream_tbEUlRKiE_EESZ_S13_S14_mS15_S18_bEUlT_E_NS1_11comp_targetILNS1_3genE8ELNS1_11target_archE1030ELNS1_3gpuE2ELNS1_3repE0EEENS1_30default_config_static_selectorELNS0_4arch9wavefront6targetE0EEEvS12_
	.globl	_ZN7rocprim17ROCPRIM_400000_NS6detail17trampoline_kernelINS0_14default_configENS1_27lower_bound_config_selectorIilEEZNS1_14transform_implILb0ES3_S5_N6thrust23THRUST_200600_302600_NS6detail15normal_iteratorINS8_7pointerIiNS9_22execute_with_allocatorINS8_16device_allocatorIcEENS8_11hip_rocprim22execute_on_stream_baseEEENS8_11use_defaultESI_EEEENSA_INSB_IlSH_SI_SI_EEEEZNS1_13binary_searchIS3_S5_NSA_INS8_10device_ptrIiEEEESK_SM_NS1_21lower_bound_search_opENS9_16wrapped_functionINS8_6system6detail7generic6detail18binary_search_lessEbEEEE10hipError_tPvRmT1_T2_T3_mmT4_T5_P12ihipStream_tbEUlRKiE_EESZ_S13_S14_mS15_S18_bEUlT_E_NS1_11comp_targetILNS1_3genE8ELNS1_11target_archE1030ELNS1_3gpuE2ELNS1_3repE0EEENS1_30default_config_static_selectorELNS0_4arch9wavefront6targetE0EEEvS12_
	.p2align	8
	.type	_ZN7rocprim17ROCPRIM_400000_NS6detail17trampoline_kernelINS0_14default_configENS1_27lower_bound_config_selectorIilEEZNS1_14transform_implILb0ES3_S5_N6thrust23THRUST_200600_302600_NS6detail15normal_iteratorINS8_7pointerIiNS9_22execute_with_allocatorINS8_16device_allocatorIcEENS8_11hip_rocprim22execute_on_stream_baseEEENS8_11use_defaultESI_EEEENSA_INSB_IlSH_SI_SI_EEEEZNS1_13binary_searchIS3_S5_NSA_INS8_10device_ptrIiEEEESK_SM_NS1_21lower_bound_search_opENS9_16wrapped_functionINS8_6system6detail7generic6detail18binary_search_lessEbEEEE10hipError_tPvRmT1_T2_T3_mmT4_T5_P12ihipStream_tbEUlRKiE_EESZ_S13_S14_mS15_S18_bEUlT_E_NS1_11comp_targetILNS1_3genE8ELNS1_11target_archE1030ELNS1_3gpuE2ELNS1_3repE0EEENS1_30default_config_static_selectorELNS0_4arch9wavefront6targetE0EEEvS12_,@function
_ZN7rocprim17ROCPRIM_400000_NS6detail17trampoline_kernelINS0_14default_configENS1_27lower_bound_config_selectorIilEEZNS1_14transform_implILb0ES3_S5_N6thrust23THRUST_200600_302600_NS6detail15normal_iteratorINS8_7pointerIiNS9_22execute_with_allocatorINS8_16device_allocatorIcEENS8_11hip_rocprim22execute_on_stream_baseEEENS8_11use_defaultESI_EEEENSA_INSB_IlSH_SI_SI_EEEEZNS1_13binary_searchIS3_S5_NSA_INS8_10device_ptrIiEEEESK_SM_NS1_21lower_bound_search_opENS9_16wrapped_functionINS8_6system6detail7generic6detail18binary_search_lessEbEEEE10hipError_tPvRmT1_T2_T3_mmT4_T5_P12ihipStream_tbEUlRKiE_EESZ_S13_S14_mS15_S18_bEUlT_E_NS1_11comp_targetILNS1_3genE8ELNS1_11target_archE1030ELNS1_3gpuE2ELNS1_3repE0EEENS1_30default_config_static_selectorELNS0_4arch9wavefront6targetE0EEEvS12_: ; @_ZN7rocprim17ROCPRIM_400000_NS6detail17trampoline_kernelINS0_14default_configENS1_27lower_bound_config_selectorIilEEZNS1_14transform_implILb0ES3_S5_N6thrust23THRUST_200600_302600_NS6detail15normal_iteratorINS8_7pointerIiNS9_22execute_with_allocatorINS8_16device_allocatorIcEENS8_11hip_rocprim22execute_on_stream_baseEEENS8_11use_defaultESI_EEEENSA_INSB_IlSH_SI_SI_EEEEZNS1_13binary_searchIS3_S5_NSA_INS8_10device_ptrIiEEEESK_SM_NS1_21lower_bound_search_opENS9_16wrapped_functionINS8_6system6detail7generic6detail18binary_search_lessEbEEEE10hipError_tPvRmT1_T2_T3_mmT4_T5_P12ihipStream_tbEUlRKiE_EESZ_S13_S14_mS15_S18_bEUlT_E_NS1_11comp_targetILNS1_3genE8ELNS1_11target_archE1030ELNS1_3gpuE2ELNS1_3repE0EEENS1_30default_config_static_selectorELNS0_4arch9wavefront6targetE0EEEvS12_
; %bb.0:
	s_clause 0x3
	s_load_dwordx4 s[12:15], s[4:5], 0x0
	s_load_dwordx4 s[0:3], s[4:5], 0x18
	s_load_dword s16, s[4:5], 0x38
	s_load_dwordx2 s[10:11], s[4:5], 0x28
	s_waitcnt lgkmcnt(0)
	s_lshl_b64 s[8:9], s[14:15], 2
	s_add_u32 s12, s12, s8
	s_addc_u32 s13, s13, s9
	s_lshl_b64 s[8:9], s[14:15], 3
	s_add_u32 s7, s0, s8
	s_addc_u32 s1, s1, s9
	s_add_i32 s16, s16, -1
	s_lshl_b32 s8, s6, 8
	s_mov_b32 s9, 0
	s_cmp_lg_u32 s6, s16
	s_mov_b32 s0, -1
	s_cbranch_scc0 .LBB778_7
; %bb.1:
	s_cmp_eq_u64 s[10:11], 0
	s_cbranch_scc1 .LBB778_5
; %bb.2:
	v_lshlrev_b32_e32 v1, 2, v0
	s_lshl_b64 s[14:15], s[8:9], 2
	v_mov_b32_e32 v3, s10
	s_add_u32 s0, s12, s14
	s_addc_u32 s6, s13, s15
	v_add_co_u32 v1, s0, s0, v1
	v_add_co_ci_u32_e64 v2, null, s6, 0, s0
	v_mov_b32_e32 v4, s11
	s_mov_b32 s0, 0
	flat_load_dword v5, v[1:2]
	v_mov_b32_e32 v1, 0
	v_mov_b32_e32 v2, 0
	s_inst_prefetch 0x1
	.p2align	6
.LBB778_3:                              ; =>This Inner Loop Header: Depth=1
	v_sub_co_u32 v6, vcc_lo, v3, v1
	v_sub_co_ci_u32_e64 v7, null, v4, v2, vcc_lo
	v_lshrrev_b64 v[8:9], 1, v[6:7]
	v_lshrrev_b64 v[6:7], 6, v[6:7]
	v_add_co_u32 v8, vcc_lo, v8, v1
	v_add_co_ci_u32_e64 v9, null, v9, v2, vcc_lo
	v_add_co_u32 v6, vcc_lo, v8, v6
	v_add_co_ci_u32_e64 v7, null, v9, v7, vcc_lo
	v_lshlrev_b64 v[8:9], 2, v[6:7]
	v_add_co_u32 v8, vcc_lo, s2, v8
	v_add_co_ci_u32_e64 v9, null, s3, v9, vcc_lo
	global_load_dword v8, v[8:9], off
	v_add_co_u32 v9, vcc_lo, v6, 1
	v_add_co_ci_u32_e64 v10, null, 0, v7, vcc_lo
	s_waitcnt vmcnt(0) lgkmcnt(0)
	v_cmp_lt_i32_e32 vcc_lo, v8, v5
	v_cndmask_b32_e32 v4, v7, v4, vcc_lo
	v_cndmask_b32_e32 v3, v6, v3, vcc_lo
	;; [unrolled: 1-line block ×4, first 2 shown]
	v_cmp_ge_u64_e32 vcc_lo, v[1:2], v[3:4]
	s_or_b32 s0, vcc_lo, s0
	s_andn2_b32 exec_lo, exec_lo, s0
	s_cbranch_execnz .LBB778_3
; %bb.4:
	s_inst_prefetch 0x2
	s_or_b32 exec_lo, exec_lo, s0
	s_branch .LBB778_6
.LBB778_5:
	v_mov_b32_e32 v1, 0
	v_mov_b32_e32 v2, 0
.LBB778_6:
	v_lshlrev_b32_e32 v3, 3, v0
	s_lshl_b64 s[14:15], s[8:9], 3
	s_add_u32 s0, s7, s14
	s_addc_u32 s6, s1, s15
	v_add_co_u32 v3, s0, s0, v3
	v_add_co_ci_u32_e64 v4, null, s6, 0, s0
	s_mov_b32 s0, 0
	flat_store_dwordx2 v[3:4], v[1:2]
.LBB778_7:
	s_and_b32 vcc_lo, exec_lo, s0
	s_cbranch_vccz .LBB778_16
; %bb.8:
	s_load_dword s0, s[4:5], 0x10
                                        ; implicit-def: $vgpr5
	s_waitcnt lgkmcnt(0)
	s_sub_i32 s4, s0, s8
	v_cmp_le_u32_e64 s0, s4, v0
	v_cmp_gt_u32_e32 vcc_lo, s4, v0
	s_and_saveexec_b32 s4, vcc_lo
	s_cbranch_execz .LBB778_10
; %bb.9:
	v_lshlrev_b32_e32 v1, 2, v0
	s_lshl_b64 s[14:15], s[8:9], 2
	s_add_u32 s5, s12, s14
	s_addc_u32 s6, s13, s15
	v_add_co_u32 v1, s5, s5, v1
	v_add_co_ci_u32_e64 v2, null, s6, 0, s5
	flat_load_dword v5, v[1:2]
.LBB778_10:
	s_or_b32 exec_lo, exec_lo, s4
	s_cmp_lg_u64 s[10:11], 0
	v_mov_b32_e32 v1, 0
	v_mov_b32_e32 v2, 0
	s_cselect_b32 s4, -1, 0
	s_xor_b32 s0, s0, -1
	s_and_b32 s0, s0, s4
	s_and_saveexec_b32 s4, s0
	s_cbranch_execz .LBB778_14
; %bb.11:
	v_mov_b32_e32 v1, 0
	v_mov_b32_e32 v3, s10
	;; [unrolled: 1-line block ×4, first 2 shown]
	s_mov_b32 s5, 0
	s_inst_prefetch 0x1
	.p2align	6
.LBB778_12:                             ; =>This Inner Loop Header: Depth=1
	v_sub_co_u32 v6, s0, v3, v1
	v_sub_co_ci_u32_e64 v7, null, v4, v2, s0
	v_lshrrev_b64 v[8:9], 1, v[6:7]
	v_lshrrev_b64 v[6:7], 6, v[6:7]
	v_add_co_u32 v8, s0, v8, v1
	v_add_co_ci_u32_e64 v9, null, v9, v2, s0
	v_add_co_u32 v6, s0, v8, v6
	v_add_co_ci_u32_e64 v7, null, v9, v7, s0
	v_lshlrev_b64 v[8:9], 2, v[6:7]
	v_add_co_u32 v8, s0, s2, v8
	v_add_co_ci_u32_e64 v9, null, s3, v9, s0
	global_load_dword v8, v[8:9], off
	v_add_co_u32 v9, s0, v6, 1
	v_add_co_ci_u32_e64 v10, null, 0, v7, s0
	s_waitcnt vmcnt(0) lgkmcnt(0)
	v_cmp_lt_i32_e64 s0, v8, v5
	v_cndmask_b32_e64 v4, v7, v4, s0
	v_cndmask_b32_e64 v3, v6, v3, s0
	;; [unrolled: 1-line block ×4, first 2 shown]
	v_cmp_ge_u64_e64 s0, v[1:2], v[3:4]
	s_or_b32 s5, s0, s5
	s_andn2_b32 exec_lo, exec_lo, s5
	s_cbranch_execnz .LBB778_12
; %bb.13:
	s_inst_prefetch 0x2
	s_or_b32 exec_lo, exec_lo, s5
.LBB778_14:
	s_or_b32 exec_lo, exec_lo, s4
	s_and_saveexec_b32 s0, vcc_lo
	s_cbranch_execz .LBB778_16
; %bb.15:
	v_lshlrev_b32_e32 v0, 3, v0
	s_lshl_b64 s[2:3], s[8:9], 3
	s_add_u32 s0, s7, s2
	s_addc_u32 s1, s1, s3
	v_add_co_u32 v3, s0, s0, v0
	v_add_co_ci_u32_e64 v4, null, s1, 0, s0
	flat_store_dwordx2 v[3:4], v[1:2]
.LBB778_16:
	s_endpgm
	.section	.rodata,"a",@progbits
	.p2align	6, 0x0
	.amdhsa_kernel _ZN7rocprim17ROCPRIM_400000_NS6detail17trampoline_kernelINS0_14default_configENS1_27lower_bound_config_selectorIilEEZNS1_14transform_implILb0ES3_S5_N6thrust23THRUST_200600_302600_NS6detail15normal_iteratorINS8_7pointerIiNS9_22execute_with_allocatorINS8_16device_allocatorIcEENS8_11hip_rocprim22execute_on_stream_baseEEENS8_11use_defaultESI_EEEENSA_INSB_IlSH_SI_SI_EEEEZNS1_13binary_searchIS3_S5_NSA_INS8_10device_ptrIiEEEESK_SM_NS1_21lower_bound_search_opENS9_16wrapped_functionINS8_6system6detail7generic6detail18binary_search_lessEbEEEE10hipError_tPvRmT1_T2_T3_mmT4_T5_P12ihipStream_tbEUlRKiE_EESZ_S13_S14_mS15_S18_bEUlT_E_NS1_11comp_targetILNS1_3genE8ELNS1_11target_archE1030ELNS1_3gpuE2ELNS1_3repE0EEENS1_30default_config_static_selectorELNS0_4arch9wavefront6targetE0EEEvS12_
		.amdhsa_group_segment_fixed_size 0
		.amdhsa_private_segment_fixed_size 0
		.amdhsa_kernarg_size 312
		.amdhsa_user_sgpr_count 6
		.amdhsa_user_sgpr_private_segment_buffer 1
		.amdhsa_user_sgpr_dispatch_ptr 0
		.amdhsa_user_sgpr_queue_ptr 0
		.amdhsa_user_sgpr_kernarg_segment_ptr 1
		.amdhsa_user_sgpr_dispatch_id 0
		.amdhsa_user_sgpr_flat_scratch_init 0
		.amdhsa_user_sgpr_private_segment_size 0
		.amdhsa_wavefront_size32 1
		.amdhsa_uses_dynamic_stack 0
		.amdhsa_system_sgpr_private_segment_wavefront_offset 0
		.amdhsa_system_sgpr_workgroup_id_x 1
		.amdhsa_system_sgpr_workgroup_id_y 0
		.amdhsa_system_sgpr_workgroup_id_z 0
		.amdhsa_system_sgpr_workgroup_info 0
		.amdhsa_system_vgpr_workitem_id 0
		.amdhsa_next_free_vgpr 11
		.amdhsa_next_free_sgpr 17
		.amdhsa_reserve_vcc 1
		.amdhsa_reserve_flat_scratch 0
		.amdhsa_float_round_mode_32 0
		.amdhsa_float_round_mode_16_64 0
		.amdhsa_float_denorm_mode_32 3
		.amdhsa_float_denorm_mode_16_64 3
		.amdhsa_dx10_clamp 1
		.amdhsa_ieee_mode 1
		.amdhsa_fp16_overflow 0
		.amdhsa_workgroup_processor_mode 1
		.amdhsa_memory_ordered 1
		.amdhsa_forward_progress 1
		.amdhsa_shared_vgpr_count 0
		.amdhsa_exception_fp_ieee_invalid_op 0
		.amdhsa_exception_fp_denorm_src 0
		.amdhsa_exception_fp_ieee_div_zero 0
		.amdhsa_exception_fp_ieee_overflow 0
		.amdhsa_exception_fp_ieee_underflow 0
		.amdhsa_exception_fp_ieee_inexact 0
		.amdhsa_exception_int_div_zero 0
	.end_amdhsa_kernel
	.section	.text._ZN7rocprim17ROCPRIM_400000_NS6detail17trampoline_kernelINS0_14default_configENS1_27lower_bound_config_selectorIilEEZNS1_14transform_implILb0ES3_S5_N6thrust23THRUST_200600_302600_NS6detail15normal_iteratorINS8_7pointerIiNS9_22execute_with_allocatorINS8_16device_allocatorIcEENS8_11hip_rocprim22execute_on_stream_baseEEENS8_11use_defaultESI_EEEENSA_INSB_IlSH_SI_SI_EEEEZNS1_13binary_searchIS3_S5_NSA_INS8_10device_ptrIiEEEESK_SM_NS1_21lower_bound_search_opENS9_16wrapped_functionINS8_6system6detail7generic6detail18binary_search_lessEbEEEE10hipError_tPvRmT1_T2_T3_mmT4_T5_P12ihipStream_tbEUlRKiE_EESZ_S13_S14_mS15_S18_bEUlT_E_NS1_11comp_targetILNS1_3genE8ELNS1_11target_archE1030ELNS1_3gpuE2ELNS1_3repE0EEENS1_30default_config_static_selectorELNS0_4arch9wavefront6targetE0EEEvS12_,"axG",@progbits,_ZN7rocprim17ROCPRIM_400000_NS6detail17trampoline_kernelINS0_14default_configENS1_27lower_bound_config_selectorIilEEZNS1_14transform_implILb0ES3_S5_N6thrust23THRUST_200600_302600_NS6detail15normal_iteratorINS8_7pointerIiNS9_22execute_with_allocatorINS8_16device_allocatorIcEENS8_11hip_rocprim22execute_on_stream_baseEEENS8_11use_defaultESI_EEEENSA_INSB_IlSH_SI_SI_EEEEZNS1_13binary_searchIS3_S5_NSA_INS8_10device_ptrIiEEEESK_SM_NS1_21lower_bound_search_opENS9_16wrapped_functionINS8_6system6detail7generic6detail18binary_search_lessEbEEEE10hipError_tPvRmT1_T2_T3_mmT4_T5_P12ihipStream_tbEUlRKiE_EESZ_S13_S14_mS15_S18_bEUlT_E_NS1_11comp_targetILNS1_3genE8ELNS1_11target_archE1030ELNS1_3gpuE2ELNS1_3repE0EEENS1_30default_config_static_selectorELNS0_4arch9wavefront6targetE0EEEvS12_,comdat
.Lfunc_end778:
	.size	_ZN7rocprim17ROCPRIM_400000_NS6detail17trampoline_kernelINS0_14default_configENS1_27lower_bound_config_selectorIilEEZNS1_14transform_implILb0ES3_S5_N6thrust23THRUST_200600_302600_NS6detail15normal_iteratorINS8_7pointerIiNS9_22execute_with_allocatorINS8_16device_allocatorIcEENS8_11hip_rocprim22execute_on_stream_baseEEENS8_11use_defaultESI_EEEENSA_INSB_IlSH_SI_SI_EEEEZNS1_13binary_searchIS3_S5_NSA_INS8_10device_ptrIiEEEESK_SM_NS1_21lower_bound_search_opENS9_16wrapped_functionINS8_6system6detail7generic6detail18binary_search_lessEbEEEE10hipError_tPvRmT1_T2_T3_mmT4_T5_P12ihipStream_tbEUlRKiE_EESZ_S13_S14_mS15_S18_bEUlT_E_NS1_11comp_targetILNS1_3genE8ELNS1_11target_archE1030ELNS1_3gpuE2ELNS1_3repE0EEENS1_30default_config_static_selectorELNS0_4arch9wavefront6targetE0EEEvS12_, .Lfunc_end778-_ZN7rocprim17ROCPRIM_400000_NS6detail17trampoline_kernelINS0_14default_configENS1_27lower_bound_config_selectorIilEEZNS1_14transform_implILb0ES3_S5_N6thrust23THRUST_200600_302600_NS6detail15normal_iteratorINS8_7pointerIiNS9_22execute_with_allocatorINS8_16device_allocatorIcEENS8_11hip_rocprim22execute_on_stream_baseEEENS8_11use_defaultESI_EEEENSA_INSB_IlSH_SI_SI_EEEEZNS1_13binary_searchIS3_S5_NSA_INS8_10device_ptrIiEEEESK_SM_NS1_21lower_bound_search_opENS9_16wrapped_functionINS8_6system6detail7generic6detail18binary_search_lessEbEEEE10hipError_tPvRmT1_T2_T3_mmT4_T5_P12ihipStream_tbEUlRKiE_EESZ_S13_S14_mS15_S18_bEUlT_E_NS1_11comp_targetILNS1_3genE8ELNS1_11target_archE1030ELNS1_3gpuE2ELNS1_3repE0EEENS1_30default_config_static_selectorELNS0_4arch9wavefront6targetE0EEEvS12_
                                        ; -- End function
	.set _ZN7rocprim17ROCPRIM_400000_NS6detail17trampoline_kernelINS0_14default_configENS1_27lower_bound_config_selectorIilEEZNS1_14transform_implILb0ES3_S5_N6thrust23THRUST_200600_302600_NS6detail15normal_iteratorINS8_7pointerIiNS9_22execute_with_allocatorINS8_16device_allocatorIcEENS8_11hip_rocprim22execute_on_stream_baseEEENS8_11use_defaultESI_EEEENSA_INSB_IlSH_SI_SI_EEEEZNS1_13binary_searchIS3_S5_NSA_INS8_10device_ptrIiEEEESK_SM_NS1_21lower_bound_search_opENS9_16wrapped_functionINS8_6system6detail7generic6detail18binary_search_lessEbEEEE10hipError_tPvRmT1_T2_T3_mmT4_T5_P12ihipStream_tbEUlRKiE_EESZ_S13_S14_mS15_S18_bEUlT_E_NS1_11comp_targetILNS1_3genE8ELNS1_11target_archE1030ELNS1_3gpuE2ELNS1_3repE0EEENS1_30default_config_static_selectorELNS0_4arch9wavefront6targetE0EEEvS12_.num_vgpr, 11
	.set _ZN7rocprim17ROCPRIM_400000_NS6detail17trampoline_kernelINS0_14default_configENS1_27lower_bound_config_selectorIilEEZNS1_14transform_implILb0ES3_S5_N6thrust23THRUST_200600_302600_NS6detail15normal_iteratorINS8_7pointerIiNS9_22execute_with_allocatorINS8_16device_allocatorIcEENS8_11hip_rocprim22execute_on_stream_baseEEENS8_11use_defaultESI_EEEENSA_INSB_IlSH_SI_SI_EEEEZNS1_13binary_searchIS3_S5_NSA_INS8_10device_ptrIiEEEESK_SM_NS1_21lower_bound_search_opENS9_16wrapped_functionINS8_6system6detail7generic6detail18binary_search_lessEbEEEE10hipError_tPvRmT1_T2_T3_mmT4_T5_P12ihipStream_tbEUlRKiE_EESZ_S13_S14_mS15_S18_bEUlT_E_NS1_11comp_targetILNS1_3genE8ELNS1_11target_archE1030ELNS1_3gpuE2ELNS1_3repE0EEENS1_30default_config_static_selectorELNS0_4arch9wavefront6targetE0EEEvS12_.num_agpr, 0
	.set _ZN7rocprim17ROCPRIM_400000_NS6detail17trampoline_kernelINS0_14default_configENS1_27lower_bound_config_selectorIilEEZNS1_14transform_implILb0ES3_S5_N6thrust23THRUST_200600_302600_NS6detail15normal_iteratorINS8_7pointerIiNS9_22execute_with_allocatorINS8_16device_allocatorIcEENS8_11hip_rocprim22execute_on_stream_baseEEENS8_11use_defaultESI_EEEENSA_INSB_IlSH_SI_SI_EEEEZNS1_13binary_searchIS3_S5_NSA_INS8_10device_ptrIiEEEESK_SM_NS1_21lower_bound_search_opENS9_16wrapped_functionINS8_6system6detail7generic6detail18binary_search_lessEbEEEE10hipError_tPvRmT1_T2_T3_mmT4_T5_P12ihipStream_tbEUlRKiE_EESZ_S13_S14_mS15_S18_bEUlT_E_NS1_11comp_targetILNS1_3genE8ELNS1_11target_archE1030ELNS1_3gpuE2ELNS1_3repE0EEENS1_30default_config_static_selectorELNS0_4arch9wavefront6targetE0EEEvS12_.numbered_sgpr, 17
	.set _ZN7rocprim17ROCPRIM_400000_NS6detail17trampoline_kernelINS0_14default_configENS1_27lower_bound_config_selectorIilEEZNS1_14transform_implILb0ES3_S5_N6thrust23THRUST_200600_302600_NS6detail15normal_iteratorINS8_7pointerIiNS9_22execute_with_allocatorINS8_16device_allocatorIcEENS8_11hip_rocprim22execute_on_stream_baseEEENS8_11use_defaultESI_EEEENSA_INSB_IlSH_SI_SI_EEEEZNS1_13binary_searchIS3_S5_NSA_INS8_10device_ptrIiEEEESK_SM_NS1_21lower_bound_search_opENS9_16wrapped_functionINS8_6system6detail7generic6detail18binary_search_lessEbEEEE10hipError_tPvRmT1_T2_T3_mmT4_T5_P12ihipStream_tbEUlRKiE_EESZ_S13_S14_mS15_S18_bEUlT_E_NS1_11comp_targetILNS1_3genE8ELNS1_11target_archE1030ELNS1_3gpuE2ELNS1_3repE0EEENS1_30default_config_static_selectorELNS0_4arch9wavefront6targetE0EEEvS12_.num_named_barrier, 0
	.set _ZN7rocprim17ROCPRIM_400000_NS6detail17trampoline_kernelINS0_14default_configENS1_27lower_bound_config_selectorIilEEZNS1_14transform_implILb0ES3_S5_N6thrust23THRUST_200600_302600_NS6detail15normal_iteratorINS8_7pointerIiNS9_22execute_with_allocatorINS8_16device_allocatorIcEENS8_11hip_rocprim22execute_on_stream_baseEEENS8_11use_defaultESI_EEEENSA_INSB_IlSH_SI_SI_EEEEZNS1_13binary_searchIS3_S5_NSA_INS8_10device_ptrIiEEEESK_SM_NS1_21lower_bound_search_opENS9_16wrapped_functionINS8_6system6detail7generic6detail18binary_search_lessEbEEEE10hipError_tPvRmT1_T2_T3_mmT4_T5_P12ihipStream_tbEUlRKiE_EESZ_S13_S14_mS15_S18_bEUlT_E_NS1_11comp_targetILNS1_3genE8ELNS1_11target_archE1030ELNS1_3gpuE2ELNS1_3repE0EEENS1_30default_config_static_selectorELNS0_4arch9wavefront6targetE0EEEvS12_.private_seg_size, 0
	.set _ZN7rocprim17ROCPRIM_400000_NS6detail17trampoline_kernelINS0_14default_configENS1_27lower_bound_config_selectorIilEEZNS1_14transform_implILb0ES3_S5_N6thrust23THRUST_200600_302600_NS6detail15normal_iteratorINS8_7pointerIiNS9_22execute_with_allocatorINS8_16device_allocatorIcEENS8_11hip_rocprim22execute_on_stream_baseEEENS8_11use_defaultESI_EEEENSA_INSB_IlSH_SI_SI_EEEEZNS1_13binary_searchIS3_S5_NSA_INS8_10device_ptrIiEEEESK_SM_NS1_21lower_bound_search_opENS9_16wrapped_functionINS8_6system6detail7generic6detail18binary_search_lessEbEEEE10hipError_tPvRmT1_T2_T3_mmT4_T5_P12ihipStream_tbEUlRKiE_EESZ_S13_S14_mS15_S18_bEUlT_E_NS1_11comp_targetILNS1_3genE8ELNS1_11target_archE1030ELNS1_3gpuE2ELNS1_3repE0EEENS1_30default_config_static_selectorELNS0_4arch9wavefront6targetE0EEEvS12_.uses_vcc, 1
	.set _ZN7rocprim17ROCPRIM_400000_NS6detail17trampoline_kernelINS0_14default_configENS1_27lower_bound_config_selectorIilEEZNS1_14transform_implILb0ES3_S5_N6thrust23THRUST_200600_302600_NS6detail15normal_iteratorINS8_7pointerIiNS9_22execute_with_allocatorINS8_16device_allocatorIcEENS8_11hip_rocprim22execute_on_stream_baseEEENS8_11use_defaultESI_EEEENSA_INSB_IlSH_SI_SI_EEEEZNS1_13binary_searchIS3_S5_NSA_INS8_10device_ptrIiEEEESK_SM_NS1_21lower_bound_search_opENS9_16wrapped_functionINS8_6system6detail7generic6detail18binary_search_lessEbEEEE10hipError_tPvRmT1_T2_T3_mmT4_T5_P12ihipStream_tbEUlRKiE_EESZ_S13_S14_mS15_S18_bEUlT_E_NS1_11comp_targetILNS1_3genE8ELNS1_11target_archE1030ELNS1_3gpuE2ELNS1_3repE0EEENS1_30default_config_static_selectorELNS0_4arch9wavefront6targetE0EEEvS12_.uses_flat_scratch, 0
	.set _ZN7rocprim17ROCPRIM_400000_NS6detail17trampoline_kernelINS0_14default_configENS1_27lower_bound_config_selectorIilEEZNS1_14transform_implILb0ES3_S5_N6thrust23THRUST_200600_302600_NS6detail15normal_iteratorINS8_7pointerIiNS9_22execute_with_allocatorINS8_16device_allocatorIcEENS8_11hip_rocprim22execute_on_stream_baseEEENS8_11use_defaultESI_EEEENSA_INSB_IlSH_SI_SI_EEEEZNS1_13binary_searchIS3_S5_NSA_INS8_10device_ptrIiEEEESK_SM_NS1_21lower_bound_search_opENS9_16wrapped_functionINS8_6system6detail7generic6detail18binary_search_lessEbEEEE10hipError_tPvRmT1_T2_T3_mmT4_T5_P12ihipStream_tbEUlRKiE_EESZ_S13_S14_mS15_S18_bEUlT_E_NS1_11comp_targetILNS1_3genE8ELNS1_11target_archE1030ELNS1_3gpuE2ELNS1_3repE0EEENS1_30default_config_static_selectorELNS0_4arch9wavefront6targetE0EEEvS12_.has_dyn_sized_stack, 0
	.set _ZN7rocprim17ROCPRIM_400000_NS6detail17trampoline_kernelINS0_14default_configENS1_27lower_bound_config_selectorIilEEZNS1_14transform_implILb0ES3_S5_N6thrust23THRUST_200600_302600_NS6detail15normal_iteratorINS8_7pointerIiNS9_22execute_with_allocatorINS8_16device_allocatorIcEENS8_11hip_rocprim22execute_on_stream_baseEEENS8_11use_defaultESI_EEEENSA_INSB_IlSH_SI_SI_EEEEZNS1_13binary_searchIS3_S5_NSA_INS8_10device_ptrIiEEEESK_SM_NS1_21lower_bound_search_opENS9_16wrapped_functionINS8_6system6detail7generic6detail18binary_search_lessEbEEEE10hipError_tPvRmT1_T2_T3_mmT4_T5_P12ihipStream_tbEUlRKiE_EESZ_S13_S14_mS15_S18_bEUlT_E_NS1_11comp_targetILNS1_3genE8ELNS1_11target_archE1030ELNS1_3gpuE2ELNS1_3repE0EEENS1_30default_config_static_selectorELNS0_4arch9wavefront6targetE0EEEvS12_.has_recursion, 0
	.set _ZN7rocprim17ROCPRIM_400000_NS6detail17trampoline_kernelINS0_14default_configENS1_27lower_bound_config_selectorIilEEZNS1_14transform_implILb0ES3_S5_N6thrust23THRUST_200600_302600_NS6detail15normal_iteratorINS8_7pointerIiNS9_22execute_with_allocatorINS8_16device_allocatorIcEENS8_11hip_rocprim22execute_on_stream_baseEEENS8_11use_defaultESI_EEEENSA_INSB_IlSH_SI_SI_EEEEZNS1_13binary_searchIS3_S5_NSA_INS8_10device_ptrIiEEEESK_SM_NS1_21lower_bound_search_opENS9_16wrapped_functionINS8_6system6detail7generic6detail18binary_search_lessEbEEEE10hipError_tPvRmT1_T2_T3_mmT4_T5_P12ihipStream_tbEUlRKiE_EESZ_S13_S14_mS15_S18_bEUlT_E_NS1_11comp_targetILNS1_3genE8ELNS1_11target_archE1030ELNS1_3gpuE2ELNS1_3repE0EEENS1_30default_config_static_selectorELNS0_4arch9wavefront6targetE0EEEvS12_.has_indirect_call, 0
	.section	.AMDGPU.csdata,"",@progbits
; Kernel info:
; codeLenInByte = 816
; TotalNumSgprs: 19
; NumVgprs: 11
; ScratchSize: 0
; MemoryBound: 0
; FloatMode: 240
; IeeeMode: 1
; LDSByteSize: 0 bytes/workgroup (compile time only)
; SGPRBlocks: 0
; VGPRBlocks: 1
; NumSGPRsForWavesPerEU: 19
; NumVGPRsForWavesPerEU: 11
; Occupancy: 16
; WaveLimiterHint : 0
; COMPUTE_PGM_RSRC2:SCRATCH_EN: 0
; COMPUTE_PGM_RSRC2:USER_SGPR: 6
; COMPUTE_PGM_RSRC2:TRAP_HANDLER: 0
; COMPUTE_PGM_RSRC2:TGID_X_EN: 1
; COMPUTE_PGM_RSRC2:TGID_Y_EN: 0
; COMPUTE_PGM_RSRC2:TGID_Z_EN: 0
; COMPUTE_PGM_RSRC2:TIDIG_COMP_CNT: 0
	.section	.text._ZN7rocprim17ROCPRIM_400000_NS6detail17trampoline_kernelINS0_14default_configENS1_27upper_bound_config_selectorIilEEZNS1_14transform_implILb0ES3_S5_N6thrust23THRUST_200600_302600_NS6detail15normal_iteratorINS8_7pointerIiNS9_22execute_with_allocatorINS8_16device_allocatorIcEENS8_11hip_rocprim22execute_on_stream_baseEEENS8_11use_defaultESI_EEEENSA_INSB_IlSH_SI_SI_EEEEZNS1_13binary_searchIS3_S5_NSA_INS8_10device_ptrIiEEEESK_SM_NS1_21upper_bound_search_opENS9_16wrapped_functionINS8_6system6detail7generic6detail18binary_search_lessEbEEEE10hipError_tPvRmT1_T2_T3_mmT4_T5_P12ihipStream_tbEUlRKiE_EESZ_S13_S14_mS15_S18_bEUlT_E_NS1_11comp_targetILNS1_3genE0ELNS1_11target_archE4294967295ELNS1_3gpuE0ELNS1_3repE0EEENS1_30default_config_static_selectorELNS0_4arch9wavefront6targetE0EEEvS12_,"axG",@progbits,_ZN7rocprim17ROCPRIM_400000_NS6detail17trampoline_kernelINS0_14default_configENS1_27upper_bound_config_selectorIilEEZNS1_14transform_implILb0ES3_S5_N6thrust23THRUST_200600_302600_NS6detail15normal_iteratorINS8_7pointerIiNS9_22execute_with_allocatorINS8_16device_allocatorIcEENS8_11hip_rocprim22execute_on_stream_baseEEENS8_11use_defaultESI_EEEENSA_INSB_IlSH_SI_SI_EEEEZNS1_13binary_searchIS3_S5_NSA_INS8_10device_ptrIiEEEESK_SM_NS1_21upper_bound_search_opENS9_16wrapped_functionINS8_6system6detail7generic6detail18binary_search_lessEbEEEE10hipError_tPvRmT1_T2_T3_mmT4_T5_P12ihipStream_tbEUlRKiE_EESZ_S13_S14_mS15_S18_bEUlT_E_NS1_11comp_targetILNS1_3genE0ELNS1_11target_archE4294967295ELNS1_3gpuE0ELNS1_3repE0EEENS1_30default_config_static_selectorELNS0_4arch9wavefront6targetE0EEEvS12_,comdat
	.protected	_ZN7rocprim17ROCPRIM_400000_NS6detail17trampoline_kernelINS0_14default_configENS1_27upper_bound_config_selectorIilEEZNS1_14transform_implILb0ES3_S5_N6thrust23THRUST_200600_302600_NS6detail15normal_iteratorINS8_7pointerIiNS9_22execute_with_allocatorINS8_16device_allocatorIcEENS8_11hip_rocprim22execute_on_stream_baseEEENS8_11use_defaultESI_EEEENSA_INSB_IlSH_SI_SI_EEEEZNS1_13binary_searchIS3_S5_NSA_INS8_10device_ptrIiEEEESK_SM_NS1_21upper_bound_search_opENS9_16wrapped_functionINS8_6system6detail7generic6detail18binary_search_lessEbEEEE10hipError_tPvRmT1_T2_T3_mmT4_T5_P12ihipStream_tbEUlRKiE_EESZ_S13_S14_mS15_S18_bEUlT_E_NS1_11comp_targetILNS1_3genE0ELNS1_11target_archE4294967295ELNS1_3gpuE0ELNS1_3repE0EEENS1_30default_config_static_selectorELNS0_4arch9wavefront6targetE0EEEvS12_ ; -- Begin function _ZN7rocprim17ROCPRIM_400000_NS6detail17trampoline_kernelINS0_14default_configENS1_27upper_bound_config_selectorIilEEZNS1_14transform_implILb0ES3_S5_N6thrust23THRUST_200600_302600_NS6detail15normal_iteratorINS8_7pointerIiNS9_22execute_with_allocatorINS8_16device_allocatorIcEENS8_11hip_rocprim22execute_on_stream_baseEEENS8_11use_defaultESI_EEEENSA_INSB_IlSH_SI_SI_EEEEZNS1_13binary_searchIS3_S5_NSA_INS8_10device_ptrIiEEEESK_SM_NS1_21upper_bound_search_opENS9_16wrapped_functionINS8_6system6detail7generic6detail18binary_search_lessEbEEEE10hipError_tPvRmT1_T2_T3_mmT4_T5_P12ihipStream_tbEUlRKiE_EESZ_S13_S14_mS15_S18_bEUlT_E_NS1_11comp_targetILNS1_3genE0ELNS1_11target_archE4294967295ELNS1_3gpuE0ELNS1_3repE0EEENS1_30default_config_static_selectorELNS0_4arch9wavefront6targetE0EEEvS12_
	.globl	_ZN7rocprim17ROCPRIM_400000_NS6detail17trampoline_kernelINS0_14default_configENS1_27upper_bound_config_selectorIilEEZNS1_14transform_implILb0ES3_S5_N6thrust23THRUST_200600_302600_NS6detail15normal_iteratorINS8_7pointerIiNS9_22execute_with_allocatorINS8_16device_allocatorIcEENS8_11hip_rocprim22execute_on_stream_baseEEENS8_11use_defaultESI_EEEENSA_INSB_IlSH_SI_SI_EEEEZNS1_13binary_searchIS3_S5_NSA_INS8_10device_ptrIiEEEESK_SM_NS1_21upper_bound_search_opENS9_16wrapped_functionINS8_6system6detail7generic6detail18binary_search_lessEbEEEE10hipError_tPvRmT1_T2_T3_mmT4_T5_P12ihipStream_tbEUlRKiE_EESZ_S13_S14_mS15_S18_bEUlT_E_NS1_11comp_targetILNS1_3genE0ELNS1_11target_archE4294967295ELNS1_3gpuE0ELNS1_3repE0EEENS1_30default_config_static_selectorELNS0_4arch9wavefront6targetE0EEEvS12_
	.p2align	8
	.type	_ZN7rocprim17ROCPRIM_400000_NS6detail17trampoline_kernelINS0_14default_configENS1_27upper_bound_config_selectorIilEEZNS1_14transform_implILb0ES3_S5_N6thrust23THRUST_200600_302600_NS6detail15normal_iteratorINS8_7pointerIiNS9_22execute_with_allocatorINS8_16device_allocatorIcEENS8_11hip_rocprim22execute_on_stream_baseEEENS8_11use_defaultESI_EEEENSA_INSB_IlSH_SI_SI_EEEEZNS1_13binary_searchIS3_S5_NSA_INS8_10device_ptrIiEEEESK_SM_NS1_21upper_bound_search_opENS9_16wrapped_functionINS8_6system6detail7generic6detail18binary_search_lessEbEEEE10hipError_tPvRmT1_T2_T3_mmT4_T5_P12ihipStream_tbEUlRKiE_EESZ_S13_S14_mS15_S18_bEUlT_E_NS1_11comp_targetILNS1_3genE0ELNS1_11target_archE4294967295ELNS1_3gpuE0ELNS1_3repE0EEENS1_30default_config_static_selectorELNS0_4arch9wavefront6targetE0EEEvS12_,@function
_ZN7rocprim17ROCPRIM_400000_NS6detail17trampoline_kernelINS0_14default_configENS1_27upper_bound_config_selectorIilEEZNS1_14transform_implILb0ES3_S5_N6thrust23THRUST_200600_302600_NS6detail15normal_iteratorINS8_7pointerIiNS9_22execute_with_allocatorINS8_16device_allocatorIcEENS8_11hip_rocprim22execute_on_stream_baseEEENS8_11use_defaultESI_EEEENSA_INSB_IlSH_SI_SI_EEEEZNS1_13binary_searchIS3_S5_NSA_INS8_10device_ptrIiEEEESK_SM_NS1_21upper_bound_search_opENS9_16wrapped_functionINS8_6system6detail7generic6detail18binary_search_lessEbEEEE10hipError_tPvRmT1_T2_T3_mmT4_T5_P12ihipStream_tbEUlRKiE_EESZ_S13_S14_mS15_S18_bEUlT_E_NS1_11comp_targetILNS1_3genE0ELNS1_11target_archE4294967295ELNS1_3gpuE0ELNS1_3repE0EEENS1_30default_config_static_selectorELNS0_4arch9wavefront6targetE0EEEvS12_: ; @_ZN7rocprim17ROCPRIM_400000_NS6detail17trampoline_kernelINS0_14default_configENS1_27upper_bound_config_selectorIilEEZNS1_14transform_implILb0ES3_S5_N6thrust23THRUST_200600_302600_NS6detail15normal_iteratorINS8_7pointerIiNS9_22execute_with_allocatorINS8_16device_allocatorIcEENS8_11hip_rocprim22execute_on_stream_baseEEENS8_11use_defaultESI_EEEENSA_INSB_IlSH_SI_SI_EEEEZNS1_13binary_searchIS3_S5_NSA_INS8_10device_ptrIiEEEESK_SM_NS1_21upper_bound_search_opENS9_16wrapped_functionINS8_6system6detail7generic6detail18binary_search_lessEbEEEE10hipError_tPvRmT1_T2_T3_mmT4_T5_P12ihipStream_tbEUlRKiE_EESZ_S13_S14_mS15_S18_bEUlT_E_NS1_11comp_targetILNS1_3genE0ELNS1_11target_archE4294967295ELNS1_3gpuE0ELNS1_3repE0EEENS1_30default_config_static_selectorELNS0_4arch9wavefront6targetE0EEEvS12_
; %bb.0:
	.section	.rodata,"a",@progbits
	.p2align	6, 0x0
	.amdhsa_kernel _ZN7rocprim17ROCPRIM_400000_NS6detail17trampoline_kernelINS0_14default_configENS1_27upper_bound_config_selectorIilEEZNS1_14transform_implILb0ES3_S5_N6thrust23THRUST_200600_302600_NS6detail15normal_iteratorINS8_7pointerIiNS9_22execute_with_allocatorINS8_16device_allocatorIcEENS8_11hip_rocprim22execute_on_stream_baseEEENS8_11use_defaultESI_EEEENSA_INSB_IlSH_SI_SI_EEEEZNS1_13binary_searchIS3_S5_NSA_INS8_10device_ptrIiEEEESK_SM_NS1_21upper_bound_search_opENS9_16wrapped_functionINS8_6system6detail7generic6detail18binary_search_lessEbEEEE10hipError_tPvRmT1_T2_T3_mmT4_T5_P12ihipStream_tbEUlRKiE_EESZ_S13_S14_mS15_S18_bEUlT_E_NS1_11comp_targetILNS1_3genE0ELNS1_11target_archE4294967295ELNS1_3gpuE0ELNS1_3repE0EEENS1_30default_config_static_selectorELNS0_4arch9wavefront6targetE0EEEvS12_
		.amdhsa_group_segment_fixed_size 0
		.amdhsa_private_segment_fixed_size 0
		.amdhsa_kernarg_size 56
		.amdhsa_user_sgpr_count 6
		.amdhsa_user_sgpr_private_segment_buffer 1
		.amdhsa_user_sgpr_dispatch_ptr 0
		.amdhsa_user_sgpr_queue_ptr 0
		.amdhsa_user_sgpr_kernarg_segment_ptr 1
		.amdhsa_user_sgpr_dispatch_id 0
		.amdhsa_user_sgpr_flat_scratch_init 0
		.amdhsa_user_sgpr_private_segment_size 0
		.amdhsa_wavefront_size32 1
		.amdhsa_uses_dynamic_stack 0
		.amdhsa_system_sgpr_private_segment_wavefront_offset 0
		.amdhsa_system_sgpr_workgroup_id_x 1
		.amdhsa_system_sgpr_workgroup_id_y 0
		.amdhsa_system_sgpr_workgroup_id_z 0
		.amdhsa_system_sgpr_workgroup_info 0
		.amdhsa_system_vgpr_workitem_id 0
		.amdhsa_next_free_vgpr 1
		.amdhsa_next_free_sgpr 1
		.amdhsa_reserve_vcc 0
		.amdhsa_reserve_flat_scratch 0
		.amdhsa_float_round_mode_32 0
		.amdhsa_float_round_mode_16_64 0
		.amdhsa_float_denorm_mode_32 3
		.amdhsa_float_denorm_mode_16_64 3
		.amdhsa_dx10_clamp 1
		.amdhsa_ieee_mode 1
		.amdhsa_fp16_overflow 0
		.amdhsa_workgroup_processor_mode 1
		.amdhsa_memory_ordered 1
		.amdhsa_forward_progress 1
		.amdhsa_shared_vgpr_count 0
		.amdhsa_exception_fp_ieee_invalid_op 0
		.amdhsa_exception_fp_denorm_src 0
		.amdhsa_exception_fp_ieee_div_zero 0
		.amdhsa_exception_fp_ieee_overflow 0
		.amdhsa_exception_fp_ieee_underflow 0
		.amdhsa_exception_fp_ieee_inexact 0
		.amdhsa_exception_int_div_zero 0
	.end_amdhsa_kernel
	.section	.text._ZN7rocprim17ROCPRIM_400000_NS6detail17trampoline_kernelINS0_14default_configENS1_27upper_bound_config_selectorIilEEZNS1_14transform_implILb0ES3_S5_N6thrust23THRUST_200600_302600_NS6detail15normal_iteratorINS8_7pointerIiNS9_22execute_with_allocatorINS8_16device_allocatorIcEENS8_11hip_rocprim22execute_on_stream_baseEEENS8_11use_defaultESI_EEEENSA_INSB_IlSH_SI_SI_EEEEZNS1_13binary_searchIS3_S5_NSA_INS8_10device_ptrIiEEEESK_SM_NS1_21upper_bound_search_opENS9_16wrapped_functionINS8_6system6detail7generic6detail18binary_search_lessEbEEEE10hipError_tPvRmT1_T2_T3_mmT4_T5_P12ihipStream_tbEUlRKiE_EESZ_S13_S14_mS15_S18_bEUlT_E_NS1_11comp_targetILNS1_3genE0ELNS1_11target_archE4294967295ELNS1_3gpuE0ELNS1_3repE0EEENS1_30default_config_static_selectorELNS0_4arch9wavefront6targetE0EEEvS12_,"axG",@progbits,_ZN7rocprim17ROCPRIM_400000_NS6detail17trampoline_kernelINS0_14default_configENS1_27upper_bound_config_selectorIilEEZNS1_14transform_implILb0ES3_S5_N6thrust23THRUST_200600_302600_NS6detail15normal_iteratorINS8_7pointerIiNS9_22execute_with_allocatorINS8_16device_allocatorIcEENS8_11hip_rocprim22execute_on_stream_baseEEENS8_11use_defaultESI_EEEENSA_INSB_IlSH_SI_SI_EEEEZNS1_13binary_searchIS3_S5_NSA_INS8_10device_ptrIiEEEESK_SM_NS1_21upper_bound_search_opENS9_16wrapped_functionINS8_6system6detail7generic6detail18binary_search_lessEbEEEE10hipError_tPvRmT1_T2_T3_mmT4_T5_P12ihipStream_tbEUlRKiE_EESZ_S13_S14_mS15_S18_bEUlT_E_NS1_11comp_targetILNS1_3genE0ELNS1_11target_archE4294967295ELNS1_3gpuE0ELNS1_3repE0EEENS1_30default_config_static_selectorELNS0_4arch9wavefront6targetE0EEEvS12_,comdat
.Lfunc_end779:
	.size	_ZN7rocprim17ROCPRIM_400000_NS6detail17trampoline_kernelINS0_14default_configENS1_27upper_bound_config_selectorIilEEZNS1_14transform_implILb0ES3_S5_N6thrust23THRUST_200600_302600_NS6detail15normal_iteratorINS8_7pointerIiNS9_22execute_with_allocatorINS8_16device_allocatorIcEENS8_11hip_rocprim22execute_on_stream_baseEEENS8_11use_defaultESI_EEEENSA_INSB_IlSH_SI_SI_EEEEZNS1_13binary_searchIS3_S5_NSA_INS8_10device_ptrIiEEEESK_SM_NS1_21upper_bound_search_opENS9_16wrapped_functionINS8_6system6detail7generic6detail18binary_search_lessEbEEEE10hipError_tPvRmT1_T2_T3_mmT4_T5_P12ihipStream_tbEUlRKiE_EESZ_S13_S14_mS15_S18_bEUlT_E_NS1_11comp_targetILNS1_3genE0ELNS1_11target_archE4294967295ELNS1_3gpuE0ELNS1_3repE0EEENS1_30default_config_static_selectorELNS0_4arch9wavefront6targetE0EEEvS12_, .Lfunc_end779-_ZN7rocprim17ROCPRIM_400000_NS6detail17trampoline_kernelINS0_14default_configENS1_27upper_bound_config_selectorIilEEZNS1_14transform_implILb0ES3_S5_N6thrust23THRUST_200600_302600_NS6detail15normal_iteratorINS8_7pointerIiNS9_22execute_with_allocatorINS8_16device_allocatorIcEENS8_11hip_rocprim22execute_on_stream_baseEEENS8_11use_defaultESI_EEEENSA_INSB_IlSH_SI_SI_EEEEZNS1_13binary_searchIS3_S5_NSA_INS8_10device_ptrIiEEEESK_SM_NS1_21upper_bound_search_opENS9_16wrapped_functionINS8_6system6detail7generic6detail18binary_search_lessEbEEEE10hipError_tPvRmT1_T2_T3_mmT4_T5_P12ihipStream_tbEUlRKiE_EESZ_S13_S14_mS15_S18_bEUlT_E_NS1_11comp_targetILNS1_3genE0ELNS1_11target_archE4294967295ELNS1_3gpuE0ELNS1_3repE0EEENS1_30default_config_static_selectorELNS0_4arch9wavefront6targetE0EEEvS12_
                                        ; -- End function
	.set _ZN7rocprim17ROCPRIM_400000_NS6detail17trampoline_kernelINS0_14default_configENS1_27upper_bound_config_selectorIilEEZNS1_14transform_implILb0ES3_S5_N6thrust23THRUST_200600_302600_NS6detail15normal_iteratorINS8_7pointerIiNS9_22execute_with_allocatorINS8_16device_allocatorIcEENS8_11hip_rocprim22execute_on_stream_baseEEENS8_11use_defaultESI_EEEENSA_INSB_IlSH_SI_SI_EEEEZNS1_13binary_searchIS3_S5_NSA_INS8_10device_ptrIiEEEESK_SM_NS1_21upper_bound_search_opENS9_16wrapped_functionINS8_6system6detail7generic6detail18binary_search_lessEbEEEE10hipError_tPvRmT1_T2_T3_mmT4_T5_P12ihipStream_tbEUlRKiE_EESZ_S13_S14_mS15_S18_bEUlT_E_NS1_11comp_targetILNS1_3genE0ELNS1_11target_archE4294967295ELNS1_3gpuE0ELNS1_3repE0EEENS1_30default_config_static_selectorELNS0_4arch9wavefront6targetE0EEEvS12_.num_vgpr, 0
	.set _ZN7rocprim17ROCPRIM_400000_NS6detail17trampoline_kernelINS0_14default_configENS1_27upper_bound_config_selectorIilEEZNS1_14transform_implILb0ES3_S5_N6thrust23THRUST_200600_302600_NS6detail15normal_iteratorINS8_7pointerIiNS9_22execute_with_allocatorINS8_16device_allocatorIcEENS8_11hip_rocprim22execute_on_stream_baseEEENS8_11use_defaultESI_EEEENSA_INSB_IlSH_SI_SI_EEEEZNS1_13binary_searchIS3_S5_NSA_INS8_10device_ptrIiEEEESK_SM_NS1_21upper_bound_search_opENS9_16wrapped_functionINS8_6system6detail7generic6detail18binary_search_lessEbEEEE10hipError_tPvRmT1_T2_T3_mmT4_T5_P12ihipStream_tbEUlRKiE_EESZ_S13_S14_mS15_S18_bEUlT_E_NS1_11comp_targetILNS1_3genE0ELNS1_11target_archE4294967295ELNS1_3gpuE0ELNS1_3repE0EEENS1_30default_config_static_selectorELNS0_4arch9wavefront6targetE0EEEvS12_.num_agpr, 0
	.set _ZN7rocprim17ROCPRIM_400000_NS6detail17trampoline_kernelINS0_14default_configENS1_27upper_bound_config_selectorIilEEZNS1_14transform_implILb0ES3_S5_N6thrust23THRUST_200600_302600_NS6detail15normal_iteratorINS8_7pointerIiNS9_22execute_with_allocatorINS8_16device_allocatorIcEENS8_11hip_rocprim22execute_on_stream_baseEEENS8_11use_defaultESI_EEEENSA_INSB_IlSH_SI_SI_EEEEZNS1_13binary_searchIS3_S5_NSA_INS8_10device_ptrIiEEEESK_SM_NS1_21upper_bound_search_opENS9_16wrapped_functionINS8_6system6detail7generic6detail18binary_search_lessEbEEEE10hipError_tPvRmT1_T2_T3_mmT4_T5_P12ihipStream_tbEUlRKiE_EESZ_S13_S14_mS15_S18_bEUlT_E_NS1_11comp_targetILNS1_3genE0ELNS1_11target_archE4294967295ELNS1_3gpuE0ELNS1_3repE0EEENS1_30default_config_static_selectorELNS0_4arch9wavefront6targetE0EEEvS12_.numbered_sgpr, 0
	.set _ZN7rocprim17ROCPRIM_400000_NS6detail17trampoline_kernelINS0_14default_configENS1_27upper_bound_config_selectorIilEEZNS1_14transform_implILb0ES3_S5_N6thrust23THRUST_200600_302600_NS6detail15normal_iteratorINS8_7pointerIiNS9_22execute_with_allocatorINS8_16device_allocatorIcEENS8_11hip_rocprim22execute_on_stream_baseEEENS8_11use_defaultESI_EEEENSA_INSB_IlSH_SI_SI_EEEEZNS1_13binary_searchIS3_S5_NSA_INS8_10device_ptrIiEEEESK_SM_NS1_21upper_bound_search_opENS9_16wrapped_functionINS8_6system6detail7generic6detail18binary_search_lessEbEEEE10hipError_tPvRmT1_T2_T3_mmT4_T5_P12ihipStream_tbEUlRKiE_EESZ_S13_S14_mS15_S18_bEUlT_E_NS1_11comp_targetILNS1_3genE0ELNS1_11target_archE4294967295ELNS1_3gpuE0ELNS1_3repE0EEENS1_30default_config_static_selectorELNS0_4arch9wavefront6targetE0EEEvS12_.num_named_barrier, 0
	.set _ZN7rocprim17ROCPRIM_400000_NS6detail17trampoline_kernelINS0_14default_configENS1_27upper_bound_config_selectorIilEEZNS1_14transform_implILb0ES3_S5_N6thrust23THRUST_200600_302600_NS6detail15normal_iteratorINS8_7pointerIiNS9_22execute_with_allocatorINS8_16device_allocatorIcEENS8_11hip_rocprim22execute_on_stream_baseEEENS8_11use_defaultESI_EEEENSA_INSB_IlSH_SI_SI_EEEEZNS1_13binary_searchIS3_S5_NSA_INS8_10device_ptrIiEEEESK_SM_NS1_21upper_bound_search_opENS9_16wrapped_functionINS8_6system6detail7generic6detail18binary_search_lessEbEEEE10hipError_tPvRmT1_T2_T3_mmT4_T5_P12ihipStream_tbEUlRKiE_EESZ_S13_S14_mS15_S18_bEUlT_E_NS1_11comp_targetILNS1_3genE0ELNS1_11target_archE4294967295ELNS1_3gpuE0ELNS1_3repE0EEENS1_30default_config_static_selectorELNS0_4arch9wavefront6targetE0EEEvS12_.private_seg_size, 0
	.set _ZN7rocprim17ROCPRIM_400000_NS6detail17trampoline_kernelINS0_14default_configENS1_27upper_bound_config_selectorIilEEZNS1_14transform_implILb0ES3_S5_N6thrust23THRUST_200600_302600_NS6detail15normal_iteratorINS8_7pointerIiNS9_22execute_with_allocatorINS8_16device_allocatorIcEENS8_11hip_rocprim22execute_on_stream_baseEEENS8_11use_defaultESI_EEEENSA_INSB_IlSH_SI_SI_EEEEZNS1_13binary_searchIS3_S5_NSA_INS8_10device_ptrIiEEEESK_SM_NS1_21upper_bound_search_opENS9_16wrapped_functionINS8_6system6detail7generic6detail18binary_search_lessEbEEEE10hipError_tPvRmT1_T2_T3_mmT4_T5_P12ihipStream_tbEUlRKiE_EESZ_S13_S14_mS15_S18_bEUlT_E_NS1_11comp_targetILNS1_3genE0ELNS1_11target_archE4294967295ELNS1_3gpuE0ELNS1_3repE0EEENS1_30default_config_static_selectorELNS0_4arch9wavefront6targetE0EEEvS12_.uses_vcc, 0
	.set _ZN7rocprim17ROCPRIM_400000_NS6detail17trampoline_kernelINS0_14default_configENS1_27upper_bound_config_selectorIilEEZNS1_14transform_implILb0ES3_S5_N6thrust23THRUST_200600_302600_NS6detail15normal_iteratorINS8_7pointerIiNS9_22execute_with_allocatorINS8_16device_allocatorIcEENS8_11hip_rocprim22execute_on_stream_baseEEENS8_11use_defaultESI_EEEENSA_INSB_IlSH_SI_SI_EEEEZNS1_13binary_searchIS3_S5_NSA_INS8_10device_ptrIiEEEESK_SM_NS1_21upper_bound_search_opENS9_16wrapped_functionINS8_6system6detail7generic6detail18binary_search_lessEbEEEE10hipError_tPvRmT1_T2_T3_mmT4_T5_P12ihipStream_tbEUlRKiE_EESZ_S13_S14_mS15_S18_bEUlT_E_NS1_11comp_targetILNS1_3genE0ELNS1_11target_archE4294967295ELNS1_3gpuE0ELNS1_3repE0EEENS1_30default_config_static_selectorELNS0_4arch9wavefront6targetE0EEEvS12_.uses_flat_scratch, 0
	.set _ZN7rocprim17ROCPRIM_400000_NS6detail17trampoline_kernelINS0_14default_configENS1_27upper_bound_config_selectorIilEEZNS1_14transform_implILb0ES3_S5_N6thrust23THRUST_200600_302600_NS6detail15normal_iteratorINS8_7pointerIiNS9_22execute_with_allocatorINS8_16device_allocatorIcEENS8_11hip_rocprim22execute_on_stream_baseEEENS8_11use_defaultESI_EEEENSA_INSB_IlSH_SI_SI_EEEEZNS1_13binary_searchIS3_S5_NSA_INS8_10device_ptrIiEEEESK_SM_NS1_21upper_bound_search_opENS9_16wrapped_functionINS8_6system6detail7generic6detail18binary_search_lessEbEEEE10hipError_tPvRmT1_T2_T3_mmT4_T5_P12ihipStream_tbEUlRKiE_EESZ_S13_S14_mS15_S18_bEUlT_E_NS1_11comp_targetILNS1_3genE0ELNS1_11target_archE4294967295ELNS1_3gpuE0ELNS1_3repE0EEENS1_30default_config_static_selectorELNS0_4arch9wavefront6targetE0EEEvS12_.has_dyn_sized_stack, 0
	.set _ZN7rocprim17ROCPRIM_400000_NS6detail17trampoline_kernelINS0_14default_configENS1_27upper_bound_config_selectorIilEEZNS1_14transform_implILb0ES3_S5_N6thrust23THRUST_200600_302600_NS6detail15normal_iteratorINS8_7pointerIiNS9_22execute_with_allocatorINS8_16device_allocatorIcEENS8_11hip_rocprim22execute_on_stream_baseEEENS8_11use_defaultESI_EEEENSA_INSB_IlSH_SI_SI_EEEEZNS1_13binary_searchIS3_S5_NSA_INS8_10device_ptrIiEEEESK_SM_NS1_21upper_bound_search_opENS9_16wrapped_functionINS8_6system6detail7generic6detail18binary_search_lessEbEEEE10hipError_tPvRmT1_T2_T3_mmT4_T5_P12ihipStream_tbEUlRKiE_EESZ_S13_S14_mS15_S18_bEUlT_E_NS1_11comp_targetILNS1_3genE0ELNS1_11target_archE4294967295ELNS1_3gpuE0ELNS1_3repE0EEENS1_30default_config_static_selectorELNS0_4arch9wavefront6targetE0EEEvS12_.has_recursion, 0
	.set _ZN7rocprim17ROCPRIM_400000_NS6detail17trampoline_kernelINS0_14default_configENS1_27upper_bound_config_selectorIilEEZNS1_14transform_implILb0ES3_S5_N6thrust23THRUST_200600_302600_NS6detail15normal_iteratorINS8_7pointerIiNS9_22execute_with_allocatorINS8_16device_allocatorIcEENS8_11hip_rocprim22execute_on_stream_baseEEENS8_11use_defaultESI_EEEENSA_INSB_IlSH_SI_SI_EEEEZNS1_13binary_searchIS3_S5_NSA_INS8_10device_ptrIiEEEESK_SM_NS1_21upper_bound_search_opENS9_16wrapped_functionINS8_6system6detail7generic6detail18binary_search_lessEbEEEE10hipError_tPvRmT1_T2_T3_mmT4_T5_P12ihipStream_tbEUlRKiE_EESZ_S13_S14_mS15_S18_bEUlT_E_NS1_11comp_targetILNS1_3genE0ELNS1_11target_archE4294967295ELNS1_3gpuE0ELNS1_3repE0EEENS1_30default_config_static_selectorELNS0_4arch9wavefront6targetE0EEEvS12_.has_indirect_call, 0
	.section	.AMDGPU.csdata,"",@progbits
; Kernel info:
; codeLenInByte = 0
; TotalNumSgprs: 0
; NumVgprs: 0
; ScratchSize: 0
; MemoryBound: 0
; FloatMode: 240
; IeeeMode: 1
; LDSByteSize: 0 bytes/workgroup (compile time only)
; SGPRBlocks: 0
; VGPRBlocks: 0
; NumSGPRsForWavesPerEU: 1
; NumVGPRsForWavesPerEU: 1
; Occupancy: 16
; WaveLimiterHint : 0
; COMPUTE_PGM_RSRC2:SCRATCH_EN: 0
; COMPUTE_PGM_RSRC2:USER_SGPR: 6
; COMPUTE_PGM_RSRC2:TRAP_HANDLER: 0
; COMPUTE_PGM_RSRC2:TGID_X_EN: 1
; COMPUTE_PGM_RSRC2:TGID_Y_EN: 0
; COMPUTE_PGM_RSRC2:TGID_Z_EN: 0
; COMPUTE_PGM_RSRC2:TIDIG_COMP_CNT: 0
	.section	.text._ZN7rocprim17ROCPRIM_400000_NS6detail17trampoline_kernelINS0_14default_configENS1_27upper_bound_config_selectorIilEEZNS1_14transform_implILb0ES3_S5_N6thrust23THRUST_200600_302600_NS6detail15normal_iteratorINS8_7pointerIiNS9_22execute_with_allocatorINS8_16device_allocatorIcEENS8_11hip_rocprim22execute_on_stream_baseEEENS8_11use_defaultESI_EEEENSA_INSB_IlSH_SI_SI_EEEEZNS1_13binary_searchIS3_S5_NSA_INS8_10device_ptrIiEEEESK_SM_NS1_21upper_bound_search_opENS9_16wrapped_functionINS8_6system6detail7generic6detail18binary_search_lessEbEEEE10hipError_tPvRmT1_T2_T3_mmT4_T5_P12ihipStream_tbEUlRKiE_EESZ_S13_S14_mS15_S18_bEUlT_E_NS1_11comp_targetILNS1_3genE5ELNS1_11target_archE942ELNS1_3gpuE9ELNS1_3repE0EEENS1_30default_config_static_selectorELNS0_4arch9wavefront6targetE0EEEvS12_,"axG",@progbits,_ZN7rocprim17ROCPRIM_400000_NS6detail17trampoline_kernelINS0_14default_configENS1_27upper_bound_config_selectorIilEEZNS1_14transform_implILb0ES3_S5_N6thrust23THRUST_200600_302600_NS6detail15normal_iteratorINS8_7pointerIiNS9_22execute_with_allocatorINS8_16device_allocatorIcEENS8_11hip_rocprim22execute_on_stream_baseEEENS8_11use_defaultESI_EEEENSA_INSB_IlSH_SI_SI_EEEEZNS1_13binary_searchIS3_S5_NSA_INS8_10device_ptrIiEEEESK_SM_NS1_21upper_bound_search_opENS9_16wrapped_functionINS8_6system6detail7generic6detail18binary_search_lessEbEEEE10hipError_tPvRmT1_T2_T3_mmT4_T5_P12ihipStream_tbEUlRKiE_EESZ_S13_S14_mS15_S18_bEUlT_E_NS1_11comp_targetILNS1_3genE5ELNS1_11target_archE942ELNS1_3gpuE9ELNS1_3repE0EEENS1_30default_config_static_selectorELNS0_4arch9wavefront6targetE0EEEvS12_,comdat
	.protected	_ZN7rocprim17ROCPRIM_400000_NS6detail17trampoline_kernelINS0_14default_configENS1_27upper_bound_config_selectorIilEEZNS1_14transform_implILb0ES3_S5_N6thrust23THRUST_200600_302600_NS6detail15normal_iteratorINS8_7pointerIiNS9_22execute_with_allocatorINS8_16device_allocatorIcEENS8_11hip_rocprim22execute_on_stream_baseEEENS8_11use_defaultESI_EEEENSA_INSB_IlSH_SI_SI_EEEEZNS1_13binary_searchIS3_S5_NSA_INS8_10device_ptrIiEEEESK_SM_NS1_21upper_bound_search_opENS9_16wrapped_functionINS8_6system6detail7generic6detail18binary_search_lessEbEEEE10hipError_tPvRmT1_T2_T3_mmT4_T5_P12ihipStream_tbEUlRKiE_EESZ_S13_S14_mS15_S18_bEUlT_E_NS1_11comp_targetILNS1_3genE5ELNS1_11target_archE942ELNS1_3gpuE9ELNS1_3repE0EEENS1_30default_config_static_selectorELNS0_4arch9wavefront6targetE0EEEvS12_ ; -- Begin function _ZN7rocprim17ROCPRIM_400000_NS6detail17trampoline_kernelINS0_14default_configENS1_27upper_bound_config_selectorIilEEZNS1_14transform_implILb0ES3_S5_N6thrust23THRUST_200600_302600_NS6detail15normal_iteratorINS8_7pointerIiNS9_22execute_with_allocatorINS8_16device_allocatorIcEENS8_11hip_rocprim22execute_on_stream_baseEEENS8_11use_defaultESI_EEEENSA_INSB_IlSH_SI_SI_EEEEZNS1_13binary_searchIS3_S5_NSA_INS8_10device_ptrIiEEEESK_SM_NS1_21upper_bound_search_opENS9_16wrapped_functionINS8_6system6detail7generic6detail18binary_search_lessEbEEEE10hipError_tPvRmT1_T2_T3_mmT4_T5_P12ihipStream_tbEUlRKiE_EESZ_S13_S14_mS15_S18_bEUlT_E_NS1_11comp_targetILNS1_3genE5ELNS1_11target_archE942ELNS1_3gpuE9ELNS1_3repE0EEENS1_30default_config_static_selectorELNS0_4arch9wavefront6targetE0EEEvS12_
	.globl	_ZN7rocprim17ROCPRIM_400000_NS6detail17trampoline_kernelINS0_14default_configENS1_27upper_bound_config_selectorIilEEZNS1_14transform_implILb0ES3_S5_N6thrust23THRUST_200600_302600_NS6detail15normal_iteratorINS8_7pointerIiNS9_22execute_with_allocatorINS8_16device_allocatorIcEENS8_11hip_rocprim22execute_on_stream_baseEEENS8_11use_defaultESI_EEEENSA_INSB_IlSH_SI_SI_EEEEZNS1_13binary_searchIS3_S5_NSA_INS8_10device_ptrIiEEEESK_SM_NS1_21upper_bound_search_opENS9_16wrapped_functionINS8_6system6detail7generic6detail18binary_search_lessEbEEEE10hipError_tPvRmT1_T2_T3_mmT4_T5_P12ihipStream_tbEUlRKiE_EESZ_S13_S14_mS15_S18_bEUlT_E_NS1_11comp_targetILNS1_3genE5ELNS1_11target_archE942ELNS1_3gpuE9ELNS1_3repE0EEENS1_30default_config_static_selectorELNS0_4arch9wavefront6targetE0EEEvS12_
	.p2align	8
	.type	_ZN7rocprim17ROCPRIM_400000_NS6detail17trampoline_kernelINS0_14default_configENS1_27upper_bound_config_selectorIilEEZNS1_14transform_implILb0ES3_S5_N6thrust23THRUST_200600_302600_NS6detail15normal_iteratorINS8_7pointerIiNS9_22execute_with_allocatorINS8_16device_allocatorIcEENS8_11hip_rocprim22execute_on_stream_baseEEENS8_11use_defaultESI_EEEENSA_INSB_IlSH_SI_SI_EEEEZNS1_13binary_searchIS3_S5_NSA_INS8_10device_ptrIiEEEESK_SM_NS1_21upper_bound_search_opENS9_16wrapped_functionINS8_6system6detail7generic6detail18binary_search_lessEbEEEE10hipError_tPvRmT1_T2_T3_mmT4_T5_P12ihipStream_tbEUlRKiE_EESZ_S13_S14_mS15_S18_bEUlT_E_NS1_11comp_targetILNS1_3genE5ELNS1_11target_archE942ELNS1_3gpuE9ELNS1_3repE0EEENS1_30default_config_static_selectorELNS0_4arch9wavefront6targetE0EEEvS12_,@function
_ZN7rocprim17ROCPRIM_400000_NS6detail17trampoline_kernelINS0_14default_configENS1_27upper_bound_config_selectorIilEEZNS1_14transform_implILb0ES3_S5_N6thrust23THRUST_200600_302600_NS6detail15normal_iteratorINS8_7pointerIiNS9_22execute_with_allocatorINS8_16device_allocatorIcEENS8_11hip_rocprim22execute_on_stream_baseEEENS8_11use_defaultESI_EEEENSA_INSB_IlSH_SI_SI_EEEEZNS1_13binary_searchIS3_S5_NSA_INS8_10device_ptrIiEEEESK_SM_NS1_21upper_bound_search_opENS9_16wrapped_functionINS8_6system6detail7generic6detail18binary_search_lessEbEEEE10hipError_tPvRmT1_T2_T3_mmT4_T5_P12ihipStream_tbEUlRKiE_EESZ_S13_S14_mS15_S18_bEUlT_E_NS1_11comp_targetILNS1_3genE5ELNS1_11target_archE942ELNS1_3gpuE9ELNS1_3repE0EEENS1_30default_config_static_selectorELNS0_4arch9wavefront6targetE0EEEvS12_: ; @_ZN7rocprim17ROCPRIM_400000_NS6detail17trampoline_kernelINS0_14default_configENS1_27upper_bound_config_selectorIilEEZNS1_14transform_implILb0ES3_S5_N6thrust23THRUST_200600_302600_NS6detail15normal_iteratorINS8_7pointerIiNS9_22execute_with_allocatorINS8_16device_allocatorIcEENS8_11hip_rocprim22execute_on_stream_baseEEENS8_11use_defaultESI_EEEENSA_INSB_IlSH_SI_SI_EEEEZNS1_13binary_searchIS3_S5_NSA_INS8_10device_ptrIiEEEESK_SM_NS1_21upper_bound_search_opENS9_16wrapped_functionINS8_6system6detail7generic6detail18binary_search_lessEbEEEE10hipError_tPvRmT1_T2_T3_mmT4_T5_P12ihipStream_tbEUlRKiE_EESZ_S13_S14_mS15_S18_bEUlT_E_NS1_11comp_targetILNS1_3genE5ELNS1_11target_archE942ELNS1_3gpuE9ELNS1_3repE0EEENS1_30default_config_static_selectorELNS0_4arch9wavefront6targetE0EEEvS12_
; %bb.0:
	.section	.rodata,"a",@progbits
	.p2align	6, 0x0
	.amdhsa_kernel _ZN7rocprim17ROCPRIM_400000_NS6detail17trampoline_kernelINS0_14default_configENS1_27upper_bound_config_selectorIilEEZNS1_14transform_implILb0ES3_S5_N6thrust23THRUST_200600_302600_NS6detail15normal_iteratorINS8_7pointerIiNS9_22execute_with_allocatorINS8_16device_allocatorIcEENS8_11hip_rocprim22execute_on_stream_baseEEENS8_11use_defaultESI_EEEENSA_INSB_IlSH_SI_SI_EEEEZNS1_13binary_searchIS3_S5_NSA_INS8_10device_ptrIiEEEESK_SM_NS1_21upper_bound_search_opENS9_16wrapped_functionINS8_6system6detail7generic6detail18binary_search_lessEbEEEE10hipError_tPvRmT1_T2_T3_mmT4_T5_P12ihipStream_tbEUlRKiE_EESZ_S13_S14_mS15_S18_bEUlT_E_NS1_11comp_targetILNS1_3genE5ELNS1_11target_archE942ELNS1_3gpuE9ELNS1_3repE0EEENS1_30default_config_static_selectorELNS0_4arch9wavefront6targetE0EEEvS12_
		.amdhsa_group_segment_fixed_size 0
		.amdhsa_private_segment_fixed_size 0
		.amdhsa_kernarg_size 56
		.amdhsa_user_sgpr_count 6
		.amdhsa_user_sgpr_private_segment_buffer 1
		.amdhsa_user_sgpr_dispatch_ptr 0
		.amdhsa_user_sgpr_queue_ptr 0
		.amdhsa_user_sgpr_kernarg_segment_ptr 1
		.amdhsa_user_sgpr_dispatch_id 0
		.amdhsa_user_sgpr_flat_scratch_init 0
		.amdhsa_user_sgpr_private_segment_size 0
		.amdhsa_wavefront_size32 1
		.amdhsa_uses_dynamic_stack 0
		.amdhsa_system_sgpr_private_segment_wavefront_offset 0
		.amdhsa_system_sgpr_workgroup_id_x 1
		.amdhsa_system_sgpr_workgroup_id_y 0
		.amdhsa_system_sgpr_workgroup_id_z 0
		.amdhsa_system_sgpr_workgroup_info 0
		.amdhsa_system_vgpr_workitem_id 0
		.amdhsa_next_free_vgpr 1
		.amdhsa_next_free_sgpr 1
		.amdhsa_reserve_vcc 0
		.amdhsa_reserve_flat_scratch 0
		.amdhsa_float_round_mode_32 0
		.amdhsa_float_round_mode_16_64 0
		.amdhsa_float_denorm_mode_32 3
		.amdhsa_float_denorm_mode_16_64 3
		.amdhsa_dx10_clamp 1
		.amdhsa_ieee_mode 1
		.amdhsa_fp16_overflow 0
		.amdhsa_workgroup_processor_mode 1
		.amdhsa_memory_ordered 1
		.amdhsa_forward_progress 1
		.amdhsa_shared_vgpr_count 0
		.amdhsa_exception_fp_ieee_invalid_op 0
		.amdhsa_exception_fp_denorm_src 0
		.amdhsa_exception_fp_ieee_div_zero 0
		.amdhsa_exception_fp_ieee_overflow 0
		.amdhsa_exception_fp_ieee_underflow 0
		.amdhsa_exception_fp_ieee_inexact 0
		.amdhsa_exception_int_div_zero 0
	.end_amdhsa_kernel
	.section	.text._ZN7rocprim17ROCPRIM_400000_NS6detail17trampoline_kernelINS0_14default_configENS1_27upper_bound_config_selectorIilEEZNS1_14transform_implILb0ES3_S5_N6thrust23THRUST_200600_302600_NS6detail15normal_iteratorINS8_7pointerIiNS9_22execute_with_allocatorINS8_16device_allocatorIcEENS8_11hip_rocprim22execute_on_stream_baseEEENS8_11use_defaultESI_EEEENSA_INSB_IlSH_SI_SI_EEEEZNS1_13binary_searchIS3_S5_NSA_INS8_10device_ptrIiEEEESK_SM_NS1_21upper_bound_search_opENS9_16wrapped_functionINS8_6system6detail7generic6detail18binary_search_lessEbEEEE10hipError_tPvRmT1_T2_T3_mmT4_T5_P12ihipStream_tbEUlRKiE_EESZ_S13_S14_mS15_S18_bEUlT_E_NS1_11comp_targetILNS1_3genE5ELNS1_11target_archE942ELNS1_3gpuE9ELNS1_3repE0EEENS1_30default_config_static_selectorELNS0_4arch9wavefront6targetE0EEEvS12_,"axG",@progbits,_ZN7rocprim17ROCPRIM_400000_NS6detail17trampoline_kernelINS0_14default_configENS1_27upper_bound_config_selectorIilEEZNS1_14transform_implILb0ES3_S5_N6thrust23THRUST_200600_302600_NS6detail15normal_iteratorINS8_7pointerIiNS9_22execute_with_allocatorINS8_16device_allocatorIcEENS8_11hip_rocprim22execute_on_stream_baseEEENS8_11use_defaultESI_EEEENSA_INSB_IlSH_SI_SI_EEEEZNS1_13binary_searchIS3_S5_NSA_INS8_10device_ptrIiEEEESK_SM_NS1_21upper_bound_search_opENS9_16wrapped_functionINS8_6system6detail7generic6detail18binary_search_lessEbEEEE10hipError_tPvRmT1_T2_T3_mmT4_T5_P12ihipStream_tbEUlRKiE_EESZ_S13_S14_mS15_S18_bEUlT_E_NS1_11comp_targetILNS1_3genE5ELNS1_11target_archE942ELNS1_3gpuE9ELNS1_3repE0EEENS1_30default_config_static_selectorELNS0_4arch9wavefront6targetE0EEEvS12_,comdat
.Lfunc_end780:
	.size	_ZN7rocprim17ROCPRIM_400000_NS6detail17trampoline_kernelINS0_14default_configENS1_27upper_bound_config_selectorIilEEZNS1_14transform_implILb0ES3_S5_N6thrust23THRUST_200600_302600_NS6detail15normal_iteratorINS8_7pointerIiNS9_22execute_with_allocatorINS8_16device_allocatorIcEENS8_11hip_rocprim22execute_on_stream_baseEEENS8_11use_defaultESI_EEEENSA_INSB_IlSH_SI_SI_EEEEZNS1_13binary_searchIS3_S5_NSA_INS8_10device_ptrIiEEEESK_SM_NS1_21upper_bound_search_opENS9_16wrapped_functionINS8_6system6detail7generic6detail18binary_search_lessEbEEEE10hipError_tPvRmT1_T2_T3_mmT4_T5_P12ihipStream_tbEUlRKiE_EESZ_S13_S14_mS15_S18_bEUlT_E_NS1_11comp_targetILNS1_3genE5ELNS1_11target_archE942ELNS1_3gpuE9ELNS1_3repE0EEENS1_30default_config_static_selectorELNS0_4arch9wavefront6targetE0EEEvS12_, .Lfunc_end780-_ZN7rocprim17ROCPRIM_400000_NS6detail17trampoline_kernelINS0_14default_configENS1_27upper_bound_config_selectorIilEEZNS1_14transform_implILb0ES3_S5_N6thrust23THRUST_200600_302600_NS6detail15normal_iteratorINS8_7pointerIiNS9_22execute_with_allocatorINS8_16device_allocatorIcEENS8_11hip_rocprim22execute_on_stream_baseEEENS8_11use_defaultESI_EEEENSA_INSB_IlSH_SI_SI_EEEEZNS1_13binary_searchIS3_S5_NSA_INS8_10device_ptrIiEEEESK_SM_NS1_21upper_bound_search_opENS9_16wrapped_functionINS8_6system6detail7generic6detail18binary_search_lessEbEEEE10hipError_tPvRmT1_T2_T3_mmT4_T5_P12ihipStream_tbEUlRKiE_EESZ_S13_S14_mS15_S18_bEUlT_E_NS1_11comp_targetILNS1_3genE5ELNS1_11target_archE942ELNS1_3gpuE9ELNS1_3repE0EEENS1_30default_config_static_selectorELNS0_4arch9wavefront6targetE0EEEvS12_
                                        ; -- End function
	.set _ZN7rocprim17ROCPRIM_400000_NS6detail17trampoline_kernelINS0_14default_configENS1_27upper_bound_config_selectorIilEEZNS1_14transform_implILb0ES3_S5_N6thrust23THRUST_200600_302600_NS6detail15normal_iteratorINS8_7pointerIiNS9_22execute_with_allocatorINS8_16device_allocatorIcEENS8_11hip_rocprim22execute_on_stream_baseEEENS8_11use_defaultESI_EEEENSA_INSB_IlSH_SI_SI_EEEEZNS1_13binary_searchIS3_S5_NSA_INS8_10device_ptrIiEEEESK_SM_NS1_21upper_bound_search_opENS9_16wrapped_functionINS8_6system6detail7generic6detail18binary_search_lessEbEEEE10hipError_tPvRmT1_T2_T3_mmT4_T5_P12ihipStream_tbEUlRKiE_EESZ_S13_S14_mS15_S18_bEUlT_E_NS1_11comp_targetILNS1_3genE5ELNS1_11target_archE942ELNS1_3gpuE9ELNS1_3repE0EEENS1_30default_config_static_selectorELNS0_4arch9wavefront6targetE0EEEvS12_.num_vgpr, 0
	.set _ZN7rocprim17ROCPRIM_400000_NS6detail17trampoline_kernelINS0_14default_configENS1_27upper_bound_config_selectorIilEEZNS1_14transform_implILb0ES3_S5_N6thrust23THRUST_200600_302600_NS6detail15normal_iteratorINS8_7pointerIiNS9_22execute_with_allocatorINS8_16device_allocatorIcEENS8_11hip_rocprim22execute_on_stream_baseEEENS8_11use_defaultESI_EEEENSA_INSB_IlSH_SI_SI_EEEEZNS1_13binary_searchIS3_S5_NSA_INS8_10device_ptrIiEEEESK_SM_NS1_21upper_bound_search_opENS9_16wrapped_functionINS8_6system6detail7generic6detail18binary_search_lessEbEEEE10hipError_tPvRmT1_T2_T3_mmT4_T5_P12ihipStream_tbEUlRKiE_EESZ_S13_S14_mS15_S18_bEUlT_E_NS1_11comp_targetILNS1_3genE5ELNS1_11target_archE942ELNS1_3gpuE9ELNS1_3repE0EEENS1_30default_config_static_selectorELNS0_4arch9wavefront6targetE0EEEvS12_.num_agpr, 0
	.set _ZN7rocprim17ROCPRIM_400000_NS6detail17trampoline_kernelINS0_14default_configENS1_27upper_bound_config_selectorIilEEZNS1_14transform_implILb0ES3_S5_N6thrust23THRUST_200600_302600_NS6detail15normal_iteratorINS8_7pointerIiNS9_22execute_with_allocatorINS8_16device_allocatorIcEENS8_11hip_rocprim22execute_on_stream_baseEEENS8_11use_defaultESI_EEEENSA_INSB_IlSH_SI_SI_EEEEZNS1_13binary_searchIS3_S5_NSA_INS8_10device_ptrIiEEEESK_SM_NS1_21upper_bound_search_opENS9_16wrapped_functionINS8_6system6detail7generic6detail18binary_search_lessEbEEEE10hipError_tPvRmT1_T2_T3_mmT4_T5_P12ihipStream_tbEUlRKiE_EESZ_S13_S14_mS15_S18_bEUlT_E_NS1_11comp_targetILNS1_3genE5ELNS1_11target_archE942ELNS1_3gpuE9ELNS1_3repE0EEENS1_30default_config_static_selectorELNS0_4arch9wavefront6targetE0EEEvS12_.numbered_sgpr, 0
	.set _ZN7rocprim17ROCPRIM_400000_NS6detail17trampoline_kernelINS0_14default_configENS1_27upper_bound_config_selectorIilEEZNS1_14transform_implILb0ES3_S5_N6thrust23THRUST_200600_302600_NS6detail15normal_iteratorINS8_7pointerIiNS9_22execute_with_allocatorINS8_16device_allocatorIcEENS8_11hip_rocprim22execute_on_stream_baseEEENS8_11use_defaultESI_EEEENSA_INSB_IlSH_SI_SI_EEEEZNS1_13binary_searchIS3_S5_NSA_INS8_10device_ptrIiEEEESK_SM_NS1_21upper_bound_search_opENS9_16wrapped_functionINS8_6system6detail7generic6detail18binary_search_lessEbEEEE10hipError_tPvRmT1_T2_T3_mmT4_T5_P12ihipStream_tbEUlRKiE_EESZ_S13_S14_mS15_S18_bEUlT_E_NS1_11comp_targetILNS1_3genE5ELNS1_11target_archE942ELNS1_3gpuE9ELNS1_3repE0EEENS1_30default_config_static_selectorELNS0_4arch9wavefront6targetE0EEEvS12_.num_named_barrier, 0
	.set _ZN7rocprim17ROCPRIM_400000_NS6detail17trampoline_kernelINS0_14default_configENS1_27upper_bound_config_selectorIilEEZNS1_14transform_implILb0ES3_S5_N6thrust23THRUST_200600_302600_NS6detail15normal_iteratorINS8_7pointerIiNS9_22execute_with_allocatorINS8_16device_allocatorIcEENS8_11hip_rocprim22execute_on_stream_baseEEENS8_11use_defaultESI_EEEENSA_INSB_IlSH_SI_SI_EEEEZNS1_13binary_searchIS3_S5_NSA_INS8_10device_ptrIiEEEESK_SM_NS1_21upper_bound_search_opENS9_16wrapped_functionINS8_6system6detail7generic6detail18binary_search_lessEbEEEE10hipError_tPvRmT1_T2_T3_mmT4_T5_P12ihipStream_tbEUlRKiE_EESZ_S13_S14_mS15_S18_bEUlT_E_NS1_11comp_targetILNS1_3genE5ELNS1_11target_archE942ELNS1_3gpuE9ELNS1_3repE0EEENS1_30default_config_static_selectorELNS0_4arch9wavefront6targetE0EEEvS12_.private_seg_size, 0
	.set _ZN7rocprim17ROCPRIM_400000_NS6detail17trampoline_kernelINS0_14default_configENS1_27upper_bound_config_selectorIilEEZNS1_14transform_implILb0ES3_S5_N6thrust23THRUST_200600_302600_NS6detail15normal_iteratorINS8_7pointerIiNS9_22execute_with_allocatorINS8_16device_allocatorIcEENS8_11hip_rocprim22execute_on_stream_baseEEENS8_11use_defaultESI_EEEENSA_INSB_IlSH_SI_SI_EEEEZNS1_13binary_searchIS3_S5_NSA_INS8_10device_ptrIiEEEESK_SM_NS1_21upper_bound_search_opENS9_16wrapped_functionINS8_6system6detail7generic6detail18binary_search_lessEbEEEE10hipError_tPvRmT1_T2_T3_mmT4_T5_P12ihipStream_tbEUlRKiE_EESZ_S13_S14_mS15_S18_bEUlT_E_NS1_11comp_targetILNS1_3genE5ELNS1_11target_archE942ELNS1_3gpuE9ELNS1_3repE0EEENS1_30default_config_static_selectorELNS0_4arch9wavefront6targetE0EEEvS12_.uses_vcc, 0
	.set _ZN7rocprim17ROCPRIM_400000_NS6detail17trampoline_kernelINS0_14default_configENS1_27upper_bound_config_selectorIilEEZNS1_14transform_implILb0ES3_S5_N6thrust23THRUST_200600_302600_NS6detail15normal_iteratorINS8_7pointerIiNS9_22execute_with_allocatorINS8_16device_allocatorIcEENS8_11hip_rocprim22execute_on_stream_baseEEENS8_11use_defaultESI_EEEENSA_INSB_IlSH_SI_SI_EEEEZNS1_13binary_searchIS3_S5_NSA_INS8_10device_ptrIiEEEESK_SM_NS1_21upper_bound_search_opENS9_16wrapped_functionINS8_6system6detail7generic6detail18binary_search_lessEbEEEE10hipError_tPvRmT1_T2_T3_mmT4_T5_P12ihipStream_tbEUlRKiE_EESZ_S13_S14_mS15_S18_bEUlT_E_NS1_11comp_targetILNS1_3genE5ELNS1_11target_archE942ELNS1_3gpuE9ELNS1_3repE0EEENS1_30default_config_static_selectorELNS0_4arch9wavefront6targetE0EEEvS12_.uses_flat_scratch, 0
	.set _ZN7rocprim17ROCPRIM_400000_NS6detail17trampoline_kernelINS0_14default_configENS1_27upper_bound_config_selectorIilEEZNS1_14transform_implILb0ES3_S5_N6thrust23THRUST_200600_302600_NS6detail15normal_iteratorINS8_7pointerIiNS9_22execute_with_allocatorINS8_16device_allocatorIcEENS8_11hip_rocprim22execute_on_stream_baseEEENS8_11use_defaultESI_EEEENSA_INSB_IlSH_SI_SI_EEEEZNS1_13binary_searchIS3_S5_NSA_INS8_10device_ptrIiEEEESK_SM_NS1_21upper_bound_search_opENS9_16wrapped_functionINS8_6system6detail7generic6detail18binary_search_lessEbEEEE10hipError_tPvRmT1_T2_T3_mmT4_T5_P12ihipStream_tbEUlRKiE_EESZ_S13_S14_mS15_S18_bEUlT_E_NS1_11comp_targetILNS1_3genE5ELNS1_11target_archE942ELNS1_3gpuE9ELNS1_3repE0EEENS1_30default_config_static_selectorELNS0_4arch9wavefront6targetE0EEEvS12_.has_dyn_sized_stack, 0
	.set _ZN7rocprim17ROCPRIM_400000_NS6detail17trampoline_kernelINS0_14default_configENS1_27upper_bound_config_selectorIilEEZNS1_14transform_implILb0ES3_S5_N6thrust23THRUST_200600_302600_NS6detail15normal_iteratorINS8_7pointerIiNS9_22execute_with_allocatorINS8_16device_allocatorIcEENS8_11hip_rocprim22execute_on_stream_baseEEENS8_11use_defaultESI_EEEENSA_INSB_IlSH_SI_SI_EEEEZNS1_13binary_searchIS3_S5_NSA_INS8_10device_ptrIiEEEESK_SM_NS1_21upper_bound_search_opENS9_16wrapped_functionINS8_6system6detail7generic6detail18binary_search_lessEbEEEE10hipError_tPvRmT1_T2_T3_mmT4_T5_P12ihipStream_tbEUlRKiE_EESZ_S13_S14_mS15_S18_bEUlT_E_NS1_11comp_targetILNS1_3genE5ELNS1_11target_archE942ELNS1_3gpuE9ELNS1_3repE0EEENS1_30default_config_static_selectorELNS0_4arch9wavefront6targetE0EEEvS12_.has_recursion, 0
	.set _ZN7rocprim17ROCPRIM_400000_NS6detail17trampoline_kernelINS0_14default_configENS1_27upper_bound_config_selectorIilEEZNS1_14transform_implILb0ES3_S5_N6thrust23THRUST_200600_302600_NS6detail15normal_iteratorINS8_7pointerIiNS9_22execute_with_allocatorINS8_16device_allocatorIcEENS8_11hip_rocprim22execute_on_stream_baseEEENS8_11use_defaultESI_EEEENSA_INSB_IlSH_SI_SI_EEEEZNS1_13binary_searchIS3_S5_NSA_INS8_10device_ptrIiEEEESK_SM_NS1_21upper_bound_search_opENS9_16wrapped_functionINS8_6system6detail7generic6detail18binary_search_lessEbEEEE10hipError_tPvRmT1_T2_T3_mmT4_T5_P12ihipStream_tbEUlRKiE_EESZ_S13_S14_mS15_S18_bEUlT_E_NS1_11comp_targetILNS1_3genE5ELNS1_11target_archE942ELNS1_3gpuE9ELNS1_3repE0EEENS1_30default_config_static_selectorELNS0_4arch9wavefront6targetE0EEEvS12_.has_indirect_call, 0
	.section	.AMDGPU.csdata,"",@progbits
; Kernel info:
; codeLenInByte = 0
; TotalNumSgprs: 0
; NumVgprs: 0
; ScratchSize: 0
; MemoryBound: 0
; FloatMode: 240
; IeeeMode: 1
; LDSByteSize: 0 bytes/workgroup (compile time only)
; SGPRBlocks: 0
; VGPRBlocks: 0
; NumSGPRsForWavesPerEU: 1
; NumVGPRsForWavesPerEU: 1
; Occupancy: 16
; WaveLimiterHint : 0
; COMPUTE_PGM_RSRC2:SCRATCH_EN: 0
; COMPUTE_PGM_RSRC2:USER_SGPR: 6
; COMPUTE_PGM_RSRC2:TRAP_HANDLER: 0
; COMPUTE_PGM_RSRC2:TGID_X_EN: 1
; COMPUTE_PGM_RSRC2:TGID_Y_EN: 0
; COMPUTE_PGM_RSRC2:TGID_Z_EN: 0
; COMPUTE_PGM_RSRC2:TIDIG_COMP_CNT: 0
	.section	.text._ZN7rocprim17ROCPRIM_400000_NS6detail17trampoline_kernelINS0_14default_configENS1_27upper_bound_config_selectorIilEEZNS1_14transform_implILb0ES3_S5_N6thrust23THRUST_200600_302600_NS6detail15normal_iteratorINS8_7pointerIiNS9_22execute_with_allocatorINS8_16device_allocatorIcEENS8_11hip_rocprim22execute_on_stream_baseEEENS8_11use_defaultESI_EEEENSA_INSB_IlSH_SI_SI_EEEEZNS1_13binary_searchIS3_S5_NSA_INS8_10device_ptrIiEEEESK_SM_NS1_21upper_bound_search_opENS9_16wrapped_functionINS8_6system6detail7generic6detail18binary_search_lessEbEEEE10hipError_tPvRmT1_T2_T3_mmT4_T5_P12ihipStream_tbEUlRKiE_EESZ_S13_S14_mS15_S18_bEUlT_E_NS1_11comp_targetILNS1_3genE4ELNS1_11target_archE910ELNS1_3gpuE8ELNS1_3repE0EEENS1_30default_config_static_selectorELNS0_4arch9wavefront6targetE0EEEvS12_,"axG",@progbits,_ZN7rocprim17ROCPRIM_400000_NS6detail17trampoline_kernelINS0_14default_configENS1_27upper_bound_config_selectorIilEEZNS1_14transform_implILb0ES3_S5_N6thrust23THRUST_200600_302600_NS6detail15normal_iteratorINS8_7pointerIiNS9_22execute_with_allocatorINS8_16device_allocatorIcEENS8_11hip_rocprim22execute_on_stream_baseEEENS8_11use_defaultESI_EEEENSA_INSB_IlSH_SI_SI_EEEEZNS1_13binary_searchIS3_S5_NSA_INS8_10device_ptrIiEEEESK_SM_NS1_21upper_bound_search_opENS9_16wrapped_functionINS8_6system6detail7generic6detail18binary_search_lessEbEEEE10hipError_tPvRmT1_T2_T3_mmT4_T5_P12ihipStream_tbEUlRKiE_EESZ_S13_S14_mS15_S18_bEUlT_E_NS1_11comp_targetILNS1_3genE4ELNS1_11target_archE910ELNS1_3gpuE8ELNS1_3repE0EEENS1_30default_config_static_selectorELNS0_4arch9wavefront6targetE0EEEvS12_,comdat
	.protected	_ZN7rocprim17ROCPRIM_400000_NS6detail17trampoline_kernelINS0_14default_configENS1_27upper_bound_config_selectorIilEEZNS1_14transform_implILb0ES3_S5_N6thrust23THRUST_200600_302600_NS6detail15normal_iteratorINS8_7pointerIiNS9_22execute_with_allocatorINS8_16device_allocatorIcEENS8_11hip_rocprim22execute_on_stream_baseEEENS8_11use_defaultESI_EEEENSA_INSB_IlSH_SI_SI_EEEEZNS1_13binary_searchIS3_S5_NSA_INS8_10device_ptrIiEEEESK_SM_NS1_21upper_bound_search_opENS9_16wrapped_functionINS8_6system6detail7generic6detail18binary_search_lessEbEEEE10hipError_tPvRmT1_T2_T3_mmT4_T5_P12ihipStream_tbEUlRKiE_EESZ_S13_S14_mS15_S18_bEUlT_E_NS1_11comp_targetILNS1_3genE4ELNS1_11target_archE910ELNS1_3gpuE8ELNS1_3repE0EEENS1_30default_config_static_selectorELNS0_4arch9wavefront6targetE0EEEvS12_ ; -- Begin function _ZN7rocprim17ROCPRIM_400000_NS6detail17trampoline_kernelINS0_14default_configENS1_27upper_bound_config_selectorIilEEZNS1_14transform_implILb0ES3_S5_N6thrust23THRUST_200600_302600_NS6detail15normal_iteratorINS8_7pointerIiNS9_22execute_with_allocatorINS8_16device_allocatorIcEENS8_11hip_rocprim22execute_on_stream_baseEEENS8_11use_defaultESI_EEEENSA_INSB_IlSH_SI_SI_EEEEZNS1_13binary_searchIS3_S5_NSA_INS8_10device_ptrIiEEEESK_SM_NS1_21upper_bound_search_opENS9_16wrapped_functionINS8_6system6detail7generic6detail18binary_search_lessEbEEEE10hipError_tPvRmT1_T2_T3_mmT4_T5_P12ihipStream_tbEUlRKiE_EESZ_S13_S14_mS15_S18_bEUlT_E_NS1_11comp_targetILNS1_3genE4ELNS1_11target_archE910ELNS1_3gpuE8ELNS1_3repE0EEENS1_30default_config_static_selectorELNS0_4arch9wavefront6targetE0EEEvS12_
	.globl	_ZN7rocprim17ROCPRIM_400000_NS6detail17trampoline_kernelINS0_14default_configENS1_27upper_bound_config_selectorIilEEZNS1_14transform_implILb0ES3_S5_N6thrust23THRUST_200600_302600_NS6detail15normal_iteratorINS8_7pointerIiNS9_22execute_with_allocatorINS8_16device_allocatorIcEENS8_11hip_rocprim22execute_on_stream_baseEEENS8_11use_defaultESI_EEEENSA_INSB_IlSH_SI_SI_EEEEZNS1_13binary_searchIS3_S5_NSA_INS8_10device_ptrIiEEEESK_SM_NS1_21upper_bound_search_opENS9_16wrapped_functionINS8_6system6detail7generic6detail18binary_search_lessEbEEEE10hipError_tPvRmT1_T2_T3_mmT4_T5_P12ihipStream_tbEUlRKiE_EESZ_S13_S14_mS15_S18_bEUlT_E_NS1_11comp_targetILNS1_3genE4ELNS1_11target_archE910ELNS1_3gpuE8ELNS1_3repE0EEENS1_30default_config_static_selectorELNS0_4arch9wavefront6targetE0EEEvS12_
	.p2align	8
	.type	_ZN7rocprim17ROCPRIM_400000_NS6detail17trampoline_kernelINS0_14default_configENS1_27upper_bound_config_selectorIilEEZNS1_14transform_implILb0ES3_S5_N6thrust23THRUST_200600_302600_NS6detail15normal_iteratorINS8_7pointerIiNS9_22execute_with_allocatorINS8_16device_allocatorIcEENS8_11hip_rocprim22execute_on_stream_baseEEENS8_11use_defaultESI_EEEENSA_INSB_IlSH_SI_SI_EEEEZNS1_13binary_searchIS3_S5_NSA_INS8_10device_ptrIiEEEESK_SM_NS1_21upper_bound_search_opENS9_16wrapped_functionINS8_6system6detail7generic6detail18binary_search_lessEbEEEE10hipError_tPvRmT1_T2_T3_mmT4_T5_P12ihipStream_tbEUlRKiE_EESZ_S13_S14_mS15_S18_bEUlT_E_NS1_11comp_targetILNS1_3genE4ELNS1_11target_archE910ELNS1_3gpuE8ELNS1_3repE0EEENS1_30default_config_static_selectorELNS0_4arch9wavefront6targetE0EEEvS12_,@function
_ZN7rocprim17ROCPRIM_400000_NS6detail17trampoline_kernelINS0_14default_configENS1_27upper_bound_config_selectorIilEEZNS1_14transform_implILb0ES3_S5_N6thrust23THRUST_200600_302600_NS6detail15normal_iteratorINS8_7pointerIiNS9_22execute_with_allocatorINS8_16device_allocatorIcEENS8_11hip_rocprim22execute_on_stream_baseEEENS8_11use_defaultESI_EEEENSA_INSB_IlSH_SI_SI_EEEEZNS1_13binary_searchIS3_S5_NSA_INS8_10device_ptrIiEEEESK_SM_NS1_21upper_bound_search_opENS9_16wrapped_functionINS8_6system6detail7generic6detail18binary_search_lessEbEEEE10hipError_tPvRmT1_T2_T3_mmT4_T5_P12ihipStream_tbEUlRKiE_EESZ_S13_S14_mS15_S18_bEUlT_E_NS1_11comp_targetILNS1_3genE4ELNS1_11target_archE910ELNS1_3gpuE8ELNS1_3repE0EEENS1_30default_config_static_selectorELNS0_4arch9wavefront6targetE0EEEvS12_: ; @_ZN7rocprim17ROCPRIM_400000_NS6detail17trampoline_kernelINS0_14default_configENS1_27upper_bound_config_selectorIilEEZNS1_14transform_implILb0ES3_S5_N6thrust23THRUST_200600_302600_NS6detail15normal_iteratorINS8_7pointerIiNS9_22execute_with_allocatorINS8_16device_allocatorIcEENS8_11hip_rocprim22execute_on_stream_baseEEENS8_11use_defaultESI_EEEENSA_INSB_IlSH_SI_SI_EEEEZNS1_13binary_searchIS3_S5_NSA_INS8_10device_ptrIiEEEESK_SM_NS1_21upper_bound_search_opENS9_16wrapped_functionINS8_6system6detail7generic6detail18binary_search_lessEbEEEE10hipError_tPvRmT1_T2_T3_mmT4_T5_P12ihipStream_tbEUlRKiE_EESZ_S13_S14_mS15_S18_bEUlT_E_NS1_11comp_targetILNS1_3genE4ELNS1_11target_archE910ELNS1_3gpuE8ELNS1_3repE0EEENS1_30default_config_static_selectorELNS0_4arch9wavefront6targetE0EEEvS12_
; %bb.0:
	.section	.rodata,"a",@progbits
	.p2align	6, 0x0
	.amdhsa_kernel _ZN7rocprim17ROCPRIM_400000_NS6detail17trampoline_kernelINS0_14default_configENS1_27upper_bound_config_selectorIilEEZNS1_14transform_implILb0ES3_S5_N6thrust23THRUST_200600_302600_NS6detail15normal_iteratorINS8_7pointerIiNS9_22execute_with_allocatorINS8_16device_allocatorIcEENS8_11hip_rocprim22execute_on_stream_baseEEENS8_11use_defaultESI_EEEENSA_INSB_IlSH_SI_SI_EEEEZNS1_13binary_searchIS3_S5_NSA_INS8_10device_ptrIiEEEESK_SM_NS1_21upper_bound_search_opENS9_16wrapped_functionINS8_6system6detail7generic6detail18binary_search_lessEbEEEE10hipError_tPvRmT1_T2_T3_mmT4_T5_P12ihipStream_tbEUlRKiE_EESZ_S13_S14_mS15_S18_bEUlT_E_NS1_11comp_targetILNS1_3genE4ELNS1_11target_archE910ELNS1_3gpuE8ELNS1_3repE0EEENS1_30default_config_static_selectorELNS0_4arch9wavefront6targetE0EEEvS12_
		.amdhsa_group_segment_fixed_size 0
		.amdhsa_private_segment_fixed_size 0
		.amdhsa_kernarg_size 56
		.amdhsa_user_sgpr_count 6
		.amdhsa_user_sgpr_private_segment_buffer 1
		.amdhsa_user_sgpr_dispatch_ptr 0
		.amdhsa_user_sgpr_queue_ptr 0
		.amdhsa_user_sgpr_kernarg_segment_ptr 1
		.amdhsa_user_sgpr_dispatch_id 0
		.amdhsa_user_sgpr_flat_scratch_init 0
		.amdhsa_user_sgpr_private_segment_size 0
		.amdhsa_wavefront_size32 1
		.amdhsa_uses_dynamic_stack 0
		.amdhsa_system_sgpr_private_segment_wavefront_offset 0
		.amdhsa_system_sgpr_workgroup_id_x 1
		.amdhsa_system_sgpr_workgroup_id_y 0
		.amdhsa_system_sgpr_workgroup_id_z 0
		.amdhsa_system_sgpr_workgroup_info 0
		.amdhsa_system_vgpr_workitem_id 0
		.amdhsa_next_free_vgpr 1
		.amdhsa_next_free_sgpr 1
		.amdhsa_reserve_vcc 0
		.amdhsa_reserve_flat_scratch 0
		.amdhsa_float_round_mode_32 0
		.amdhsa_float_round_mode_16_64 0
		.amdhsa_float_denorm_mode_32 3
		.amdhsa_float_denorm_mode_16_64 3
		.amdhsa_dx10_clamp 1
		.amdhsa_ieee_mode 1
		.amdhsa_fp16_overflow 0
		.amdhsa_workgroup_processor_mode 1
		.amdhsa_memory_ordered 1
		.amdhsa_forward_progress 1
		.amdhsa_shared_vgpr_count 0
		.amdhsa_exception_fp_ieee_invalid_op 0
		.amdhsa_exception_fp_denorm_src 0
		.amdhsa_exception_fp_ieee_div_zero 0
		.amdhsa_exception_fp_ieee_overflow 0
		.amdhsa_exception_fp_ieee_underflow 0
		.amdhsa_exception_fp_ieee_inexact 0
		.amdhsa_exception_int_div_zero 0
	.end_amdhsa_kernel
	.section	.text._ZN7rocprim17ROCPRIM_400000_NS6detail17trampoline_kernelINS0_14default_configENS1_27upper_bound_config_selectorIilEEZNS1_14transform_implILb0ES3_S5_N6thrust23THRUST_200600_302600_NS6detail15normal_iteratorINS8_7pointerIiNS9_22execute_with_allocatorINS8_16device_allocatorIcEENS8_11hip_rocprim22execute_on_stream_baseEEENS8_11use_defaultESI_EEEENSA_INSB_IlSH_SI_SI_EEEEZNS1_13binary_searchIS3_S5_NSA_INS8_10device_ptrIiEEEESK_SM_NS1_21upper_bound_search_opENS9_16wrapped_functionINS8_6system6detail7generic6detail18binary_search_lessEbEEEE10hipError_tPvRmT1_T2_T3_mmT4_T5_P12ihipStream_tbEUlRKiE_EESZ_S13_S14_mS15_S18_bEUlT_E_NS1_11comp_targetILNS1_3genE4ELNS1_11target_archE910ELNS1_3gpuE8ELNS1_3repE0EEENS1_30default_config_static_selectorELNS0_4arch9wavefront6targetE0EEEvS12_,"axG",@progbits,_ZN7rocprim17ROCPRIM_400000_NS6detail17trampoline_kernelINS0_14default_configENS1_27upper_bound_config_selectorIilEEZNS1_14transform_implILb0ES3_S5_N6thrust23THRUST_200600_302600_NS6detail15normal_iteratorINS8_7pointerIiNS9_22execute_with_allocatorINS8_16device_allocatorIcEENS8_11hip_rocprim22execute_on_stream_baseEEENS8_11use_defaultESI_EEEENSA_INSB_IlSH_SI_SI_EEEEZNS1_13binary_searchIS3_S5_NSA_INS8_10device_ptrIiEEEESK_SM_NS1_21upper_bound_search_opENS9_16wrapped_functionINS8_6system6detail7generic6detail18binary_search_lessEbEEEE10hipError_tPvRmT1_T2_T3_mmT4_T5_P12ihipStream_tbEUlRKiE_EESZ_S13_S14_mS15_S18_bEUlT_E_NS1_11comp_targetILNS1_3genE4ELNS1_11target_archE910ELNS1_3gpuE8ELNS1_3repE0EEENS1_30default_config_static_selectorELNS0_4arch9wavefront6targetE0EEEvS12_,comdat
.Lfunc_end781:
	.size	_ZN7rocprim17ROCPRIM_400000_NS6detail17trampoline_kernelINS0_14default_configENS1_27upper_bound_config_selectorIilEEZNS1_14transform_implILb0ES3_S5_N6thrust23THRUST_200600_302600_NS6detail15normal_iteratorINS8_7pointerIiNS9_22execute_with_allocatorINS8_16device_allocatorIcEENS8_11hip_rocprim22execute_on_stream_baseEEENS8_11use_defaultESI_EEEENSA_INSB_IlSH_SI_SI_EEEEZNS1_13binary_searchIS3_S5_NSA_INS8_10device_ptrIiEEEESK_SM_NS1_21upper_bound_search_opENS9_16wrapped_functionINS8_6system6detail7generic6detail18binary_search_lessEbEEEE10hipError_tPvRmT1_T2_T3_mmT4_T5_P12ihipStream_tbEUlRKiE_EESZ_S13_S14_mS15_S18_bEUlT_E_NS1_11comp_targetILNS1_3genE4ELNS1_11target_archE910ELNS1_3gpuE8ELNS1_3repE0EEENS1_30default_config_static_selectorELNS0_4arch9wavefront6targetE0EEEvS12_, .Lfunc_end781-_ZN7rocprim17ROCPRIM_400000_NS6detail17trampoline_kernelINS0_14default_configENS1_27upper_bound_config_selectorIilEEZNS1_14transform_implILb0ES3_S5_N6thrust23THRUST_200600_302600_NS6detail15normal_iteratorINS8_7pointerIiNS9_22execute_with_allocatorINS8_16device_allocatorIcEENS8_11hip_rocprim22execute_on_stream_baseEEENS8_11use_defaultESI_EEEENSA_INSB_IlSH_SI_SI_EEEEZNS1_13binary_searchIS3_S5_NSA_INS8_10device_ptrIiEEEESK_SM_NS1_21upper_bound_search_opENS9_16wrapped_functionINS8_6system6detail7generic6detail18binary_search_lessEbEEEE10hipError_tPvRmT1_T2_T3_mmT4_T5_P12ihipStream_tbEUlRKiE_EESZ_S13_S14_mS15_S18_bEUlT_E_NS1_11comp_targetILNS1_3genE4ELNS1_11target_archE910ELNS1_3gpuE8ELNS1_3repE0EEENS1_30default_config_static_selectorELNS0_4arch9wavefront6targetE0EEEvS12_
                                        ; -- End function
	.set _ZN7rocprim17ROCPRIM_400000_NS6detail17trampoline_kernelINS0_14default_configENS1_27upper_bound_config_selectorIilEEZNS1_14transform_implILb0ES3_S5_N6thrust23THRUST_200600_302600_NS6detail15normal_iteratorINS8_7pointerIiNS9_22execute_with_allocatorINS8_16device_allocatorIcEENS8_11hip_rocprim22execute_on_stream_baseEEENS8_11use_defaultESI_EEEENSA_INSB_IlSH_SI_SI_EEEEZNS1_13binary_searchIS3_S5_NSA_INS8_10device_ptrIiEEEESK_SM_NS1_21upper_bound_search_opENS9_16wrapped_functionINS8_6system6detail7generic6detail18binary_search_lessEbEEEE10hipError_tPvRmT1_T2_T3_mmT4_T5_P12ihipStream_tbEUlRKiE_EESZ_S13_S14_mS15_S18_bEUlT_E_NS1_11comp_targetILNS1_3genE4ELNS1_11target_archE910ELNS1_3gpuE8ELNS1_3repE0EEENS1_30default_config_static_selectorELNS0_4arch9wavefront6targetE0EEEvS12_.num_vgpr, 0
	.set _ZN7rocprim17ROCPRIM_400000_NS6detail17trampoline_kernelINS0_14default_configENS1_27upper_bound_config_selectorIilEEZNS1_14transform_implILb0ES3_S5_N6thrust23THRUST_200600_302600_NS6detail15normal_iteratorINS8_7pointerIiNS9_22execute_with_allocatorINS8_16device_allocatorIcEENS8_11hip_rocprim22execute_on_stream_baseEEENS8_11use_defaultESI_EEEENSA_INSB_IlSH_SI_SI_EEEEZNS1_13binary_searchIS3_S5_NSA_INS8_10device_ptrIiEEEESK_SM_NS1_21upper_bound_search_opENS9_16wrapped_functionINS8_6system6detail7generic6detail18binary_search_lessEbEEEE10hipError_tPvRmT1_T2_T3_mmT4_T5_P12ihipStream_tbEUlRKiE_EESZ_S13_S14_mS15_S18_bEUlT_E_NS1_11comp_targetILNS1_3genE4ELNS1_11target_archE910ELNS1_3gpuE8ELNS1_3repE0EEENS1_30default_config_static_selectorELNS0_4arch9wavefront6targetE0EEEvS12_.num_agpr, 0
	.set _ZN7rocprim17ROCPRIM_400000_NS6detail17trampoline_kernelINS0_14default_configENS1_27upper_bound_config_selectorIilEEZNS1_14transform_implILb0ES3_S5_N6thrust23THRUST_200600_302600_NS6detail15normal_iteratorINS8_7pointerIiNS9_22execute_with_allocatorINS8_16device_allocatorIcEENS8_11hip_rocprim22execute_on_stream_baseEEENS8_11use_defaultESI_EEEENSA_INSB_IlSH_SI_SI_EEEEZNS1_13binary_searchIS3_S5_NSA_INS8_10device_ptrIiEEEESK_SM_NS1_21upper_bound_search_opENS9_16wrapped_functionINS8_6system6detail7generic6detail18binary_search_lessEbEEEE10hipError_tPvRmT1_T2_T3_mmT4_T5_P12ihipStream_tbEUlRKiE_EESZ_S13_S14_mS15_S18_bEUlT_E_NS1_11comp_targetILNS1_3genE4ELNS1_11target_archE910ELNS1_3gpuE8ELNS1_3repE0EEENS1_30default_config_static_selectorELNS0_4arch9wavefront6targetE0EEEvS12_.numbered_sgpr, 0
	.set _ZN7rocprim17ROCPRIM_400000_NS6detail17trampoline_kernelINS0_14default_configENS1_27upper_bound_config_selectorIilEEZNS1_14transform_implILb0ES3_S5_N6thrust23THRUST_200600_302600_NS6detail15normal_iteratorINS8_7pointerIiNS9_22execute_with_allocatorINS8_16device_allocatorIcEENS8_11hip_rocprim22execute_on_stream_baseEEENS8_11use_defaultESI_EEEENSA_INSB_IlSH_SI_SI_EEEEZNS1_13binary_searchIS3_S5_NSA_INS8_10device_ptrIiEEEESK_SM_NS1_21upper_bound_search_opENS9_16wrapped_functionINS8_6system6detail7generic6detail18binary_search_lessEbEEEE10hipError_tPvRmT1_T2_T3_mmT4_T5_P12ihipStream_tbEUlRKiE_EESZ_S13_S14_mS15_S18_bEUlT_E_NS1_11comp_targetILNS1_3genE4ELNS1_11target_archE910ELNS1_3gpuE8ELNS1_3repE0EEENS1_30default_config_static_selectorELNS0_4arch9wavefront6targetE0EEEvS12_.num_named_barrier, 0
	.set _ZN7rocprim17ROCPRIM_400000_NS6detail17trampoline_kernelINS0_14default_configENS1_27upper_bound_config_selectorIilEEZNS1_14transform_implILb0ES3_S5_N6thrust23THRUST_200600_302600_NS6detail15normal_iteratorINS8_7pointerIiNS9_22execute_with_allocatorINS8_16device_allocatorIcEENS8_11hip_rocprim22execute_on_stream_baseEEENS8_11use_defaultESI_EEEENSA_INSB_IlSH_SI_SI_EEEEZNS1_13binary_searchIS3_S5_NSA_INS8_10device_ptrIiEEEESK_SM_NS1_21upper_bound_search_opENS9_16wrapped_functionINS8_6system6detail7generic6detail18binary_search_lessEbEEEE10hipError_tPvRmT1_T2_T3_mmT4_T5_P12ihipStream_tbEUlRKiE_EESZ_S13_S14_mS15_S18_bEUlT_E_NS1_11comp_targetILNS1_3genE4ELNS1_11target_archE910ELNS1_3gpuE8ELNS1_3repE0EEENS1_30default_config_static_selectorELNS0_4arch9wavefront6targetE0EEEvS12_.private_seg_size, 0
	.set _ZN7rocprim17ROCPRIM_400000_NS6detail17trampoline_kernelINS0_14default_configENS1_27upper_bound_config_selectorIilEEZNS1_14transform_implILb0ES3_S5_N6thrust23THRUST_200600_302600_NS6detail15normal_iteratorINS8_7pointerIiNS9_22execute_with_allocatorINS8_16device_allocatorIcEENS8_11hip_rocprim22execute_on_stream_baseEEENS8_11use_defaultESI_EEEENSA_INSB_IlSH_SI_SI_EEEEZNS1_13binary_searchIS3_S5_NSA_INS8_10device_ptrIiEEEESK_SM_NS1_21upper_bound_search_opENS9_16wrapped_functionINS8_6system6detail7generic6detail18binary_search_lessEbEEEE10hipError_tPvRmT1_T2_T3_mmT4_T5_P12ihipStream_tbEUlRKiE_EESZ_S13_S14_mS15_S18_bEUlT_E_NS1_11comp_targetILNS1_3genE4ELNS1_11target_archE910ELNS1_3gpuE8ELNS1_3repE0EEENS1_30default_config_static_selectorELNS0_4arch9wavefront6targetE0EEEvS12_.uses_vcc, 0
	.set _ZN7rocprim17ROCPRIM_400000_NS6detail17trampoline_kernelINS0_14default_configENS1_27upper_bound_config_selectorIilEEZNS1_14transform_implILb0ES3_S5_N6thrust23THRUST_200600_302600_NS6detail15normal_iteratorINS8_7pointerIiNS9_22execute_with_allocatorINS8_16device_allocatorIcEENS8_11hip_rocprim22execute_on_stream_baseEEENS8_11use_defaultESI_EEEENSA_INSB_IlSH_SI_SI_EEEEZNS1_13binary_searchIS3_S5_NSA_INS8_10device_ptrIiEEEESK_SM_NS1_21upper_bound_search_opENS9_16wrapped_functionINS8_6system6detail7generic6detail18binary_search_lessEbEEEE10hipError_tPvRmT1_T2_T3_mmT4_T5_P12ihipStream_tbEUlRKiE_EESZ_S13_S14_mS15_S18_bEUlT_E_NS1_11comp_targetILNS1_3genE4ELNS1_11target_archE910ELNS1_3gpuE8ELNS1_3repE0EEENS1_30default_config_static_selectorELNS0_4arch9wavefront6targetE0EEEvS12_.uses_flat_scratch, 0
	.set _ZN7rocprim17ROCPRIM_400000_NS6detail17trampoline_kernelINS0_14default_configENS1_27upper_bound_config_selectorIilEEZNS1_14transform_implILb0ES3_S5_N6thrust23THRUST_200600_302600_NS6detail15normal_iteratorINS8_7pointerIiNS9_22execute_with_allocatorINS8_16device_allocatorIcEENS8_11hip_rocprim22execute_on_stream_baseEEENS8_11use_defaultESI_EEEENSA_INSB_IlSH_SI_SI_EEEEZNS1_13binary_searchIS3_S5_NSA_INS8_10device_ptrIiEEEESK_SM_NS1_21upper_bound_search_opENS9_16wrapped_functionINS8_6system6detail7generic6detail18binary_search_lessEbEEEE10hipError_tPvRmT1_T2_T3_mmT4_T5_P12ihipStream_tbEUlRKiE_EESZ_S13_S14_mS15_S18_bEUlT_E_NS1_11comp_targetILNS1_3genE4ELNS1_11target_archE910ELNS1_3gpuE8ELNS1_3repE0EEENS1_30default_config_static_selectorELNS0_4arch9wavefront6targetE0EEEvS12_.has_dyn_sized_stack, 0
	.set _ZN7rocprim17ROCPRIM_400000_NS6detail17trampoline_kernelINS0_14default_configENS1_27upper_bound_config_selectorIilEEZNS1_14transform_implILb0ES3_S5_N6thrust23THRUST_200600_302600_NS6detail15normal_iteratorINS8_7pointerIiNS9_22execute_with_allocatorINS8_16device_allocatorIcEENS8_11hip_rocprim22execute_on_stream_baseEEENS8_11use_defaultESI_EEEENSA_INSB_IlSH_SI_SI_EEEEZNS1_13binary_searchIS3_S5_NSA_INS8_10device_ptrIiEEEESK_SM_NS1_21upper_bound_search_opENS9_16wrapped_functionINS8_6system6detail7generic6detail18binary_search_lessEbEEEE10hipError_tPvRmT1_T2_T3_mmT4_T5_P12ihipStream_tbEUlRKiE_EESZ_S13_S14_mS15_S18_bEUlT_E_NS1_11comp_targetILNS1_3genE4ELNS1_11target_archE910ELNS1_3gpuE8ELNS1_3repE0EEENS1_30default_config_static_selectorELNS0_4arch9wavefront6targetE0EEEvS12_.has_recursion, 0
	.set _ZN7rocprim17ROCPRIM_400000_NS6detail17trampoline_kernelINS0_14default_configENS1_27upper_bound_config_selectorIilEEZNS1_14transform_implILb0ES3_S5_N6thrust23THRUST_200600_302600_NS6detail15normal_iteratorINS8_7pointerIiNS9_22execute_with_allocatorINS8_16device_allocatorIcEENS8_11hip_rocprim22execute_on_stream_baseEEENS8_11use_defaultESI_EEEENSA_INSB_IlSH_SI_SI_EEEEZNS1_13binary_searchIS3_S5_NSA_INS8_10device_ptrIiEEEESK_SM_NS1_21upper_bound_search_opENS9_16wrapped_functionINS8_6system6detail7generic6detail18binary_search_lessEbEEEE10hipError_tPvRmT1_T2_T3_mmT4_T5_P12ihipStream_tbEUlRKiE_EESZ_S13_S14_mS15_S18_bEUlT_E_NS1_11comp_targetILNS1_3genE4ELNS1_11target_archE910ELNS1_3gpuE8ELNS1_3repE0EEENS1_30default_config_static_selectorELNS0_4arch9wavefront6targetE0EEEvS12_.has_indirect_call, 0
	.section	.AMDGPU.csdata,"",@progbits
; Kernel info:
; codeLenInByte = 0
; TotalNumSgprs: 0
; NumVgprs: 0
; ScratchSize: 0
; MemoryBound: 0
; FloatMode: 240
; IeeeMode: 1
; LDSByteSize: 0 bytes/workgroup (compile time only)
; SGPRBlocks: 0
; VGPRBlocks: 0
; NumSGPRsForWavesPerEU: 1
; NumVGPRsForWavesPerEU: 1
; Occupancy: 16
; WaveLimiterHint : 0
; COMPUTE_PGM_RSRC2:SCRATCH_EN: 0
; COMPUTE_PGM_RSRC2:USER_SGPR: 6
; COMPUTE_PGM_RSRC2:TRAP_HANDLER: 0
; COMPUTE_PGM_RSRC2:TGID_X_EN: 1
; COMPUTE_PGM_RSRC2:TGID_Y_EN: 0
; COMPUTE_PGM_RSRC2:TGID_Z_EN: 0
; COMPUTE_PGM_RSRC2:TIDIG_COMP_CNT: 0
	.section	.text._ZN7rocprim17ROCPRIM_400000_NS6detail17trampoline_kernelINS0_14default_configENS1_27upper_bound_config_selectorIilEEZNS1_14transform_implILb0ES3_S5_N6thrust23THRUST_200600_302600_NS6detail15normal_iteratorINS8_7pointerIiNS9_22execute_with_allocatorINS8_16device_allocatorIcEENS8_11hip_rocprim22execute_on_stream_baseEEENS8_11use_defaultESI_EEEENSA_INSB_IlSH_SI_SI_EEEEZNS1_13binary_searchIS3_S5_NSA_INS8_10device_ptrIiEEEESK_SM_NS1_21upper_bound_search_opENS9_16wrapped_functionINS8_6system6detail7generic6detail18binary_search_lessEbEEEE10hipError_tPvRmT1_T2_T3_mmT4_T5_P12ihipStream_tbEUlRKiE_EESZ_S13_S14_mS15_S18_bEUlT_E_NS1_11comp_targetILNS1_3genE3ELNS1_11target_archE908ELNS1_3gpuE7ELNS1_3repE0EEENS1_30default_config_static_selectorELNS0_4arch9wavefront6targetE0EEEvS12_,"axG",@progbits,_ZN7rocprim17ROCPRIM_400000_NS6detail17trampoline_kernelINS0_14default_configENS1_27upper_bound_config_selectorIilEEZNS1_14transform_implILb0ES3_S5_N6thrust23THRUST_200600_302600_NS6detail15normal_iteratorINS8_7pointerIiNS9_22execute_with_allocatorINS8_16device_allocatorIcEENS8_11hip_rocprim22execute_on_stream_baseEEENS8_11use_defaultESI_EEEENSA_INSB_IlSH_SI_SI_EEEEZNS1_13binary_searchIS3_S5_NSA_INS8_10device_ptrIiEEEESK_SM_NS1_21upper_bound_search_opENS9_16wrapped_functionINS8_6system6detail7generic6detail18binary_search_lessEbEEEE10hipError_tPvRmT1_T2_T3_mmT4_T5_P12ihipStream_tbEUlRKiE_EESZ_S13_S14_mS15_S18_bEUlT_E_NS1_11comp_targetILNS1_3genE3ELNS1_11target_archE908ELNS1_3gpuE7ELNS1_3repE0EEENS1_30default_config_static_selectorELNS0_4arch9wavefront6targetE0EEEvS12_,comdat
	.protected	_ZN7rocprim17ROCPRIM_400000_NS6detail17trampoline_kernelINS0_14default_configENS1_27upper_bound_config_selectorIilEEZNS1_14transform_implILb0ES3_S5_N6thrust23THRUST_200600_302600_NS6detail15normal_iteratorINS8_7pointerIiNS9_22execute_with_allocatorINS8_16device_allocatorIcEENS8_11hip_rocprim22execute_on_stream_baseEEENS8_11use_defaultESI_EEEENSA_INSB_IlSH_SI_SI_EEEEZNS1_13binary_searchIS3_S5_NSA_INS8_10device_ptrIiEEEESK_SM_NS1_21upper_bound_search_opENS9_16wrapped_functionINS8_6system6detail7generic6detail18binary_search_lessEbEEEE10hipError_tPvRmT1_T2_T3_mmT4_T5_P12ihipStream_tbEUlRKiE_EESZ_S13_S14_mS15_S18_bEUlT_E_NS1_11comp_targetILNS1_3genE3ELNS1_11target_archE908ELNS1_3gpuE7ELNS1_3repE0EEENS1_30default_config_static_selectorELNS0_4arch9wavefront6targetE0EEEvS12_ ; -- Begin function _ZN7rocprim17ROCPRIM_400000_NS6detail17trampoline_kernelINS0_14default_configENS1_27upper_bound_config_selectorIilEEZNS1_14transform_implILb0ES3_S5_N6thrust23THRUST_200600_302600_NS6detail15normal_iteratorINS8_7pointerIiNS9_22execute_with_allocatorINS8_16device_allocatorIcEENS8_11hip_rocprim22execute_on_stream_baseEEENS8_11use_defaultESI_EEEENSA_INSB_IlSH_SI_SI_EEEEZNS1_13binary_searchIS3_S5_NSA_INS8_10device_ptrIiEEEESK_SM_NS1_21upper_bound_search_opENS9_16wrapped_functionINS8_6system6detail7generic6detail18binary_search_lessEbEEEE10hipError_tPvRmT1_T2_T3_mmT4_T5_P12ihipStream_tbEUlRKiE_EESZ_S13_S14_mS15_S18_bEUlT_E_NS1_11comp_targetILNS1_3genE3ELNS1_11target_archE908ELNS1_3gpuE7ELNS1_3repE0EEENS1_30default_config_static_selectorELNS0_4arch9wavefront6targetE0EEEvS12_
	.globl	_ZN7rocprim17ROCPRIM_400000_NS6detail17trampoline_kernelINS0_14default_configENS1_27upper_bound_config_selectorIilEEZNS1_14transform_implILb0ES3_S5_N6thrust23THRUST_200600_302600_NS6detail15normal_iteratorINS8_7pointerIiNS9_22execute_with_allocatorINS8_16device_allocatorIcEENS8_11hip_rocprim22execute_on_stream_baseEEENS8_11use_defaultESI_EEEENSA_INSB_IlSH_SI_SI_EEEEZNS1_13binary_searchIS3_S5_NSA_INS8_10device_ptrIiEEEESK_SM_NS1_21upper_bound_search_opENS9_16wrapped_functionINS8_6system6detail7generic6detail18binary_search_lessEbEEEE10hipError_tPvRmT1_T2_T3_mmT4_T5_P12ihipStream_tbEUlRKiE_EESZ_S13_S14_mS15_S18_bEUlT_E_NS1_11comp_targetILNS1_3genE3ELNS1_11target_archE908ELNS1_3gpuE7ELNS1_3repE0EEENS1_30default_config_static_selectorELNS0_4arch9wavefront6targetE0EEEvS12_
	.p2align	8
	.type	_ZN7rocprim17ROCPRIM_400000_NS6detail17trampoline_kernelINS0_14default_configENS1_27upper_bound_config_selectorIilEEZNS1_14transform_implILb0ES3_S5_N6thrust23THRUST_200600_302600_NS6detail15normal_iteratorINS8_7pointerIiNS9_22execute_with_allocatorINS8_16device_allocatorIcEENS8_11hip_rocprim22execute_on_stream_baseEEENS8_11use_defaultESI_EEEENSA_INSB_IlSH_SI_SI_EEEEZNS1_13binary_searchIS3_S5_NSA_INS8_10device_ptrIiEEEESK_SM_NS1_21upper_bound_search_opENS9_16wrapped_functionINS8_6system6detail7generic6detail18binary_search_lessEbEEEE10hipError_tPvRmT1_T2_T3_mmT4_T5_P12ihipStream_tbEUlRKiE_EESZ_S13_S14_mS15_S18_bEUlT_E_NS1_11comp_targetILNS1_3genE3ELNS1_11target_archE908ELNS1_3gpuE7ELNS1_3repE0EEENS1_30default_config_static_selectorELNS0_4arch9wavefront6targetE0EEEvS12_,@function
_ZN7rocprim17ROCPRIM_400000_NS6detail17trampoline_kernelINS0_14default_configENS1_27upper_bound_config_selectorIilEEZNS1_14transform_implILb0ES3_S5_N6thrust23THRUST_200600_302600_NS6detail15normal_iteratorINS8_7pointerIiNS9_22execute_with_allocatorINS8_16device_allocatorIcEENS8_11hip_rocprim22execute_on_stream_baseEEENS8_11use_defaultESI_EEEENSA_INSB_IlSH_SI_SI_EEEEZNS1_13binary_searchIS3_S5_NSA_INS8_10device_ptrIiEEEESK_SM_NS1_21upper_bound_search_opENS9_16wrapped_functionINS8_6system6detail7generic6detail18binary_search_lessEbEEEE10hipError_tPvRmT1_T2_T3_mmT4_T5_P12ihipStream_tbEUlRKiE_EESZ_S13_S14_mS15_S18_bEUlT_E_NS1_11comp_targetILNS1_3genE3ELNS1_11target_archE908ELNS1_3gpuE7ELNS1_3repE0EEENS1_30default_config_static_selectorELNS0_4arch9wavefront6targetE0EEEvS12_: ; @_ZN7rocprim17ROCPRIM_400000_NS6detail17trampoline_kernelINS0_14default_configENS1_27upper_bound_config_selectorIilEEZNS1_14transform_implILb0ES3_S5_N6thrust23THRUST_200600_302600_NS6detail15normal_iteratorINS8_7pointerIiNS9_22execute_with_allocatorINS8_16device_allocatorIcEENS8_11hip_rocprim22execute_on_stream_baseEEENS8_11use_defaultESI_EEEENSA_INSB_IlSH_SI_SI_EEEEZNS1_13binary_searchIS3_S5_NSA_INS8_10device_ptrIiEEEESK_SM_NS1_21upper_bound_search_opENS9_16wrapped_functionINS8_6system6detail7generic6detail18binary_search_lessEbEEEE10hipError_tPvRmT1_T2_T3_mmT4_T5_P12ihipStream_tbEUlRKiE_EESZ_S13_S14_mS15_S18_bEUlT_E_NS1_11comp_targetILNS1_3genE3ELNS1_11target_archE908ELNS1_3gpuE7ELNS1_3repE0EEENS1_30default_config_static_selectorELNS0_4arch9wavefront6targetE0EEEvS12_
; %bb.0:
	.section	.rodata,"a",@progbits
	.p2align	6, 0x0
	.amdhsa_kernel _ZN7rocprim17ROCPRIM_400000_NS6detail17trampoline_kernelINS0_14default_configENS1_27upper_bound_config_selectorIilEEZNS1_14transform_implILb0ES3_S5_N6thrust23THRUST_200600_302600_NS6detail15normal_iteratorINS8_7pointerIiNS9_22execute_with_allocatorINS8_16device_allocatorIcEENS8_11hip_rocprim22execute_on_stream_baseEEENS8_11use_defaultESI_EEEENSA_INSB_IlSH_SI_SI_EEEEZNS1_13binary_searchIS3_S5_NSA_INS8_10device_ptrIiEEEESK_SM_NS1_21upper_bound_search_opENS9_16wrapped_functionINS8_6system6detail7generic6detail18binary_search_lessEbEEEE10hipError_tPvRmT1_T2_T3_mmT4_T5_P12ihipStream_tbEUlRKiE_EESZ_S13_S14_mS15_S18_bEUlT_E_NS1_11comp_targetILNS1_3genE3ELNS1_11target_archE908ELNS1_3gpuE7ELNS1_3repE0EEENS1_30default_config_static_selectorELNS0_4arch9wavefront6targetE0EEEvS12_
		.amdhsa_group_segment_fixed_size 0
		.amdhsa_private_segment_fixed_size 0
		.amdhsa_kernarg_size 56
		.amdhsa_user_sgpr_count 6
		.amdhsa_user_sgpr_private_segment_buffer 1
		.amdhsa_user_sgpr_dispatch_ptr 0
		.amdhsa_user_sgpr_queue_ptr 0
		.amdhsa_user_sgpr_kernarg_segment_ptr 1
		.amdhsa_user_sgpr_dispatch_id 0
		.amdhsa_user_sgpr_flat_scratch_init 0
		.amdhsa_user_sgpr_private_segment_size 0
		.amdhsa_wavefront_size32 1
		.amdhsa_uses_dynamic_stack 0
		.amdhsa_system_sgpr_private_segment_wavefront_offset 0
		.amdhsa_system_sgpr_workgroup_id_x 1
		.amdhsa_system_sgpr_workgroup_id_y 0
		.amdhsa_system_sgpr_workgroup_id_z 0
		.amdhsa_system_sgpr_workgroup_info 0
		.amdhsa_system_vgpr_workitem_id 0
		.amdhsa_next_free_vgpr 1
		.amdhsa_next_free_sgpr 1
		.amdhsa_reserve_vcc 0
		.amdhsa_reserve_flat_scratch 0
		.amdhsa_float_round_mode_32 0
		.amdhsa_float_round_mode_16_64 0
		.amdhsa_float_denorm_mode_32 3
		.amdhsa_float_denorm_mode_16_64 3
		.amdhsa_dx10_clamp 1
		.amdhsa_ieee_mode 1
		.amdhsa_fp16_overflow 0
		.amdhsa_workgroup_processor_mode 1
		.amdhsa_memory_ordered 1
		.amdhsa_forward_progress 1
		.amdhsa_shared_vgpr_count 0
		.amdhsa_exception_fp_ieee_invalid_op 0
		.amdhsa_exception_fp_denorm_src 0
		.amdhsa_exception_fp_ieee_div_zero 0
		.amdhsa_exception_fp_ieee_overflow 0
		.amdhsa_exception_fp_ieee_underflow 0
		.amdhsa_exception_fp_ieee_inexact 0
		.amdhsa_exception_int_div_zero 0
	.end_amdhsa_kernel
	.section	.text._ZN7rocprim17ROCPRIM_400000_NS6detail17trampoline_kernelINS0_14default_configENS1_27upper_bound_config_selectorIilEEZNS1_14transform_implILb0ES3_S5_N6thrust23THRUST_200600_302600_NS6detail15normal_iteratorINS8_7pointerIiNS9_22execute_with_allocatorINS8_16device_allocatorIcEENS8_11hip_rocprim22execute_on_stream_baseEEENS8_11use_defaultESI_EEEENSA_INSB_IlSH_SI_SI_EEEEZNS1_13binary_searchIS3_S5_NSA_INS8_10device_ptrIiEEEESK_SM_NS1_21upper_bound_search_opENS9_16wrapped_functionINS8_6system6detail7generic6detail18binary_search_lessEbEEEE10hipError_tPvRmT1_T2_T3_mmT4_T5_P12ihipStream_tbEUlRKiE_EESZ_S13_S14_mS15_S18_bEUlT_E_NS1_11comp_targetILNS1_3genE3ELNS1_11target_archE908ELNS1_3gpuE7ELNS1_3repE0EEENS1_30default_config_static_selectorELNS0_4arch9wavefront6targetE0EEEvS12_,"axG",@progbits,_ZN7rocprim17ROCPRIM_400000_NS6detail17trampoline_kernelINS0_14default_configENS1_27upper_bound_config_selectorIilEEZNS1_14transform_implILb0ES3_S5_N6thrust23THRUST_200600_302600_NS6detail15normal_iteratorINS8_7pointerIiNS9_22execute_with_allocatorINS8_16device_allocatorIcEENS8_11hip_rocprim22execute_on_stream_baseEEENS8_11use_defaultESI_EEEENSA_INSB_IlSH_SI_SI_EEEEZNS1_13binary_searchIS3_S5_NSA_INS8_10device_ptrIiEEEESK_SM_NS1_21upper_bound_search_opENS9_16wrapped_functionINS8_6system6detail7generic6detail18binary_search_lessEbEEEE10hipError_tPvRmT1_T2_T3_mmT4_T5_P12ihipStream_tbEUlRKiE_EESZ_S13_S14_mS15_S18_bEUlT_E_NS1_11comp_targetILNS1_3genE3ELNS1_11target_archE908ELNS1_3gpuE7ELNS1_3repE0EEENS1_30default_config_static_selectorELNS0_4arch9wavefront6targetE0EEEvS12_,comdat
.Lfunc_end782:
	.size	_ZN7rocprim17ROCPRIM_400000_NS6detail17trampoline_kernelINS0_14default_configENS1_27upper_bound_config_selectorIilEEZNS1_14transform_implILb0ES3_S5_N6thrust23THRUST_200600_302600_NS6detail15normal_iteratorINS8_7pointerIiNS9_22execute_with_allocatorINS8_16device_allocatorIcEENS8_11hip_rocprim22execute_on_stream_baseEEENS8_11use_defaultESI_EEEENSA_INSB_IlSH_SI_SI_EEEEZNS1_13binary_searchIS3_S5_NSA_INS8_10device_ptrIiEEEESK_SM_NS1_21upper_bound_search_opENS9_16wrapped_functionINS8_6system6detail7generic6detail18binary_search_lessEbEEEE10hipError_tPvRmT1_T2_T3_mmT4_T5_P12ihipStream_tbEUlRKiE_EESZ_S13_S14_mS15_S18_bEUlT_E_NS1_11comp_targetILNS1_3genE3ELNS1_11target_archE908ELNS1_3gpuE7ELNS1_3repE0EEENS1_30default_config_static_selectorELNS0_4arch9wavefront6targetE0EEEvS12_, .Lfunc_end782-_ZN7rocprim17ROCPRIM_400000_NS6detail17trampoline_kernelINS0_14default_configENS1_27upper_bound_config_selectorIilEEZNS1_14transform_implILb0ES3_S5_N6thrust23THRUST_200600_302600_NS6detail15normal_iteratorINS8_7pointerIiNS9_22execute_with_allocatorINS8_16device_allocatorIcEENS8_11hip_rocprim22execute_on_stream_baseEEENS8_11use_defaultESI_EEEENSA_INSB_IlSH_SI_SI_EEEEZNS1_13binary_searchIS3_S5_NSA_INS8_10device_ptrIiEEEESK_SM_NS1_21upper_bound_search_opENS9_16wrapped_functionINS8_6system6detail7generic6detail18binary_search_lessEbEEEE10hipError_tPvRmT1_T2_T3_mmT4_T5_P12ihipStream_tbEUlRKiE_EESZ_S13_S14_mS15_S18_bEUlT_E_NS1_11comp_targetILNS1_3genE3ELNS1_11target_archE908ELNS1_3gpuE7ELNS1_3repE0EEENS1_30default_config_static_selectorELNS0_4arch9wavefront6targetE0EEEvS12_
                                        ; -- End function
	.set _ZN7rocprim17ROCPRIM_400000_NS6detail17trampoline_kernelINS0_14default_configENS1_27upper_bound_config_selectorIilEEZNS1_14transform_implILb0ES3_S5_N6thrust23THRUST_200600_302600_NS6detail15normal_iteratorINS8_7pointerIiNS9_22execute_with_allocatorINS8_16device_allocatorIcEENS8_11hip_rocprim22execute_on_stream_baseEEENS8_11use_defaultESI_EEEENSA_INSB_IlSH_SI_SI_EEEEZNS1_13binary_searchIS3_S5_NSA_INS8_10device_ptrIiEEEESK_SM_NS1_21upper_bound_search_opENS9_16wrapped_functionINS8_6system6detail7generic6detail18binary_search_lessEbEEEE10hipError_tPvRmT1_T2_T3_mmT4_T5_P12ihipStream_tbEUlRKiE_EESZ_S13_S14_mS15_S18_bEUlT_E_NS1_11comp_targetILNS1_3genE3ELNS1_11target_archE908ELNS1_3gpuE7ELNS1_3repE0EEENS1_30default_config_static_selectorELNS0_4arch9wavefront6targetE0EEEvS12_.num_vgpr, 0
	.set _ZN7rocprim17ROCPRIM_400000_NS6detail17trampoline_kernelINS0_14default_configENS1_27upper_bound_config_selectorIilEEZNS1_14transform_implILb0ES3_S5_N6thrust23THRUST_200600_302600_NS6detail15normal_iteratorINS8_7pointerIiNS9_22execute_with_allocatorINS8_16device_allocatorIcEENS8_11hip_rocprim22execute_on_stream_baseEEENS8_11use_defaultESI_EEEENSA_INSB_IlSH_SI_SI_EEEEZNS1_13binary_searchIS3_S5_NSA_INS8_10device_ptrIiEEEESK_SM_NS1_21upper_bound_search_opENS9_16wrapped_functionINS8_6system6detail7generic6detail18binary_search_lessEbEEEE10hipError_tPvRmT1_T2_T3_mmT4_T5_P12ihipStream_tbEUlRKiE_EESZ_S13_S14_mS15_S18_bEUlT_E_NS1_11comp_targetILNS1_3genE3ELNS1_11target_archE908ELNS1_3gpuE7ELNS1_3repE0EEENS1_30default_config_static_selectorELNS0_4arch9wavefront6targetE0EEEvS12_.num_agpr, 0
	.set _ZN7rocprim17ROCPRIM_400000_NS6detail17trampoline_kernelINS0_14default_configENS1_27upper_bound_config_selectorIilEEZNS1_14transform_implILb0ES3_S5_N6thrust23THRUST_200600_302600_NS6detail15normal_iteratorINS8_7pointerIiNS9_22execute_with_allocatorINS8_16device_allocatorIcEENS8_11hip_rocprim22execute_on_stream_baseEEENS8_11use_defaultESI_EEEENSA_INSB_IlSH_SI_SI_EEEEZNS1_13binary_searchIS3_S5_NSA_INS8_10device_ptrIiEEEESK_SM_NS1_21upper_bound_search_opENS9_16wrapped_functionINS8_6system6detail7generic6detail18binary_search_lessEbEEEE10hipError_tPvRmT1_T2_T3_mmT4_T5_P12ihipStream_tbEUlRKiE_EESZ_S13_S14_mS15_S18_bEUlT_E_NS1_11comp_targetILNS1_3genE3ELNS1_11target_archE908ELNS1_3gpuE7ELNS1_3repE0EEENS1_30default_config_static_selectorELNS0_4arch9wavefront6targetE0EEEvS12_.numbered_sgpr, 0
	.set _ZN7rocprim17ROCPRIM_400000_NS6detail17trampoline_kernelINS0_14default_configENS1_27upper_bound_config_selectorIilEEZNS1_14transform_implILb0ES3_S5_N6thrust23THRUST_200600_302600_NS6detail15normal_iteratorINS8_7pointerIiNS9_22execute_with_allocatorINS8_16device_allocatorIcEENS8_11hip_rocprim22execute_on_stream_baseEEENS8_11use_defaultESI_EEEENSA_INSB_IlSH_SI_SI_EEEEZNS1_13binary_searchIS3_S5_NSA_INS8_10device_ptrIiEEEESK_SM_NS1_21upper_bound_search_opENS9_16wrapped_functionINS8_6system6detail7generic6detail18binary_search_lessEbEEEE10hipError_tPvRmT1_T2_T3_mmT4_T5_P12ihipStream_tbEUlRKiE_EESZ_S13_S14_mS15_S18_bEUlT_E_NS1_11comp_targetILNS1_3genE3ELNS1_11target_archE908ELNS1_3gpuE7ELNS1_3repE0EEENS1_30default_config_static_selectorELNS0_4arch9wavefront6targetE0EEEvS12_.num_named_barrier, 0
	.set _ZN7rocprim17ROCPRIM_400000_NS6detail17trampoline_kernelINS0_14default_configENS1_27upper_bound_config_selectorIilEEZNS1_14transform_implILb0ES3_S5_N6thrust23THRUST_200600_302600_NS6detail15normal_iteratorINS8_7pointerIiNS9_22execute_with_allocatorINS8_16device_allocatorIcEENS8_11hip_rocprim22execute_on_stream_baseEEENS8_11use_defaultESI_EEEENSA_INSB_IlSH_SI_SI_EEEEZNS1_13binary_searchIS3_S5_NSA_INS8_10device_ptrIiEEEESK_SM_NS1_21upper_bound_search_opENS9_16wrapped_functionINS8_6system6detail7generic6detail18binary_search_lessEbEEEE10hipError_tPvRmT1_T2_T3_mmT4_T5_P12ihipStream_tbEUlRKiE_EESZ_S13_S14_mS15_S18_bEUlT_E_NS1_11comp_targetILNS1_3genE3ELNS1_11target_archE908ELNS1_3gpuE7ELNS1_3repE0EEENS1_30default_config_static_selectorELNS0_4arch9wavefront6targetE0EEEvS12_.private_seg_size, 0
	.set _ZN7rocprim17ROCPRIM_400000_NS6detail17trampoline_kernelINS0_14default_configENS1_27upper_bound_config_selectorIilEEZNS1_14transform_implILb0ES3_S5_N6thrust23THRUST_200600_302600_NS6detail15normal_iteratorINS8_7pointerIiNS9_22execute_with_allocatorINS8_16device_allocatorIcEENS8_11hip_rocprim22execute_on_stream_baseEEENS8_11use_defaultESI_EEEENSA_INSB_IlSH_SI_SI_EEEEZNS1_13binary_searchIS3_S5_NSA_INS8_10device_ptrIiEEEESK_SM_NS1_21upper_bound_search_opENS9_16wrapped_functionINS8_6system6detail7generic6detail18binary_search_lessEbEEEE10hipError_tPvRmT1_T2_T3_mmT4_T5_P12ihipStream_tbEUlRKiE_EESZ_S13_S14_mS15_S18_bEUlT_E_NS1_11comp_targetILNS1_3genE3ELNS1_11target_archE908ELNS1_3gpuE7ELNS1_3repE0EEENS1_30default_config_static_selectorELNS0_4arch9wavefront6targetE0EEEvS12_.uses_vcc, 0
	.set _ZN7rocprim17ROCPRIM_400000_NS6detail17trampoline_kernelINS0_14default_configENS1_27upper_bound_config_selectorIilEEZNS1_14transform_implILb0ES3_S5_N6thrust23THRUST_200600_302600_NS6detail15normal_iteratorINS8_7pointerIiNS9_22execute_with_allocatorINS8_16device_allocatorIcEENS8_11hip_rocprim22execute_on_stream_baseEEENS8_11use_defaultESI_EEEENSA_INSB_IlSH_SI_SI_EEEEZNS1_13binary_searchIS3_S5_NSA_INS8_10device_ptrIiEEEESK_SM_NS1_21upper_bound_search_opENS9_16wrapped_functionINS8_6system6detail7generic6detail18binary_search_lessEbEEEE10hipError_tPvRmT1_T2_T3_mmT4_T5_P12ihipStream_tbEUlRKiE_EESZ_S13_S14_mS15_S18_bEUlT_E_NS1_11comp_targetILNS1_3genE3ELNS1_11target_archE908ELNS1_3gpuE7ELNS1_3repE0EEENS1_30default_config_static_selectorELNS0_4arch9wavefront6targetE0EEEvS12_.uses_flat_scratch, 0
	.set _ZN7rocprim17ROCPRIM_400000_NS6detail17trampoline_kernelINS0_14default_configENS1_27upper_bound_config_selectorIilEEZNS1_14transform_implILb0ES3_S5_N6thrust23THRUST_200600_302600_NS6detail15normal_iteratorINS8_7pointerIiNS9_22execute_with_allocatorINS8_16device_allocatorIcEENS8_11hip_rocprim22execute_on_stream_baseEEENS8_11use_defaultESI_EEEENSA_INSB_IlSH_SI_SI_EEEEZNS1_13binary_searchIS3_S5_NSA_INS8_10device_ptrIiEEEESK_SM_NS1_21upper_bound_search_opENS9_16wrapped_functionINS8_6system6detail7generic6detail18binary_search_lessEbEEEE10hipError_tPvRmT1_T2_T3_mmT4_T5_P12ihipStream_tbEUlRKiE_EESZ_S13_S14_mS15_S18_bEUlT_E_NS1_11comp_targetILNS1_3genE3ELNS1_11target_archE908ELNS1_3gpuE7ELNS1_3repE0EEENS1_30default_config_static_selectorELNS0_4arch9wavefront6targetE0EEEvS12_.has_dyn_sized_stack, 0
	.set _ZN7rocprim17ROCPRIM_400000_NS6detail17trampoline_kernelINS0_14default_configENS1_27upper_bound_config_selectorIilEEZNS1_14transform_implILb0ES3_S5_N6thrust23THRUST_200600_302600_NS6detail15normal_iteratorINS8_7pointerIiNS9_22execute_with_allocatorINS8_16device_allocatorIcEENS8_11hip_rocprim22execute_on_stream_baseEEENS8_11use_defaultESI_EEEENSA_INSB_IlSH_SI_SI_EEEEZNS1_13binary_searchIS3_S5_NSA_INS8_10device_ptrIiEEEESK_SM_NS1_21upper_bound_search_opENS9_16wrapped_functionINS8_6system6detail7generic6detail18binary_search_lessEbEEEE10hipError_tPvRmT1_T2_T3_mmT4_T5_P12ihipStream_tbEUlRKiE_EESZ_S13_S14_mS15_S18_bEUlT_E_NS1_11comp_targetILNS1_3genE3ELNS1_11target_archE908ELNS1_3gpuE7ELNS1_3repE0EEENS1_30default_config_static_selectorELNS0_4arch9wavefront6targetE0EEEvS12_.has_recursion, 0
	.set _ZN7rocprim17ROCPRIM_400000_NS6detail17trampoline_kernelINS0_14default_configENS1_27upper_bound_config_selectorIilEEZNS1_14transform_implILb0ES3_S5_N6thrust23THRUST_200600_302600_NS6detail15normal_iteratorINS8_7pointerIiNS9_22execute_with_allocatorINS8_16device_allocatorIcEENS8_11hip_rocprim22execute_on_stream_baseEEENS8_11use_defaultESI_EEEENSA_INSB_IlSH_SI_SI_EEEEZNS1_13binary_searchIS3_S5_NSA_INS8_10device_ptrIiEEEESK_SM_NS1_21upper_bound_search_opENS9_16wrapped_functionINS8_6system6detail7generic6detail18binary_search_lessEbEEEE10hipError_tPvRmT1_T2_T3_mmT4_T5_P12ihipStream_tbEUlRKiE_EESZ_S13_S14_mS15_S18_bEUlT_E_NS1_11comp_targetILNS1_3genE3ELNS1_11target_archE908ELNS1_3gpuE7ELNS1_3repE0EEENS1_30default_config_static_selectorELNS0_4arch9wavefront6targetE0EEEvS12_.has_indirect_call, 0
	.section	.AMDGPU.csdata,"",@progbits
; Kernel info:
; codeLenInByte = 0
; TotalNumSgprs: 0
; NumVgprs: 0
; ScratchSize: 0
; MemoryBound: 0
; FloatMode: 240
; IeeeMode: 1
; LDSByteSize: 0 bytes/workgroup (compile time only)
; SGPRBlocks: 0
; VGPRBlocks: 0
; NumSGPRsForWavesPerEU: 1
; NumVGPRsForWavesPerEU: 1
; Occupancy: 16
; WaveLimiterHint : 0
; COMPUTE_PGM_RSRC2:SCRATCH_EN: 0
; COMPUTE_PGM_RSRC2:USER_SGPR: 6
; COMPUTE_PGM_RSRC2:TRAP_HANDLER: 0
; COMPUTE_PGM_RSRC2:TGID_X_EN: 1
; COMPUTE_PGM_RSRC2:TGID_Y_EN: 0
; COMPUTE_PGM_RSRC2:TGID_Z_EN: 0
; COMPUTE_PGM_RSRC2:TIDIG_COMP_CNT: 0
	.section	.text._ZN7rocprim17ROCPRIM_400000_NS6detail17trampoline_kernelINS0_14default_configENS1_27upper_bound_config_selectorIilEEZNS1_14transform_implILb0ES3_S5_N6thrust23THRUST_200600_302600_NS6detail15normal_iteratorINS8_7pointerIiNS9_22execute_with_allocatorINS8_16device_allocatorIcEENS8_11hip_rocprim22execute_on_stream_baseEEENS8_11use_defaultESI_EEEENSA_INSB_IlSH_SI_SI_EEEEZNS1_13binary_searchIS3_S5_NSA_INS8_10device_ptrIiEEEESK_SM_NS1_21upper_bound_search_opENS9_16wrapped_functionINS8_6system6detail7generic6detail18binary_search_lessEbEEEE10hipError_tPvRmT1_T2_T3_mmT4_T5_P12ihipStream_tbEUlRKiE_EESZ_S13_S14_mS15_S18_bEUlT_E_NS1_11comp_targetILNS1_3genE2ELNS1_11target_archE906ELNS1_3gpuE6ELNS1_3repE0EEENS1_30default_config_static_selectorELNS0_4arch9wavefront6targetE0EEEvS12_,"axG",@progbits,_ZN7rocprim17ROCPRIM_400000_NS6detail17trampoline_kernelINS0_14default_configENS1_27upper_bound_config_selectorIilEEZNS1_14transform_implILb0ES3_S5_N6thrust23THRUST_200600_302600_NS6detail15normal_iteratorINS8_7pointerIiNS9_22execute_with_allocatorINS8_16device_allocatorIcEENS8_11hip_rocprim22execute_on_stream_baseEEENS8_11use_defaultESI_EEEENSA_INSB_IlSH_SI_SI_EEEEZNS1_13binary_searchIS3_S5_NSA_INS8_10device_ptrIiEEEESK_SM_NS1_21upper_bound_search_opENS9_16wrapped_functionINS8_6system6detail7generic6detail18binary_search_lessEbEEEE10hipError_tPvRmT1_T2_T3_mmT4_T5_P12ihipStream_tbEUlRKiE_EESZ_S13_S14_mS15_S18_bEUlT_E_NS1_11comp_targetILNS1_3genE2ELNS1_11target_archE906ELNS1_3gpuE6ELNS1_3repE0EEENS1_30default_config_static_selectorELNS0_4arch9wavefront6targetE0EEEvS12_,comdat
	.protected	_ZN7rocprim17ROCPRIM_400000_NS6detail17trampoline_kernelINS0_14default_configENS1_27upper_bound_config_selectorIilEEZNS1_14transform_implILb0ES3_S5_N6thrust23THRUST_200600_302600_NS6detail15normal_iteratorINS8_7pointerIiNS9_22execute_with_allocatorINS8_16device_allocatorIcEENS8_11hip_rocprim22execute_on_stream_baseEEENS8_11use_defaultESI_EEEENSA_INSB_IlSH_SI_SI_EEEEZNS1_13binary_searchIS3_S5_NSA_INS8_10device_ptrIiEEEESK_SM_NS1_21upper_bound_search_opENS9_16wrapped_functionINS8_6system6detail7generic6detail18binary_search_lessEbEEEE10hipError_tPvRmT1_T2_T3_mmT4_T5_P12ihipStream_tbEUlRKiE_EESZ_S13_S14_mS15_S18_bEUlT_E_NS1_11comp_targetILNS1_3genE2ELNS1_11target_archE906ELNS1_3gpuE6ELNS1_3repE0EEENS1_30default_config_static_selectorELNS0_4arch9wavefront6targetE0EEEvS12_ ; -- Begin function _ZN7rocprim17ROCPRIM_400000_NS6detail17trampoline_kernelINS0_14default_configENS1_27upper_bound_config_selectorIilEEZNS1_14transform_implILb0ES3_S5_N6thrust23THRUST_200600_302600_NS6detail15normal_iteratorINS8_7pointerIiNS9_22execute_with_allocatorINS8_16device_allocatorIcEENS8_11hip_rocprim22execute_on_stream_baseEEENS8_11use_defaultESI_EEEENSA_INSB_IlSH_SI_SI_EEEEZNS1_13binary_searchIS3_S5_NSA_INS8_10device_ptrIiEEEESK_SM_NS1_21upper_bound_search_opENS9_16wrapped_functionINS8_6system6detail7generic6detail18binary_search_lessEbEEEE10hipError_tPvRmT1_T2_T3_mmT4_T5_P12ihipStream_tbEUlRKiE_EESZ_S13_S14_mS15_S18_bEUlT_E_NS1_11comp_targetILNS1_3genE2ELNS1_11target_archE906ELNS1_3gpuE6ELNS1_3repE0EEENS1_30default_config_static_selectorELNS0_4arch9wavefront6targetE0EEEvS12_
	.globl	_ZN7rocprim17ROCPRIM_400000_NS6detail17trampoline_kernelINS0_14default_configENS1_27upper_bound_config_selectorIilEEZNS1_14transform_implILb0ES3_S5_N6thrust23THRUST_200600_302600_NS6detail15normal_iteratorINS8_7pointerIiNS9_22execute_with_allocatorINS8_16device_allocatorIcEENS8_11hip_rocprim22execute_on_stream_baseEEENS8_11use_defaultESI_EEEENSA_INSB_IlSH_SI_SI_EEEEZNS1_13binary_searchIS3_S5_NSA_INS8_10device_ptrIiEEEESK_SM_NS1_21upper_bound_search_opENS9_16wrapped_functionINS8_6system6detail7generic6detail18binary_search_lessEbEEEE10hipError_tPvRmT1_T2_T3_mmT4_T5_P12ihipStream_tbEUlRKiE_EESZ_S13_S14_mS15_S18_bEUlT_E_NS1_11comp_targetILNS1_3genE2ELNS1_11target_archE906ELNS1_3gpuE6ELNS1_3repE0EEENS1_30default_config_static_selectorELNS0_4arch9wavefront6targetE0EEEvS12_
	.p2align	8
	.type	_ZN7rocprim17ROCPRIM_400000_NS6detail17trampoline_kernelINS0_14default_configENS1_27upper_bound_config_selectorIilEEZNS1_14transform_implILb0ES3_S5_N6thrust23THRUST_200600_302600_NS6detail15normal_iteratorINS8_7pointerIiNS9_22execute_with_allocatorINS8_16device_allocatorIcEENS8_11hip_rocprim22execute_on_stream_baseEEENS8_11use_defaultESI_EEEENSA_INSB_IlSH_SI_SI_EEEEZNS1_13binary_searchIS3_S5_NSA_INS8_10device_ptrIiEEEESK_SM_NS1_21upper_bound_search_opENS9_16wrapped_functionINS8_6system6detail7generic6detail18binary_search_lessEbEEEE10hipError_tPvRmT1_T2_T3_mmT4_T5_P12ihipStream_tbEUlRKiE_EESZ_S13_S14_mS15_S18_bEUlT_E_NS1_11comp_targetILNS1_3genE2ELNS1_11target_archE906ELNS1_3gpuE6ELNS1_3repE0EEENS1_30default_config_static_selectorELNS0_4arch9wavefront6targetE0EEEvS12_,@function
_ZN7rocprim17ROCPRIM_400000_NS6detail17trampoline_kernelINS0_14default_configENS1_27upper_bound_config_selectorIilEEZNS1_14transform_implILb0ES3_S5_N6thrust23THRUST_200600_302600_NS6detail15normal_iteratorINS8_7pointerIiNS9_22execute_with_allocatorINS8_16device_allocatorIcEENS8_11hip_rocprim22execute_on_stream_baseEEENS8_11use_defaultESI_EEEENSA_INSB_IlSH_SI_SI_EEEEZNS1_13binary_searchIS3_S5_NSA_INS8_10device_ptrIiEEEESK_SM_NS1_21upper_bound_search_opENS9_16wrapped_functionINS8_6system6detail7generic6detail18binary_search_lessEbEEEE10hipError_tPvRmT1_T2_T3_mmT4_T5_P12ihipStream_tbEUlRKiE_EESZ_S13_S14_mS15_S18_bEUlT_E_NS1_11comp_targetILNS1_3genE2ELNS1_11target_archE906ELNS1_3gpuE6ELNS1_3repE0EEENS1_30default_config_static_selectorELNS0_4arch9wavefront6targetE0EEEvS12_: ; @_ZN7rocprim17ROCPRIM_400000_NS6detail17trampoline_kernelINS0_14default_configENS1_27upper_bound_config_selectorIilEEZNS1_14transform_implILb0ES3_S5_N6thrust23THRUST_200600_302600_NS6detail15normal_iteratorINS8_7pointerIiNS9_22execute_with_allocatorINS8_16device_allocatorIcEENS8_11hip_rocprim22execute_on_stream_baseEEENS8_11use_defaultESI_EEEENSA_INSB_IlSH_SI_SI_EEEEZNS1_13binary_searchIS3_S5_NSA_INS8_10device_ptrIiEEEESK_SM_NS1_21upper_bound_search_opENS9_16wrapped_functionINS8_6system6detail7generic6detail18binary_search_lessEbEEEE10hipError_tPvRmT1_T2_T3_mmT4_T5_P12ihipStream_tbEUlRKiE_EESZ_S13_S14_mS15_S18_bEUlT_E_NS1_11comp_targetILNS1_3genE2ELNS1_11target_archE906ELNS1_3gpuE6ELNS1_3repE0EEENS1_30default_config_static_selectorELNS0_4arch9wavefront6targetE0EEEvS12_
; %bb.0:
	.section	.rodata,"a",@progbits
	.p2align	6, 0x0
	.amdhsa_kernel _ZN7rocprim17ROCPRIM_400000_NS6detail17trampoline_kernelINS0_14default_configENS1_27upper_bound_config_selectorIilEEZNS1_14transform_implILb0ES3_S5_N6thrust23THRUST_200600_302600_NS6detail15normal_iteratorINS8_7pointerIiNS9_22execute_with_allocatorINS8_16device_allocatorIcEENS8_11hip_rocprim22execute_on_stream_baseEEENS8_11use_defaultESI_EEEENSA_INSB_IlSH_SI_SI_EEEEZNS1_13binary_searchIS3_S5_NSA_INS8_10device_ptrIiEEEESK_SM_NS1_21upper_bound_search_opENS9_16wrapped_functionINS8_6system6detail7generic6detail18binary_search_lessEbEEEE10hipError_tPvRmT1_T2_T3_mmT4_T5_P12ihipStream_tbEUlRKiE_EESZ_S13_S14_mS15_S18_bEUlT_E_NS1_11comp_targetILNS1_3genE2ELNS1_11target_archE906ELNS1_3gpuE6ELNS1_3repE0EEENS1_30default_config_static_selectorELNS0_4arch9wavefront6targetE0EEEvS12_
		.amdhsa_group_segment_fixed_size 0
		.amdhsa_private_segment_fixed_size 0
		.amdhsa_kernarg_size 56
		.amdhsa_user_sgpr_count 6
		.amdhsa_user_sgpr_private_segment_buffer 1
		.amdhsa_user_sgpr_dispatch_ptr 0
		.amdhsa_user_sgpr_queue_ptr 0
		.amdhsa_user_sgpr_kernarg_segment_ptr 1
		.amdhsa_user_sgpr_dispatch_id 0
		.amdhsa_user_sgpr_flat_scratch_init 0
		.amdhsa_user_sgpr_private_segment_size 0
		.amdhsa_wavefront_size32 1
		.amdhsa_uses_dynamic_stack 0
		.amdhsa_system_sgpr_private_segment_wavefront_offset 0
		.amdhsa_system_sgpr_workgroup_id_x 1
		.amdhsa_system_sgpr_workgroup_id_y 0
		.amdhsa_system_sgpr_workgroup_id_z 0
		.amdhsa_system_sgpr_workgroup_info 0
		.amdhsa_system_vgpr_workitem_id 0
		.amdhsa_next_free_vgpr 1
		.amdhsa_next_free_sgpr 1
		.amdhsa_reserve_vcc 0
		.amdhsa_reserve_flat_scratch 0
		.amdhsa_float_round_mode_32 0
		.amdhsa_float_round_mode_16_64 0
		.amdhsa_float_denorm_mode_32 3
		.amdhsa_float_denorm_mode_16_64 3
		.amdhsa_dx10_clamp 1
		.amdhsa_ieee_mode 1
		.amdhsa_fp16_overflow 0
		.amdhsa_workgroup_processor_mode 1
		.amdhsa_memory_ordered 1
		.amdhsa_forward_progress 1
		.amdhsa_shared_vgpr_count 0
		.amdhsa_exception_fp_ieee_invalid_op 0
		.amdhsa_exception_fp_denorm_src 0
		.amdhsa_exception_fp_ieee_div_zero 0
		.amdhsa_exception_fp_ieee_overflow 0
		.amdhsa_exception_fp_ieee_underflow 0
		.amdhsa_exception_fp_ieee_inexact 0
		.amdhsa_exception_int_div_zero 0
	.end_amdhsa_kernel
	.section	.text._ZN7rocprim17ROCPRIM_400000_NS6detail17trampoline_kernelINS0_14default_configENS1_27upper_bound_config_selectorIilEEZNS1_14transform_implILb0ES3_S5_N6thrust23THRUST_200600_302600_NS6detail15normal_iteratorINS8_7pointerIiNS9_22execute_with_allocatorINS8_16device_allocatorIcEENS8_11hip_rocprim22execute_on_stream_baseEEENS8_11use_defaultESI_EEEENSA_INSB_IlSH_SI_SI_EEEEZNS1_13binary_searchIS3_S5_NSA_INS8_10device_ptrIiEEEESK_SM_NS1_21upper_bound_search_opENS9_16wrapped_functionINS8_6system6detail7generic6detail18binary_search_lessEbEEEE10hipError_tPvRmT1_T2_T3_mmT4_T5_P12ihipStream_tbEUlRKiE_EESZ_S13_S14_mS15_S18_bEUlT_E_NS1_11comp_targetILNS1_3genE2ELNS1_11target_archE906ELNS1_3gpuE6ELNS1_3repE0EEENS1_30default_config_static_selectorELNS0_4arch9wavefront6targetE0EEEvS12_,"axG",@progbits,_ZN7rocprim17ROCPRIM_400000_NS6detail17trampoline_kernelINS0_14default_configENS1_27upper_bound_config_selectorIilEEZNS1_14transform_implILb0ES3_S5_N6thrust23THRUST_200600_302600_NS6detail15normal_iteratorINS8_7pointerIiNS9_22execute_with_allocatorINS8_16device_allocatorIcEENS8_11hip_rocprim22execute_on_stream_baseEEENS8_11use_defaultESI_EEEENSA_INSB_IlSH_SI_SI_EEEEZNS1_13binary_searchIS3_S5_NSA_INS8_10device_ptrIiEEEESK_SM_NS1_21upper_bound_search_opENS9_16wrapped_functionINS8_6system6detail7generic6detail18binary_search_lessEbEEEE10hipError_tPvRmT1_T2_T3_mmT4_T5_P12ihipStream_tbEUlRKiE_EESZ_S13_S14_mS15_S18_bEUlT_E_NS1_11comp_targetILNS1_3genE2ELNS1_11target_archE906ELNS1_3gpuE6ELNS1_3repE0EEENS1_30default_config_static_selectorELNS0_4arch9wavefront6targetE0EEEvS12_,comdat
.Lfunc_end783:
	.size	_ZN7rocprim17ROCPRIM_400000_NS6detail17trampoline_kernelINS0_14default_configENS1_27upper_bound_config_selectorIilEEZNS1_14transform_implILb0ES3_S5_N6thrust23THRUST_200600_302600_NS6detail15normal_iteratorINS8_7pointerIiNS9_22execute_with_allocatorINS8_16device_allocatorIcEENS8_11hip_rocprim22execute_on_stream_baseEEENS8_11use_defaultESI_EEEENSA_INSB_IlSH_SI_SI_EEEEZNS1_13binary_searchIS3_S5_NSA_INS8_10device_ptrIiEEEESK_SM_NS1_21upper_bound_search_opENS9_16wrapped_functionINS8_6system6detail7generic6detail18binary_search_lessEbEEEE10hipError_tPvRmT1_T2_T3_mmT4_T5_P12ihipStream_tbEUlRKiE_EESZ_S13_S14_mS15_S18_bEUlT_E_NS1_11comp_targetILNS1_3genE2ELNS1_11target_archE906ELNS1_3gpuE6ELNS1_3repE0EEENS1_30default_config_static_selectorELNS0_4arch9wavefront6targetE0EEEvS12_, .Lfunc_end783-_ZN7rocprim17ROCPRIM_400000_NS6detail17trampoline_kernelINS0_14default_configENS1_27upper_bound_config_selectorIilEEZNS1_14transform_implILb0ES3_S5_N6thrust23THRUST_200600_302600_NS6detail15normal_iteratorINS8_7pointerIiNS9_22execute_with_allocatorINS8_16device_allocatorIcEENS8_11hip_rocprim22execute_on_stream_baseEEENS8_11use_defaultESI_EEEENSA_INSB_IlSH_SI_SI_EEEEZNS1_13binary_searchIS3_S5_NSA_INS8_10device_ptrIiEEEESK_SM_NS1_21upper_bound_search_opENS9_16wrapped_functionINS8_6system6detail7generic6detail18binary_search_lessEbEEEE10hipError_tPvRmT1_T2_T3_mmT4_T5_P12ihipStream_tbEUlRKiE_EESZ_S13_S14_mS15_S18_bEUlT_E_NS1_11comp_targetILNS1_3genE2ELNS1_11target_archE906ELNS1_3gpuE6ELNS1_3repE0EEENS1_30default_config_static_selectorELNS0_4arch9wavefront6targetE0EEEvS12_
                                        ; -- End function
	.set _ZN7rocprim17ROCPRIM_400000_NS6detail17trampoline_kernelINS0_14default_configENS1_27upper_bound_config_selectorIilEEZNS1_14transform_implILb0ES3_S5_N6thrust23THRUST_200600_302600_NS6detail15normal_iteratorINS8_7pointerIiNS9_22execute_with_allocatorINS8_16device_allocatorIcEENS8_11hip_rocprim22execute_on_stream_baseEEENS8_11use_defaultESI_EEEENSA_INSB_IlSH_SI_SI_EEEEZNS1_13binary_searchIS3_S5_NSA_INS8_10device_ptrIiEEEESK_SM_NS1_21upper_bound_search_opENS9_16wrapped_functionINS8_6system6detail7generic6detail18binary_search_lessEbEEEE10hipError_tPvRmT1_T2_T3_mmT4_T5_P12ihipStream_tbEUlRKiE_EESZ_S13_S14_mS15_S18_bEUlT_E_NS1_11comp_targetILNS1_3genE2ELNS1_11target_archE906ELNS1_3gpuE6ELNS1_3repE0EEENS1_30default_config_static_selectorELNS0_4arch9wavefront6targetE0EEEvS12_.num_vgpr, 0
	.set _ZN7rocprim17ROCPRIM_400000_NS6detail17trampoline_kernelINS0_14default_configENS1_27upper_bound_config_selectorIilEEZNS1_14transform_implILb0ES3_S5_N6thrust23THRUST_200600_302600_NS6detail15normal_iteratorINS8_7pointerIiNS9_22execute_with_allocatorINS8_16device_allocatorIcEENS8_11hip_rocprim22execute_on_stream_baseEEENS8_11use_defaultESI_EEEENSA_INSB_IlSH_SI_SI_EEEEZNS1_13binary_searchIS3_S5_NSA_INS8_10device_ptrIiEEEESK_SM_NS1_21upper_bound_search_opENS9_16wrapped_functionINS8_6system6detail7generic6detail18binary_search_lessEbEEEE10hipError_tPvRmT1_T2_T3_mmT4_T5_P12ihipStream_tbEUlRKiE_EESZ_S13_S14_mS15_S18_bEUlT_E_NS1_11comp_targetILNS1_3genE2ELNS1_11target_archE906ELNS1_3gpuE6ELNS1_3repE0EEENS1_30default_config_static_selectorELNS0_4arch9wavefront6targetE0EEEvS12_.num_agpr, 0
	.set _ZN7rocprim17ROCPRIM_400000_NS6detail17trampoline_kernelINS0_14default_configENS1_27upper_bound_config_selectorIilEEZNS1_14transform_implILb0ES3_S5_N6thrust23THRUST_200600_302600_NS6detail15normal_iteratorINS8_7pointerIiNS9_22execute_with_allocatorINS8_16device_allocatorIcEENS8_11hip_rocprim22execute_on_stream_baseEEENS8_11use_defaultESI_EEEENSA_INSB_IlSH_SI_SI_EEEEZNS1_13binary_searchIS3_S5_NSA_INS8_10device_ptrIiEEEESK_SM_NS1_21upper_bound_search_opENS9_16wrapped_functionINS8_6system6detail7generic6detail18binary_search_lessEbEEEE10hipError_tPvRmT1_T2_T3_mmT4_T5_P12ihipStream_tbEUlRKiE_EESZ_S13_S14_mS15_S18_bEUlT_E_NS1_11comp_targetILNS1_3genE2ELNS1_11target_archE906ELNS1_3gpuE6ELNS1_3repE0EEENS1_30default_config_static_selectorELNS0_4arch9wavefront6targetE0EEEvS12_.numbered_sgpr, 0
	.set _ZN7rocprim17ROCPRIM_400000_NS6detail17trampoline_kernelINS0_14default_configENS1_27upper_bound_config_selectorIilEEZNS1_14transform_implILb0ES3_S5_N6thrust23THRUST_200600_302600_NS6detail15normal_iteratorINS8_7pointerIiNS9_22execute_with_allocatorINS8_16device_allocatorIcEENS8_11hip_rocprim22execute_on_stream_baseEEENS8_11use_defaultESI_EEEENSA_INSB_IlSH_SI_SI_EEEEZNS1_13binary_searchIS3_S5_NSA_INS8_10device_ptrIiEEEESK_SM_NS1_21upper_bound_search_opENS9_16wrapped_functionINS8_6system6detail7generic6detail18binary_search_lessEbEEEE10hipError_tPvRmT1_T2_T3_mmT4_T5_P12ihipStream_tbEUlRKiE_EESZ_S13_S14_mS15_S18_bEUlT_E_NS1_11comp_targetILNS1_3genE2ELNS1_11target_archE906ELNS1_3gpuE6ELNS1_3repE0EEENS1_30default_config_static_selectorELNS0_4arch9wavefront6targetE0EEEvS12_.num_named_barrier, 0
	.set _ZN7rocprim17ROCPRIM_400000_NS6detail17trampoline_kernelINS0_14default_configENS1_27upper_bound_config_selectorIilEEZNS1_14transform_implILb0ES3_S5_N6thrust23THRUST_200600_302600_NS6detail15normal_iteratorINS8_7pointerIiNS9_22execute_with_allocatorINS8_16device_allocatorIcEENS8_11hip_rocprim22execute_on_stream_baseEEENS8_11use_defaultESI_EEEENSA_INSB_IlSH_SI_SI_EEEEZNS1_13binary_searchIS3_S5_NSA_INS8_10device_ptrIiEEEESK_SM_NS1_21upper_bound_search_opENS9_16wrapped_functionINS8_6system6detail7generic6detail18binary_search_lessEbEEEE10hipError_tPvRmT1_T2_T3_mmT4_T5_P12ihipStream_tbEUlRKiE_EESZ_S13_S14_mS15_S18_bEUlT_E_NS1_11comp_targetILNS1_3genE2ELNS1_11target_archE906ELNS1_3gpuE6ELNS1_3repE0EEENS1_30default_config_static_selectorELNS0_4arch9wavefront6targetE0EEEvS12_.private_seg_size, 0
	.set _ZN7rocprim17ROCPRIM_400000_NS6detail17trampoline_kernelINS0_14default_configENS1_27upper_bound_config_selectorIilEEZNS1_14transform_implILb0ES3_S5_N6thrust23THRUST_200600_302600_NS6detail15normal_iteratorINS8_7pointerIiNS9_22execute_with_allocatorINS8_16device_allocatorIcEENS8_11hip_rocprim22execute_on_stream_baseEEENS8_11use_defaultESI_EEEENSA_INSB_IlSH_SI_SI_EEEEZNS1_13binary_searchIS3_S5_NSA_INS8_10device_ptrIiEEEESK_SM_NS1_21upper_bound_search_opENS9_16wrapped_functionINS8_6system6detail7generic6detail18binary_search_lessEbEEEE10hipError_tPvRmT1_T2_T3_mmT4_T5_P12ihipStream_tbEUlRKiE_EESZ_S13_S14_mS15_S18_bEUlT_E_NS1_11comp_targetILNS1_3genE2ELNS1_11target_archE906ELNS1_3gpuE6ELNS1_3repE0EEENS1_30default_config_static_selectorELNS0_4arch9wavefront6targetE0EEEvS12_.uses_vcc, 0
	.set _ZN7rocprim17ROCPRIM_400000_NS6detail17trampoline_kernelINS0_14default_configENS1_27upper_bound_config_selectorIilEEZNS1_14transform_implILb0ES3_S5_N6thrust23THRUST_200600_302600_NS6detail15normal_iteratorINS8_7pointerIiNS9_22execute_with_allocatorINS8_16device_allocatorIcEENS8_11hip_rocprim22execute_on_stream_baseEEENS8_11use_defaultESI_EEEENSA_INSB_IlSH_SI_SI_EEEEZNS1_13binary_searchIS3_S5_NSA_INS8_10device_ptrIiEEEESK_SM_NS1_21upper_bound_search_opENS9_16wrapped_functionINS8_6system6detail7generic6detail18binary_search_lessEbEEEE10hipError_tPvRmT1_T2_T3_mmT4_T5_P12ihipStream_tbEUlRKiE_EESZ_S13_S14_mS15_S18_bEUlT_E_NS1_11comp_targetILNS1_3genE2ELNS1_11target_archE906ELNS1_3gpuE6ELNS1_3repE0EEENS1_30default_config_static_selectorELNS0_4arch9wavefront6targetE0EEEvS12_.uses_flat_scratch, 0
	.set _ZN7rocprim17ROCPRIM_400000_NS6detail17trampoline_kernelINS0_14default_configENS1_27upper_bound_config_selectorIilEEZNS1_14transform_implILb0ES3_S5_N6thrust23THRUST_200600_302600_NS6detail15normal_iteratorINS8_7pointerIiNS9_22execute_with_allocatorINS8_16device_allocatorIcEENS8_11hip_rocprim22execute_on_stream_baseEEENS8_11use_defaultESI_EEEENSA_INSB_IlSH_SI_SI_EEEEZNS1_13binary_searchIS3_S5_NSA_INS8_10device_ptrIiEEEESK_SM_NS1_21upper_bound_search_opENS9_16wrapped_functionINS8_6system6detail7generic6detail18binary_search_lessEbEEEE10hipError_tPvRmT1_T2_T3_mmT4_T5_P12ihipStream_tbEUlRKiE_EESZ_S13_S14_mS15_S18_bEUlT_E_NS1_11comp_targetILNS1_3genE2ELNS1_11target_archE906ELNS1_3gpuE6ELNS1_3repE0EEENS1_30default_config_static_selectorELNS0_4arch9wavefront6targetE0EEEvS12_.has_dyn_sized_stack, 0
	.set _ZN7rocprim17ROCPRIM_400000_NS6detail17trampoline_kernelINS0_14default_configENS1_27upper_bound_config_selectorIilEEZNS1_14transform_implILb0ES3_S5_N6thrust23THRUST_200600_302600_NS6detail15normal_iteratorINS8_7pointerIiNS9_22execute_with_allocatorINS8_16device_allocatorIcEENS8_11hip_rocprim22execute_on_stream_baseEEENS8_11use_defaultESI_EEEENSA_INSB_IlSH_SI_SI_EEEEZNS1_13binary_searchIS3_S5_NSA_INS8_10device_ptrIiEEEESK_SM_NS1_21upper_bound_search_opENS9_16wrapped_functionINS8_6system6detail7generic6detail18binary_search_lessEbEEEE10hipError_tPvRmT1_T2_T3_mmT4_T5_P12ihipStream_tbEUlRKiE_EESZ_S13_S14_mS15_S18_bEUlT_E_NS1_11comp_targetILNS1_3genE2ELNS1_11target_archE906ELNS1_3gpuE6ELNS1_3repE0EEENS1_30default_config_static_selectorELNS0_4arch9wavefront6targetE0EEEvS12_.has_recursion, 0
	.set _ZN7rocprim17ROCPRIM_400000_NS6detail17trampoline_kernelINS0_14default_configENS1_27upper_bound_config_selectorIilEEZNS1_14transform_implILb0ES3_S5_N6thrust23THRUST_200600_302600_NS6detail15normal_iteratorINS8_7pointerIiNS9_22execute_with_allocatorINS8_16device_allocatorIcEENS8_11hip_rocprim22execute_on_stream_baseEEENS8_11use_defaultESI_EEEENSA_INSB_IlSH_SI_SI_EEEEZNS1_13binary_searchIS3_S5_NSA_INS8_10device_ptrIiEEEESK_SM_NS1_21upper_bound_search_opENS9_16wrapped_functionINS8_6system6detail7generic6detail18binary_search_lessEbEEEE10hipError_tPvRmT1_T2_T3_mmT4_T5_P12ihipStream_tbEUlRKiE_EESZ_S13_S14_mS15_S18_bEUlT_E_NS1_11comp_targetILNS1_3genE2ELNS1_11target_archE906ELNS1_3gpuE6ELNS1_3repE0EEENS1_30default_config_static_selectorELNS0_4arch9wavefront6targetE0EEEvS12_.has_indirect_call, 0
	.section	.AMDGPU.csdata,"",@progbits
; Kernel info:
; codeLenInByte = 0
; TotalNumSgprs: 0
; NumVgprs: 0
; ScratchSize: 0
; MemoryBound: 0
; FloatMode: 240
; IeeeMode: 1
; LDSByteSize: 0 bytes/workgroup (compile time only)
; SGPRBlocks: 0
; VGPRBlocks: 0
; NumSGPRsForWavesPerEU: 1
; NumVGPRsForWavesPerEU: 1
; Occupancy: 16
; WaveLimiterHint : 0
; COMPUTE_PGM_RSRC2:SCRATCH_EN: 0
; COMPUTE_PGM_RSRC2:USER_SGPR: 6
; COMPUTE_PGM_RSRC2:TRAP_HANDLER: 0
; COMPUTE_PGM_RSRC2:TGID_X_EN: 1
; COMPUTE_PGM_RSRC2:TGID_Y_EN: 0
; COMPUTE_PGM_RSRC2:TGID_Z_EN: 0
; COMPUTE_PGM_RSRC2:TIDIG_COMP_CNT: 0
	.section	.text._ZN7rocprim17ROCPRIM_400000_NS6detail17trampoline_kernelINS0_14default_configENS1_27upper_bound_config_selectorIilEEZNS1_14transform_implILb0ES3_S5_N6thrust23THRUST_200600_302600_NS6detail15normal_iteratorINS8_7pointerIiNS9_22execute_with_allocatorINS8_16device_allocatorIcEENS8_11hip_rocprim22execute_on_stream_baseEEENS8_11use_defaultESI_EEEENSA_INSB_IlSH_SI_SI_EEEEZNS1_13binary_searchIS3_S5_NSA_INS8_10device_ptrIiEEEESK_SM_NS1_21upper_bound_search_opENS9_16wrapped_functionINS8_6system6detail7generic6detail18binary_search_lessEbEEEE10hipError_tPvRmT1_T2_T3_mmT4_T5_P12ihipStream_tbEUlRKiE_EESZ_S13_S14_mS15_S18_bEUlT_E_NS1_11comp_targetILNS1_3genE10ELNS1_11target_archE1201ELNS1_3gpuE5ELNS1_3repE0EEENS1_30default_config_static_selectorELNS0_4arch9wavefront6targetE0EEEvS12_,"axG",@progbits,_ZN7rocprim17ROCPRIM_400000_NS6detail17trampoline_kernelINS0_14default_configENS1_27upper_bound_config_selectorIilEEZNS1_14transform_implILb0ES3_S5_N6thrust23THRUST_200600_302600_NS6detail15normal_iteratorINS8_7pointerIiNS9_22execute_with_allocatorINS8_16device_allocatorIcEENS8_11hip_rocprim22execute_on_stream_baseEEENS8_11use_defaultESI_EEEENSA_INSB_IlSH_SI_SI_EEEEZNS1_13binary_searchIS3_S5_NSA_INS8_10device_ptrIiEEEESK_SM_NS1_21upper_bound_search_opENS9_16wrapped_functionINS8_6system6detail7generic6detail18binary_search_lessEbEEEE10hipError_tPvRmT1_T2_T3_mmT4_T5_P12ihipStream_tbEUlRKiE_EESZ_S13_S14_mS15_S18_bEUlT_E_NS1_11comp_targetILNS1_3genE10ELNS1_11target_archE1201ELNS1_3gpuE5ELNS1_3repE0EEENS1_30default_config_static_selectorELNS0_4arch9wavefront6targetE0EEEvS12_,comdat
	.protected	_ZN7rocprim17ROCPRIM_400000_NS6detail17trampoline_kernelINS0_14default_configENS1_27upper_bound_config_selectorIilEEZNS1_14transform_implILb0ES3_S5_N6thrust23THRUST_200600_302600_NS6detail15normal_iteratorINS8_7pointerIiNS9_22execute_with_allocatorINS8_16device_allocatorIcEENS8_11hip_rocprim22execute_on_stream_baseEEENS8_11use_defaultESI_EEEENSA_INSB_IlSH_SI_SI_EEEEZNS1_13binary_searchIS3_S5_NSA_INS8_10device_ptrIiEEEESK_SM_NS1_21upper_bound_search_opENS9_16wrapped_functionINS8_6system6detail7generic6detail18binary_search_lessEbEEEE10hipError_tPvRmT1_T2_T3_mmT4_T5_P12ihipStream_tbEUlRKiE_EESZ_S13_S14_mS15_S18_bEUlT_E_NS1_11comp_targetILNS1_3genE10ELNS1_11target_archE1201ELNS1_3gpuE5ELNS1_3repE0EEENS1_30default_config_static_selectorELNS0_4arch9wavefront6targetE0EEEvS12_ ; -- Begin function _ZN7rocprim17ROCPRIM_400000_NS6detail17trampoline_kernelINS0_14default_configENS1_27upper_bound_config_selectorIilEEZNS1_14transform_implILb0ES3_S5_N6thrust23THRUST_200600_302600_NS6detail15normal_iteratorINS8_7pointerIiNS9_22execute_with_allocatorINS8_16device_allocatorIcEENS8_11hip_rocprim22execute_on_stream_baseEEENS8_11use_defaultESI_EEEENSA_INSB_IlSH_SI_SI_EEEEZNS1_13binary_searchIS3_S5_NSA_INS8_10device_ptrIiEEEESK_SM_NS1_21upper_bound_search_opENS9_16wrapped_functionINS8_6system6detail7generic6detail18binary_search_lessEbEEEE10hipError_tPvRmT1_T2_T3_mmT4_T5_P12ihipStream_tbEUlRKiE_EESZ_S13_S14_mS15_S18_bEUlT_E_NS1_11comp_targetILNS1_3genE10ELNS1_11target_archE1201ELNS1_3gpuE5ELNS1_3repE0EEENS1_30default_config_static_selectorELNS0_4arch9wavefront6targetE0EEEvS12_
	.globl	_ZN7rocprim17ROCPRIM_400000_NS6detail17trampoline_kernelINS0_14default_configENS1_27upper_bound_config_selectorIilEEZNS1_14transform_implILb0ES3_S5_N6thrust23THRUST_200600_302600_NS6detail15normal_iteratorINS8_7pointerIiNS9_22execute_with_allocatorINS8_16device_allocatorIcEENS8_11hip_rocprim22execute_on_stream_baseEEENS8_11use_defaultESI_EEEENSA_INSB_IlSH_SI_SI_EEEEZNS1_13binary_searchIS3_S5_NSA_INS8_10device_ptrIiEEEESK_SM_NS1_21upper_bound_search_opENS9_16wrapped_functionINS8_6system6detail7generic6detail18binary_search_lessEbEEEE10hipError_tPvRmT1_T2_T3_mmT4_T5_P12ihipStream_tbEUlRKiE_EESZ_S13_S14_mS15_S18_bEUlT_E_NS1_11comp_targetILNS1_3genE10ELNS1_11target_archE1201ELNS1_3gpuE5ELNS1_3repE0EEENS1_30default_config_static_selectorELNS0_4arch9wavefront6targetE0EEEvS12_
	.p2align	8
	.type	_ZN7rocprim17ROCPRIM_400000_NS6detail17trampoline_kernelINS0_14default_configENS1_27upper_bound_config_selectorIilEEZNS1_14transform_implILb0ES3_S5_N6thrust23THRUST_200600_302600_NS6detail15normal_iteratorINS8_7pointerIiNS9_22execute_with_allocatorINS8_16device_allocatorIcEENS8_11hip_rocprim22execute_on_stream_baseEEENS8_11use_defaultESI_EEEENSA_INSB_IlSH_SI_SI_EEEEZNS1_13binary_searchIS3_S5_NSA_INS8_10device_ptrIiEEEESK_SM_NS1_21upper_bound_search_opENS9_16wrapped_functionINS8_6system6detail7generic6detail18binary_search_lessEbEEEE10hipError_tPvRmT1_T2_T3_mmT4_T5_P12ihipStream_tbEUlRKiE_EESZ_S13_S14_mS15_S18_bEUlT_E_NS1_11comp_targetILNS1_3genE10ELNS1_11target_archE1201ELNS1_3gpuE5ELNS1_3repE0EEENS1_30default_config_static_selectorELNS0_4arch9wavefront6targetE0EEEvS12_,@function
_ZN7rocprim17ROCPRIM_400000_NS6detail17trampoline_kernelINS0_14default_configENS1_27upper_bound_config_selectorIilEEZNS1_14transform_implILb0ES3_S5_N6thrust23THRUST_200600_302600_NS6detail15normal_iteratorINS8_7pointerIiNS9_22execute_with_allocatorINS8_16device_allocatorIcEENS8_11hip_rocprim22execute_on_stream_baseEEENS8_11use_defaultESI_EEEENSA_INSB_IlSH_SI_SI_EEEEZNS1_13binary_searchIS3_S5_NSA_INS8_10device_ptrIiEEEESK_SM_NS1_21upper_bound_search_opENS9_16wrapped_functionINS8_6system6detail7generic6detail18binary_search_lessEbEEEE10hipError_tPvRmT1_T2_T3_mmT4_T5_P12ihipStream_tbEUlRKiE_EESZ_S13_S14_mS15_S18_bEUlT_E_NS1_11comp_targetILNS1_3genE10ELNS1_11target_archE1201ELNS1_3gpuE5ELNS1_3repE0EEENS1_30default_config_static_selectorELNS0_4arch9wavefront6targetE0EEEvS12_: ; @_ZN7rocprim17ROCPRIM_400000_NS6detail17trampoline_kernelINS0_14default_configENS1_27upper_bound_config_selectorIilEEZNS1_14transform_implILb0ES3_S5_N6thrust23THRUST_200600_302600_NS6detail15normal_iteratorINS8_7pointerIiNS9_22execute_with_allocatorINS8_16device_allocatorIcEENS8_11hip_rocprim22execute_on_stream_baseEEENS8_11use_defaultESI_EEEENSA_INSB_IlSH_SI_SI_EEEEZNS1_13binary_searchIS3_S5_NSA_INS8_10device_ptrIiEEEESK_SM_NS1_21upper_bound_search_opENS9_16wrapped_functionINS8_6system6detail7generic6detail18binary_search_lessEbEEEE10hipError_tPvRmT1_T2_T3_mmT4_T5_P12ihipStream_tbEUlRKiE_EESZ_S13_S14_mS15_S18_bEUlT_E_NS1_11comp_targetILNS1_3genE10ELNS1_11target_archE1201ELNS1_3gpuE5ELNS1_3repE0EEENS1_30default_config_static_selectorELNS0_4arch9wavefront6targetE0EEEvS12_
; %bb.0:
	.section	.rodata,"a",@progbits
	.p2align	6, 0x0
	.amdhsa_kernel _ZN7rocprim17ROCPRIM_400000_NS6detail17trampoline_kernelINS0_14default_configENS1_27upper_bound_config_selectorIilEEZNS1_14transform_implILb0ES3_S5_N6thrust23THRUST_200600_302600_NS6detail15normal_iteratorINS8_7pointerIiNS9_22execute_with_allocatorINS8_16device_allocatorIcEENS8_11hip_rocprim22execute_on_stream_baseEEENS8_11use_defaultESI_EEEENSA_INSB_IlSH_SI_SI_EEEEZNS1_13binary_searchIS3_S5_NSA_INS8_10device_ptrIiEEEESK_SM_NS1_21upper_bound_search_opENS9_16wrapped_functionINS8_6system6detail7generic6detail18binary_search_lessEbEEEE10hipError_tPvRmT1_T2_T3_mmT4_T5_P12ihipStream_tbEUlRKiE_EESZ_S13_S14_mS15_S18_bEUlT_E_NS1_11comp_targetILNS1_3genE10ELNS1_11target_archE1201ELNS1_3gpuE5ELNS1_3repE0EEENS1_30default_config_static_selectorELNS0_4arch9wavefront6targetE0EEEvS12_
		.amdhsa_group_segment_fixed_size 0
		.amdhsa_private_segment_fixed_size 0
		.amdhsa_kernarg_size 56
		.amdhsa_user_sgpr_count 6
		.amdhsa_user_sgpr_private_segment_buffer 1
		.amdhsa_user_sgpr_dispatch_ptr 0
		.amdhsa_user_sgpr_queue_ptr 0
		.amdhsa_user_sgpr_kernarg_segment_ptr 1
		.amdhsa_user_sgpr_dispatch_id 0
		.amdhsa_user_sgpr_flat_scratch_init 0
		.amdhsa_user_sgpr_private_segment_size 0
		.amdhsa_wavefront_size32 1
		.amdhsa_uses_dynamic_stack 0
		.amdhsa_system_sgpr_private_segment_wavefront_offset 0
		.amdhsa_system_sgpr_workgroup_id_x 1
		.amdhsa_system_sgpr_workgroup_id_y 0
		.amdhsa_system_sgpr_workgroup_id_z 0
		.amdhsa_system_sgpr_workgroup_info 0
		.amdhsa_system_vgpr_workitem_id 0
		.amdhsa_next_free_vgpr 1
		.amdhsa_next_free_sgpr 1
		.amdhsa_reserve_vcc 0
		.amdhsa_reserve_flat_scratch 0
		.amdhsa_float_round_mode_32 0
		.amdhsa_float_round_mode_16_64 0
		.amdhsa_float_denorm_mode_32 3
		.amdhsa_float_denorm_mode_16_64 3
		.amdhsa_dx10_clamp 1
		.amdhsa_ieee_mode 1
		.amdhsa_fp16_overflow 0
		.amdhsa_workgroup_processor_mode 1
		.amdhsa_memory_ordered 1
		.amdhsa_forward_progress 1
		.amdhsa_shared_vgpr_count 0
		.amdhsa_exception_fp_ieee_invalid_op 0
		.amdhsa_exception_fp_denorm_src 0
		.amdhsa_exception_fp_ieee_div_zero 0
		.amdhsa_exception_fp_ieee_overflow 0
		.amdhsa_exception_fp_ieee_underflow 0
		.amdhsa_exception_fp_ieee_inexact 0
		.amdhsa_exception_int_div_zero 0
	.end_amdhsa_kernel
	.section	.text._ZN7rocprim17ROCPRIM_400000_NS6detail17trampoline_kernelINS0_14default_configENS1_27upper_bound_config_selectorIilEEZNS1_14transform_implILb0ES3_S5_N6thrust23THRUST_200600_302600_NS6detail15normal_iteratorINS8_7pointerIiNS9_22execute_with_allocatorINS8_16device_allocatorIcEENS8_11hip_rocprim22execute_on_stream_baseEEENS8_11use_defaultESI_EEEENSA_INSB_IlSH_SI_SI_EEEEZNS1_13binary_searchIS3_S5_NSA_INS8_10device_ptrIiEEEESK_SM_NS1_21upper_bound_search_opENS9_16wrapped_functionINS8_6system6detail7generic6detail18binary_search_lessEbEEEE10hipError_tPvRmT1_T2_T3_mmT4_T5_P12ihipStream_tbEUlRKiE_EESZ_S13_S14_mS15_S18_bEUlT_E_NS1_11comp_targetILNS1_3genE10ELNS1_11target_archE1201ELNS1_3gpuE5ELNS1_3repE0EEENS1_30default_config_static_selectorELNS0_4arch9wavefront6targetE0EEEvS12_,"axG",@progbits,_ZN7rocprim17ROCPRIM_400000_NS6detail17trampoline_kernelINS0_14default_configENS1_27upper_bound_config_selectorIilEEZNS1_14transform_implILb0ES3_S5_N6thrust23THRUST_200600_302600_NS6detail15normal_iteratorINS8_7pointerIiNS9_22execute_with_allocatorINS8_16device_allocatorIcEENS8_11hip_rocprim22execute_on_stream_baseEEENS8_11use_defaultESI_EEEENSA_INSB_IlSH_SI_SI_EEEEZNS1_13binary_searchIS3_S5_NSA_INS8_10device_ptrIiEEEESK_SM_NS1_21upper_bound_search_opENS9_16wrapped_functionINS8_6system6detail7generic6detail18binary_search_lessEbEEEE10hipError_tPvRmT1_T2_T3_mmT4_T5_P12ihipStream_tbEUlRKiE_EESZ_S13_S14_mS15_S18_bEUlT_E_NS1_11comp_targetILNS1_3genE10ELNS1_11target_archE1201ELNS1_3gpuE5ELNS1_3repE0EEENS1_30default_config_static_selectorELNS0_4arch9wavefront6targetE0EEEvS12_,comdat
.Lfunc_end784:
	.size	_ZN7rocprim17ROCPRIM_400000_NS6detail17trampoline_kernelINS0_14default_configENS1_27upper_bound_config_selectorIilEEZNS1_14transform_implILb0ES3_S5_N6thrust23THRUST_200600_302600_NS6detail15normal_iteratorINS8_7pointerIiNS9_22execute_with_allocatorINS8_16device_allocatorIcEENS8_11hip_rocprim22execute_on_stream_baseEEENS8_11use_defaultESI_EEEENSA_INSB_IlSH_SI_SI_EEEEZNS1_13binary_searchIS3_S5_NSA_INS8_10device_ptrIiEEEESK_SM_NS1_21upper_bound_search_opENS9_16wrapped_functionINS8_6system6detail7generic6detail18binary_search_lessEbEEEE10hipError_tPvRmT1_T2_T3_mmT4_T5_P12ihipStream_tbEUlRKiE_EESZ_S13_S14_mS15_S18_bEUlT_E_NS1_11comp_targetILNS1_3genE10ELNS1_11target_archE1201ELNS1_3gpuE5ELNS1_3repE0EEENS1_30default_config_static_selectorELNS0_4arch9wavefront6targetE0EEEvS12_, .Lfunc_end784-_ZN7rocprim17ROCPRIM_400000_NS6detail17trampoline_kernelINS0_14default_configENS1_27upper_bound_config_selectorIilEEZNS1_14transform_implILb0ES3_S5_N6thrust23THRUST_200600_302600_NS6detail15normal_iteratorINS8_7pointerIiNS9_22execute_with_allocatorINS8_16device_allocatorIcEENS8_11hip_rocprim22execute_on_stream_baseEEENS8_11use_defaultESI_EEEENSA_INSB_IlSH_SI_SI_EEEEZNS1_13binary_searchIS3_S5_NSA_INS8_10device_ptrIiEEEESK_SM_NS1_21upper_bound_search_opENS9_16wrapped_functionINS8_6system6detail7generic6detail18binary_search_lessEbEEEE10hipError_tPvRmT1_T2_T3_mmT4_T5_P12ihipStream_tbEUlRKiE_EESZ_S13_S14_mS15_S18_bEUlT_E_NS1_11comp_targetILNS1_3genE10ELNS1_11target_archE1201ELNS1_3gpuE5ELNS1_3repE0EEENS1_30default_config_static_selectorELNS0_4arch9wavefront6targetE0EEEvS12_
                                        ; -- End function
	.set _ZN7rocprim17ROCPRIM_400000_NS6detail17trampoline_kernelINS0_14default_configENS1_27upper_bound_config_selectorIilEEZNS1_14transform_implILb0ES3_S5_N6thrust23THRUST_200600_302600_NS6detail15normal_iteratorINS8_7pointerIiNS9_22execute_with_allocatorINS8_16device_allocatorIcEENS8_11hip_rocprim22execute_on_stream_baseEEENS8_11use_defaultESI_EEEENSA_INSB_IlSH_SI_SI_EEEEZNS1_13binary_searchIS3_S5_NSA_INS8_10device_ptrIiEEEESK_SM_NS1_21upper_bound_search_opENS9_16wrapped_functionINS8_6system6detail7generic6detail18binary_search_lessEbEEEE10hipError_tPvRmT1_T2_T3_mmT4_T5_P12ihipStream_tbEUlRKiE_EESZ_S13_S14_mS15_S18_bEUlT_E_NS1_11comp_targetILNS1_3genE10ELNS1_11target_archE1201ELNS1_3gpuE5ELNS1_3repE0EEENS1_30default_config_static_selectorELNS0_4arch9wavefront6targetE0EEEvS12_.num_vgpr, 0
	.set _ZN7rocprim17ROCPRIM_400000_NS6detail17trampoline_kernelINS0_14default_configENS1_27upper_bound_config_selectorIilEEZNS1_14transform_implILb0ES3_S5_N6thrust23THRUST_200600_302600_NS6detail15normal_iteratorINS8_7pointerIiNS9_22execute_with_allocatorINS8_16device_allocatorIcEENS8_11hip_rocprim22execute_on_stream_baseEEENS8_11use_defaultESI_EEEENSA_INSB_IlSH_SI_SI_EEEEZNS1_13binary_searchIS3_S5_NSA_INS8_10device_ptrIiEEEESK_SM_NS1_21upper_bound_search_opENS9_16wrapped_functionINS8_6system6detail7generic6detail18binary_search_lessEbEEEE10hipError_tPvRmT1_T2_T3_mmT4_T5_P12ihipStream_tbEUlRKiE_EESZ_S13_S14_mS15_S18_bEUlT_E_NS1_11comp_targetILNS1_3genE10ELNS1_11target_archE1201ELNS1_3gpuE5ELNS1_3repE0EEENS1_30default_config_static_selectorELNS0_4arch9wavefront6targetE0EEEvS12_.num_agpr, 0
	.set _ZN7rocprim17ROCPRIM_400000_NS6detail17trampoline_kernelINS0_14default_configENS1_27upper_bound_config_selectorIilEEZNS1_14transform_implILb0ES3_S5_N6thrust23THRUST_200600_302600_NS6detail15normal_iteratorINS8_7pointerIiNS9_22execute_with_allocatorINS8_16device_allocatorIcEENS8_11hip_rocprim22execute_on_stream_baseEEENS8_11use_defaultESI_EEEENSA_INSB_IlSH_SI_SI_EEEEZNS1_13binary_searchIS3_S5_NSA_INS8_10device_ptrIiEEEESK_SM_NS1_21upper_bound_search_opENS9_16wrapped_functionINS8_6system6detail7generic6detail18binary_search_lessEbEEEE10hipError_tPvRmT1_T2_T3_mmT4_T5_P12ihipStream_tbEUlRKiE_EESZ_S13_S14_mS15_S18_bEUlT_E_NS1_11comp_targetILNS1_3genE10ELNS1_11target_archE1201ELNS1_3gpuE5ELNS1_3repE0EEENS1_30default_config_static_selectorELNS0_4arch9wavefront6targetE0EEEvS12_.numbered_sgpr, 0
	.set _ZN7rocprim17ROCPRIM_400000_NS6detail17trampoline_kernelINS0_14default_configENS1_27upper_bound_config_selectorIilEEZNS1_14transform_implILb0ES3_S5_N6thrust23THRUST_200600_302600_NS6detail15normal_iteratorINS8_7pointerIiNS9_22execute_with_allocatorINS8_16device_allocatorIcEENS8_11hip_rocprim22execute_on_stream_baseEEENS8_11use_defaultESI_EEEENSA_INSB_IlSH_SI_SI_EEEEZNS1_13binary_searchIS3_S5_NSA_INS8_10device_ptrIiEEEESK_SM_NS1_21upper_bound_search_opENS9_16wrapped_functionINS8_6system6detail7generic6detail18binary_search_lessEbEEEE10hipError_tPvRmT1_T2_T3_mmT4_T5_P12ihipStream_tbEUlRKiE_EESZ_S13_S14_mS15_S18_bEUlT_E_NS1_11comp_targetILNS1_3genE10ELNS1_11target_archE1201ELNS1_3gpuE5ELNS1_3repE0EEENS1_30default_config_static_selectorELNS0_4arch9wavefront6targetE0EEEvS12_.num_named_barrier, 0
	.set _ZN7rocprim17ROCPRIM_400000_NS6detail17trampoline_kernelINS0_14default_configENS1_27upper_bound_config_selectorIilEEZNS1_14transform_implILb0ES3_S5_N6thrust23THRUST_200600_302600_NS6detail15normal_iteratorINS8_7pointerIiNS9_22execute_with_allocatorINS8_16device_allocatorIcEENS8_11hip_rocprim22execute_on_stream_baseEEENS8_11use_defaultESI_EEEENSA_INSB_IlSH_SI_SI_EEEEZNS1_13binary_searchIS3_S5_NSA_INS8_10device_ptrIiEEEESK_SM_NS1_21upper_bound_search_opENS9_16wrapped_functionINS8_6system6detail7generic6detail18binary_search_lessEbEEEE10hipError_tPvRmT1_T2_T3_mmT4_T5_P12ihipStream_tbEUlRKiE_EESZ_S13_S14_mS15_S18_bEUlT_E_NS1_11comp_targetILNS1_3genE10ELNS1_11target_archE1201ELNS1_3gpuE5ELNS1_3repE0EEENS1_30default_config_static_selectorELNS0_4arch9wavefront6targetE0EEEvS12_.private_seg_size, 0
	.set _ZN7rocprim17ROCPRIM_400000_NS6detail17trampoline_kernelINS0_14default_configENS1_27upper_bound_config_selectorIilEEZNS1_14transform_implILb0ES3_S5_N6thrust23THRUST_200600_302600_NS6detail15normal_iteratorINS8_7pointerIiNS9_22execute_with_allocatorINS8_16device_allocatorIcEENS8_11hip_rocprim22execute_on_stream_baseEEENS8_11use_defaultESI_EEEENSA_INSB_IlSH_SI_SI_EEEEZNS1_13binary_searchIS3_S5_NSA_INS8_10device_ptrIiEEEESK_SM_NS1_21upper_bound_search_opENS9_16wrapped_functionINS8_6system6detail7generic6detail18binary_search_lessEbEEEE10hipError_tPvRmT1_T2_T3_mmT4_T5_P12ihipStream_tbEUlRKiE_EESZ_S13_S14_mS15_S18_bEUlT_E_NS1_11comp_targetILNS1_3genE10ELNS1_11target_archE1201ELNS1_3gpuE5ELNS1_3repE0EEENS1_30default_config_static_selectorELNS0_4arch9wavefront6targetE0EEEvS12_.uses_vcc, 0
	.set _ZN7rocprim17ROCPRIM_400000_NS6detail17trampoline_kernelINS0_14default_configENS1_27upper_bound_config_selectorIilEEZNS1_14transform_implILb0ES3_S5_N6thrust23THRUST_200600_302600_NS6detail15normal_iteratorINS8_7pointerIiNS9_22execute_with_allocatorINS8_16device_allocatorIcEENS8_11hip_rocprim22execute_on_stream_baseEEENS8_11use_defaultESI_EEEENSA_INSB_IlSH_SI_SI_EEEEZNS1_13binary_searchIS3_S5_NSA_INS8_10device_ptrIiEEEESK_SM_NS1_21upper_bound_search_opENS9_16wrapped_functionINS8_6system6detail7generic6detail18binary_search_lessEbEEEE10hipError_tPvRmT1_T2_T3_mmT4_T5_P12ihipStream_tbEUlRKiE_EESZ_S13_S14_mS15_S18_bEUlT_E_NS1_11comp_targetILNS1_3genE10ELNS1_11target_archE1201ELNS1_3gpuE5ELNS1_3repE0EEENS1_30default_config_static_selectorELNS0_4arch9wavefront6targetE0EEEvS12_.uses_flat_scratch, 0
	.set _ZN7rocprim17ROCPRIM_400000_NS6detail17trampoline_kernelINS0_14default_configENS1_27upper_bound_config_selectorIilEEZNS1_14transform_implILb0ES3_S5_N6thrust23THRUST_200600_302600_NS6detail15normal_iteratorINS8_7pointerIiNS9_22execute_with_allocatorINS8_16device_allocatorIcEENS8_11hip_rocprim22execute_on_stream_baseEEENS8_11use_defaultESI_EEEENSA_INSB_IlSH_SI_SI_EEEEZNS1_13binary_searchIS3_S5_NSA_INS8_10device_ptrIiEEEESK_SM_NS1_21upper_bound_search_opENS9_16wrapped_functionINS8_6system6detail7generic6detail18binary_search_lessEbEEEE10hipError_tPvRmT1_T2_T3_mmT4_T5_P12ihipStream_tbEUlRKiE_EESZ_S13_S14_mS15_S18_bEUlT_E_NS1_11comp_targetILNS1_3genE10ELNS1_11target_archE1201ELNS1_3gpuE5ELNS1_3repE0EEENS1_30default_config_static_selectorELNS0_4arch9wavefront6targetE0EEEvS12_.has_dyn_sized_stack, 0
	.set _ZN7rocprim17ROCPRIM_400000_NS6detail17trampoline_kernelINS0_14default_configENS1_27upper_bound_config_selectorIilEEZNS1_14transform_implILb0ES3_S5_N6thrust23THRUST_200600_302600_NS6detail15normal_iteratorINS8_7pointerIiNS9_22execute_with_allocatorINS8_16device_allocatorIcEENS8_11hip_rocprim22execute_on_stream_baseEEENS8_11use_defaultESI_EEEENSA_INSB_IlSH_SI_SI_EEEEZNS1_13binary_searchIS3_S5_NSA_INS8_10device_ptrIiEEEESK_SM_NS1_21upper_bound_search_opENS9_16wrapped_functionINS8_6system6detail7generic6detail18binary_search_lessEbEEEE10hipError_tPvRmT1_T2_T3_mmT4_T5_P12ihipStream_tbEUlRKiE_EESZ_S13_S14_mS15_S18_bEUlT_E_NS1_11comp_targetILNS1_3genE10ELNS1_11target_archE1201ELNS1_3gpuE5ELNS1_3repE0EEENS1_30default_config_static_selectorELNS0_4arch9wavefront6targetE0EEEvS12_.has_recursion, 0
	.set _ZN7rocprim17ROCPRIM_400000_NS6detail17trampoline_kernelINS0_14default_configENS1_27upper_bound_config_selectorIilEEZNS1_14transform_implILb0ES3_S5_N6thrust23THRUST_200600_302600_NS6detail15normal_iteratorINS8_7pointerIiNS9_22execute_with_allocatorINS8_16device_allocatorIcEENS8_11hip_rocprim22execute_on_stream_baseEEENS8_11use_defaultESI_EEEENSA_INSB_IlSH_SI_SI_EEEEZNS1_13binary_searchIS3_S5_NSA_INS8_10device_ptrIiEEEESK_SM_NS1_21upper_bound_search_opENS9_16wrapped_functionINS8_6system6detail7generic6detail18binary_search_lessEbEEEE10hipError_tPvRmT1_T2_T3_mmT4_T5_P12ihipStream_tbEUlRKiE_EESZ_S13_S14_mS15_S18_bEUlT_E_NS1_11comp_targetILNS1_3genE10ELNS1_11target_archE1201ELNS1_3gpuE5ELNS1_3repE0EEENS1_30default_config_static_selectorELNS0_4arch9wavefront6targetE0EEEvS12_.has_indirect_call, 0
	.section	.AMDGPU.csdata,"",@progbits
; Kernel info:
; codeLenInByte = 0
; TotalNumSgprs: 0
; NumVgprs: 0
; ScratchSize: 0
; MemoryBound: 0
; FloatMode: 240
; IeeeMode: 1
; LDSByteSize: 0 bytes/workgroup (compile time only)
; SGPRBlocks: 0
; VGPRBlocks: 0
; NumSGPRsForWavesPerEU: 1
; NumVGPRsForWavesPerEU: 1
; Occupancy: 16
; WaveLimiterHint : 0
; COMPUTE_PGM_RSRC2:SCRATCH_EN: 0
; COMPUTE_PGM_RSRC2:USER_SGPR: 6
; COMPUTE_PGM_RSRC2:TRAP_HANDLER: 0
; COMPUTE_PGM_RSRC2:TGID_X_EN: 1
; COMPUTE_PGM_RSRC2:TGID_Y_EN: 0
; COMPUTE_PGM_RSRC2:TGID_Z_EN: 0
; COMPUTE_PGM_RSRC2:TIDIG_COMP_CNT: 0
	.section	.text._ZN7rocprim17ROCPRIM_400000_NS6detail17trampoline_kernelINS0_14default_configENS1_27upper_bound_config_selectorIilEEZNS1_14transform_implILb0ES3_S5_N6thrust23THRUST_200600_302600_NS6detail15normal_iteratorINS8_7pointerIiNS9_22execute_with_allocatorINS8_16device_allocatorIcEENS8_11hip_rocprim22execute_on_stream_baseEEENS8_11use_defaultESI_EEEENSA_INSB_IlSH_SI_SI_EEEEZNS1_13binary_searchIS3_S5_NSA_INS8_10device_ptrIiEEEESK_SM_NS1_21upper_bound_search_opENS9_16wrapped_functionINS8_6system6detail7generic6detail18binary_search_lessEbEEEE10hipError_tPvRmT1_T2_T3_mmT4_T5_P12ihipStream_tbEUlRKiE_EESZ_S13_S14_mS15_S18_bEUlT_E_NS1_11comp_targetILNS1_3genE10ELNS1_11target_archE1200ELNS1_3gpuE4ELNS1_3repE0EEENS1_30default_config_static_selectorELNS0_4arch9wavefront6targetE0EEEvS12_,"axG",@progbits,_ZN7rocprim17ROCPRIM_400000_NS6detail17trampoline_kernelINS0_14default_configENS1_27upper_bound_config_selectorIilEEZNS1_14transform_implILb0ES3_S5_N6thrust23THRUST_200600_302600_NS6detail15normal_iteratorINS8_7pointerIiNS9_22execute_with_allocatorINS8_16device_allocatorIcEENS8_11hip_rocprim22execute_on_stream_baseEEENS8_11use_defaultESI_EEEENSA_INSB_IlSH_SI_SI_EEEEZNS1_13binary_searchIS3_S5_NSA_INS8_10device_ptrIiEEEESK_SM_NS1_21upper_bound_search_opENS9_16wrapped_functionINS8_6system6detail7generic6detail18binary_search_lessEbEEEE10hipError_tPvRmT1_T2_T3_mmT4_T5_P12ihipStream_tbEUlRKiE_EESZ_S13_S14_mS15_S18_bEUlT_E_NS1_11comp_targetILNS1_3genE10ELNS1_11target_archE1200ELNS1_3gpuE4ELNS1_3repE0EEENS1_30default_config_static_selectorELNS0_4arch9wavefront6targetE0EEEvS12_,comdat
	.protected	_ZN7rocprim17ROCPRIM_400000_NS6detail17trampoline_kernelINS0_14default_configENS1_27upper_bound_config_selectorIilEEZNS1_14transform_implILb0ES3_S5_N6thrust23THRUST_200600_302600_NS6detail15normal_iteratorINS8_7pointerIiNS9_22execute_with_allocatorINS8_16device_allocatorIcEENS8_11hip_rocprim22execute_on_stream_baseEEENS8_11use_defaultESI_EEEENSA_INSB_IlSH_SI_SI_EEEEZNS1_13binary_searchIS3_S5_NSA_INS8_10device_ptrIiEEEESK_SM_NS1_21upper_bound_search_opENS9_16wrapped_functionINS8_6system6detail7generic6detail18binary_search_lessEbEEEE10hipError_tPvRmT1_T2_T3_mmT4_T5_P12ihipStream_tbEUlRKiE_EESZ_S13_S14_mS15_S18_bEUlT_E_NS1_11comp_targetILNS1_3genE10ELNS1_11target_archE1200ELNS1_3gpuE4ELNS1_3repE0EEENS1_30default_config_static_selectorELNS0_4arch9wavefront6targetE0EEEvS12_ ; -- Begin function _ZN7rocprim17ROCPRIM_400000_NS6detail17trampoline_kernelINS0_14default_configENS1_27upper_bound_config_selectorIilEEZNS1_14transform_implILb0ES3_S5_N6thrust23THRUST_200600_302600_NS6detail15normal_iteratorINS8_7pointerIiNS9_22execute_with_allocatorINS8_16device_allocatorIcEENS8_11hip_rocprim22execute_on_stream_baseEEENS8_11use_defaultESI_EEEENSA_INSB_IlSH_SI_SI_EEEEZNS1_13binary_searchIS3_S5_NSA_INS8_10device_ptrIiEEEESK_SM_NS1_21upper_bound_search_opENS9_16wrapped_functionINS8_6system6detail7generic6detail18binary_search_lessEbEEEE10hipError_tPvRmT1_T2_T3_mmT4_T5_P12ihipStream_tbEUlRKiE_EESZ_S13_S14_mS15_S18_bEUlT_E_NS1_11comp_targetILNS1_3genE10ELNS1_11target_archE1200ELNS1_3gpuE4ELNS1_3repE0EEENS1_30default_config_static_selectorELNS0_4arch9wavefront6targetE0EEEvS12_
	.globl	_ZN7rocprim17ROCPRIM_400000_NS6detail17trampoline_kernelINS0_14default_configENS1_27upper_bound_config_selectorIilEEZNS1_14transform_implILb0ES3_S5_N6thrust23THRUST_200600_302600_NS6detail15normal_iteratorINS8_7pointerIiNS9_22execute_with_allocatorINS8_16device_allocatorIcEENS8_11hip_rocprim22execute_on_stream_baseEEENS8_11use_defaultESI_EEEENSA_INSB_IlSH_SI_SI_EEEEZNS1_13binary_searchIS3_S5_NSA_INS8_10device_ptrIiEEEESK_SM_NS1_21upper_bound_search_opENS9_16wrapped_functionINS8_6system6detail7generic6detail18binary_search_lessEbEEEE10hipError_tPvRmT1_T2_T3_mmT4_T5_P12ihipStream_tbEUlRKiE_EESZ_S13_S14_mS15_S18_bEUlT_E_NS1_11comp_targetILNS1_3genE10ELNS1_11target_archE1200ELNS1_3gpuE4ELNS1_3repE0EEENS1_30default_config_static_selectorELNS0_4arch9wavefront6targetE0EEEvS12_
	.p2align	8
	.type	_ZN7rocprim17ROCPRIM_400000_NS6detail17trampoline_kernelINS0_14default_configENS1_27upper_bound_config_selectorIilEEZNS1_14transform_implILb0ES3_S5_N6thrust23THRUST_200600_302600_NS6detail15normal_iteratorINS8_7pointerIiNS9_22execute_with_allocatorINS8_16device_allocatorIcEENS8_11hip_rocprim22execute_on_stream_baseEEENS8_11use_defaultESI_EEEENSA_INSB_IlSH_SI_SI_EEEEZNS1_13binary_searchIS3_S5_NSA_INS8_10device_ptrIiEEEESK_SM_NS1_21upper_bound_search_opENS9_16wrapped_functionINS8_6system6detail7generic6detail18binary_search_lessEbEEEE10hipError_tPvRmT1_T2_T3_mmT4_T5_P12ihipStream_tbEUlRKiE_EESZ_S13_S14_mS15_S18_bEUlT_E_NS1_11comp_targetILNS1_3genE10ELNS1_11target_archE1200ELNS1_3gpuE4ELNS1_3repE0EEENS1_30default_config_static_selectorELNS0_4arch9wavefront6targetE0EEEvS12_,@function
_ZN7rocprim17ROCPRIM_400000_NS6detail17trampoline_kernelINS0_14default_configENS1_27upper_bound_config_selectorIilEEZNS1_14transform_implILb0ES3_S5_N6thrust23THRUST_200600_302600_NS6detail15normal_iteratorINS8_7pointerIiNS9_22execute_with_allocatorINS8_16device_allocatorIcEENS8_11hip_rocprim22execute_on_stream_baseEEENS8_11use_defaultESI_EEEENSA_INSB_IlSH_SI_SI_EEEEZNS1_13binary_searchIS3_S5_NSA_INS8_10device_ptrIiEEEESK_SM_NS1_21upper_bound_search_opENS9_16wrapped_functionINS8_6system6detail7generic6detail18binary_search_lessEbEEEE10hipError_tPvRmT1_T2_T3_mmT4_T5_P12ihipStream_tbEUlRKiE_EESZ_S13_S14_mS15_S18_bEUlT_E_NS1_11comp_targetILNS1_3genE10ELNS1_11target_archE1200ELNS1_3gpuE4ELNS1_3repE0EEENS1_30default_config_static_selectorELNS0_4arch9wavefront6targetE0EEEvS12_: ; @_ZN7rocprim17ROCPRIM_400000_NS6detail17trampoline_kernelINS0_14default_configENS1_27upper_bound_config_selectorIilEEZNS1_14transform_implILb0ES3_S5_N6thrust23THRUST_200600_302600_NS6detail15normal_iteratorINS8_7pointerIiNS9_22execute_with_allocatorINS8_16device_allocatorIcEENS8_11hip_rocprim22execute_on_stream_baseEEENS8_11use_defaultESI_EEEENSA_INSB_IlSH_SI_SI_EEEEZNS1_13binary_searchIS3_S5_NSA_INS8_10device_ptrIiEEEESK_SM_NS1_21upper_bound_search_opENS9_16wrapped_functionINS8_6system6detail7generic6detail18binary_search_lessEbEEEE10hipError_tPvRmT1_T2_T3_mmT4_T5_P12ihipStream_tbEUlRKiE_EESZ_S13_S14_mS15_S18_bEUlT_E_NS1_11comp_targetILNS1_3genE10ELNS1_11target_archE1200ELNS1_3gpuE4ELNS1_3repE0EEENS1_30default_config_static_selectorELNS0_4arch9wavefront6targetE0EEEvS12_
; %bb.0:
	.section	.rodata,"a",@progbits
	.p2align	6, 0x0
	.amdhsa_kernel _ZN7rocprim17ROCPRIM_400000_NS6detail17trampoline_kernelINS0_14default_configENS1_27upper_bound_config_selectorIilEEZNS1_14transform_implILb0ES3_S5_N6thrust23THRUST_200600_302600_NS6detail15normal_iteratorINS8_7pointerIiNS9_22execute_with_allocatorINS8_16device_allocatorIcEENS8_11hip_rocprim22execute_on_stream_baseEEENS8_11use_defaultESI_EEEENSA_INSB_IlSH_SI_SI_EEEEZNS1_13binary_searchIS3_S5_NSA_INS8_10device_ptrIiEEEESK_SM_NS1_21upper_bound_search_opENS9_16wrapped_functionINS8_6system6detail7generic6detail18binary_search_lessEbEEEE10hipError_tPvRmT1_T2_T3_mmT4_T5_P12ihipStream_tbEUlRKiE_EESZ_S13_S14_mS15_S18_bEUlT_E_NS1_11comp_targetILNS1_3genE10ELNS1_11target_archE1200ELNS1_3gpuE4ELNS1_3repE0EEENS1_30default_config_static_selectorELNS0_4arch9wavefront6targetE0EEEvS12_
		.amdhsa_group_segment_fixed_size 0
		.amdhsa_private_segment_fixed_size 0
		.amdhsa_kernarg_size 56
		.amdhsa_user_sgpr_count 6
		.amdhsa_user_sgpr_private_segment_buffer 1
		.amdhsa_user_sgpr_dispatch_ptr 0
		.amdhsa_user_sgpr_queue_ptr 0
		.amdhsa_user_sgpr_kernarg_segment_ptr 1
		.amdhsa_user_sgpr_dispatch_id 0
		.amdhsa_user_sgpr_flat_scratch_init 0
		.amdhsa_user_sgpr_private_segment_size 0
		.amdhsa_wavefront_size32 1
		.amdhsa_uses_dynamic_stack 0
		.amdhsa_system_sgpr_private_segment_wavefront_offset 0
		.amdhsa_system_sgpr_workgroup_id_x 1
		.amdhsa_system_sgpr_workgroup_id_y 0
		.amdhsa_system_sgpr_workgroup_id_z 0
		.amdhsa_system_sgpr_workgroup_info 0
		.amdhsa_system_vgpr_workitem_id 0
		.amdhsa_next_free_vgpr 1
		.amdhsa_next_free_sgpr 1
		.amdhsa_reserve_vcc 0
		.amdhsa_reserve_flat_scratch 0
		.amdhsa_float_round_mode_32 0
		.amdhsa_float_round_mode_16_64 0
		.amdhsa_float_denorm_mode_32 3
		.amdhsa_float_denorm_mode_16_64 3
		.amdhsa_dx10_clamp 1
		.amdhsa_ieee_mode 1
		.amdhsa_fp16_overflow 0
		.amdhsa_workgroup_processor_mode 1
		.amdhsa_memory_ordered 1
		.amdhsa_forward_progress 1
		.amdhsa_shared_vgpr_count 0
		.amdhsa_exception_fp_ieee_invalid_op 0
		.amdhsa_exception_fp_denorm_src 0
		.amdhsa_exception_fp_ieee_div_zero 0
		.amdhsa_exception_fp_ieee_overflow 0
		.amdhsa_exception_fp_ieee_underflow 0
		.amdhsa_exception_fp_ieee_inexact 0
		.amdhsa_exception_int_div_zero 0
	.end_amdhsa_kernel
	.section	.text._ZN7rocprim17ROCPRIM_400000_NS6detail17trampoline_kernelINS0_14default_configENS1_27upper_bound_config_selectorIilEEZNS1_14transform_implILb0ES3_S5_N6thrust23THRUST_200600_302600_NS6detail15normal_iteratorINS8_7pointerIiNS9_22execute_with_allocatorINS8_16device_allocatorIcEENS8_11hip_rocprim22execute_on_stream_baseEEENS8_11use_defaultESI_EEEENSA_INSB_IlSH_SI_SI_EEEEZNS1_13binary_searchIS3_S5_NSA_INS8_10device_ptrIiEEEESK_SM_NS1_21upper_bound_search_opENS9_16wrapped_functionINS8_6system6detail7generic6detail18binary_search_lessEbEEEE10hipError_tPvRmT1_T2_T3_mmT4_T5_P12ihipStream_tbEUlRKiE_EESZ_S13_S14_mS15_S18_bEUlT_E_NS1_11comp_targetILNS1_3genE10ELNS1_11target_archE1200ELNS1_3gpuE4ELNS1_3repE0EEENS1_30default_config_static_selectorELNS0_4arch9wavefront6targetE0EEEvS12_,"axG",@progbits,_ZN7rocprim17ROCPRIM_400000_NS6detail17trampoline_kernelINS0_14default_configENS1_27upper_bound_config_selectorIilEEZNS1_14transform_implILb0ES3_S5_N6thrust23THRUST_200600_302600_NS6detail15normal_iteratorINS8_7pointerIiNS9_22execute_with_allocatorINS8_16device_allocatorIcEENS8_11hip_rocprim22execute_on_stream_baseEEENS8_11use_defaultESI_EEEENSA_INSB_IlSH_SI_SI_EEEEZNS1_13binary_searchIS3_S5_NSA_INS8_10device_ptrIiEEEESK_SM_NS1_21upper_bound_search_opENS9_16wrapped_functionINS8_6system6detail7generic6detail18binary_search_lessEbEEEE10hipError_tPvRmT1_T2_T3_mmT4_T5_P12ihipStream_tbEUlRKiE_EESZ_S13_S14_mS15_S18_bEUlT_E_NS1_11comp_targetILNS1_3genE10ELNS1_11target_archE1200ELNS1_3gpuE4ELNS1_3repE0EEENS1_30default_config_static_selectorELNS0_4arch9wavefront6targetE0EEEvS12_,comdat
.Lfunc_end785:
	.size	_ZN7rocprim17ROCPRIM_400000_NS6detail17trampoline_kernelINS0_14default_configENS1_27upper_bound_config_selectorIilEEZNS1_14transform_implILb0ES3_S5_N6thrust23THRUST_200600_302600_NS6detail15normal_iteratorINS8_7pointerIiNS9_22execute_with_allocatorINS8_16device_allocatorIcEENS8_11hip_rocprim22execute_on_stream_baseEEENS8_11use_defaultESI_EEEENSA_INSB_IlSH_SI_SI_EEEEZNS1_13binary_searchIS3_S5_NSA_INS8_10device_ptrIiEEEESK_SM_NS1_21upper_bound_search_opENS9_16wrapped_functionINS8_6system6detail7generic6detail18binary_search_lessEbEEEE10hipError_tPvRmT1_T2_T3_mmT4_T5_P12ihipStream_tbEUlRKiE_EESZ_S13_S14_mS15_S18_bEUlT_E_NS1_11comp_targetILNS1_3genE10ELNS1_11target_archE1200ELNS1_3gpuE4ELNS1_3repE0EEENS1_30default_config_static_selectorELNS0_4arch9wavefront6targetE0EEEvS12_, .Lfunc_end785-_ZN7rocprim17ROCPRIM_400000_NS6detail17trampoline_kernelINS0_14default_configENS1_27upper_bound_config_selectorIilEEZNS1_14transform_implILb0ES3_S5_N6thrust23THRUST_200600_302600_NS6detail15normal_iteratorINS8_7pointerIiNS9_22execute_with_allocatorINS8_16device_allocatorIcEENS8_11hip_rocprim22execute_on_stream_baseEEENS8_11use_defaultESI_EEEENSA_INSB_IlSH_SI_SI_EEEEZNS1_13binary_searchIS3_S5_NSA_INS8_10device_ptrIiEEEESK_SM_NS1_21upper_bound_search_opENS9_16wrapped_functionINS8_6system6detail7generic6detail18binary_search_lessEbEEEE10hipError_tPvRmT1_T2_T3_mmT4_T5_P12ihipStream_tbEUlRKiE_EESZ_S13_S14_mS15_S18_bEUlT_E_NS1_11comp_targetILNS1_3genE10ELNS1_11target_archE1200ELNS1_3gpuE4ELNS1_3repE0EEENS1_30default_config_static_selectorELNS0_4arch9wavefront6targetE0EEEvS12_
                                        ; -- End function
	.set _ZN7rocprim17ROCPRIM_400000_NS6detail17trampoline_kernelINS0_14default_configENS1_27upper_bound_config_selectorIilEEZNS1_14transform_implILb0ES3_S5_N6thrust23THRUST_200600_302600_NS6detail15normal_iteratorINS8_7pointerIiNS9_22execute_with_allocatorINS8_16device_allocatorIcEENS8_11hip_rocprim22execute_on_stream_baseEEENS8_11use_defaultESI_EEEENSA_INSB_IlSH_SI_SI_EEEEZNS1_13binary_searchIS3_S5_NSA_INS8_10device_ptrIiEEEESK_SM_NS1_21upper_bound_search_opENS9_16wrapped_functionINS8_6system6detail7generic6detail18binary_search_lessEbEEEE10hipError_tPvRmT1_T2_T3_mmT4_T5_P12ihipStream_tbEUlRKiE_EESZ_S13_S14_mS15_S18_bEUlT_E_NS1_11comp_targetILNS1_3genE10ELNS1_11target_archE1200ELNS1_3gpuE4ELNS1_3repE0EEENS1_30default_config_static_selectorELNS0_4arch9wavefront6targetE0EEEvS12_.num_vgpr, 0
	.set _ZN7rocprim17ROCPRIM_400000_NS6detail17trampoline_kernelINS0_14default_configENS1_27upper_bound_config_selectorIilEEZNS1_14transform_implILb0ES3_S5_N6thrust23THRUST_200600_302600_NS6detail15normal_iteratorINS8_7pointerIiNS9_22execute_with_allocatorINS8_16device_allocatorIcEENS8_11hip_rocprim22execute_on_stream_baseEEENS8_11use_defaultESI_EEEENSA_INSB_IlSH_SI_SI_EEEEZNS1_13binary_searchIS3_S5_NSA_INS8_10device_ptrIiEEEESK_SM_NS1_21upper_bound_search_opENS9_16wrapped_functionINS8_6system6detail7generic6detail18binary_search_lessEbEEEE10hipError_tPvRmT1_T2_T3_mmT4_T5_P12ihipStream_tbEUlRKiE_EESZ_S13_S14_mS15_S18_bEUlT_E_NS1_11comp_targetILNS1_3genE10ELNS1_11target_archE1200ELNS1_3gpuE4ELNS1_3repE0EEENS1_30default_config_static_selectorELNS0_4arch9wavefront6targetE0EEEvS12_.num_agpr, 0
	.set _ZN7rocprim17ROCPRIM_400000_NS6detail17trampoline_kernelINS0_14default_configENS1_27upper_bound_config_selectorIilEEZNS1_14transform_implILb0ES3_S5_N6thrust23THRUST_200600_302600_NS6detail15normal_iteratorINS8_7pointerIiNS9_22execute_with_allocatorINS8_16device_allocatorIcEENS8_11hip_rocprim22execute_on_stream_baseEEENS8_11use_defaultESI_EEEENSA_INSB_IlSH_SI_SI_EEEEZNS1_13binary_searchIS3_S5_NSA_INS8_10device_ptrIiEEEESK_SM_NS1_21upper_bound_search_opENS9_16wrapped_functionINS8_6system6detail7generic6detail18binary_search_lessEbEEEE10hipError_tPvRmT1_T2_T3_mmT4_T5_P12ihipStream_tbEUlRKiE_EESZ_S13_S14_mS15_S18_bEUlT_E_NS1_11comp_targetILNS1_3genE10ELNS1_11target_archE1200ELNS1_3gpuE4ELNS1_3repE0EEENS1_30default_config_static_selectorELNS0_4arch9wavefront6targetE0EEEvS12_.numbered_sgpr, 0
	.set _ZN7rocprim17ROCPRIM_400000_NS6detail17trampoline_kernelINS0_14default_configENS1_27upper_bound_config_selectorIilEEZNS1_14transform_implILb0ES3_S5_N6thrust23THRUST_200600_302600_NS6detail15normal_iteratorINS8_7pointerIiNS9_22execute_with_allocatorINS8_16device_allocatorIcEENS8_11hip_rocprim22execute_on_stream_baseEEENS8_11use_defaultESI_EEEENSA_INSB_IlSH_SI_SI_EEEEZNS1_13binary_searchIS3_S5_NSA_INS8_10device_ptrIiEEEESK_SM_NS1_21upper_bound_search_opENS9_16wrapped_functionINS8_6system6detail7generic6detail18binary_search_lessEbEEEE10hipError_tPvRmT1_T2_T3_mmT4_T5_P12ihipStream_tbEUlRKiE_EESZ_S13_S14_mS15_S18_bEUlT_E_NS1_11comp_targetILNS1_3genE10ELNS1_11target_archE1200ELNS1_3gpuE4ELNS1_3repE0EEENS1_30default_config_static_selectorELNS0_4arch9wavefront6targetE0EEEvS12_.num_named_barrier, 0
	.set _ZN7rocprim17ROCPRIM_400000_NS6detail17trampoline_kernelINS0_14default_configENS1_27upper_bound_config_selectorIilEEZNS1_14transform_implILb0ES3_S5_N6thrust23THRUST_200600_302600_NS6detail15normal_iteratorINS8_7pointerIiNS9_22execute_with_allocatorINS8_16device_allocatorIcEENS8_11hip_rocprim22execute_on_stream_baseEEENS8_11use_defaultESI_EEEENSA_INSB_IlSH_SI_SI_EEEEZNS1_13binary_searchIS3_S5_NSA_INS8_10device_ptrIiEEEESK_SM_NS1_21upper_bound_search_opENS9_16wrapped_functionINS8_6system6detail7generic6detail18binary_search_lessEbEEEE10hipError_tPvRmT1_T2_T3_mmT4_T5_P12ihipStream_tbEUlRKiE_EESZ_S13_S14_mS15_S18_bEUlT_E_NS1_11comp_targetILNS1_3genE10ELNS1_11target_archE1200ELNS1_3gpuE4ELNS1_3repE0EEENS1_30default_config_static_selectorELNS0_4arch9wavefront6targetE0EEEvS12_.private_seg_size, 0
	.set _ZN7rocprim17ROCPRIM_400000_NS6detail17trampoline_kernelINS0_14default_configENS1_27upper_bound_config_selectorIilEEZNS1_14transform_implILb0ES3_S5_N6thrust23THRUST_200600_302600_NS6detail15normal_iteratorINS8_7pointerIiNS9_22execute_with_allocatorINS8_16device_allocatorIcEENS8_11hip_rocprim22execute_on_stream_baseEEENS8_11use_defaultESI_EEEENSA_INSB_IlSH_SI_SI_EEEEZNS1_13binary_searchIS3_S5_NSA_INS8_10device_ptrIiEEEESK_SM_NS1_21upper_bound_search_opENS9_16wrapped_functionINS8_6system6detail7generic6detail18binary_search_lessEbEEEE10hipError_tPvRmT1_T2_T3_mmT4_T5_P12ihipStream_tbEUlRKiE_EESZ_S13_S14_mS15_S18_bEUlT_E_NS1_11comp_targetILNS1_3genE10ELNS1_11target_archE1200ELNS1_3gpuE4ELNS1_3repE0EEENS1_30default_config_static_selectorELNS0_4arch9wavefront6targetE0EEEvS12_.uses_vcc, 0
	.set _ZN7rocprim17ROCPRIM_400000_NS6detail17trampoline_kernelINS0_14default_configENS1_27upper_bound_config_selectorIilEEZNS1_14transform_implILb0ES3_S5_N6thrust23THRUST_200600_302600_NS6detail15normal_iteratorINS8_7pointerIiNS9_22execute_with_allocatorINS8_16device_allocatorIcEENS8_11hip_rocprim22execute_on_stream_baseEEENS8_11use_defaultESI_EEEENSA_INSB_IlSH_SI_SI_EEEEZNS1_13binary_searchIS3_S5_NSA_INS8_10device_ptrIiEEEESK_SM_NS1_21upper_bound_search_opENS9_16wrapped_functionINS8_6system6detail7generic6detail18binary_search_lessEbEEEE10hipError_tPvRmT1_T2_T3_mmT4_T5_P12ihipStream_tbEUlRKiE_EESZ_S13_S14_mS15_S18_bEUlT_E_NS1_11comp_targetILNS1_3genE10ELNS1_11target_archE1200ELNS1_3gpuE4ELNS1_3repE0EEENS1_30default_config_static_selectorELNS0_4arch9wavefront6targetE0EEEvS12_.uses_flat_scratch, 0
	.set _ZN7rocprim17ROCPRIM_400000_NS6detail17trampoline_kernelINS0_14default_configENS1_27upper_bound_config_selectorIilEEZNS1_14transform_implILb0ES3_S5_N6thrust23THRUST_200600_302600_NS6detail15normal_iteratorINS8_7pointerIiNS9_22execute_with_allocatorINS8_16device_allocatorIcEENS8_11hip_rocprim22execute_on_stream_baseEEENS8_11use_defaultESI_EEEENSA_INSB_IlSH_SI_SI_EEEEZNS1_13binary_searchIS3_S5_NSA_INS8_10device_ptrIiEEEESK_SM_NS1_21upper_bound_search_opENS9_16wrapped_functionINS8_6system6detail7generic6detail18binary_search_lessEbEEEE10hipError_tPvRmT1_T2_T3_mmT4_T5_P12ihipStream_tbEUlRKiE_EESZ_S13_S14_mS15_S18_bEUlT_E_NS1_11comp_targetILNS1_3genE10ELNS1_11target_archE1200ELNS1_3gpuE4ELNS1_3repE0EEENS1_30default_config_static_selectorELNS0_4arch9wavefront6targetE0EEEvS12_.has_dyn_sized_stack, 0
	.set _ZN7rocprim17ROCPRIM_400000_NS6detail17trampoline_kernelINS0_14default_configENS1_27upper_bound_config_selectorIilEEZNS1_14transform_implILb0ES3_S5_N6thrust23THRUST_200600_302600_NS6detail15normal_iteratorINS8_7pointerIiNS9_22execute_with_allocatorINS8_16device_allocatorIcEENS8_11hip_rocprim22execute_on_stream_baseEEENS8_11use_defaultESI_EEEENSA_INSB_IlSH_SI_SI_EEEEZNS1_13binary_searchIS3_S5_NSA_INS8_10device_ptrIiEEEESK_SM_NS1_21upper_bound_search_opENS9_16wrapped_functionINS8_6system6detail7generic6detail18binary_search_lessEbEEEE10hipError_tPvRmT1_T2_T3_mmT4_T5_P12ihipStream_tbEUlRKiE_EESZ_S13_S14_mS15_S18_bEUlT_E_NS1_11comp_targetILNS1_3genE10ELNS1_11target_archE1200ELNS1_3gpuE4ELNS1_3repE0EEENS1_30default_config_static_selectorELNS0_4arch9wavefront6targetE0EEEvS12_.has_recursion, 0
	.set _ZN7rocprim17ROCPRIM_400000_NS6detail17trampoline_kernelINS0_14default_configENS1_27upper_bound_config_selectorIilEEZNS1_14transform_implILb0ES3_S5_N6thrust23THRUST_200600_302600_NS6detail15normal_iteratorINS8_7pointerIiNS9_22execute_with_allocatorINS8_16device_allocatorIcEENS8_11hip_rocprim22execute_on_stream_baseEEENS8_11use_defaultESI_EEEENSA_INSB_IlSH_SI_SI_EEEEZNS1_13binary_searchIS3_S5_NSA_INS8_10device_ptrIiEEEESK_SM_NS1_21upper_bound_search_opENS9_16wrapped_functionINS8_6system6detail7generic6detail18binary_search_lessEbEEEE10hipError_tPvRmT1_T2_T3_mmT4_T5_P12ihipStream_tbEUlRKiE_EESZ_S13_S14_mS15_S18_bEUlT_E_NS1_11comp_targetILNS1_3genE10ELNS1_11target_archE1200ELNS1_3gpuE4ELNS1_3repE0EEENS1_30default_config_static_selectorELNS0_4arch9wavefront6targetE0EEEvS12_.has_indirect_call, 0
	.section	.AMDGPU.csdata,"",@progbits
; Kernel info:
; codeLenInByte = 0
; TotalNumSgprs: 0
; NumVgprs: 0
; ScratchSize: 0
; MemoryBound: 0
; FloatMode: 240
; IeeeMode: 1
; LDSByteSize: 0 bytes/workgroup (compile time only)
; SGPRBlocks: 0
; VGPRBlocks: 0
; NumSGPRsForWavesPerEU: 1
; NumVGPRsForWavesPerEU: 1
; Occupancy: 16
; WaveLimiterHint : 0
; COMPUTE_PGM_RSRC2:SCRATCH_EN: 0
; COMPUTE_PGM_RSRC2:USER_SGPR: 6
; COMPUTE_PGM_RSRC2:TRAP_HANDLER: 0
; COMPUTE_PGM_RSRC2:TGID_X_EN: 1
; COMPUTE_PGM_RSRC2:TGID_Y_EN: 0
; COMPUTE_PGM_RSRC2:TGID_Z_EN: 0
; COMPUTE_PGM_RSRC2:TIDIG_COMP_CNT: 0
	.section	.text._ZN7rocprim17ROCPRIM_400000_NS6detail17trampoline_kernelINS0_14default_configENS1_27upper_bound_config_selectorIilEEZNS1_14transform_implILb0ES3_S5_N6thrust23THRUST_200600_302600_NS6detail15normal_iteratorINS8_7pointerIiNS9_22execute_with_allocatorINS8_16device_allocatorIcEENS8_11hip_rocprim22execute_on_stream_baseEEENS8_11use_defaultESI_EEEENSA_INSB_IlSH_SI_SI_EEEEZNS1_13binary_searchIS3_S5_NSA_INS8_10device_ptrIiEEEESK_SM_NS1_21upper_bound_search_opENS9_16wrapped_functionINS8_6system6detail7generic6detail18binary_search_lessEbEEEE10hipError_tPvRmT1_T2_T3_mmT4_T5_P12ihipStream_tbEUlRKiE_EESZ_S13_S14_mS15_S18_bEUlT_E_NS1_11comp_targetILNS1_3genE9ELNS1_11target_archE1100ELNS1_3gpuE3ELNS1_3repE0EEENS1_30default_config_static_selectorELNS0_4arch9wavefront6targetE0EEEvS12_,"axG",@progbits,_ZN7rocprim17ROCPRIM_400000_NS6detail17trampoline_kernelINS0_14default_configENS1_27upper_bound_config_selectorIilEEZNS1_14transform_implILb0ES3_S5_N6thrust23THRUST_200600_302600_NS6detail15normal_iteratorINS8_7pointerIiNS9_22execute_with_allocatorINS8_16device_allocatorIcEENS8_11hip_rocprim22execute_on_stream_baseEEENS8_11use_defaultESI_EEEENSA_INSB_IlSH_SI_SI_EEEEZNS1_13binary_searchIS3_S5_NSA_INS8_10device_ptrIiEEEESK_SM_NS1_21upper_bound_search_opENS9_16wrapped_functionINS8_6system6detail7generic6detail18binary_search_lessEbEEEE10hipError_tPvRmT1_T2_T3_mmT4_T5_P12ihipStream_tbEUlRKiE_EESZ_S13_S14_mS15_S18_bEUlT_E_NS1_11comp_targetILNS1_3genE9ELNS1_11target_archE1100ELNS1_3gpuE3ELNS1_3repE0EEENS1_30default_config_static_selectorELNS0_4arch9wavefront6targetE0EEEvS12_,comdat
	.protected	_ZN7rocprim17ROCPRIM_400000_NS6detail17trampoline_kernelINS0_14default_configENS1_27upper_bound_config_selectorIilEEZNS1_14transform_implILb0ES3_S5_N6thrust23THRUST_200600_302600_NS6detail15normal_iteratorINS8_7pointerIiNS9_22execute_with_allocatorINS8_16device_allocatorIcEENS8_11hip_rocprim22execute_on_stream_baseEEENS8_11use_defaultESI_EEEENSA_INSB_IlSH_SI_SI_EEEEZNS1_13binary_searchIS3_S5_NSA_INS8_10device_ptrIiEEEESK_SM_NS1_21upper_bound_search_opENS9_16wrapped_functionINS8_6system6detail7generic6detail18binary_search_lessEbEEEE10hipError_tPvRmT1_T2_T3_mmT4_T5_P12ihipStream_tbEUlRKiE_EESZ_S13_S14_mS15_S18_bEUlT_E_NS1_11comp_targetILNS1_3genE9ELNS1_11target_archE1100ELNS1_3gpuE3ELNS1_3repE0EEENS1_30default_config_static_selectorELNS0_4arch9wavefront6targetE0EEEvS12_ ; -- Begin function _ZN7rocprim17ROCPRIM_400000_NS6detail17trampoline_kernelINS0_14default_configENS1_27upper_bound_config_selectorIilEEZNS1_14transform_implILb0ES3_S5_N6thrust23THRUST_200600_302600_NS6detail15normal_iteratorINS8_7pointerIiNS9_22execute_with_allocatorINS8_16device_allocatorIcEENS8_11hip_rocprim22execute_on_stream_baseEEENS8_11use_defaultESI_EEEENSA_INSB_IlSH_SI_SI_EEEEZNS1_13binary_searchIS3_S5_NSA_INS8_10device_ptrIiEEEESK_SM_NS1_21upper_bound_search_opENS9_16wrapped_functionINS8_6system6detail7generic6detail18binary_search_lessEbEEEE10hipError_tPvRmT1_T2_T3_mmT4_T5_P12ihipStream_tbEUlRKiE_EESZ_S13_S14_mS15_S18_bEUlT_E_NS1_11comp_targetILNS1_3genE9ELNS1_11target_archE1100ELNS1_3gpuE3ELNS1_3repE0EEENS1_30default_config_static_selectorELNS0_4arch9wavefront6targetE0EEEvS12_
	.globl	_ZN7rocprim17ROCPRIM_400000_NS6detail17trampoline_kernelINS0_14default_configENS1_27upper_bound_config_selectorIilEEZNS1_14transform_implILb0ES3_S5_N6thrust23THRUST_200600_302600_NS6detail15normal_iteratorINS8_7pointerIiNS9_22execute_with_allocatorINS8_16device_allocatorIcEENS8_11hip_rocprim22execute_on_stream_baseEEENS8_11use_defaultESI_EEEENSA_INSB_IlSH_SI_SI_EEEEZNS1_13binary_searchIS3_S5_NSA_INS8_10device_ptrIiEEEESK_SM_NS1_21upper_bound_search_opENS9_16wrapped_functionINS8_6system6detail7generic6detail18binary_search_lessEbEEEE10hipError_tPvRmT1_T2_T3_mmT4_T5_P12ihipStream_tbEUlRKiE_EESZ_S13_S14_mS15_S18_bEUlT_E_NS1_11comp_targetILNS1_3genE9ELNS1_11target_archE1100ELNS1_3gpuE3ELNS1_3repE0EEENS1_30default_config_static_selectorELNS0_4arch9wavefront6targetE0EEEvS12_
	.p2align	8
	.type	_ZN7rocprim17ROCPRIM_400000_NS6detail17trampoline_kernelINS0_14default_configENS1_27upper_bound_config_selectorIilEEZNS1_14transform_implILb0ES3_S5_N6thrust23THRUST_200600_302600_NS6detail15normal_iteratorINS8_7pointerIiNS9_22execute_with_allocatorINS8_16device_allocatorIcEENS8_11hip_rocprim22execute_on_stream_baseEEENS8_11use_defaultESI_EEEENSA_INSB_IlSH_SI_SI_EEEEZNS1_13binary_searchIS3_S5_NSA_INS8_10device_ptrIiEEEESK_SM_NS1_21upper_bound_search_opENS9_16wrapped_functionINS8_6system6detail7generic6detail18binary_search_lessEbEEEE10hipError_tPvRmT1_T2_T3_mmT4_T5_P12ihipStream_tbEUlRKiE_EESZ_S13_S14_mS15_S18_bEUlT_E_NS1_11comp_targetILNS1_3genE9ELNS1_11target_archE1100ELNS1_3gpuE3ELNS1_3repE0EEENS1_30default_config_static_selectorELNS0_4arch9wavefront6targetE0EEEvS12_,@function
_ZN7rocprim17ROCPRIM_400000_NS6detail17trampoline_kernelINS0_14default_configENS1_27upper_bound_config_selectorIilEEZNS1_14transform_implILb0ES3_S5_N6thrust23THRUST_200600_302600_NS6detail15normal_iteratorINS8_7pointerIiNS9_22execute_with_allocatorINS8_16device_allocatorIcEENS8_11hip_rocprim22execute_on_stream_baseEEENS8_11use_defaultESI_EEEENSA_INSB_IlSH_SI_SI_EEEEZNS1_13binary_searchIS3_S5_NSA_INS8_10device_ptrIiEEEESK_SM_NS1_21upper_bound_search_opENS9_16wrapped_functionINS8_6system6detail7generic6detail18binary_search_lessEbEEEE10hipError_tPvRmT1_T2_T3_mmT4_T5_P12ihipStream_tbEUlRKiE_EESZ_S13_S14_mS15_S18_bEUlT_E_NS1_11comp_targetILNS1_3genE9ELNS1_11target_archE1100ELNS1_3gpuE3ELNS1_3repE0EEENS1_30default_config_static_selectorELNS0_4arch9wavefront6targetE0EEEvS12_: ; @_ZN7rocprim17ROCPRIM_400000_NS6detail17trampoline_kernelINS0_14default_configENS1_27upper_bound_config_selectorIilEEZNS1_14transform_implILb0ES3_S5_N6thrust23THRUST_200600_302600_NS6detail15normal_iteratorINS8_7pointerIiNS9_22execute_with_allocatorINS8_16device_allocatorIcEENS8_11hip_rocprim22execute_on_stream_baseEEENS8_11use_defaultESI_EEEENSA_INSB_IlSH_SI_SI_EEEEZNS1_13binary_searchIS3_S5_NSA_INS8_10device_ptrIiEEEESK_SM_NS1_21upper_bound_search_opENS9_16wrapped_functionINS8_6system6detail7generic6detail18binary_search_lessEbEEEE10hipError_tPvRmT1_T2_T3_mmT4_T5_P12ihipStream_tbEUlRKiE_EESZ_S13_S14_mS15_S18_bEUlT_E_NS1_11comp_targetILNS1_3genE9ELNS1_11target_archE1100ELNS1_3gpuE3ELNS1_3repE0EEENS1_30default_config_static_selectorELNS0_4arch9wavefront6targetE0EEEvS12_
; %bb.0:
	.section	.rodata,"a",@progbits
	.p2align	6, 0x0
	.amdhsa_kernel _ZN7rocprim17ROCPRIM_400000_NS6detail17trampoline_kernelINS0_14default_configENS1_27upper_bound_config_selectorIilEEZNS1_14transform_implILb0ES3_S5_N6thrust23THRUST_200600_302600_NS6detail15normal_iteratorINS8_7pointerIiNS9_22execute_with_allocatorINS8_16device_allocatorIcEENS8_11hip_rocprim22execute_on_stream_baseEEENS8_11use_defaultESI_EEEENSA_INSB_IlSH_SI_SI_EEEEZNS1_13binary_searchIS3_S5_NSA_INS8_10device_ptrIiEEEESK_SM_NS1_21upper_bound_search_opENS9_16wrapped_functionINS8_6system6detail7generic6detail18binary_search_lessEbEEEE10hipError_tPvRmT1_T2_T3_mmT4_T5_P12ihipStream_tbEUlRKiE_EESZ_S13_S14_mS15_S18_bEUlT_E_NS1_11comp_targetILNS1_3genE9ELNS1_11target_archE1100ELNS1_3gpuE3ELNS1_3repE0EEENS1_30default_config_static_selectorELNS0_4arch9wavefront6targetE0EEEvS12_
		.amdhsa_group_segment_fixed_size 0
		.amdhsa_private_segment_fixed_size 0
		.amdhsa_kernarg_size 56
		.amdhsa_user_sgpr_count 6
		.amdhsa_user_sgpr_private_segment_buffer 1
		.amdhsa_user_sgpr_dispatch_ptr 0
		.amdhsa_user_sgpr_queue_ptr 0
		.amdhsa_user_sgpr_kernarg_segment_ptr 1
		.amdhsa_user_sgpr_dispatch_id 0
		.amdhsa_user_sgpr_flat_scratch_init 0
		.amdhsa_user_sgpr_private_segment_size 0
		.amdhsa_wavefront_size32 1
		.amdhsa_uses_dynamic_stack 0
		.amdhsa_system_sgpr_private_segment_wavefront_offset 0
		.amdhsa_system_sgpr_workgroup_id_x 1
		.amdhsa_system_sgpr_workgroup_id_y 0
		.amdhsa_system_sgpr_workgroup_id_z 0
		.amdhsa_system_sgpr_workgroup_info 0
		.amdhsa_system_vgpr_workitem_id 0
		.amdhsa_next_free_vgpr 1
		.amdhsa_next_free_sgpr 1
		.amdhsa_reserve_vcc 0
		.amdhsa_reserve_flat_scratch 0
		.amdhsa_float_round_mode_32 0
		.amdhsa_float_round_mode_16_64 0
		.amdhsa_float_denorm_mode_32 3
		.amdhsa_float_denorm_mode_16_64 3
		.amdhsa_dx10_clamp 1
		.amdhsa_ieee_mode 1
		.amdhsa_fp16_overflow 0
		.amdhsa_workgroup_processor_mode 1
		.amdhsa_memory_ordered 1
		.amdhsa_forward_progress 1
		.amdhsa_shared_vgpr_count 0
		.amdhsa_exception_fp_ieee_invalid_op 0
		.amdhsa_exception_fp_denorm_src 0
		.amdhsa_exception_fp_ieee_div_zero 0
		.amdhsa_exception_fp_ieee_overflow 0
		.amdhsa_exception_fp_ieee_underflow 0
		.amdhsa_exception_fp_ieee_inexact 0
		.amdhsa_exception_int_div_zero 0
	.end_amdhsa_kernel
	.section	.text._ZN7rocprim17ROCPRIM_400000_NS6detail17trampoline_kernelINS0_14default_configENS1_27upper_bound_config_selectorIilEEZNS1_14transform_implILb0ES3_S5_N6thrust23THRUST_200600_302600_NS6detail15normal_iteratorINS8_7pointerIiNS9_22execute_with_allocatorINS8_16device_allocatorIcEENS8_11hip_rocprim22execute_on_stream_baseEEENS8_11use_defaultESI_EEEENSA_INSB_IlSH_SI_SI_EEEEZNS1_13binary_searchIS3_S5_NSA_INS8_10device_ptrIiEEEESK_SM_NS1_21upper_bound_search_opENS9_16wrapped_functionINS8_6system6detail7generic6detail18binary_search_lessEbEEEE10hipError_tPvRmT1_T2_T3_mmT4_T5_P12ihipStream_tbEUlRKiE_EESZ_S13_S14_mS15_S18_bEUlT_E_NS1_11comp_targetILNS1_3genE9ELNS1_11target_archE1100ELNS1_3gpuE3ELNS1_3repE0EEENS1_30default_config_static_selectorELNS0_4arch9wavefront6targetE0EEEvS12_,"axG",@progbits,_ZN7rocprim17ROCPRIM_400000_NS6detail17trampoline_kernelINS0_14default_configENS1_27upper_bound_config_selectorIilEEZNS1_14transform_implILb0ES3_S5_N6thrust23THRUST_200600_302600_NS6detail15normal_iteratorINS8_7pointerIiNS9_22execute_with_allocatorINS8_16device_allocatorIcEENS8_11hip_rocprim22execute_on_stream_baseEEENS8_11use_defaultESI_EEEENSA_INSB_IlSH_SI_SI_EEEEZNS1_13binary_searchIS3_S5_NSA_INS8_10device_ptrIiEEEESK_SM_NS1_21upper_bound_search_opENS9_16wrapped_functionINS8_6system6detail7generic6detail18binary_search_lessEbEEEE10hipError_tPvRmT1_T2_T3_mmT4_T5_P12ihipStream_tbEUlRKiE_EESZ_S13_S14_mS15_S18_bEUlT_E_NS1_11comp_targetILNS1_3genE9ELNS1_11target_archE1100ELNS1_3gpuE3ELNS1_3repE0EEENS1_30default_config_static_selectorELNS0_4arch9wavefront6targetE0EEEvS12_,comdat
.Lfunc_end786:
	.size	_ZN7rocprim17ROCPRIM_400000_NS6detail17trampoline_kernelINS0_14default_configENS1_27upper_bound_config_selectorIilEEZNS1_14transform_implILb0ES3_S5_N6thrust23THRUST_200600_302600_NS6detail15normal_iteratorINS8_7pointerIiNS9_22execute_with_allocatorINS8_16device_allocatorIcEENS8_11hip_rocprim22execute_on_stream_baseEEENS8_11use_defaultESI_EEEENSA_INSB_IlSH_SI_SI_EEEEZNS1_13binary_searchIS3_S5_NSA_INS8_10device_ptrIiEEEESK_SM_NS1_21upper_bound_search_opENS9_16wrapped_functionINS8_6system6detail7generic6detail18binary_search_lessEbEEEE10hipError_tPvRmT1_T2_T3_mmT4_T5_P12ihipStream_tbEUlRKiE_EESZ_S13_S14_mS15_S18_bEUlT_E_NS1_11comp_targetILNS1_3genE9ELNS1_11target_archE1100ELNS1_3gpuE3ELNS1_3repE0EEENS1_30default_config_static_selectorELNS0_4arch9wavefront6targetE0EEEvS12_, .Lfunc_end786-_ZN7rocprim17ROCPRIM_400000_NS6detail17trampoline_kernelINS0_14default_configENS1_27upper_bound_config_selectorIilEEZNS1_14transform_implILb0ES3_S5_N6thrust23THRUST_200600_302600_NS6detail15normal_iteratorINS8_7pointerIiNS9_22execute_with_allocatorINS8_16device_allocatorIcEENS8_11hip_rocprim22execute_on_stream_baseEEENS8_11use_defaultESI_EEEENSA_INSB_IlSH_SI_SI_EEEEZNS1_13binary_searchIS3_S5_NSA_INS8_10device_ptrIiEEEESK_SM_NS1_21upper_bound_search_opENS9_16wrapped_functionINS8_6system6detail7generic6detail18binary_search_lessEbEEEE10hipError_tPvRmT1_T2_T3_mmT4_T5_P12ihipStream_tbEUlRKiE_EESZ_S13_S14_mS15_S18_bEUlT_E_NS1_11comp_targetILNS1_3genE9ELNS1_11target_archE1100ELNS1_3gpuE3ELNS1_3repE0EEENS1_30default_config_static_selectorELNS0_4arch9wavefront6targetE0EEEvS12_
                                        ; -- End function
	.set _ZN7rocprim17ROCPRIM_400000_NS6detail17trampoline_kernelINS0_14default_configENS1_27upper_bound_config_selectorIilEEZNS1_14transform_implILb0ES3_S5_N6thrust23THRUST_200600_302600_NS6detail15normal_iteratorINS8_7pointerIiNS9_22execute_with_allocatorINS8_16device_allocatorIcEENS8_11hip_rocprim22execute_on_stream_baseEEENS8_11use_defaultESI_EEEENSA_INSB_IlSH_SI_SI_EEEEZNS1_13binary_searchIS3_S5_NSA_INS8_10device_ptrIiEEEESK_SM_NS1_21upper_bound_search_opENS9_16wrapped_functionINS8_6system6detail7generic6detail18binary_search_lessEbEEEE10hipError_tPvRmT1_T2_T3_mmT4_T5_P12ihipStream_tbEUlRKiE_EESZ_S13_S14_mS15_S18_bEUlT_E_NS1_11comp_targetILNS1_3genE9ELNS1_11target_archE1100ELNS1_3gpuE3ELNS1_3repE0EEENS1_30default_config_static_selectorELNS0_4arch9wavefront6targetE0EEEvS12_.num_vgpr, 0
	.set _ZN7rocprim17ROCPRIM_400000_NS6detail17trampoline_kernelINS0_14default_configENS1_27upper_bound_config_selectorIilEEZNS1_14transform_implILb0ES3_S5_N6thrust23THRUST_200600_302600_NS6detail15normal_iteratorINS8_7pointerIiNS9_22execute_with_allocatorINS8_16device_allocatorIcEENS8_11hip_rocprim22execute_on_stream_baseEEENS8_11use_defaultESI_EEEENSA_INSB_IlSH_SI_SI_EEEEZNS1_13binary_searchIS3_S5_NSA_INS8_10device_ptrIiEEEESK_SM_NS1_21upper_bound_search_opENS9_16wrapped_functionINS8_6system6detail7generic6detail18binary_search_lessEbEEEE10hipError_tPvRmT1_T2_T3_mmT4_T5_P12ihipStream_tbEUlRKiE_EESZ_S13_S14_mS15_S18_bEUlT_E_NS1_11comp_targetILNS1_3genE9ELNS1_11target_archE1100ELNS1_3gpuE3ELNS1_3repE0EEENS1_30default_config_static_selectorELNS0_4arch9wavefront6targetE0EEEvS12_.num_agpr, 0
	.set _ZN7rocprim17ROCPRIM_400000_NS6detail17trampoline_kernelINS0_14default_configENS1_27upper_bound_config_selectorIilEEZNS1_14transform_implILb0ES3_S5_N6thrust23THRUST_200600_302600_NS6detail15normal_iteratorINS8_7pointerIiNS9_22execute_with_allocatorINS8_16device_allocatorIcEENS8_11hip_rocprim22execute_on_stream_baseEEENS8_11use_defaultESI_EEEENSA_INSB_IlSH_SI_SI_EEEEZNS1_13binary_searchIS3_S5_NSA_INS8_10device_ptrIiEEEESK_SM_NS1_21upper_bound_search_opENS9_16wrapped_functionINS8_6system6detail7generic6detail18binary_search_lessEbEEEE10hipError_tPvRmT1_T2_T3_mmT4_T5_P12ihipStream_tbEUlRKiE_EESZ_S13_S14_mS15_S18_bEUlT_E_NS1_11comp_targetILNS1_3genE9ELNS1_11target_archE1100ELNS1_3gpuE3ELNS1_3repE0EEENS1_30default_config_static_selectorELNS0_4arch9wavefront6targetE0EEEvS12_.numbered_sgpr, 0
	.set _ZN7rocprim17ROCPRIM_400000_NS6detail17trampoline_kernelINS0_14default_configENS1_27upper_bound_config_selectorIilEEZNS1_14transform_implILb0ES3_S5_N6thrust23THRUST_200600_302600_NS6detail15normal_iteratorINS8_7pointerIiNS9_22execute_with_allocatorINS8_16device_allocatorIcEENS8_11hip_rocprim22execute_on_stream_baseEEENS8_11use_defaultESI_EEEENSA_INSB_IlSH_SI_SI_EEEEZNS1_13binary_searchIS3_S5_NSA_INS8_10device_ptrIiEEEESK_SM_NS1_21upper_bound_search_opENS9_16wrapped_functionINS8_6system6detail7generic6detail18binary_search_lessEbEEEE10hipError_tPvRmT1_T2_T3_mmT4_T5_P12ihipStream_tbEUlRKiE_EESZ_S13_S14_mS15_S18_bEUlT_E_NS1_11comp_targetILNS1_3genE9ELNS1_11target_archE1100ELNS1_3gpuE3ELNS1_3repE0EEENS1_30default_config_static_selectorELNS0_4arch9wavefront6targetE0EEEvS12_.num_named_barrier, 0
	.set _ZN7rocprim17ROCPRIM_400000_NS6detail17trampoline_kernelINS0_14default_configENS1_27upper_bound_config_selectorIilEEZNS1_14transform_implILb0ES3_S5_N6thrust23THRUST_200600_302600_NS6detail15normal_iteratorINS8_7pointerIiNS9_22execute_with_allocatorINS8_16device_allocatorIcEENS8_11hip_rocprim22execute_on_stream_baseEEENS8_11use_defaultESI_EEEENSA_INSB_IlSH_SI_SI_EEEEZNS1_13binary_searchIS3_S5_NSA_INS8_10device_ptrIiEEEESK_SM_NS1_21upper_bound_search_opENS9_16wrapped_functionINS8_6system6detail7generic6detail18binary_search_lessEbEEEE10hipError_tPvRmT1_T2_T3_mmT4_T5_P12ihipStream_tbEUlRKiE_EESZ_S13_S14_mS15_S18_bEUlT_E_NS1_11comp_targetILNS1_3genE9ELNS1_11target_archE1100ELNS1_3gpuE3ELNS1_3repE0EEENS1_30default_config_static_selectorELNS0_4arch9wavefront6targetE0EEEvS12_.private_seg_size, 0
	.set _ZN7rocprim17ROCPRIM_400000_NS6detail17trampoline_kernelINS0_14default_configENS1_27upper_bound_config_selectorIilEEZNS1_14transform_implILb0ES3_S5_N6thrust23THRUST_200600_302600_NS6detail15normal_iteratorINS8_7pointerIiNS9_22execute_with_allocatorINS8_16device_allocatorIcEENS8_11hip_rocprim22execute_on_stream_baseEEENS8_11use_defaultESI_EEEENSA_INSB_IlSH_SI_SI_EEEEZNS1_13binary_searchIS3_S5_NSA_INS8_10device_ptrIiEEEESK_SM_NS1_21upper_bound_search_opENS9_16wrapped_functionINS8_6system6detail7generic6detail18binary_search_lessEbEEEE10hipError_tPvRmT1_T2_T3_mmT4_T5_P12ihipStream_tbEUlRKiE_EESZ_S13_S14_mS15_S18_bEUlT_E_NS1_11comp_targetILNS1_3genE9ELNS1_11target_archE1100ELNS1_3gpuE3ELNS1_3repE0EEENS1_30default_config_static_selectorELNS0_4arch9wavefront6targetE0EEEvS12_.uses_vcc, 0
	.set _ZN7rocprim17ROCPRIM_400000_NS6detail17trampoline_kernelINS0_14default_configENS1_27upper_bound_config_selectorIilEEZNS1_14transform_implILb0ES3_S5_N6thrust23THRUST_200600_302600_NS6detail15normal_iteratorINS8_7pointerIiNS9_22execute_with_allocatorINS8_16device_allocatorIcEENS8_11hip_rocprim22execute_on_stream_baseEEENS8_11use_defaultESI_EEEENSA_INSB_IlSH_SI_SI_EEEEZNS1_13binary_searchIS3_S5_NSA_INS8_10device_ptrIiEEEESK_SM_NS1_21upper_bound_search_opENS9_16wrapped_functionINS8_6system6detail7generic6detail18binary_search_lessEbEEEE10hipError_tPvRmT1_T2_T3_mmT4_T5_P12ihipStream_tbEUlRKiE_EESZ_S13_S14_mS15_S18_bEUlT_E_NS1_11comp_targetILNS1_3genE9ELNS1_11target_archE1100ELNS1_3gpuE3ELNS1_3repE0EEENS1_30default_config_static_selectorELNS0_4arch9wavefront6targetE0EEEvS12_.uses_flat_scratch, 0
	.set _ZN7rocprim17ROCPRIM_400000_NS6detail17trampoline_kernelINS0_14default_configENS1_27upper_bound_config_selectorIilEEZNS1_14transform_implILb0ES3_S5_N6thrust23THRUST_200600_302600_NS6detail15normal_iteratorINS8_7pointerIiNS9_22execute_with_allocatorINS8_16device_allocatorIcEENS8_11hip_rocprim22execute_on_stream_baseEEENS8_11use_defaultESI_EEEENSA_INSB_IlSH_SI_SI_EEEEZNS1_13binary_searchIS3_S5_NSA_INS8_10device_ptrIiEEEESK_SM_NS1_21upper_bound_search_opENS9_16wrapped_functionINS8_6system6detail7generic6detail18binary_search_lessEbEEEE10hipError_tPvRmT1_T2_T3_mmT4_T5_P12ihipStream_tbEUlRKiE_EESZ_S13_S14_mS15_S18_bEUlT_E_NS1_11comp_targetILNS1_3genE9ELNS1_11target_archE1100ELNS1_3gpuE3ELNS1_3repE0EEENS1_30default_config_static_selectorELNS0_4arch9wavefront6targetE0EEEvS12_.has_dyn_sized_stack, 0
	.set _ZN7rocprim17ROCPRIM_400000_NS6detail17trampoline_kernelINS0_14default_configENS1_27upper_bound_config_selectorIilEEZNS1_14transform_implILb0ES3_S5_N6thrust23THRUST_200600_302600_NS6detail15normal_iteratorINS8_7pointerIiNS9_22execute_with_allocatorINS8_16device_allocatorIcEENS8_11hip_rocprim22execute_on_stream_baseEEENS8_11use_defaultESI_EEEENSA_INSB_IlSH_SI_SI_EEEEZNS1_13binary_searchIS3_S5_NSA_INS8_10device_ptrIiEEEESK_SM_NS1_21upper_bound_search_opENS9_16wrapped_functionINS8_6system6detail7generic6detail18binary_search_lessEbEEEE10hipError_tPvRmT1_T2_T3_mmT4_T5_P12ihipStream_tbEUlRKiE_EESZ_S13_S14_mS15_S18_bEUlT_E_NS1_11comp_targetILNS1_3genE9ELNS1_11target_archE1100ELNS1_3gpuE3ELNS1_3repE0EEENS1_30default_config_static_selectorELNS0_4arch9wavefront6targetE0EEEvS12_.has_recursion, 0
	.set _ZN7rocprim17ROCPRIM_400000_NS6detail17trampoline_kernelINS0_14default_configENS1_27upper_bound_config_selectorIilEEZNS1_14transform_implILb0ES3_S5_N6thrust23THRUST_200600_302600_NS6detail15normal_iteratorINS8_7pointerIiNS9_22execute_with_allocatorINS8_16device_allocatorIcEENS8_11hip_rocprim22execute_on_stream_baseEEENS8_11use_defaultESI_EEEENSA_INSB_IlSH_SI_SI_EEEEZNS1_13binary_searchIS3_S5_NSA_INS8_10device_ptrIiEEEESK_SM_NS1_21upper_bound_search_opENS9_16wrapped_functionINS8_6system6detail7generic6detail18binary_search_lessEbEEEE10hipError_tPvRmT1_T2_T3_mmT4_T5_P12ihipStream_tbEUlRKiE_EESZ_S13_S14_mS15_S18_bEUlT_E_NS1_11comp_targetILNS1_3genE9ELNS1_11target_archE1100ELNS1_3gpuE3ELNS1_3repE0EEENS1_30default_config_static_selectorELNS0_4arch9wavefront6targetE0EEEvS12_.has_indirect_call, 0
	.section	.AMDGPU.csdata,"",@progbits
; Kernel info:
; codeLenInByte = 0
; TotalNumSgprs: 0
; NumVgprs: 0
; ScratchSize: 0
; MemoryBound: 0
; FloatMode: 240
; IeeeMode: 1
; LDSByteSize: 0 bytes/workgroup (compile time only)
; SGPRBlocks: 0
; VGPRBlocks: 0
; NumSGPRsForWavesPerEU: 1
; NumVGPRsForWavesPerEU: 1
; Occupancy: 16
; WaveLimiterHint : 0
; COMPUTE_PGM_RSRC2:SCRATCH_EN: 0
; COMPUTE_PGM_RSRC2:USER_SGPR: 6
; COMPUTE_PGM_RSRC2:TRAP_HANDLER: 0
; COMPUTE_PGM_RSRC2:TGID_X_EN: 1
; COMPUTE_PGM_RSRC2:TGID_Y_EN: 0
; COMPUTE_PGM_RSRC2:TGID_Z_EN: 0
; COMPUTE_PGM_RSRC2:TIDIG_COMP_CNT: 0
	.section	.text._ZN7rocprim17ROCPRIM_400000_NS6detail17trampoline_kernelINS0_14default_configENS1_27upper_bound_config_selectorIilEEZNS1_14transform_implILb0ES3_S5_N6thrust23THRUST_200600_302600_NS6detail15normal_iteratorINS8_7pointerIiNS9_22execute_with_allocatorINS8_16device_allocatorIcEENS8_11hip_rocprim22execute_on_stream_baseEEENS8_11use_defaultESI_EEEENSA_INSB_IlSH_SI_SI_EEEEZNS1_13binary_searchIS3_S5_NSA_INS8_10device_ptrIiEEEESK_SM_NS1_21upper_bound_search_opENS9_16wrapped_functionINS8_6system6detail7generic6detail18binary_search_lessEbEEEE10hipError_tPvRmT1_T2_T3_mmT4_T5_P12ihipStream_tbEUlRKiE_EESZ_S13_S14_mS15_S18_bEUlT_E_NS1_11comp_targetILNS1_3genE8ELNS1_11target_archE1030ELNS1_3gpuE2ELNS1_3repE0EEENS1_30default_config_static_selectorELNS0_4arch9wavefront6targetE0EEEvS12_,"axG",@progbits,_ZN7rocprim17ROCPRIM_400000_NS6detail17trampoline_kernelINS0_14default_configENS1_27upper_bound_config_selectorIilEEZNS1_14transform_implILb0ES3_S5_N6thrust23THRUST_200600_302600_NS6detail15normal_iteratorINS8_7pointerIiNS9_22execute_with_allocatorINS8_16device_allocatorIcEENS8_11hip_rocprim22execute_on_stream_baseEEENS8_11use_defaultESI_EEEENSA_INSB_IlSH_SI_SI_EEEEZNS1_13binary_searchIS3_S5_NSA_INS8_10device_ptrIiEEEESK_SM_NS1_21upper_bound_search_opENS9_16wrapped_functionINS8_6system6detail7generic6detail18binary_search_lessEbEEEE10hipError_tPvRmT1_T2_T3_mmT4_T5_P12ihipStream_tbEUlRKiE_EESZ_S13_S14_mS15_S18_bEUlT_E_NS1_11comp_targetILNS1_3genE8ELNS1_11target_archE1030ELNS1_3gpuE2ELNS1_3repE0EEENS1_30default_config_static_selectorELNS0_4arch9wavefront6targetE0EEEvS12_,comdat
	.protected	_ZN7rocprim17ROCPRIM_400000_NS6detail17trampoline_kernelINS0_14default_configENS1_27upper_bound_config_selectorIilEEZNS1_14transform_implILb0ES3_S5_N6thrust23THRUST_200600_302600_NS6detail15normal_iteratorINS8_7pointerIiNS9_22execute_with_allocatorINS8_16device_allocatorIcEENS8_11hip_rocprim22execute_on_stream_baseEEENS8_11use_defaultESI_EEEENSA_INSB_IlSH_SI_SI_EEEEZNS1_13binary_searchIS3_S5_NSA_INS8_10device_ptrIiEEEESK_SM_NS1_21upper_bound_search_opENS9_16wrapped_functionINS8_6system6detail7generic6detail18binary_search_lessEbEEEE10hipError_tPvRmT1_T2_T3_mmT4_T5_P12ihipStream_tbEUlRKiE_EESZ_S13_S14_mS15_S18_bEUlT_E_NS1_11comp_targetILNS1_3genE8ELNS1_11target_archE1030ELNS1_3gpuE2ELNS1_3repE0EEENS1_30default_config_static_selectorELNS0_4arch9wavefront6targetE0EEEvS12_ ; -- Begin function _ZN7rocprim17ROCPRIM_400000_NS6detail17trampoline_kernelINS0_14default_configENS1_27upper_bound_config_selectorIilEEZNS1_14transform_implILb0ES3_S5_N6thrust23THRUST_200600_302600_NS6detail15normal_iteratorINS8_7pointerIiNS9_22execute_with_allocatorINS8_16device_allocatorIcEENS8_11hip_rocprim22execute_on_stream_baseEEENS8_11use_defaultESI_EEEENSA_INSB_IlSH_SI_SI_EEEEZNS1_13binary_searchIS3_S5_NSA_INS8_10device_ptrIiEEEESK_SM_NS1_21upper_bound_search_opENS9_16wrapped_functionINS8_6system6detail7generic6detail18binary_search_lessEbEEEE10hipError_tPvRmT1_T2_T3_mmT4_T5_P12ihipStream_tbEUlRKiE_EESZ_S13_S14_mS15_S18_bEUlT_E_NS1_11comp_targetILNS1_3genE8ELNS1_11target_archE1030ELNS1_3gpuE2ELNS1_3repE0EEENS1_30default_config_static_selectorELNS0_4arch9wavefront6targetE0EEEvS12_
	.globl	_ZN7rocprim17ROCPRIM_400000_NS6detail17trampoline_kernelINS0_14default_configENS1_27upper_bound_config_selectorIilEEZNS1_14transform_implILb0ES3_S5_N6thrust23THRUST_200600_302600_NS6detail15normal_iteratorINS8_7pointerIiNS9_22execute_with_allocatorINS8_16device_allocatorIcEENS8_11hip_rocprim22execute_on_stream_baseEEENS8_11use_defaultESI_EEEENSA_INSB_IlSH_SI_SI_EEEEZNS1_13binary_searchIS3_S5_NSA_INS8_10device_ptrIiEEEESK_SM_NS1_21upper_bound_search_opENS9_16wrapped_functionINS8_6system6detail7generic6detail18binary_search_lessEbEEEE10hipError_tPvRmT1_T2_T3_mmT4_T5_P12ihipStream_tbEUlRKiE_EESZ_S13_S14_mS15_S18_bEUlT_E_NS1_11comp_targetILNS1_3genE8ELNS1_11target_archE1030ELNS1_3gpuE2ELNS1_3repE0EEENS1_30default_config_static_selectorELNS0_4arch9wavefront6targetE0EEEvS12_
	.p2align	8
	.type	_ZN7rocprim17ROCPRIM_400000_NS6detail17trampoline_kernelINS0_14default_configENS1_27upper_bound_config_selectorIilEEZNS1_14transform_implILb0ES3_S5_N6thrust23THRUST_200600_302600_NS6detail15normal_iteratorINS8_7pointerIiNS9_22execute_with_allocatorINS8_16device_allocatorIcEENS8_11hip_rocprim22execute_on_stream_baseEEENS8_11use_defaultESI_EEEENSA_INSB_IlSH_SI_SI_EEEEZNS1_13binary_searchIS3_S5_NSA_INS8_10device_ptrIiEEEESK_SM_NS1_21upper_bound_search_opENS9_16wrapped_functionINS8_6system6detail7generic6detail18binary_search_lessEbEEEE10hipError_tPvRmT1_T2_T3_mmT4_T5_P12ihipStream_tbEUlRKiE_EESZ_S13_S14_mS15_S18_bEUlT_E_NS1_11comp_targetILNS1_3genE8ELNS1_11target_archE1030ELNS1_3gpuE2ELNS1_3repE0EEENS1_30default_config_static_selectorELNS0_4arch9wavefront6targetE0EEEvS12_,@function
_ZN7rocprim17ROCPRIM_400000_NS6detail17trampoline_kernelINS0_14default_configENS1_27upper_bound_config_selectorIilEEZNS1_14transform_implILb0ES3_S5_N6thrust23THRUST_200600_302600_NS6detail15normal_iteratorINS8_7pointerIiNS9_22execute_with_allocatorINS8_16device_allocatorIcEENS8_11hip_rocprim22execute_on_stream_baseEEENS8_11use_defaultESI_EEEENSA_INSB_IlSH_SI_SI_EEEEZNS1_13binary_searchIS3_S5_NSA_INS8_10device_ptrIiEEEESK_SM_NS1_21upper_bound_search_opENS9_16wrapped_functionINS8_6system6detail7generic6detail18binary_search_lessEbEEEE10hipError_tPvRmT1_T2_T3_mmT4_T5_P12ihipStream_tbEUlRKiE_EESZ_S13_S14_mS15_S18_bEUlT_E_NS1_11comp_targetILNS1_3genE8ELNS1_11target_archE1030ELNS1_3gpuE2ELNS1_3repE0EEENS1_30default_config_static_selectorELNS0_4arch9wavefront6targetE0EEEvS12_: ; @_ZN7rocprim17ROCPRIM_400000_NS6detail17trampoline_kernelINS0_14default_configENS1_27upper_bound_config_selectorIilEEZNS1_14transform_implILb0ES3_S5_N6thrust23THRUST_200600_302600_NS6detail15normal_iteratorINS8_7pointerIiNS9_22execute_with_allocatorINS8_16device_allocatorIcEENS8_11hip_rocprim22execute_on_stream_baseEEENS8_11use_defaultESI_EEEENSA_INSB_IlSH_SI_SI_EEEEZNS1_13binary_searchIS3_S5_NSA_INS8_10device_ptrIiEEEESK_SM_NS1_21upper_bound_search_opENS9_16wrapped_functionINS8_6system6detail7generic6detail18binary_search_lessEbEEEE10hipError_tPvRmT1_T2_T3_mmT4_T5_P12ihipStream_tbEUlRKiE_EESZ_S13_S14_mS15_S18_bEUlT_E_NS1_11comp_targetILNS1_3genE8ELNS1_11target_archE1030ELNS1_3gpuE2ELNS1_3repE0EEENS1_30default_config_static_selectorELNS0_4arch9wavefront6targetE0EEEvS12_
; %bb.0:
	s_clause 0x3
	s_load_dwordx4 s[12:15], s[4:5], 0x0
	s_load_dwordx4 s[0:3], s[4:5], 0x18
	s_load_dword s16, s[4:5], 0x38
	s_load_dwordx2 s[10:11], s[4:5], 0x28
	s_waitcnt lgkmcnt(0)
	s_lshl_b64 s[8:9], s[14:15], 2
	s_add_u32 s12, s12, s8
	s_addc_u32 s13, s13, s9
	s_lshl_b64 s[8:9], s[14:15], 3
	s_add_u32 s7, s0, s8
	s_addc_u32 s1, s1, s9
	s_add_i32 s16, s16, -1
	s_lshl_b32 s8, s6, 8
	s_mov_b32 s9, 0
	s_cmp_lg_u32 s6, s16
	s_mov_b32 s0, -1
	s_cbranch_scc0 .LBB787_7
; %bb.1:
	s_cmp_eq_u64 s[10:11], 0
	s_cbranch_scc1 .LBB787_5
; %bb.2:
	v_lshlrev_b32_e32 v1, 2, v0
	s_lshl_b64 s[14:15], s[8:9], 2
	v_mov_b32_e32 v3, s10
	s_add_u32 s0, s12, s14
	s_addc_u32 s6, s13, s15
	v_add_co_u32 v1, s0, s0, v1
	v_add_co_ci_u32_e64 v2, null, s6, 0, s0
	v_mov_b32_e32 v4, s11
	s_mov_b32 s0, 0
	flat_load_dword v5, v[1:2]
	v_mov_b32_e32 v1, 0
	v_mov_b32_e32 v2, 0
	s_inst_prefetch 0x1
	.p2align	6
.LBB787_3:                              ; =>This Inner Loop Header: Depth=1
	v_sub_co_u32 v6, vcc_lo, v3, v1
	v_sub_co_ci_u32_e64 v7, null, v4, v2, vcc_lo
	v_lshrrev_b64 v[8:9], 1, v[6:7]
	v_lshrrev_b64 v[6:7], 6, v[6:7]
	v_add_co_u32 v8, vcc_lo, v8, v1
	v_add_co_ci_u32_e64 v9, null, v9, v2, vcc_lo
	v_add_co_u32 v6, vcc_lo, v8, v6
	v_add_co_ci_u32_e64 v7, null, v9, v7, vcc_lo
	v_lshlrev_b64 v[8:9], 2, v[6:7]
	v_add_co_u32 v8, vcc_lo, s2, v8
	v_add_co_ci_u32_e64 v9, null, s3, v9, vcc_lo
	global_load_dword v8, v[8:9], off
	v_add_co_u32 v9, vcc_lo, v6, 1
	v_add_co_ci_u32_e64 v10, null, 0, v7, vcc_lo
	s_waitcnt vmcnt(0) lgkmcnt(0)
	v_cmp_lt_i32_e32 vcc_lo, v5, v8
	v_cndmask_b32_e32 v4, v4, v7, vcc_lo
	v_cndmask_b32_e32 v3, v3, v6, vcc_lo
	;; [unrolled: 1-line block ×4, first 2 shown]
	v_cmp_ge_u64_e32 vcc_lo, v[1:2], v[3:4]
	s_or_b32 s0, vcc_lo, s0
	s_andn2_b32 exec_lo, exec_lo, s0
	s_cbranch_execnz .LBB787_3
; %bb.4:
	s_inst_prefetch 0x2
	s_or_b32 exec_lo, exec_lo, s0
	s_branch .LBB787_6
.LBB787_5:
	v_mov_b32_e32 v1, 0
	v_mov_b32_e32 v2, 0
.LBB787_6:
	v_lshlrev_b32_e32 v3, 3, v0
	s_lshl_b64 s[14:15], s[8:9], 3
	s_add_u32 s0, s7, s14
	s_addc_u32 s6, s1, s15
	v_add_co_u32 v3, s0, s0, v3
	v_add_co_ci_u32_e64 v4, null, s6, 0, s0
	s_mov_b32 s0, 0
	flat_store_dwordx2 v[3:4], v[1:2]
.LBB787_7:
	s_and_b32 vcc_lo, exec_lo, s0
	s_cbranch_vccz .LBB787_16
; %bb.8:
	s_load_dword s0, s[4:5], 0x10
                                        ; implicit-def: $vgpr5
	s_waitcnt lgkmcnt(0)
	s_sub_i32 s4, s0, s8
	v_cmp_le_u32_e64 s0, s4, v0
	v_cmp_gt_u32_e32 vcc_lo, s4, v0
	s_and_saveexec_b32 s4, vcc_lo
	s_cbranch_execz .LBB787_10
; %bb.9:
	v_lshlrev_b32_e32 v1, 2, v0
	s_lshl_b64 s[14:15], s[8:9], 2
	s_add_u32 s5, s12, s14
	s_addc_u32 s6, s13, s15
	v_add_co_u32 v1, s5, s5, v1
	v_add_co_ci_u32_e64 v2, null, s6, 0, s5
	flat_load_dword v5, v[1:2]
.LBB787_10:
	s_or_b32 exec_lo, exec_lo, s4
	s_cmp_lg_u64 s[10:11], 0
	v_mov_b32_e32 v1, 0
	v_mov_b32_e32 v2, 0
	s_cselect_b32 s4, -1, 0
	s_xor_b32 s0, s0, -1
	s_and_b32 s0, s0, s4
	s_and_saveexec_b32 s4, s0
	s_cbranch_execz .LBB787_14
; %bb.11:
	v_mov_b32_e32 v1, 0
	v_mov_b32_e32 v3, s10
	;; [unrolled: 1-line block ×4, first 2 shown]
	s_mov_b32 s5, 0
	s_inst_prefetch 0x1
	.p2align	6
.LBB787_12:                             ; =>This Inner Loop Header: Depth=1
	v_sub_co_u32 v6, s0, v3, v1
	v_sub_co_ci_u32_e64 v7, null, v4, v2, s0
	v_lshrrev_b64 v[8:9], 1, v[6:7]
	v_lshrrev_b64 v[6:7], 6, v[6:7]
	v_add_co_u32 v8, s0, v8, v1
	v_add_co_ci_u32_e64 v9, null, v9, v2, s0
	v_add_co_u32 v6, s0, v8, v6
	v_add_co_ci_u32_e64 v7, null, v9, v7, s0
	v_lshlrev_b64 v[8:9], 2, v[6:7]
	v_add_co_u32 v8, s0, s2, v8
	v_add_co_ci_u32_e64 v9, null, s3, v9, s0
	global_load_dword v8, v[8:9], off
	v_add_co_u32 v9, s0, v6, 1
	v_add_co_ci_u32_e64 v10, null, 0, v7, s0
	s_waitcnt vmcnt(0) lgkmcnt(0)
	v_cmp_lt_i32_e64 s0, v5, v8
	v_cndmask_b32_e64 v4, v4, v7, s0
	v_cndmask_b32_e64 v3, v3, v6, s0
	;; [unrolled: 1-line block ×4, first 2 shown]
	v_cmp_ge_u64_e64 s0, v[1:2], v[3:4]
	s_or_b32 s5, s0, s5
	s_andn2_b32 exec_lo, exec_lo, s5
	s_cbranch_execnz .LBB787_12
; %bb.13:
	s_inst_prefetch 0x2
	s_or_b32 exec_lo, exec_lo, s5
.LBB787_14:
	s_or_b32 exec_lo, exec_lo, s4
	s_and_saveexec_b32 s0, vcc_lo
	s_cbranch_execz .LBB787_16
; %bb.15:
	v_lshlrev_b32_e32 v0, 3, v0
	s_lshl_b64 s[2:3], s[8:9], 3
	s_add_u32 s0, s7, s2
	s_addc_u32 s1, s1, s3
	v_add_co_u32 v3, s0, s0, v0
	v_add_co_ci_u32_e64 v4, null, s1, 0, s0
	flat_store_dwordx2 v[3:4], v[1:2]
.LBB787_16:
	s_endpgm
	.section	.rodata,"a",@progbits
	.p2align	6, 0x0
	.amdhsa_kernel _ZN7rocprim17ROCPRIM_400000_NS6detail17trampoline_kernelINS0_14default_configENS1_27upper_bound_config_selectorIilEEZNS1_14transform_implILb0ES3_S5_N6thrust23THRUST_200600_302600_NS6detail15normal_iteratorINS8_7pointerIiNS9_22execute_with_allocatorINS8_16device_allocatorIcEENS8_11hip_rocprim22execute_on_stream_baseEEENS8_11use_defaultESI_EEEENSA_INSB_IlSH_SI_SI_EEEEZNS1_13binary_searchIS3_S5_NSA_INS8_10device_ptrIiEEEESK_SM_NS1_21upper_bound_search_opENS9_16wrapped_functionINS8_6system6detail7generic6detail18binary_search_lessEbEEEE10hipError_tPvRmT1_T2_T3_mmT4_T5_P12ihipStream_tbEUlRKiE_EESZ_S13_S14_mS15_S18_bEUlT_E_NS1_11comp_targetILNS1_3genE8ELNS1_11target_archE1030ELNS1_3gpuE2ELNS1_3repE0EEENS1_30default_config_static_selectorELNS0_4arch9wavefront6targetE0EEEvS12_
		.amdhsa_group_segment_fixed_size 0
		.amdhsa_private_segment_fixed_size 0
		.amdhsa_kernarg_size 312
		.amdhsa_user_sgpr_count 6
		.amdhsa_user_sgpr_private_segment_buffer 1
		.amdhsa_user_sgpr_dispatch_ptr 0
		.amdhsa_user_sgpr_queue_ptr 0
		.amdhsa_user_sgpr_kernarg_segment_ptr 1
		.amdhsa_user_sgpr_dispatch_id 0
		.amdhsa_user_sgpr_flat_scratch_init 0
		.amdhsa_user_sgpr_private_segment_size 0
		.amdhsa_wavefront_size32 1
		.amdhsa_uses_dynamic_stack 0
		.amdhsa_system_sgpr_private_segment_wavefront_offset 0
		.amdhsa_system_sgpr_workgroup_id_x 1
		.amdhsa_system_sgpr_workgroup_id_y 0
		.amdhsa_system_sgpr_workgroup_id_z 0
		.amdhsa_system_sgpr_workgroup_info 0
		.amdhsa_system_vgpr_workitem_id 0
		.amdhsa_next_free_vgpr 11
		.amdhsa_next_free_sgpr 17
		.amdhsa_reserve_vcc 1
		.amdhsa_reserve_flat_scratch 0
		.amdhsa_float_round_mode_32 0
		.amdhsa_float_round_mode_16_64 0
		.amdhsa_float_denorm_mode_32 3
		.amdhsa_float_denorm_mode_16_64 3
		.amdhsa_dx10_clamp 1
		.amdhsa_ieee_mode 1
		.amdhsa_fp16_overflow 0
		.amdhsa_workgroup_processor_mode 1
		.amdhsa_memory_ordered 1
		.amdhsa_forward_progress 1
		.amdhsa_shared_vgpr_count 0
		.amdhsa_exception_fp_ieee_invalid_op 0
		.amdhsa_exception_fp_denorm_src 0
		.amdhsa_exception_fp_ieee_div_zero 0
		.amdhsa_exception_fp_ieee_overflow 0
		.amdhsa_exception_fp_ieee_underflow 0
		.amdhsa_exception_fp_ieee_inexact 0
		.amdhsa_exception_int_div_zero 0
	.end_amdhsa_kernel
	.section	.text._ZN7rocprim17ROCPRIM_400000_NS6detail17trampoline_kernelINS0_14default_configENS1_27upper_bound_config_selectorIilEEZNS1_14transform_implILb0ES3_S5_N6thrust23THRUST_200600_302600_NS6detail15normal_iteratorINS8_7pointerIiNS9_22execute_with_allocatorINS8_16device_allocatorIcEENS8_11hip_rocprim22execute_on_stream_baseEEENS8_11use_defaultESI_EEEENSA_INSB_IlSH_SI_SI_EEEEZNS1_13binary_searchIS3_S5_NSA_INS8_10device_ptrIiEEEESK_SM_NS1_21upper_bound_search_opENS9_16wrapped_functionINS8_6system6detail7generic6detail18binary_search_lessEbEEEE10hipError_tPvRmT1_T2_T3_mmT4_T5_P12ihipStream_tbEUlRKiE_EESZ_S13_S14_mS15_S18_bEUlT_E_NS1_11comp_targetILNS1_3genE8ELNS1_11target_archE1030ELNS1_3gpuE2ELNS1_3repE0EEENS1_30default_config_static_selectorELNS0_4arch9wavefront6targetE0EEEvS12_,"axG",@progbits,_ZN7rocprim17ROCPRIM_400000_NS6detail17trampoline_kernelINS0_14default_configENS1_27upper_bound_config_selectorIilEEZNS1_14transform_implILb0ES3_S5_N6thrust23THRUST_200600_302600_NS6detail15normal_iteratorINS8_7pointerIiNS9_22execute_with_allocatorINS8_16device_allocatorIcEENS8_11hip_rocprim22execute_on_stream_baseEEENS8_11use_defaultESI_EEEENSA_INSB_IlSH_SI_SI_EEEEZNS1_13binary_searchIS3_S5_NSA_INS8_10device_ptrIiEEEESK_SM_NS1_21upper_bound_search_opENS9_16wrapped_functionINS8_6system6detail7generic6detail18binary_search_lessEbEEEE10hipError_tPvRmT1_T2_T3_mmT4_T5_P12ihipStream_tbEUlRKiE_EESZ_S13_S14_mS15_S18_bEUlT_E_NS1_11comp_targetILNS1_3genE8ELNS1_11target_archE1030ELNS1_3gpuE2ELNS1_3repE0EEENS1_30default_config_static_selectorELNS0_4arch9wavefront6targetE0EEEvS12_,comdat
.Lfunc_end787:
	.size	_ZN7rocprim17ROCPRIM_400000_NS6detail17trampoline_kernelINS0_14default_configENS1_27upper_bound_config_selectorIilEEZNS1_14transform_implILb0ES3_S5_N6thrust23THRUST_200600_302600_NS6detail15normal_iteratorINS8_7pointerIiNS9_22execute_with_allocatorINS8_16device_allocatorIcEENS8_11hip_rocprim22execute_on_stream_baseEEENS8_11use_defaultESI_EEEENSA_INSB_IlSH_SI_SI_EEEEZNS1_13binary_searchIS3_S5_NSA_INS8_10device_ptrIiEEEESK_SM_NS1_21upper_bound_search_opENS9_16wrapped_functionINS8_6system6detail7generic6detail18binary_search_lessEbEEEE10hipError_tPvRmT1_T2_T3_mmT4_T5_P12ihipStream_tbEUlRKiE_EESZ_S13_S14_mS15_S18_bEUlT_E_NS1_11comp_targetILNS1_3genE8ELNS1_11target_archE1030ELNS1_3gpuE2ELNS1_3repE0EEENS1_30default_config_static_selectorELNS0_4arch9wavefront6targetE0EEEvS12_, .Lfunc_end787-_ZN7rocprim17ROCPRIM_400000_NS6detail17trampoline_kernelINS0_14default_configENS1_27upper_bound_config_selectorIilEEZNS1_14transform_implILb0ES3_S5_N6thrust23THRUST_200600_302600_NS6detail15normal_iteratorINS8_7pointerIiNS9_22execute_with_allocatorINS8_16device_allocatorIcEENS8_11hip_rocprim22execute_on_stream_baseEEENS8_11use_defaultESI_EEEENSA_INSB_IlSH_SI_SI_EEEEZNS1_13binary_searchIS3_S5_NSA_INS8_10device_ptrIiEEEESK_SM_NS1_21upper_bound_search_opENS9_16wrapped_functionINS8_6system6detail7generic6detail18binary_search_lessEbEEEE10hipError_tPvRmT1_T2_T3_mmT4_T5_P12ihipStream_tbEUlRKiE_EESZ_S13_S14_mS15_S18_bEUlT_E_NS1_11comp_targetILNS1_3genE8ELNS1_11target_archE1030ELNS1_3gpuE2ELNS1_3repE0EEENS1_30default_config_static_selectorELNS0_4arch9wavefront6targetE0EEEvS12_
                                        ; -- End function
	.set _ZN7rocprim17ROCPRIM_400000_NS6detail17trampoline_kernelINS0_14default_configENS1_27upper_bound_config_selectorIilEEZNS1_14transform_implILb0ES3_S5_N6thrust23THRUST_200600_302600_NS6detail15normal_iteratorINS8_7pointerIiNS9_22execute_with_allocatorINS8_16device_allocatorIcEENS8_11hip_rocprim22execute_on_stream_baseEEENS8_11use_defaultESI_EEEENSA_INSB_IlSH_SI_SI_EEEEZNS1_13binary_searchIS3_S5_NSA_INS8_10device_ptrIiEEEESK_SM_NS1_21upper_bound_search_opENS9_16wrapped_functionINS8_6system6detail7generic6detail18binary_search_lessEbEEEE10hipError_tPvRmT1_T2_T3_mmT4_T5_P12ihipStream_tbEUlRKiE_EESZ_S13_S14_mS15_S18_bEUlT_E_NS1_11comp_targetILNS1_3genE8ELNS1_11target_archE1030ELNS1_3gpuE2ELNS1_3repE0EEENS1_30default_config_static_selectorELNS0_4arch9wavefront6targetE0EEEvS12_.num_vgpr, 11
	.set _ZN7rocprim17ROCPRIM_400000_NS6detail17trampoline_kernelINS0_14default_configENS1_27upper_bound_config_selectorIilEEZNS1_14transform_implILb0ES3_S5_N6thrust23THRUST_200600_302600_NS6detail15normal_iteratorINS8_7pointerIiNS9_22execute_with_allocatorINS8_16device_allocatorIcEENS8_11hip_rocprim22execute_on_stream_baseEEENS8_11use_defaultESI_EEEENSA_INSB_IlSH_SI_SI_EEEEZNS1_13binary_searchIS3_S5_NSA_INS8_10device_ptrIiEEEESK_SM_NS1_21upper_bound_search_opENS9_16wrapped_functionINS8_6system6detail7generic6detail18binary_search_lessEbEEEE10hipError_tPvRmT1_T2_T3_mmT4_T5_P12ihipStream_tbEUlRKiE_EESZ_S13_S14_mS15_S18_bEUlT_E_NS1_11comp_targetILNS1_3genE8ELNS1_11target_archE1030ELNS1_3gpuE2ELNS1_3repE0EEENS1_30default_config_static_selectorELNS0_4arch9wavefront6targetE0EEEvS12_.num_agpr, 0
	.set _ZN7rocprim17ROCPRIM_400000_NS6detail17trampoline_kernelINS0_14default_configENS1_27upper_bound_config_selectorIilEEZNS1_14transform_implILb0ES3_S5_N6thrust23THRUST_200600_302600_NS6detail15normal_iteratorINS8_7pointerIiNS9_22execute_with_allocatorINS8_16device_allocatorIcEENS8_11hip_rocprim22execute_on_stream_baseEEENS8_11use_defaultESI_EEEENSA_INSB_IlSH_SI_SI_EEEEZNS1_13binary_searchIS3_S5_NSA_INS8_10device_ptrIiEEEESK_SM_NS1_21upper_bound_search_opENS9_16wrapped_functionINS8_6system6detail7generic6detail18binary_search_lessEbEEEE10hipError_tPvRmT1_T2_T3_mmT4_T5_P12ihipStream_tbEUlRKiE_EESZ_S13_S14_mS15_S18_bEUlT_E_NS1_11comp_targetILNS1_3genE8ELNS1_11target_archE1030ELNS1_3gpuE2ELNS1_3repE0EEENS1_30default_config_static_selectorELNS0_4arch9wavefront6targetE0EEEvS12_.numbered_sgpr, 17
	.set _ZN7rocprim17ROCPRIM_400000_NS6detail17trampoline_kernelINS0_14default_configENS1_27upper_bound_config_selectorIilEEZNS1_14transform_implILb0ES3_S5_N6thrust23THRUST_200600_302600_NS6detail15normal_iteratorINS8_7pointerIiNS9_22execute_with_allocatorINS8_16device_allocatorIcEENS8_11hip_rocprim22execute_on_stream_baseEEENS8_11use_defaultESI_EEEENSA_INSB_IlSH_SI_SI_EEEEZNS1_13binary_searchIS3_S5_NSA_INS8_10device_ptrIiEEEESK_SM_NS1_21upper_bound_search_opENS9_16wrapped_functionINS8_6system6detail7generic6detail18binary_search_lessEbEEEE10hipError_tPvRmT1_T2_T3_mmT4_T5_P12ihipStream_tbEUlRKiE_EESZ_S13_S14_mS15_S18_bEUlT_E_NS1_11comp_targetILNS1_3genE8ELNS1_11target_archE1030ELNS1_3gpuE2ELNS1_3repE0EEENS1_30default_config_static_selectorELNS0_4arch9wavefront6targetE0EEEvS12_.num_named_barrier, 0
	.set _ZN7rocprim17ROCPRIM_400000_NS6detail17trampoline_kernelINS0_14default_configENS1_27upper_bound_config_selectorIilEEZNS1_14transform_implILb0ES3_S5_N6thrust23THRUST_200600_302600_NS6detail15normal_iteratorINS8_7pointerIiNS9_22execute_with_allocatorINS8_16device_allocatorIcEENS8_11hip_rocprim22execute_on_stream_baseEEENS8_11use_defaultESI_EEEENSA_INSB_IlSH_SI_SI_EEEEZNS1_13binary_searchIS3_S5_NSA_INS8_10device_ptrIiEEEESK_SM_NS1_21upper_bound_search_opENS9_16wrapped_functionINS8_6system6detail7generic6detail18binary_search_lessEbEEEE10hipError_tPvRmT1_T2_T3_mmT4_T5_P12ihipStream_tbEUlRKiE_EESZ_S13_S14_mS15_S18_bEUlT_E_NS1_11comp_targetILNS1_3genE8ELNS1_11target_archE1030ELNS1_3gpuE2ELNS1_3repE0EEENS1_30default_config_static_selectorELNS0_4arch9wavefront6targetE0EEEvS12_.private_seg_size, 0
	.set _ZN7rocprim17ROCPRIM_400000_NS6detail17trampoline_kernelINS0_14default_configENS1_27upper_bound_config_selectorIilEEZNS1_14transform_implILb0ES3_S5_N6thrust23THRUST_200600_302600_NS6detail15normal_iteratorINS8_7pointerIiNS9_22execute_with_allocatorINS8_16device_allocatorIcEENS8_11hip_rocprim22execute_on_stream_baseEEENS8_11use_defaultESI_EEEENSA_INSB_IlSH_SI_SI_EEEEZNS1_13binary_searchIS3_S5_NSA_INS8_10device_ptrIiEEEESK_SM_NS1_21upper_bound_search_opENS9_16wrapped_functionINS8_6system6detail7generic6detail18binary_search_lessEbEEEE10hipError_tPvRmT1_T2_T3_mmT4_T5_P12ihipStream_tbEUlRKiE_EESZ_S13_S14_mS15_S18_bEUlT_E_NS1_11comp_targetILNS1_3genE8ELNS1_11target_archE1030ELNS1_3gpuE2ELNS1_3repE0EEENS1_30default_config_static_selectorELNS0_4arch9wavefront6targetE0EEEvS12_.uses_vcc, 1
	.set _ZN7rocprim17ROCPRIM_400000_NS6detail17trampoline_kernelINS0_14default_configENS1_27upper_bound_config_selectorIilEEZNS1_14transform_implILb0ES3_S5_N6thrust23THRUST_200600_302600_NS6detail15normal_iteratorINS8_7pointerIiNS9_22execute_with_allocatorINS8_16device_allocatorIcEENS8_11hip_rocprim22execute_on_stream_baseEEENS8_11use_defaultESI_EEEENSA_INSB_IlSH_SI_SI_EEEEZNS1_13binary_searchIS3_S5_NSA_INS8_10device_ptrIiEEEESK_SM_NS1_21upper_bound_search_opENS9_16wrapped_functionINS8_6system6detail7generic6detail18binary_search_lessEbEEEE10hipError_tPvRmT1_T2_T3_mmT4_T5_P12ihipStream_tbEUlRKiE_EESZ_S13_S14_mS15_S18_bEUlT_E_NS1_11comp_targetILNS1_3genE8ELNS1_11target_archE1030ELNS1_3gpuE2ELNS1_3repE0EEENS1_30default_config_static_selectorELNS0_4arch9wavefront6targetE0EEEvS12_.uses_flat_scratch, 0
	.set _ZN7rocprim17ROCPRIM_400000_NS6detail17trampoline_kernelINS0_14default_configENS1_27upper_bound_config_selectorIilEEZNS1_14transform_implILb0ES3_S5_N6thrust23THRUST_200600_302600_NS6detail15normal_iteratorINS8_7pointerIiNS9_22execute_with_allocatorINS8_16device_allocatorIcEENS8_11hip_rocprim22execute_on_stream_baseEEENS8_11use_defaultESI_EEEENSA_INSB_IlSH_SI_SI_EEEEZNS1_13binary_searchIS3_S5_NSA_INS8_10device_ptrIiEEEESK_SM_NS1_21upper_bound_search_opENS9_16wrapped_functionINS8_6system6detail7generic6detail18binary_search_lessEbEEEE10hipError_tPvRmT1_T2_T3_mmT4_T5_P12ihipStream_tbEUlRKiE_EESZ_S13_S14_mS15_S18_bEUlT_E_NS1_11comp_targetILNS1_3genE8ELNS1_11target_archE1030ELNS1_3gpuE2ELNS1_3repE0EEENS1_30default_config_static_selectorELNS0_4arch9wavefront6targetE0EEEvS12_.has_dyn_sized_stack, 0
	.set _ZN7rocprim17ROCPRIM_400000_NS6detail17trampoline_kernelINS0_14default_configENS1_27upper_bound_config_selectorIilEEZNS1_14transform_implILb0ES3_S5_N6thrust23THRUST_200600_302600_NS6detail15normal_iteratorINS8_7pointerIiNS9_22execute_with_allocatorINS8_16device_allocatorIcEENS8_11hip_rocprim22execute_on_stream_baseEEENS8_11use_defaultESI_EEEENSA_INSB_IlSH_SI_SI_EEEEZNS1_13binary_searchIS3_S5_NSA_INS8_10device_ptrIiEEEESK_SM_NS1_21upper_bound_search_opENS9_16wrapped_functionINS8_6system6detail7generic6detail18binary_search_lessEbEEEE10hipError_tPvRmT1_T2_T3_mmT4_T5_P12ihipStream_tbEUlRKiE_EESZ_S13_S14_mS15_S18_bEUlT_E_NS1_11comp_targetILNS1_3genE8ELNS1_11target_archE1030ELNS1_3gpuE2ELNS1_3repE0EEENS1_30default_config_static_selectorELNS0_4arch9wavefront6targetE0EEEvS12_.has_recursion, 0
	.set _ZN7rocprim17ROCPRIM_400000_NS6detail17trampoline_kernelINS0_14default_configENS1_27upper_bound_config_selectorIilEEZNS1_14transform_implILb0ES3_S5_N6thrust23THRUST_200600_302600_NS6detail15normal_iteratorINS8_7pointerIiNS9_22execute_with_allocatorINS8_16device_allocatorIcEENS8_11hip_rocprim22execute_on_stream_baseEEENS8_11use_defaultESI_EEEENSA_INSB_IlSH_SI_SI_EEEEZNS1_13binary_searchIS3_S5_NSA_INS8_10device_ptrIiEEEESK_SM_NS1_21upper_bound_search_opENS9_16wrapped_functionINS8_6system6detail7generic6detail18binary_search_lessEbEEEE10hipError_tPvRmT1_T2_T3_mmT4_T5_P12ihipStream_tbEUlRKiE_EESZ_S13_S14_mS15_S18_bEUlT_E_NS1_11comp_targetILNS1_3genE8ELNS1_11target_archE1030ELNS1_3gpuE2ELNS1_3repE0EEENS1_30default_config_static_selectorELNS0_4arch9wavefront6targetE0EEEvS12_.has_indirect_call, 0
	.section	.AMDGPU.csdata,"",@progbits
; Kernel info:
; codeLenInByte = 816
; TotalNumSgprs: 19
; NumVgprs: 11
; ScratchSize: 0
; MemoryBound: 0
; FloatMode: 240
; IeeeMode: 1
; LDSByteSize: 0 bytes/workgroup (compile time only)
; SGPRBlocks: 0
; VGPRBlocks: 1
; NumSGPRsForWavesPerEU: 19
; NumVGPRsForWavesPerEU: 11
; Occupancy: 16
; WaveLimiterHint : 0
; COMPUTE_PGM_RSRC2:SCRATCH_EN: 0
; COMPUTE_PGM_RSRC2:USER_SGPR: 6
; COMPUTE_PGM_RSRC2:TRAP_HANDLER: 0
; COMPUTE_PGM_RSRC2:TGID_X_EN: 1
; COMPUTE_PGM_RSRC2:TGID_Y_EN: 0
; COMPUTE_PGM_RSRC2:TGID_Z_EN: 0
; COMPUTE_PGM_RSRC2:TIDIG_COMP_CNT: 0
	.section	.text._ZN7rocprim17ROCPRIM_400000_NS6detail17trampoline_kernelINS0_14default_configENS1_29binary_search_config_selectorIiiEEZNS1_14transform_implILb0ES3_S5_N6thrust23THRUST_200600_302600_NS6detail15normal_iteratorINS8_7pointerIiNS8_11hip_rocprim5par_tENS8_11use_defaultESE_EEEESG_ZNS1_13binary_searchIS3_S5_NS8_10device_ptrIiEESG_SG_NS1_16binary_search_opENS9_16wrapped_functionINS8_6system6detail7generic6detail18binary_search_lessEbEEEE10hipError_tPvRmT1_T2_T3_mmT4_T5_P12ihipStream_tbEUlRKiE_EESS_SW_SX_mSY_S11_bEUlT_E_NS1_11comp_targetILNS1_3genE0ELNS1_11target_archE4294967295ELNS1_3gpuE0ELNS1_3repE0EEENS1_30default_config_static_selectorELNS0_4arch9wavefront6targetE0EEEvSV_,"axG",@progbits,_ZN7rocprim17ROCPRIM_400000_NS6detail17trampoline_kernelINS0_14default_configENS1_29binary_search_config_selectorIiiEEZNS1_14transform_implILb0ES3_S5_N6thrust23THRUST_200600_302600_NS6detail15normal_iteratorINS8_7pointerIiNS8_11hip_rocprim5par_tENS8_11use_defaultESE_EEEESG_ZNS1_13binary_searchIS3_S5_NS8_10device_ptrIiEESG_SG_NS1_16binary_search_opENS9_16wrapped_functionINS8_6system6detail7generic6detail18binary_search_lessEbEEEE10hipError_tPvRmT1_T2_T3_mmT4_T5_P12ihipStream_tbEUlRKiE_EESS_SW_SX_mSY_S11_bEUlT_E_NS1_11comp_targetILNS1_3genE0ELNS1_11target_archE4294967295ELNS1_3gpuE0ELNS1_3repE0EEENS1_30default_config_static_selectorELNS0_4arch9wavefront6targetE0EEEvSV_,comdat
	.protected	_ZN7rocprim17ROCPRIM_400000_NS6detail17trampoline_kernelINS0_14default_configENS1_29binary_search_config_selectorIiiEEZNS1_14transform_implILb0ES3_S5_N6thrust23THRUST_200600_302600_NS6detail15normal_iteratorINS8_7pointerIiNS8_11hip_rocprim5par_tENS8_11use_defaultESE_EEEESG_ZNS1_13binary_searchIS3_S5_NS8_10device_ptrIiEESG_SG_NS1_16binary_search_opENS9_16wrapped_functionINS8_6system6detail7generic6detail18binary_search_lessEbEEEE10hipError_tPvRmT1_T2_T3_mmT4_T5_P12ihipStream_tbEUlRKiE_EESS_SW_SX_mSY_S11_bEUlT_E_NS1_11comp_targetILNS1_3genE0ELNS1_11target_archE4294967295ELNS1_3gpuE0ELNS1_3repE0EEENS1_30default_config_static_selectorELNS0_4arch9wavefront6targetE0EEEvSV_ ; -- Begin function _ZN7rocprim17ROCPRIM_400000_NS6detail17trampoline_kernelINS0_14default_configENS1_29binary_search_config_selectorIiiEEZNS1_14transform_implILb0ES3_S5_N6thrust23THRUST_200600_302600_NS6detail15normal_iteratorINS8_7pointerIiNS8_11hip_rocprim5par_tENS8_11use_defaultESE_EEEESG_ZNS1_13binary_searchIS3_S5_NS8_10device_ptrIiEESG_SG_NS1_16binary_search_opENS9_16wrapped_functionINS8_6system6detail7generic6detail18binary_search_lessEbEEEE10hipError_tPvRmT1_T2_T3_mmT4_T5_P12ihipStream_tbEUlRKiE_EESS_SW_SX_mSY_S11_bEUlT_E_NS1_11comp_targetILNS1_3genE0ELNS1_11target_archE4294967295ELNS1_3gpuE0ELNS1_3repE0EEENS1_30default_config_static_selectorELNS0_4arch9wavefront6targetE0EEEvSV_
	.globl	_ZN7rocprim17ROCPRIM_400000_NS6detail17trampoline_kernelINS0_14default_configENS1_29binary_search_config_selectorIiiEEZNS1_14transform_implILb0ES3_S5_N6thrust23THRUST_200600_302600_NS6detail15normal_iteratorINS8_7pointerIiNS8_11hip_rocprim5par_tENS8_11use_defaultESE_EEEESG_ZNS1_13binary_searchIS3_S5_NS8_10device_ptrIiEESG_SG_NS1_16binary_search_opENS9_16wrapped_functionINS8_6system6detail7generic6detail18binary_search_lessEbEEEE10hipError_tPvRmT1_T2_T3_mmT4_T5_P12ihipStream_tbEUlRKiE_EESS_SW_SX_mSY_S11_bEUlT_E_NS1_11comp_targetILNS1_3genE0ELNS1_11target_archE4294967295ELNS1_3gpuE0ELNS1_3repE0EEENS1_30default_config_static_selectorELNS0_4arch9wavefront6targetE0EEEvSV_
	.p2align	8
	.type	_ZN7rocprim17ROCPRIM_400000_NS6detail17trampoline_kernelINS0_14default_configENS1_29binary_search_config_selectorIiiEEZNS1_14transform_implILb0ES3_S5_N6thrust23THRUST_200600_302600_NS6detail15normal_iteratorINS8_7pointerIiNS8_11hip_rocprim5par_tENS8_11use_defaultESE_EEEESG_ZNS1_13binary_searchIS3_S5_NS8_10device_ptrIiEESG_SG_NS1_16binary_search_opENS9_16wrapped_functionINS8_6system6detail7generic6detail18binary_search_lessEbEEEE10hipError_tPvRmT1_T2_T3_mmT4_T5_P12ihipStream_tbEUlRKiE_EESS_SW_SX_mSY_S11_bEUlT_E_NS1_11comp_targetILNS1_3genE0ELNS1_11target_archE4294967295ELNS1_3gpuE0ELNS1_3repE0EEENS1_30default_config_static_selectorELNS0_4arch9wavefront6targetE0EEEvSV_,@function
_ZN7rocprim17ROCPRIM_400000_NS6detail17trampoline_kernelINS0_14default_configENS1_29binary_search_config_selectorIiiEEZNS1_14transform_implILb0ES3_S5_N6thrust23THRUST_200600_302600_NS6detail15normal_iteratorINS8_7pointerIiNS8_11hip_rocprim5par_tENS8_11use_defaultESE_EEEESG_ZNS1_13binary_searchIS3_S5_NS8_10device_ptrIiEESG_SG_NS1_16binary_search_opENS9_16wrapped_functionINS8_6system6detail7generic6detail18binary_search_lessEbEEEE10hipError_tPvRmT1_T2_T3_mmT4_T5_P12ihipStream_tbEUlRKiE_EESS_SW_SX_mSY_S11_bEUlT_E_NS1_11comp_targetILNS1_3genE0ELNS1_11target_archE4294967295ELNS1_3gpuE0ELNS1_3repE0EEENS1_30default_config_static_selectorELNS0_4arch9wavefront6targetE0EEEvSV_: ; @_ZN7rocprim17ROCPRIM_400000_NS6detail17trampoline_kernelINS0_14default_configENS1_29binary_search_config_selectorIiiEEZNS1_14transform_implILb0ES3_S5_N6thrust23THRUST_200600_302600_NS6detail15normal_iteratorINS8_7pointerIiNS8_11hip_rocprim5par_tENS8_11use_defaultESE_EEEESG_ZNS1_13binary_searchIS3_S5_NS8_10device_ptrIiEESG_SG_NS1_16binary_search_opENS9_16wrapped_functionINS8_6system6detail7generic6detail18binary_search_lessEbEEEE10hipError_tPvRmT1_T2_T3_mmT4_T5_P12ihipStream_tbEUlRKiE_EESS_SW_SX_mSY_S11_bEUlT_E_NS1_11comp_targetILNS1_3genE0ELNS1_11target_archE4294967295ELNS1_3gpuE0ELNS1_3repE0EEENS1_30default_config_static_selectorELNS0_4arch9wavefront6targetE0EEEvSV_
; %bb.0:
	.section	.rodata,"a",@progbits
	.p2align	6, 0x0
	.amdhsa_kernel _ZN7rocprim17ROCPRIM_400000_NS6detail17trampoline_kernelINS0_14default_configENS1_29binary_search_config_selectorIiiEEZNS1_14transform_implILb0ES3_S5_N6thrust23THRUST_200600_302600_NS6detail15normal_iteratorINS8_7pointerIiNS8_11hip_rocprim5par_tENS8_11use_defaultESE_EEEESG_ZNS1_13binary_searchIS3_S5_NS8_10device_ptrIiEESG_SG_NS1_16binary_search_opENS9_16wrapped_functionINS8_6system6detail7generic6detail18binary_search_lessEbEEEE10hipError_tPvRmT1_T2_T3_mmT4_T5_P12ihipStream_tbEUlRKiE_EESS_SW_SX_mSY_S11_bEUlT_E_NS1_11comp_targetILNS1_3genE0ELNS1_11target_archE4294967295ELNS1_3gpuE0ELNS1_3repE0EEENS1_30default_config_static_selectorELNS0_4arch9wavefront6targetE0EEEvSV_
		.amdhsa_group_segment_fixed_size 0
		.amdhsa_private_segment_fixed_size 0
		.amdhsa_kernarg_size 56
		.amdhsa_user_sgpr_count 6
		.amdhsa_user_sgpr_private_segment_buffer 1
		.amdhsa_user_sgpr_dispatch_ptr 0
		.amdhsa_user_sgpr_queue_ptr 0
		.amdhsa_user_sgpr_kernarg_segment_ptr 1
		.amdhsa_user_sgpr_dispatch_id 0
		.amdhsa_user_sgpr_flat_scratch_init 0
		.amdhsa_user_sgpr_private_segment_size 0
		.amdhsa_wavefront_size32 1
		.amdhsa_uses_dynamic_stack 0
		.amdhsa_system_sgpr_private_segment_wavefront_offset 0
		.amdhsa_system_sgpr_workgroup_id_x 1
		.amdhsa_system_sgpr_workgroup_id_y 0
		.amdhsa_system_sgpr_workgroup_id_z 0
		.amdhsa_system_sgpr_workgroup_info 0
		.amdhsa_system_vgpr_workitem_id 0
		.amdhsa_next_free_vgpr 1
		.amdhsa_next_free_sgpr 1
		.amdhsa_reserve_vcc 0
		.amdhsa_reserve_flat_scratch 0
		.amdhsa_float_round_mode_32 0
		.amdhsa_float_round_mode_16_64 0
		.amdhsa_float_denorm_mode_32 3
		.amdhsa_float_denorm_mode_16_64 3
		.amdhsa_dx10_clamp 1
		.amdhsa_ieee_mode 1
		.amdhsa_fp16_overflow 0
		.amdhsa_workgroup_processor_mode 1
		.amdhsa_memory_ordered 1
		.amdhsa_forward_progress 1
		.amdhsa_shared_vgpr_count 0
		.amdhsa_exception_fp_ieee_invalid_op 0
		.amdhsa_exception_fp_denorm_src 0
		.amdhsa_exception_fp_ieee_div_zero 0
		.amdhsa_exception_fp_ieee_overflow 0
		.amdhsa_exception_fp_ieee_underflow 0
		.amdhsa_exception_fp_ieee_inexact 0
		.amdhsa_exception_int_div_zero 0
	.end_amdhsa_kernel
	.section	.text._ZN7rocprim17ROCPRIM_400000_NS6detail17trampoline_kernelINS0_14default_configENS1_29binary_search_config_selectorIiiEEZNS1_14transform_implILb0ES3_S5_N6thrust23THRUST_200600_302600_NS6detail15normal_iteratorINS8_7pointerIiNS8_11hip_rocprim5par_tENS8_11use_defaultESE_EEEESG_ZNS1_13binary_searchIS3_S5_NS8_10device_ptrIiEESG_SG_NS1_16binary_search_opENS9_16wrapped_functionINS8_6system6detail7generic6detail18binary_search_lessEbEEEE10hipError_tPvRmT1_T2_T3_mmT4_T5_P12ihipStream_tbEUlRKiE_EESS_SW_SX_mSY_S11_bEUlT_E_NS1_11comp_targetILNS1_3genE0ELNS1_11target_archE4294967295ELNS1_3gpuE0ELNS1_3repE0EEENS1_30default_config_static_selectorELNS0_4arch9wavefront6targetE0EEEvSV_,"axG",@progbits,_ZN7rocprim17ROCPRIM_400000_NS6detail17trampoline_kernelINS0_14default_configENS1_29binary_search_config_selectorIiiEEZNS1_14transform_implILb0ES3_S5_N6thrust23THRUST_200600_302600_NS6detail15normal_iteratorINS8_7pointerIiNS8_11hip_rocprim5par_tENS8_11use_defaultESE_EEEESG_ZNS1_13binary_searchIS3_S5_NS8_10device_ptrIiEESG_SG_NS1_16binary_search_opENS9_16wrapped_functionINS8_6system6detail7generic6detail18binary_search_lessEbEEEE10hipError_tPvRmT1_T2_T3_mmT4_T5_P12ihipStream_tbEUlRKiE_EESS_SW_SX_mSY_S11_bEUlT_E_NS1_11comp_targetILNS1_3genE0ELNS1_11target_archE4294967295ELNS1_3gpuE0ELNS1_3repE0EEENS1_30default_config_static_selectorELNS0_4arch9wavefront6targetE0EEEvSV_,comdat
.Lfunc_end788:
	.size	_ZN7rocprim17ROCPRIM_400000_NS6detail17trampoline_kernelINS0_14default_configENS1_29binary_search_config_selectorIiiEEZNS1_14transform_implILb0ES3_S5_N6thrust23THRUST_200600_302600_NS6detail15normal_iteratorINS8_7pointerIiNS8_11hip_rocprim5par_tENS8_11use_defaultESE_EEEESG_ZNS1_13binary_searchIS3_S5_NS8_10device_ptrIiEESG_SG_NS1_16binary_search_opENS9_16wrapped_functionINS8_6system6detail7generic6detail18binary_search_lessEbEEEE10hipError_tPvRmT1_T2_T3_mmT4_T5_P12ihipStream_tbEUlRKiE_EESS_SW_SX_mSY_S11_bEUlT_E_NS1_11comp_targetILNS1_3genE0ELNS1_11target_archE4294967295ELNS1_3gpuE0ELNS1_3repE0EEENS1_30default_config_static_selectorELNS0_4arch9wavefront6targetE0EEEvSV_, .Lfunc_end788-_ZN7rocprim17ROCPRIM_400000_NS6detail17trampoline_kernelINS0_14default_configENS1_29binary_search_config_selectorIiiEEZNS1_14transform_implILb0ES3_S5_N6thrust23THRUST_200600_302600_NS6detail15normal_iteratorINS8_7pointerIiNS8_11hip_rocprim5par_tENS8_11use_defaultESE_EEEESG_ZNS1_13binary_searchIS3_S5_NS8_10device_ptrIiEESG_SG_NS1_16binary_search_opENS9_16wrapped_functionINS8_6system6detail7generic6detail18binary_search_lessEbEEEE10hipError_tPvRmT1_T2_T3_mmT4_T5_P12ihipStream_tbEUlRKiE_EESS_SW_SX_mSY_S11_bEUlT_E_NS1_11comp_targetILNS1_3genE0ELNS1_11target_archE4294967295ELNS1_3gpuE0ELNS1_3repE0EEENS1_30default_config_static_selectorELNS0_4arch9wavefront6targetE0EEEvSV_
                                        ; -- End function
	.set _ZN7rocprim17ROCPRIM_400000_NS6detail17trampoline_kernelINS0_14default_configENS1_29binary_search_config_selectorIiiEEZNS1_14transform_implILb0ES3_S5_N6thrust23THRUST_200600_302600_NS6detail15normal_iteratorINS8_7pointerIiNS8_11hip_rocprim5par_tENS8_11use_defaultESE_EEEESG_ZNS1_13binary_searchIS3_S5_NS8_10device_ptrIiEESG_SG_NS1_16binary_search_opENS9_16wrapped_functionINS8_6system6detail7generic6detail18binary_search_lessEbEEEE10hipError_tPvRmT1_T2_T3_mmT4_T5_P12ihipStream_tbEUlRKiE_EESS_SW_SX_mSY_S11_bEUlT_E_NS1_11comp_targetILNS1_3genE0ELNS1_11target_archE4294967295ELNS1_3gpuE0ELNS1_3repE0EEENS1_30default_config_static_selectorELNS0_4arch9wavefront6targetE0EEEvSV_.num_vgpr, 0
	.set _ZN7rocprim17ROCPRIM_400000_NS6detail17trampoline_kernelINS0_14default_configENS1_29binary_search_config_selectorIiiEEZNS1_14transform_implILb0ES3_S5_N6thrust23THRUST_200600_302600_NS6detail15normal_iteratorINS8_7pointerIiNS8_11hip_rocprim5par_tENS8_11use_defaultESE_EEEESG_ZNS1_13binary_searchIS3_S5_NS8_10device_ptrIiEESG_SG_NS1_16binary_search_opENS9_16wrapped_functionINS8_6system6detail7generic6detail18binary_search_lessEbEEEE10hipError_tPvRmT1_T2_T3_mmT4_T5_P12ihipStream_tbEUlRKiE_EESS_SW_SX_mSY_S11_bEUlT_E_NS1_11comp_targetILNS1_3genE0ELNS1_11target_archE4294967295ELNS1_3gpuE0ELNS1_3repE0EEENS1_30default_config_static_selectorELNS0_4arch9wavefront6targetE0EEEvSV_.num_agpr, 0
	.set _ZN7rocprim17ROCPRIM_400000_NS6detail17trampoline_kernelINS0_14default_configENS1_29binary_search_config_selectorIiiEEZNS1_14transform_implILb0ES3_S5_N6thrust23THRUST_200600_302600_NS6detail15normal_iteratorINS8_7pointerIiNS8_11hip_rocprim5par_tENS8_11use_defaultESE_EEEESG_ZNS1_13binary_searchIS3_S5_NS8_10device_ptrIiEESG_SG_NS1_16binary_search_opENS9_16wrapped_functionINS8_6system6detail7generic6detail18binary_search_lessEbEEEE10hipError_tPvRmT1_T2_T3_mmT4_T5_P12ihipStream_tbEUlRKiE_EESS_SW_SX_mSY_S11_bEUlT_E_NS1_11comp_targetILNS1_3genE0ELNS1_11target_archE4294967295ELNS1_3gpuE0ELNS1_3repE0EEENS1_30default_config_static_selectorELNS0_4arch9wavefront6targetE0EEEvSV_.numbered_sgpr, 0
	.set _ZN7rocprim17ROCPRIM_400000_NS6detail17trampoline_kernelINS0_14default_configENS1_29binary_search_config_selectorIiiEEZNS1_14transform_implILb0ES3_S5_N6thrust23THRUST_200600_302600_NS6detail15normal_iteratorINS8_7pointerIiNS8_11hip_rocprim5par_tENS8_11use_defaultESE_EEEESG_ZNS1_13binary_searchIS3_S5_NS8_10device_ptrIiEESG_SG_NS1_16binary_search_opENS9_16wrapped_functionINS8_6system6detail7generic6detail18binary_search_lessEbEEEE10hipError_tPvRmT1_T2_T3_mmT4_T5_P12ihipStream_tbEUlRKiE_EESS_SW_SX_mSY_S11_bEUlT_E_NS1_11comp_targetILNS1_3genE0ELNS1_11target_archE4294967295ELNS1_3gpuE0ELNS1_3repE0EEENS1_30default_config_static_selectorELNS0_4arch9wavefront6targetE0EEEvSV_.num_named_barrier, 0
	.set _ZN7rocprim17ROCPRIM_400000_NS6detail17trampoline_kernelINS0_14default_configENS1_29binary_search_config_selectorIiiEEZNS1_14transform_implILb0ES3_S5_N6thrust23THRUST_200600_302600_NS6detail15normal_iteratorINS8_7pointerIiNS8_11hip_rocprim5par_tENS8_11use_defaultESE_EEEESG_ZNS1_13binary_searchIS3_S5_NS8_10device_ptrIiEESG_SG_NS1_16binary_search_opENS9_16wrapped_functionINS8_6system6detail7generic6detail18binary_search_lessEbEEEE10hipError_tPvRmT1_T2_T3_mmT4_T5_P12ihipStream_tbEUlRKiE_EESS_SW_SX_mSY_S11_bEUlT_E_NS1_11comp_targetILNS1_3genE0ELNS1_11target_archE4294967295ELNS1_3gpuE0ELNS1_3repE0EEENS1_30default_config_static_selectorELNS0_4arch9wavefront6targetE0EEEvSV_.private_seg_size, 0
	.set _ZN7rocprim17ROCPRIM_400000_NS6detail17trampoline_kernelINS0_14default_configENS1_29binary_search_config_selectorIiiEEZNS1_14transform_implILb0ES3_S5_N6thrust23THRUST_200600_302600_NS6detail15normal_iteratorINS8_7pointerIiNS8_11hip_rocprim5par_tENS8_11use_defaultESE_EEEESG_ZNS1_13binary_searchIS3_S5_NS8_10device_ptrIiEESG_SG_NS1_16binary_search_opENS9_16wrapped_functionINS8_6system6detail7generic6detail18binary_search_lessEbEEEE10hipError_tPvRmT1_T2_T3_mmT4_T5_P12ihipStream_tbEUlRKiE_EESS_SW_SX_mSY_S11_bEUlT_E_NS1_11comp_targetILNS1_3genE0ELNS1_11target_archE4294967295ELNS1_3gpuE0ELNS1_3repE0EEENS1_30default_config_static_selectorELNS0_4arch9wavefront6targetE0EEEvSV_.uses_vcc, 0
	.set _ZN7rocprim17ROCPRIM_400000_NS6detail17trampoline_kernelINS0_14default_configENS1_29binary_search_config_selectorIiiEEZNS1_14transform_implILb0ES3_S5_N6thrust23THRUST_200600_302600_NS6detail15normal_iteratorINS8_7pointerIiNS8_11hip_rocprim5par_tENS8_11use_defaultESE_EEEESG_ZNS1_13binary_searchIS3_S5_NS8_10device_ptrIiEESG_SG_NS1_16binary_search_opENS9_16wrapped_functionINS8_6system6detail7generic6detail18binary_search_lessEbEEEE10hipError_tPvRmT1_T2_T3_mmT4_T5_P12ihipStream_tbEUlRKiE_EESS_SW_SX_mSY_S11_bEUlT_E_NS1_11comp_targetILNS1_3genE0ELNS1_11target_archE4294967295ELNS1_3gpuE0ELNS1_3repE0EEENS1_30default_config_static_selectorELNS0_4arch9wavefront6targetE0EEEvSV_.uses_flat_scratch, 0
	.set _ZN7rocprim17ROCPRIM_400000_NS6detail17trampoline_kernelINS0_14default_configENS1_29binary_search_config_selectorIiiEEZNS1_14transform_implILb0ES3_S5_N6thrust23THRUST_200600_302600_NS6detail15normal_iteratorINS8_7pointerIiNS8_11hip_rocprim5par_tENS8_11use_defaultESE_EEEESG_ZNS1_13binary_searchIS3_S5_NS8_10device_ptrIiEESG_SG_NS1_16binary_search_opENS9_16wrapped_functionINS8_6system6detail7generic6detail18binary_search_lessEbEEEE10hipError_tPvRmT1_T2_T3_mmT4_T5_P12ihipStream_tbEUlRKiE_EESS_SW_SX_mSY_S11_bEUlT_E_NS1_11comp_targetILNS1_3genE0ELNS1_11target_archE4294967295ELNS1_3gpuE0ELNS1_3repE0EEENS1_30default_config_static_selectorELNS0_4arch9wavefront6targetE0EEEvSV_.has_dyn_sized_stack, 0
	.set _ZN7rocprim17ROCPRIM_400000_NS6detail17trampoline_kernelINS0_14default_configENS1_29binary_search_config_selectorIiiEEZNS1_14transform_implILb0ES3_S5_N6thrust23THRUST_200600_302600_NS6detail15normal_iteratorINS8_7pointerIiNS8_11hip_rocprim5par_tENS8_11use_defaultESE_EEEESG_ZNS1_13binary_searchIS3_S5_NS8_10device_ptrIiEESG_SG_NS1_16binary_search_opENS9_16wrapped_functionINS8_6system6detail7generic6detail18binary_search_lessEbEEEE10hipError_tPvRmT1_T2_T3_mmT4_T5_P12ihipStream_tbEUlRKiE_EESS_SW_SX_mSY_S11_bEUlT_E_NS1_11comp_targetILNS1_3genE0ELNS1_11target_archE4294967295ELNS1_3gpuE0ELNS1_3repE0EEENS1_30default_config_static_selectorELNS0_4arch9wavefront6targetE0EEEvSV_.has_recursion, 0
	.set _ZN7rocprim17ROCPRIM_400000_NS6detail17trampoline_kernelINS0_14default_configENS1_29binary_search_config_selectorIiiEEZNS1_14transform_implILb0ES3_S5_N6thrust23THRUST_200600_302600_NS6detail15normal_iteratorINS8_7pointerIiNS8_11hip_rocprim5par_tENS8_11use_defaultESE_EEEESG_ZNS1_13binary_searchIS3_S5_NS8_10device_ptrIiEESG_SG_NS1_16binary_search_opENS9_16wrapped_functionINS8_6system6detail7generic6detail18binary_search_lessEbEEEE10hipError_tPvRmT1_T2_T3_mmT4_T5_P12ihipStream_tbEUlRKiE_EESS_SW_SX_mSY_S11_bEUlT_E_NS1_11comp_targetILNS1_3genE0ELNS1_11target_archE4294967295ELNS1_3gpuE0ELNS1_3repE0EEENS1_30default_config_static_selectorELNS0_4arch9wavefront6targetE0EEEvSV_.has_indirect_call, 0
	.section	.AMDGPU.csdata,"",@progbits
; Kernel info:
; codeLenInByte = 0
; TotalNumSgprs: 0
; NumVgprs: 0
; ScratchSize: 0
; MemoryBound: 0
; FloatMode: 240
; IeeeMode: 1
; LDSByteSize: 0 bytes/workgroup (compile time only)
; SGPRBlocks: 0
; VGPRBlocks: 0
; NumSGPRsForWavesPerEU: 1
; NumVGPRsForWavesPerEU: 1
; Occupancy: 16
; WaveLimiterHint : 0
; COMPUTE_PGM_RSRC2:SCRATCH_EN: 0
; COMPUTE_PGM_RSRC2:USER_SGPR: 6
; COMPUTE_PGM_RSRC2:TRAP_HANDLER: 0
; COMPUTE_PGM_RSRC2:TGID_X_EN: 1
; COMPUTE_PGM_RSRC2:TGID_Y_EN: 0
; COMPUTE_PGM_RSRC2:TGID_Z_EN: 0
; COMPUTE_PGM_RSRC2:TIDIG_COMP_CNT: 0
	.section	.text._ZN7rocprim17ROCPRIM_400000_NS6detail17trampoline_kernelINS0_14default_configENS1_29binary_search_config_selectorIiiEEZNS1_14transform_implILb0ES3_S5_N6thrust23THRUST_200600_302600_NS6detail15normal_iteratorINS8_7pointerIiNS8_11hip_rocprim5par_tENS8_11use_defaultESE_EEEESG_ZNS1_13binary_searchIS3_S5_NS8_10device_ptrIiEESG_SG_NS1_16binary_search_opENS9_16wrapped_functionINS8_6system6detail7generic6detail18binary_search_lessEbEEEE10hipError_tPvRmT1_T2_T3_mmT4_T5_P12ihipStream_tbEUlRKiE_EESS_SW_SX_mSY_S11_bEUlT_E_NS1_11comp_targetILNS1_3genE5ELNS1_11target_archE942ELNS1_3gpuE9ELNS1_3repE0EEENS1_30default_config_static_selectorELNS0_4arch9wavefront6targetE0EEEvSV_,"axG",@progbits,_ZN7rocprim17ROCPRIM_400000_NS6detail17trampoline_kernelINS0_14default_configENS1_29binary_search_config_selectorIiiEEZNS1_14transform_implILb0ES3_S5_N6thrust23THRUST_200600_302600_NS6detail15normal_iteratorINS8_7pointerIiNS8_11hip_rocprim5par_tENS8_11use_defaultESE_EEEESG_ZNS1_13binary_searchIS3_S5_NS8_10device_ptrIiEESG_SG_NS1_16binary_search_opENS9_16wrapped_functionINS8_6system6detail7generic6detail18binary_search_lessEbEEEE10hipError_tPvRmT1_T2_T3_mmT4_T5_P12ihipStream_tbEUlRKiE_EESS_SW_SX_mSY_S11_bEUlT_E_NS1_11comp_targetILNS1_3genE5ELNS1_11target_archE942ELNS1_3gpuE9ELNS1_3repE0EEENS1_30default_config_static_selectorELNS0_4arch9wavefront6targetE0EEEvSV_,comdat
	.protected	_ZN7rocprim17ROCPRIM_400000_NS6detail17trampoline_kernelINS0_14default_configENS1_29binary_search_config_selectorIiiEEZNS1_14transform_implILb0ES3_S5_N6thrust23THRUST_200600_302600_NS6detail15normal_iteratorINS8_7pointerIiNS8_11hip_rocprim5par_tENS8_11use_defaultESE_EEEESG_ZNS1_13binary_searchIS3_S5_NS8_10device_ptrIiEESG_SG_NS1_16binary_search_opENS9_16wrapped_functionINS8_6system6detail7generic6detail18binary_search_lessEbEEEE10hipError_tPvRmT1_T2_T3_mmT4_T5_P12ihipStream_tbEUlRKiE_EESS_SW_SX_mSY_S11_bEUlT_E_NS1_11comp_targetILNS1_3genE5ELNS1_11target_archE942ELNS1_3gpuE9ELNS1_3repE0EEENS1_30default_config_static_selectorELNS0_4arch9wavefront6targetE0EEEvSV_ ; -- Begin function _ZN7rocprim17ROCPRIM_400000_NS6detail17trampoline_kernelINS0_14default_configENS1_29binary_search_config_selectorIiiEEZNS1_14transform_implILb0ES3_S5_N6thrust23THRUST_200600_302600_NS6detail15normal_iteratorINS8_7pointerIiNS8_11hip_rocprim5par_tENS8_11use_defaultESE_EEEESG_ZNS1_13binary_searchIS3_S5_NS8_10device_ptrIiEESG_SG_NS1_16binary_search_opENS9_16wrapped_functionINS8_6system6detail7generic6detail18binary_search_lessEbEEEE10hipError_tPvRmT1_T2_T3_mmT4_T5_P12ihipStream_tbEUlRKiE_EESS_SW_SX_mSY_S11_bEUlT_E_NS1_11comp_targetILNS1_3genE5ELNS1_11target_archE942ELNS1_3gpuE9ELNS1_3repE0EEENS1_30default_config_static_selectorELNS0_4arch9wavefront6targetE0EEEvSV_
	.globl	_ZN7rocprim17ROCPRIM_400000_NS6detail17trampoline_kernelINS0_14default_configENS1_29binary_search_config_selectorIiiEEZNS1_14transform_implILb0ES3_S5_N6thrust23THRUST_200600_302600_NS6detail15normal_iteratorINS8_7pointerIiNS8_11hip_rocprim5par_tENS8_11use_defaultESE_EEEESG_ZNS1_13binary_searchIS3_S5_NS8_10device_ptrIiEESG_SG_NS1_16binary_search_opENS9_16wrapped_functionINS8_6system6detail7generic6detail18binary_search_lessEbEEEE10hipError_tPvRmT1_T2_T3_mmT4_T5_P12ihipStream_tbEUlRKiE_EESS_SW_SX_mSY_S11_bEUlT_E_NS1_11comp_targetILNS1_3genE5ELNS1_11target_archE942ELNS1_3gpuE9ELNS1_3repE0EEENS1_30default_config_static_selectorELNS0_4arch9wavefront6targetE0EEEvSV_
	.p2align	8
	.type	_ZN7rocprim17ROCPRIM_400000_NS6detail17trampoline_kernelINS0_14default_configENS1_29binary_search_config_selectorIiiEEZNS1_14transform_implILb0ES3_S5_N6thrust23THRUST_200600_302600_NS6detail15normal_iteratorINS8_7pointerIiNS8_11hip_rocprim5par_tENS8_11use_defaultESE_EEEESG_ZNS1_13binary_searchIS3_S5_NS8_10device_ptrIiEESG_SG_NS1_16binary_search_opENS9_16wrapped_functionINS8_6system6detail7generic6detail18binary_search_lessEbEEEE10hipError_tPvRmT1_T2_T3_mmT4_T5_P12ihipStream_tbEUlRKiE_EESS_SW_SX_mSY_S11_bEUlT_E_NS1_11comp_targetILNS1_3genE5ELNS1_11target_archE942ELNS1_3gpuE9ELNS1_3repE0EEENS1_30default_config_static_selectorELNS0_4arch9wavefront6targetE0EEEvSV_,@function
_ZN7rocprim17ROCPRIM_400000_NS6detail17trampoline_kernelINS0_14default_configENS1_29binary_search_config_selectorIiiEEZNS1_14transform_implILb0ES3_S5_N6thrust23THRUST_200600_302600_NS6detail15normal_iteratorINS8_7pointerIiNS8_11hip_rocprim5par_tENS8_11use_defaultESE_EEEESG_ZNS1_13binary_searchIS3_S5_NS8_10device_ptrIiEESG_SG_NS1_16binary_search_opENS9_16wrapped_functionINS8_6system6detail7generic6detail18binary_search_lessEbEEEE10hipError_tPvRmT1_T2_T3_mmT4_T5_P12ihipStream_tbEUlRKiE_EESS_SW_SX_mSY_S11_bEUlT_E_NS1_11comp_targetILNS1_3genE5ELNS1_11target_archE942ELNS1_3gpuE9ELNS1_3repE0EEENS1_30default_config_static_selectorELNS0_4arch9wavefront6targetE0EEEvSV_: ; @_ZN7rocprim17ROCPRIM_400000_NS6detail17trampoline_kernelINS0_14default_configENS1_29binary_search_config_selectorIiiEEZNS1_14transform_implILb0ES3_S5_N6thrust23THRUST_200600_302600_NS6detail15normal_iteratorINS8_7pointerIiNS8_11hip_rocprim5par_tENS8_11use_defaultESE_EEEESG_ZNS1_13binary_searchIS3_S5_NS8_10device_ptrIiEESG_SG_NS1_16binary_search_opENS9_16wrapped_functionINS8_6system6detail7generic6detail18binary_search_lessEbEEEE10hipError_tPvRmT1_T2_T3_mmT4_T5_P12ihipStream_tbEUlRKiE_EESS_SW_SX_mSY_S11_bEUlT_E_NS1_11comp_targetILNS1_3genE5ELNS1_11target_archE942ELNS1_3gpuE9ELNS1_3repE0EEENS1_30default_config_static_selectorELNS0_4arch9wavefront6targetE0EEEvSV_
; %bb.0:
	.section	.rodata,"a",@progbits
	.p2align	6, 0x0
	.amdhsa_kernel _ZN7rocprim17ROCPRIM_400000_NS6detail17trampoline_kernelINS0_14default_configENS1_29binary_search_config_selectorIiiEEZNS1_14transform_implILb0ES3_S5_N6thrust23THRUST_200600_302600_NS6detail15normal_iteratorINS8_7pointerIiNS8_11hip_rocprim5par_tENS8_11use_defaultESE_EEEESG_ZNS1_13binary_searchIS3_S5_NS8_10device_ptrIiEESG_SG_NS1_16binary_search_opENS9_16wrapped_functionINS8_6system6detail7generic6detail18binary_search_lessEbEEEE10hipError_tPvRmT1_T2_T3_mmT4_T5_P12ihipStream_tbEUlRKiE_EESS_SW_SX_mSY_S11_bEUlT_E_NS1_11comp_targetILNS1_3genE5ELNS1_11target_archE942ELNS1_3gpuE9ELNS1_3repE0EEENS1_30default_config_static_selectorELNS0_4arch9wavefront6targetE0EEEvSV_
		.amdhsa_group_segment_fixed_size 0
		.amdhsa_private_segment_fixed_size 0
		.amdhsa_kernarg_size 56
		.amdhsa_user_sgpr_count 6
		.amdhsa_user_sgpr_private_segment_buffer 1
		.amdhsa_user_sgpr_dispatch_ptr 0
		.amdhsa_user_sgpr_queue_ptr 0
		.amdhsa_user_sgpr_kernarg_segment_ptr 1
		.amdhsa_user_sgpr_dispatch_id 0
		.amdhsa_user_sgpr_flat_scratch_init 0
		.amdhsa_user_sgpr_private_segment_size 0
		.amdhsa_wavefront_size32 1
		.amdhsa_uses_dynamic_stack 0
		.amdhsa_system_sgpr_private_segment_wavefront_offset 0
		.amdhsa_system_sgpr_workgroup_id_x 1
		.amdhsa_system_sgpr_workgroup_id_y 0
		.amdhsa_system_sgpr_workgroup_id_z 0
		.amdhsa_system_sgpr_workgroup_info 0
		.amdhsa_system_vgpr_workitem_id 0
		.amdhsa_next_free_vgpr 1
		.amdhsa_next_free_sgpr 1
		.amdhsa_reserve_vcc 0
		.amdhsa_reserve_flat_scratch 0
		.amdhsa_float_round_mode_32 0
		.amdhsa_float_round_mode_16_64 0
		.amdhsa_float_denorm_mode_32 3
		.amdhsa_float_denorm_mode_16_64 3
		.amdhsa_dx10_clamp 1
		.amdhsa_ieee_mode 1
		.amdhsa_fp16_overflow 0
		.amdhsa_workgroup_processor_mode 1
		.amdhsa_memory_ordered 1
		.amdhsa_forward_progress 1
		.amdhsa_shared_vgpr_count 0
		.amdhsa_exception_fp_ieee_invalid_op 0
		.amdhsa_exception_fp_denorm_src 0
		.amdhsa_exception_fp_ieee_div_zero 0
		.amdhsa_exception_fp_ieee_overflow 0
		.amdhsa_exception_fp_ieee_underflow 0
		.amdhsa_exception_fp_ieee_inexact 0
		.amdhsa_exception_int_div_zero 0
	.end_amdhsa_kernel
	.section	.text._ZN7rocprim17ROCPRIM_400000_NS6detail17trampoline_kernelINS0_14default_configENS1_29binary_search_config_selectorIiiEEZNS1_14transform_implILb0ES3_S5_N6thrust23THRUST_200600_302600_NS6detail15normal_iteratorINS8_7pointerIiNS8_11hip_rocprim5par_tENS8_11use_defaultESE_EEEESG_ZNS1_13binary_searchIS3_S5_NS8_10device_ptrIiEESG_SG_NS1_16binary_search_opENS9_16wrapped_functionINS8_6system6detail7generic6detail18binary_search_lessEbEEEE10hipError_tPvRmT1_T2_T3_mmT4_T5_P12ihipStream_tbEUlRKiE_EESS_SW_SX_mSY_S11_bEUlT_E_NS1_11comp_targetILNS1_3genE5ELNS1_11target_archE942ELNS1_3gpuE9ELNS1_3repE0EEENS1_30default_config_static_selectorELNS0_4arch9wavefront6targetE0EEEvSV_,"axG",@progbits,_ZN7rocprim17ROCPRIM_400000_NS6detail17trampoline_kernelINS0_14default_configENS1_29binary_search_config_selectorIiiEEZNS1_14transform_implILb0ES3_S5_N6thrust23THRUST_200600_302600_NS6detail15normal_iteratorINS8_7pointerIiNS8_11hip_rocprim5par_tENS8_11use_defaultESE_EEEESG_ZNS1_13binary_searchIS3_S5_NS8_10device_ptrIiEESG_SG_NS1_16binary_search_opENS9_16wrapped_functionINS8_6system6detail7generic6detail18binary_search_lessEbEEEE10hipError_tPvRmT1_T2_T3_mmT4_T5_P12ihipStream_tbEUlRKiE_EESS_SW_SX_mSY_S11_bEUlT_E_NS1_11comp_targetILNS1_3genE5ELNS1_11target_archE942ELNS1_3gpuE9ELNS1_3repE0EEENS1_30default_config_static_selectorELNS0_4arch9wavefront6targetE0EEEvSV_,comdat
.Lfunc_end789:
	.size	_ZN7rocprim17ROCPRIM_400000_NS6detail17trampoline_kernelINS0_14default_configENS1_29binary_search_config_selectorIiiEEZNS1_14transform_implILb0ES3_S5_N6thrust23THRUST_200600_302600_NS6detail15normal_iteratorINS8_7pointerIiNS8_11hip_rocprim5par_tENS8_11use_defaultESE_EEEESG_ZNS1_13binary_searchIS3_S5_NS8_10device_ptrIiEESG_SG_NS1_16binary_search_opENS9_16wrapped_functionINS8_6system6detail7generic6detail18binary_search_lessEbEEEE10hipError_tPvRmT1_T2_T3_mmT4_T5_P12ihipStream_tbEUlRKiE_EESS_SW_SX_mSY_S11_bEUlT_E_NS1_11comp_targetILNS1_3genE5ELNS1_11target_archE942ELNS1_3gpuE9ELNS1_3repE0EEENS1_30default_config_static_selectorELNS0_4arch9wavefront6targetE0EEEvSV_, .Lfunc_end789-_ZN7rocprim17ROCPRIM_400000_NS6detail17trampoline_kernelINS0_14default_configENS1_29binary_search_config_selectorIiiEEZNS1_14transform_implILb0ES3_S5_N6thrust23THRUST_200600_302600_NS6detail15normal_iteratorINS8_7pointerIiNS8_11hip_rocprim5par_tENS8_11use_defaultESE_EEEESG_ZNS1_13binary_searchIS3_S5_NS8_10device_ptrIiEESG_SG_NS1_16binary_search_opENS9_16wrapped_functionINS8_6system6detail7generic6detail18binary_search_lessEbEEEE10hipError_tPvRmT1_T2_T3_mmT4_T5_P12ihipStream_tbEUlRKiE_EESS_SW_SX_mSY_S11_bEUlT_E_NS1_11comp_targetILNS1_3genE5ELNS1_11target_archE942ELNS1_3gpuE9ELNS1_3repE0EEENS1_30default_config_static_selectorELNS0_4arch9wavefront6targetE0EEEvSV_
                                        ; -- End function
	.set _ZN7rocprim17ROCPRIM_400000_NS6detail17trampoline_kernelINS0_14default_configENS1_29binary_search_config_selectorIiiEEZNS1_14transform_implILb0ES3_S5_N6thrust23THRUST_200600_302600_NS6detail15normal_iteratorINS8_7pointerIiNS8_11hip_rocprim5par_tENS8_11use_defaultESE_EEEESG_ZNS1_13binary_searchIS3_S5_NS8_10device_ptrIiEESG_SG_NS1_16binary_search_opENS9_16wrapped_functionINS8_6system6detail7generic6detail18binary_search_lessEbEEEE10hipError_tPvRmT1_T2_T3_mmT4_T5_P12ihipStream_tbEUlRKiE_EESS_SW_SX_mSY_S11_bEUlT_E_NS1_11comp_targetILNS1_3genE5ELNS1_11target_archE942ELNS1_3gpuE9ELNS1_3repE0EEENS1_30default_config_static_selectorELNS0_4arch9wavefront6targetE0EEEvSV_.num_vgpr, 0
	.set _ZN7rocprim17ROCPRIM_400000_NS6detail17trampoline_kernelINS0_14default_configENS1_29binary_search_config_selectorIiiEEZNS1_14transform_implILb0ES3_S5_N6thrust23THRUST_200600_302600_NS6detail15normal_iteratorINS8_7pointerIiNS8_11hip_rocprim5par_tENS8_11use_defaultESE_EEEESG_ZNS1_13binary_searchIS3_S5_NS8_10device_ptrIiEESG_SG_NS1_16binary_search_opENS9_16wrapped_functionINS8_6system6detail7generic6detail18binary_search_lessEbEEEE10hipError_tPvRmT1_T2_T3_mmT4_T5_P12ihipStream_tbEUlRKiE_EESS_SW_SX_mSY_S11_bEUlT_E_NS1_11comp_targetILNS1_3genE5ELNS1_11target_archE942ELNS1_3gpuE9ELNS1_3repE0EEENS1_30default_config_static_selectorELNS0_4arch9wavefront6targetE0EEEvSV_.num_agpr, 0
	.set _ZN7rocprim17ROCPRIM_400000_NS6detail17trampoline_kernelINS0_14default_configENS1_29binary_search_config_selectorIiiEEZNS1_14transform_implILb0ES3_S5_N6thrust23THRUST_200600_302600_NS6detail15normal_iteratorINS8_7pointerIiNS8_11hip_rocprim5par_tENS8_11use_defaultESE_EEEESG_ZNS1_13binary_searchIS3_S5_NS8_10device_ptrIiEESG_SG_NS1_16binary_search_opENS9_16wrapped_functionINS8_6system6detail7generic6detail18binary_search_lessEbEEEE10hipError_tPvRmT1_T2_T3_mmT4_T5_P12ihipStream_tbEUlRKiE_EESS_SW_SX_mSY_S11_bEUlT_E_NS1_11comp_targetILNS1_3genE5ELNS1_11target_archE942ELNS1_3gpuE9ELNS1_3repE0EEENS1_30default_config_static_selectorELNS0_4arch9wavefront6targetE0EEEvSV_.numbered_sgpr, 0
	.set _ZN7rocprim17ROCPRIM_400000_NS6detail17trampoline_kernelINS0_14default_configENS1_29binary_search_config_selectorIiiEEZNS1_14transform_implILb0ES3_S5_N6thrust23THRUST_200600_302600_NS6detail15normal_iteratorINS8_7pointerIiNS8_11hip_rocprim5par_tENS8_11use_defaultESE_EEEESG_ZNS1_13binary_searchIS3_S5_NS8_10device_ptrIiEESG_SG_NS1_16binary_search_opENS9_16wrapped_functionINS8_6system6detail7generic6detail18binary_search_lessEbEEEE10hipError_tPvRmT1_T2_T3_mmT4_T5_P12ihipStream_tbEUlRKiE_EESS_SW_SX_mSY_S11_bEUlT_E_NS1_11comp_targetILNS1_3genE5ELNS1_11target_archE942ELNS1_3gpuE9ELNS1_3repE0EEENS1_30default_config_static_selectorELNS0_4arch9wavefront6targetE0EEEvSV_.num_named_barrier, 0
	.set _ZN7rocprim17ROCPRIM_400000_NS6detail17trampoline_kernelINS0_14default_configENS1_29binary_search_config_selectorIiiEEZNS1_14transform_implILb0ES3_S5_N6thrust23THRUST_200600_302600_NS6detail15normal_iteratorINS8_7pointerIiNS8_11hip_rocprim5par_tENS8_11use_defaultESE_EEEESG_ZNS1_13binary_searchIS3_S5_NS8_10device_ptrIiEESG_SG_NS1_16binary_search_opENS9_16wrapped_functionINS8_6system6detail7generic6detail18binary_search_lessEbEEEE10hipError_tPvRmT1_T2_T3_mmT4_T5_P12ihipStream_tbEUlRKiE_EESS_SW_SX_mSY_S11_bEUlT_E_NS1_11comp_targetILNS1_3genE5ELNS1_11target_archE942ELNS1_3gpuE9ELNS1_3repE0EEENS1_30default_config_static_selectorELNS0_4arch9wavefront6targetE0EEEvSV_.private_seg_size, 0
	.set _ZN7rocprim17ROCPRIM_400000_NS6detail17trampoline_kernelINS0_14default_configENS1_29binary_search_config_selectorIiiEEZNS1_14transform_implILb0ES3_S5_N6thrust23THRUST_200600_302600_NS6detail15normal_iteratorINS8_7pointerIiNS8_11hip_rocprim5par_tENS8_11use_defaultESE_EEEESG_ZNS1_13binary_searchIS3_S5_NS8_10device_ptrIiEESG_SG_NS1_16binary_search_opENS9_16wrapped_functionINS8_6system6detail7generic6detail18binary_search_lessEbEEEE10hipError_tPvRmT1_T2_T3_mmT4_T5_P12ihipStream_tbEUlRKiE_EESS_SW_SX_mSY_S11_bEUlT_E_NS1_11comp_targetILNS1_3genE5ELNS1_11target_archE942ELNS1_3gpuE9ELNS1_3repE0EEENS1_30default_config_static_selectorELNS0_4arch9wavefront6targetE0EEEvSV_.uses_vcc, 0
	.set _ZN7rocprim17ROCPRIM_400000_NS6detail17trampoline_kernelINS0_14default_configENS1_29binary_search_config_selectorIiiEEZNS1_14transform_implILb0ES3_S5_N6thrust23THRUST_200600_302600_NS6detail15normal_iteratorINS8_7pointerIiNS8_11hip_rocprim5par_tENS8_11use_defaultESE_EEEESG_ZNS1_13binary_searchIS3_S5_NS8_10device_ptrIiEESG_SG_NS1_16binary_search_opENS9_16wrapped_functionINS8_6system6detail7generic6detail18binary_search_lessEbEEEE10hipError_tPvRmT1_T2_T3_mmT4_T5_P12ihipStream_tbEUlRKiE_EESS_SW_SX_mSY_S11_bEUlT_E_NS1_11comp_targetILNS1_3genE5ELNS1_11target_archE942ELNS1_3gpuE9ELNS1_3repE0EEENS1_30default_config_static_selectorELNS0_4arch9wavefront6targetE0EEEvSV_.uses_flat_scratch, 0
	.set _ZN7rocprim17ROCPRIM_400000_NS6detail17trampoline_kernelINS0_14default_configENS1_29binary_search_config_selectorIiiEEZNS1_14transform_implILb0ES3_S5_N6thrust23THRUST_200600_302600_NS6detail15normal_iteratorINS8_7pointerIiNS8_11hip_rocprim5par_tENS8_11use_defaultESE_EEEESG_ZNS1_13binary_searchIS3_S5_NS8_10device_ptrIiEESG_SG_NS1_16binary_search_opENS9_16wrapped_functionINS8_6system6detail7generic6detail18binary_search_lessEbEEEE10hipError_tPvRmT1_T2_T3_mmT4_T5_P12ihipStream_tbEUlRKiE_EESS_SW_SX_mSY_S11_bEUlT_E_NS1_11comp_targetILNS1_3genE5ELNS1_11target_archE942ELNS1_3gpuE9ELNS1_3repE0EEENS1_30default_config_static_selectorELNS0_4arch9wavefront6targetE0EEEvSV_.has_dyn_sized_stack, 0
	.set _ZN7rocprim17ROCPRIM_400000_NS6detail17trampoline_kernelINS0_14default_configENS1_29binary_search_config_selectorIiiEEZNS1_14transform_implILb0ES3_S5_N6thrust23THRUST_200600_302600_NS6detail15normal_iteratorINS8_7pointerIiNS8_11hip_rocprim5par_tENS8_11use_defaultESE_EEEESG_ZNS1_13binary_searchIS3_S5_NS8_10device_ptrIiEESG_SG_NS1_16binary_search_opENS9_16wrapped_functionINS8_6system6detail7generic6detail18binary_search_lessEbEEEE10hipError_tPvRmT1_T2_T3_mmT4_T5_P12ihipStream_tbEUlRKiE_EESS_SW_SX_mSY_S11_bEUlT_E_NS1_11comp_targetILNS1_3genE5ELNS1_11target_archE942ELNS1_3gpuE9ELNS1_3repE0EEENS1_30default_config_static_selectorELNS0_4arch9wavefront6targetE0EEEvSV_.has_recursion, 0
	.set _ZN7rocprim17ROCPRIM_400000_NS6detail17trampoline_kernelINS0_14default_configENS1_29binary_search_config_selectorIiiEEZNS1_14transform_implILb0ES3_S5_N6thrust23THRUST_200600_302600_NS6detail15normal_iteratorINS8_7pointerIiNS8_11hip_rocprim5par_tENS8_11use_defaultESE_EEEESG_ZNS1_13binary_searchIS3_S5_NS8_10device_ptrIiEESG_SG_NS1_16binary_search_opENS9_16wrapped_functionINS8_6system6detail7generic6detail18binary_search_lessEbEEEE10hipError_tPvRmT1_T2_T3_mmT4_T5_P12ihipStream_tbEUlRKiE_EESS_SW_SX_mSY_S11_bEUlT_E_NS1_11comp_targetILNS1_3genE5ELNS1_11target_archE942ELNS1_3gpuE9ELNS1_3repE0EEENS1_30default_config_static_selectorELNS0_4arch9wavefront6targetE0EEEvSV_.has_indirect_call, 0
	.section	.AMDGPU.csdata,"",@progbits
; Kernel info:
; codeLenInByte = 0
; TotalNumSgprs: 0
; NumVgprs: 0
; ScratchSize: 0
; MemoryBound: 0
; FloatMode: 240
; IeeeMode: 1
; LDSByteSize: 0 bytes/workgroup (compile time only)
; SGPRBlocks: 0
; VGPRBlocks: 0
; NumSGPRsForWavesPerEU: 1
; NumVGPRsForWavesPerEU: 1
; Occupancy: 16
; WaveLimiterHint : 0
; COMPUTE_PGM_RSRC2:SCRATCH_EN: 0
; COMPUTE_PGM_RSRC2:USER_SGPR: 6
; COMPUTE_PGM_RSRC2:TRAP_HANDLER: 0
; COMPUTE_PGM_RSRC2:TGID_X_EN: 1
; COMPUTE_PGM_RSRC2:TGID_Y_EN: 0
; COMPUTE_PGM_RSRC2:TGID_Z_EN: 0
; COMPUTE_PGM_RSRC2:TIDIG_COMP_CNT: 0
	.section	.text._ZN7rocprim17ROCPRIM_400000_NS6detail17trampoline_kernelINS0_14default_configENS1_29binary_search_config_selectorIiiEEZNS1_14transform_implILb0ES3_S5_N6thrust23THRUST_200600_302600_NS6detail15normal_iteratorINS8_7pointerIiNS8_11hip_rocprim5par_tENS8_11use_defaultESE_EEEESG_ZNS1_13binary_searchIS3_S5_NS8_10device_ptrIiEESG_SG_NS1_16binary_search_opENS9_16wrapped_functionINS8_6system6detail7generic6detail18binary_search_lessEbEEEE10hipError_tPvRmT1_T2_T3_mmT4_T5_P12ihipStream_tbEUlRKiE_EESS_SW_SX_mSY_S11_bEUlT_E_NS1_11comp_targetILNS1_3genE4ELNS1_11target_archE910ELNS1_3gpuE8ELNS1_3repE0EEENS1_30default_config_static_selectorELNS0_4arch9wavefront6targetE0EEEvSV_,"axG",@progbits,_ZN7rocprim17ROCPRIM_400000_NS6detail17trampoline_kernelINS0_14default_configENS1_29binary_search_config_selectorIiiEEZNS1_14transform_implILb0ES3_S5_N6thrust23THRUST_200600_302600_NS6detail15normal_iteratorINS8_7pointerIiNS8_11hip_rocprim5par_tENS8_11use_defaultESE_EEEESG_ZNS1_13binary_searchIS3_S5_NS8_10device_ptrIiEESG_SG_NS1_16binary_search_opENS9_16wrapped_functionINS8_6system6detail7generic6detail18binary_search_lessEbEEEE10hipError_tPvRmT1_T2_T3_mmT4_T5_P12ihipStream_tbEUlRKiE_EESS_SW_SX_mSY_S11_bEUlT_E_NS1_11comp_targetILNS1_3genE4ELNS1_11target_archE910ELNS1_3gpuE8ELNS1_3repE0EEENS1_30default_config_static_selectorELNS0_4arch9wavefront6targetE0EEEvSV_,comdat
	.protected	_ZN7rocprim17ROCPRIM_400000_NS6detail17trampoline_kernelINS0_14default_configENS1_29binary_search_config_selectorIiiEEZNS1_14transform_implILb0ES3_S5_N6thrust23THRUST_200600_302600_NS6detail15normal_iteratorINS8_7pointerIiNS8_11hip_rocprim5par_tENS8_11use_defaultESE_EEEESG_ZNS1_13binary_searchIS3_S5_NS8_10device_ptrIiEESG_SG_NS1_16binary_search_opENS9_16wrapped_functionINS8_6system6detail7generic6detail18binary_search_lessEbEEEE10hipError_tPvRmT1_T2_T3_mmT4_T5_P12ihipStream_tbEUlRKiE_EESS_SW_SX_mSY_S11_bEUlT_E_NS1_11comp_targetILNS1_3genE4ELNS1_11target_archE910ELNS1_3gpuE8ELNS1_3repE0EEENS1_30default_config_static_selectorELNS0_4arch9wavefront6targetE0EEEvSV_ ; -- Begin function _ZN7rocprim17ROCPRIM_400000_NS6detail17trampoline_kernelINS0_14default_configENS1_29binary_search_config_selectorIiiEEZNS1_14transform_implILb0ES3_S5_N6thrust23THRUST_200600_302600_NS6detail15normal_iteratorINS8_7pointerIiNS8_11hip_rocprim5par_tENS8_11use_defaultESE_EEEESG_ZNS1_13binary_searchIS3_S5_NS8_10device_ptrIiEESG_SG_NS1_16binary_search_opENS9_16wrapped_functionINS8_6system6detail7generic6detail18binary_search_lessEbEEEE10hipError_tPvRmT1_T2_T3_mmT4_T5_P12ihipStream_tbEUlRKiE_EESS_SW_SX_mSY_S11_bEUlT_E_NS1_11comp_targetILNS1_3genE4ELNS1_11target_archE910ELNS1_3gpuE8ELNS1_3repE0EEENS1_30default_config_static_selectorELNS0_4arch9wavefront6targetE0EEEvSV_
	.globl	_ZN7rocprim17ROCPRIM_400000_NS6detail17trampoline_kernelINS0_14default_configENS1_29binary_search_config_selectorIiiEEZNS1_14transform_implILb0ES3_S5_N6thrust23THRUST_200600_302600_NS6detail15normal_iteratorINS8_7pointerIiNS8_11hip_rocprim5par_tENS8_11use_defaultESE_EEEESG_ZNS1_13binary_searchIS3_S5_NS8_10device_ptrIiEESG_SG_NS1_16binary_search_opENS9_16wrapped_functionINS8_6system6detail7generic6detail18binary_search_lessEbEEEE10hipError_tPvRmT1_T2_T3_mmT4_T5_P12ihipStream_tbEUlRKiE_EESS_SW_SX_mSY_S11_bEUlT_E_NS1_11comp_targetILNS1_3genE4ELNS1_11target_archE910ELNS1_3gpuE8ELNS1_3repE0EEENS1_30default_config_static_selectorELNS0_4arch9wavefront6targetE0EEEvSV_
	.p2align	8
	.type	_ZN7rocprim17ROCPRIM_400000_NS6detail17trampoline_kernelINS0_14default_configENS1_29binary_search_config_selectorIiiEEZNS1_14transform_implILb0ES3_S5_N6thrust23THRUST_200600_302600_NS6detail15normal_iteratorINS8_7pointerIiNS8_11hip_rocprim5par_tENS8_11use_defaultESE_EEEESG_ZNS1_13binary_searchIS3_S5_NS8_10device_ptrIiEESG_SG_NS1_16binary_search_opENS9_16wrapped_functionINS8_6system6detail7generic6detail18binary_search_lessEbEEEE10hipError_tPvRmT1_T2_T3_mmT4_T5_P12ihipStream_tbEUlRKiE_EESS_SW_SX_mSY_S11_bEUlT_E_NS1_11comp_targetILNS1_3genE4ELNS1_11target_archE910ELNS1_3gpuE8ELNS1_3repE0EEENS1_30default_config_static_selectorELNS0_4arch9wavefront6targetE0EEEvSV_,@function
_ZN7rocprim17ROCPRIM_400000_NS6detail17trampoline_kernelINS0_14default_configENS1_29binary_search_config_selectorIiiEEZNS1_14transform_implILb0ES3_S5_N6thrust23THRUST_200600_302600_NS6detail15normal_iteratorINS8_7pointerIiNS8_11hip_rocprim5par_tENS8_11use_defaultESE_EEEESG_ZNS1_13binary_searchIS3_S5_NS8_10device_ptrIiEESG_SG_NS1_16binary_search_opENS9_16wrapped_functionINS8_6system6detail7generic6detail18binary_search_lessEbEEEE10hipError_tPvRmT1_T2_T3_mmT4_T5_P12ihipStream_tbEUlRKiE_EESS_SW_SX_mSY_S11_bEUlT_E_NS1_11comp_targetILNS1_3genE4ELNS1_11target_archE910ELNS1_3gpuE8ELNS1_3repE0EEENS1_30default_config_static_selectorELNS0_4arch9wavefront6targetE0EEEvSV_: ; @_ZN7rocprim17ROCPRIM_400000_NS6detail17trampoline_kernelINS0_14default_configENS1_29binary_search_config_selectorIiiEEZNS1_14transform_implILb0ES3_S5_N6thrust23THRUST_200600_302600_NS6detail15normal_iteratorINS8_7pointerIiNS8_11hip_rocprim5par_tENS8_11use_defaultESE_EEEESG_ZNS1_13binary_searchIS3_S5_NS8_10device_ptrIiEESG_SG_NS1_16binary_search_opENS9_16wrapped_functionINS8_6system6detail7generic6detail18binary_search_lessEbEEEE10hipError_tPvRmT1_T2_T3_mmT4_T5_P12ihipStream_tbEUlRKiE_EESS_SW_SX_mSY_S11_bEUlT_E_NS1_11comp_targetILNS1_3genE4ELNS1_11target_archE910ELNS1_3gpuE8ELNS1_3repE0EEENS1_30default_config_static_selectorELNS0_4arch9wavefront6targetE0EEEvSV_
; %bb.0:
	.section	.rodata,"a",@progbits
	.p2align	6, 0x0
	.amdhsa_kernel _ZN7rocprim17ROCPRIM_400000_NS6detail17trampoline_kernelINS0_14default_configENS1_29binary_search_config_selectorIiiEEZNS1_14transform_implILb0ES3_S5_N6thrust23THRUST_200600_302600_NS6detail15normal_iteratorINS8_7pointerIiNS8_11hip_rocprim5par_tENS8_11use_defaultESE_EEEESG_ZNS1_13binary_searchIS3_S5_NS8_10device_ptrIiEESG_SG_NS1_16binary_search_opENS9_16wrapped_functionINS8_6system6detail7generic6detail18binary_search_lessEbEEEE10hipError_tPvRmT1_T2_T3_mmT4_T5_P12ihipStream_tbEUlRKiE_EESS_SW_SX_mSY_S11_bEUlT_E_NS1_11comp_targetILNS1_3genE4ELNS1_11target_archE910ELNS1_3gpuE8ELNS1_3repE0EEENS1_30default_config_static_selectorELNS0_4arch9wavefront6targetE0EEEvSV_
		.amdhsa_group_segment_fixed_size 0
		.amdhsa_private_segment_fixed_size 0
		.amdhsa_kernarg_size 56
		.amdhsa_user_sgpr_count 6
		.amdhsa_user_sgpr_private_segment_buffer 1
		.amdhsa_user_sgpr_dispatch_ptr 0
		.amdhsa_user_sgpr_queue_ptr 0
		.amdhsa_user_sgpr_kernarg_segment_ptr 1
		.amdhsa_user_sgpr_dispatch_id 0
		.amdhsa_user_sgpr_flat_scratch_init 0
		.amdhsa_user_sgpr_private_segment_size 0
		.amdhsa_wavefront_size32 1
		.amdhsa_uses_dynamic_stack 0
		.amdhsa_system_sgpr_private_segment_wavefront_offset 0
		.amdhsa_system_sgpr_workgroup_id_x 1
		.amdhsa_system_sgpr_workgroup_id_y 0
		.amdhsa_system_sgpr_workgroup_id_z 0
		.amdhsa_system_sgpr_workgroup_info 0
		.amdhsa_system_vgpr_workitem_id 0
		.amdhsa_next_free_vgpr 1
		.amdhsa_next_free_sgpr 1
		.amdhsa_reserve_vcc 0
		.amdhsa_reserve_flat_scratch 0
		.amdhsa_float_round_mode_32 0
		.amdhsa_float_round_mode_16_64 0
		.amdhsa_float_denorm_mode_32 3
		.amdhsa_float_denorm_mode_16_64 3
		.amdhsa_dx10_clamp 1
		.amdhsa_ieee_mode 1
		.amdhsa_fp16_overflow 0
		.amdhsa_workgroup_processor_mode 1
		.amdhsa_memory_ordered 1
		.amdhsa_forward_progress 1
		.amdhsa_shared_vgpr_count 0
		.amdhsa_exception_fp_ieee_invalid_op 0
		.amdhsa_exception_fp_denorm_src 0
		.amdhsa_exception_fp_ieee_div_zero 0
		.amdhsa_exception_fp_ieee_overflow 0
		.amdhsa_exception_fp_ieee_underflow 0
		.amdhsa_exception_fp_ieee_inexact 0
		.amdhsa_exception_int_div_zero 0
	.end_amdhsa_kernel
	.section	.text._ZN7rocprim17ROCPRIM_400000_NS6detail17trampoline_kernelINS0_14default_configENS1_29binary_search_config_selectorIiiEEZNS1_14transform_implILb0ES3_S5_N6thrust23THRUST_200600_302600_NS6detail15normal_iteratorINS8_7pointerIiNS8_11hip_rocprim5par_tENS8_11use_defaultESE_EEEESG_ZNS1_13binary_searchIS3_S5_NS8_10device_ptrIiEESG_SG_NS1_16binary_search_opENS9_16wrapped_functionINS8_6system6detail7generic6detail18binary_search_lessEbEEEE10hipError_tPvRmT1_T2_T3_mmT4_T5_P12ihipStream_tbEUlRKiE_EESS_SW_SX_mSY_S11_bEUlT_E_NS1_11comp_targetILNS1_3genE4ELNS1_11target_archE910ELNS1_3gpuE8ELNS1_3repE0EEENS1_30default_config_static_selectorELNS0_4arch9wavefront6targetE0EEEvSV_,"axG",@progbits,_ZN7rocprim17ROCPRIM_400000_NS6detail17trampoline_kernelINS0_14default_configENS1_29binary_search_config_selectorIiiEEZNS1_14transform_implILb0ES3_S5_N6thrust23THRUST_200600_302600_NS6detail15normal_iteratorINS8_7pointerIiNS8_11hip_rocprim5par_tENS8_11use_defaultESE_EEEESG_ZNS1_13binary_searchIS3_S5_NS8_10device_ptrIiEESG_SG_NS1_16binary_search_opENS9_16wrapped_functionINS8_6system6detail7generic6detail18binary_search_lessEbEEEE10hipError_tPvRmT1_T2_T3_mmT4_T5_P12ihipStream_tbEUlRKiE_EESS_SW_SX_mSY_S11_bEUlT_E_NS1_11comp_targetILNS1_3genE4ELNS1_11target_archE910ELNS1_3gpuE8ELNS1_3repE0EEENS1_30default_config_static_selectorELNS0_4arch9wavefront6targetE0EEEvSV_,comdat
.Lfunc_end790:
	.size	_ZN7rocprim17ROCPRIM_400000_NS6detail17trampoline_kernelINS0_14default_configENS1_29binary_search_config_selectorIiiEEZNS1_14transform_implILb0ES3_S5_N6thrust23THRUST_200600_302600_NS6detail15normal_iteratorINS8_7pointerIiNS8_11hip_rocprim5par_tENS8_11use_defaultESE_EEEESG_ZNS1_13binary_searchIS3_S5_NS8_10device_ptrIiEESG_SG_NS1_16binary_search_opENS9_16wrapped_functionINS8_6system6detail7generic6detail18binary_search_lessEbEEEE10hipError_tPvRmT1_T2_T3_mmT4_T5_P12ihipStream_tbEUlRKiE_EESS_SW_SX_mSY_S11_bEUlT_E_NS1_11comp_targetILNS1_3genE4ELNS1_11target_archE910ELNS1_3gpuE8ELNS1_3repE0EEENS1_30default_config_static_selectorELNS0_4arch9wavefront6targetE0EEEvSV_, .Lfunc_end790-_ZN7rocprim17ROCPRIM_400000_NS6detail17trampoline_kernelINS0_14default_configENS1_29binary_search_config_selectorIiiEEZNS1_14transform_implILb0ES3_S5_N6thrust23THRUST_200600_302600_NS6detail15normal_iteratorINS8_7pointerIiNS8_11hip_rocprim5par_tENS8_11use_defaultESE_EEEESG_ZNS1_13binary_searchIS3_S5_NS8_10device_ptrIiEESG_SG_NS1_16binary_search_opENS9_16wrapped_functionINS8_6system6detail7generic6detail18binary_search_lessEbEEEE10hipError_tPvRmT1_T2_T3_mmT4_T5_P12ihipStream_tbEUlRKiE_EESS_SW_SX_mSY_S11_bEUlT_E_NS1_11comp_targetILNS1_3genE4ELNS1_11target_archE910ELNS1_3gpuE8ELNS1_3repE0EEENS1_30default_config_static_selectorELNS0_4arch9wavefront6targetE0EEEvSV_
                                        ; -- End function
	.set _ZN7rocprim17ROCPRIM_400000_NS6detail17trampoline_kernelINS0_14default_configENS1_29binary_search_config_selectorIiiEEZNS1_14transform_implILb0ES3_S5_N6thrust23THRUST_200600_302600_NS6detail15normal_iteratorINS8_7pointerIiNS8_11hip_rocprim5par_tENS8_11use_defaultESE_EEEESG_ZNS1_13binary_searchIS3_S5_NS8_10device_ptrIiEESG_SG_NS1_16binary_search_opENS9_16wrapped_functionINS8_6system6detail7generic6detail18binary_search_lessEbEEEE10hipError_tPvRmT1_T2_T3_mmT4_T5_P12ihipStream_tbEUlRKiE_EESS_SW_SX_mSY_S11_bEUlT_E_NS1_11comp_targetILNS1_3genE4ELNS1_11target_archE910ELNS1_3gpuE8ELNS1_3repE0EEENS1_30default_config_static_selectorELNS0_4arch9wavefront6targetE0EEEvSV_.num_vgpr, 0
	.set _ZN7rocprim17ROCPRIM_400000_NS6detail17trampoline_kernelINS0_14default_configENS1_29binary_search_config_selectorIiiEEZNS1_14transform_implILb0ES3_S5_N6thrust23THRUST_200600_302600_NS6detail15normal_iteratorINS8_7pointerIiNS8_11hip_rocprim5par_tENS8_11use_defaultESE_EEEESG_ZNS1_13binary_searchIS3_S5_NS8_10device_ptrIiEESG_SG_NS1_16binary_search_opENS9_16wrapped_functionINS8_6system6detail7generic6detail18binary_search_lessEbEEEE10hipError_tPvRmT1_T2_T3_mmT4_T5_P12ihipStream_tbEUlRKiE_EESS_SW_SX_mSY_S11_bEUlT_E_NS1_11comp_targetILNS1_3genE4ELNS1_11target_archE910ELNS1_3gpuE8ELNS1_3repE0EEENS1_30default_config_static_selectorELNS0_4arch9wavefront6targetE0EEEvSV_.num_agpr, 0
	.set _ZN7rocprim17ROCPRIM_400000_NS6detail17trampoline_kernelINS0_14default_configENS1_29binary_search_config_selectorIiiEEZNS1_14transform_implILb0ES3_S5_N6thrust23THRUST_200600_302600_NS6detail15normal_iteratorINS8_7pointerIiNS8_11hip_rocprim5par_tENS8_11use_defaultESE_EEEESG_ZNS1_13binary_searchIS3_S5_NS8_10device_ptrIiEESG_SG_NS1_16binary_search_opENS9_16wrapped_functionINS8_6system6detail7generic6detail18binary_search_lessEbEEEE10hipError_tPvRmT1_T2_T3_mmT4_T5_P12ihipStream_tbEUlRKiE_EESS_SW_SX_mSY_S11_bEUlT_E_NS1_11comp_targetILNS1_3genE4ELNS1_11target_archE910ELNS1_3gpuE8ELNS1_3repE0EEENS1_30default_config_static_selectorELNS0_4arch9wavefront6targetE0EEEvSV_.numbered_sgpr, 0
	.set _ZN7rocprim17ROCPRIM_400000_NS6detail17trampoline_kernelINS0_14default_configENS1_29binary_search_config_selectorIiiEEZNS1_14transform_implILb0ES3_S5_N6thrust23THRUST_200600_302600_NS6detail15normal_iteratorINS8_7pointerIiNS8_11hip_rocprim5par_tENS8_11use_defaultESE_EEEESG_ZNS1_13binary_searchIS3_S5_NS8_10device_ptrIiEESG_SG_NS1_16binary_search_opENS9_16wrapped_functionINS8_6system6detail7generic6detail18binary_search_lessEbEEEE10hipError_tPvRmT1_T2_T3_mmT4_T5_P12ihipStream_tbEUlRKiE_EESS_SW_SX_mSY_S11_bEUlT_E_NS1_11comp_targetILNS1_3genE4ELNS1_11target_archE910ELNS1_3gpuE8ELNS1_3repE0EEENS1_30default_config_static_selectorELNS0_4arch9wavefront6targetE0EEEvSV_.num_named_barrier, 0
	.set _ZN7rocprim17ROCPRIM_400000_NS6detail17trampoline_kernelINS0_14default_configENS1_29binary_search_config_selectorIiiEEZNS1_14transform_implILb0ES3_S5_N6thrust23THRUST_200600_302600_NS6detail15normal_iteratorINS8_7pointerIiNS8_11hip_rocprim5par_tENS8_11use_defaultESE_EEEESG_ZNS1_13binary_searchIS3_S5_NS8_10device_ptrIiEESG_SG_NS1_16binary_search_opENS9_16wrapped_functionINS8_6system6detail7generic6detail18binary_search_lessEbEEEE10hipError_tPvRmT1_T2_T3_mmT4_T5_P12ihipStream_tbEUlRKiE_EESS_SW_SX_mSY_S11_bEUlT_E_NS1_11comp_targetILNS1_3genE4ELNS1_11target_archE910ELNS1_3gpuE8ELNS1_3repE0EEENS1_30default_config_static_selectorELNS0_4arch9wavefront6targetE0EEEvSV_.private_seg_size, 0
	.set _ZN7rocprim17ROCPRIM_400000_NS6detail17trampoline_kernelINS0_14default_configENS1_29binary_search_config_selectorIiiEEZNS1_14transform_implILb0ES3_S5_N6thrust23THRUST_200600_302600_NS6detail15normal_iteratorINS8_7pointerIiNS8_11hip_rocprim5par_tENS8_11use_defaultESE_EEEESG_ZNS1_13binary_searchIS3_S5_NS8_10device_ptrIiEESG_SG_NS1_16binary_search_opENS9_16wrapped_functionINS8_6system6detail7generic6detail18binary_search_lessEbEEEE10hipError_tPvRmT1_T2_T3_mmT4_T5_P12ihipStream_tbEUlRKiE_EESS_SW_SX_mSY_S11_bEUlT_E_NS1_11comp_targetILNS1_3genE4ELNS1_11target_archE910ELNS1_3gpuE8ELNS1_3repE0EEENS1_30default_config_static_selectorELNS0_4arch9wavefront6targetE0EEEvSV_.uses_vcc, 0
	.set _ZN7rocprim17ROCPRIM_400000_NS6detail17trampoline_kernelINS0_14default_configENS1_29binary_search_config_selectorIiiEEZNS1_14transform_implILb0ES3_S5_N6thrust23THRUST_200600_302600_NS6detail15normal_iteratorINS8_7pointerIiNS8_11hip_rocprim5par_tENS8_11use_defaultESE_EEEESG_ZNS1_13binary_searchIS3_S5_NS8_10device_ptrIiEESG_SG_NS1_16binary_search_opENS9_16wrapped_functionINS8_6system6detail7generic6detail18binary_search_lessEbEEEE10hipError_tPvRmT1_T2_T3_mmT4_T5_P12ihipStream_tbEUlRKiE_EESS_SW_SX_mSY_S11_bEUlT_E_NS1_11comp_targetILNS1_3genE4ELNS1_11target_archE910ELNS1_3gpuE8ELNS1_3repE0EEENS1_30default_config_static_selectorELNS0_4arch9wavefront6targetE0EEEvSV_.uses_flat_scratch, 0
	.set _ZN7rocprim17ROCPRIM_400000_NS6detail17trampoline_kernelINS0_14default_configENS1_29binary_search_config_selectorIiiEEZNS1_14transform_implILb0ES3_S5_N6thrust23THRUST_200600_302600_NS6detail15normal_iteratorINS8_7pointerIiNS8_11hip_rocprim5par_tENS8_11use_defaultESE_EEEESG_ZNS1_13binary_searchIS3_S5_NS8_10device_ptrIiEESG_SG_NS1_16binary_search_opENS9_16wrapped_functionINS8_6system6detail7generic6detail18binary_search_lessEbEEEE10hipError_tPvRmT1_T2_T3_mmT4_T5_P12ihipStream_tbEUlRKiE_EESS_SW_SX_mSY_S11_bEUlT_E_NS1_11comp_targetILNS1_3genE4ELNS1_11target_archE910ELNS1_3gpuE8ELNS1_3repE0EEENS1_30default_config_static_selectorELNS0_4arch9wavefront6targetE0EEEvSV_.has_dyn_sized_stack, 0
	.set _ZN7rocprim17ROCPRIM_400000_NS6detail17trampoline_kernelINS0_14default_configENS1_29binary_search_config_selectorIiiEEZNS1_14transform_implILb0ES3_S5_N6thrust23THRUST_200600_302600_NS6detail15normal_iteratorINS8_7pointerIiNS8_11hip_rocprim5par_tENS8_11use_defaultESE_EEEESG_ZNS1_13binary_searchIS3_S5_NS8_10device_ptrIiEESG_SG_NS1_16binary_search_opENS9_16wrapped_functionINS8_6system6detail7generic6detail18binary_search_lessEbEEEE10hipError_tPvRmT1_T2_T3_mmT4_T5_P12ihipStream_tbEUlRKiE_EESS_SW_SX_mSY_S11_bEUlT_E_NS1_11comp_targetILNS1_3genE4ELNS1_11target_archE910ELNS1_3gpuE8ELNS1_3repE0EEENS1_30default_config_static_selectorELNS0_4arch9wavefront6targetE0EEEvSV_.has_recursion, 0
	.set _ZN7rocprim17ROCPRIM_400000_NS6detail17trampoline_kernelINS0_14default_configENS1_29binary_search_config_selectorIiiEEZNS1_14transform_implILb0ES3_S5_N6thrust23THRUST_200600_302600_NS6detail15normal_iteratorINS8_7pointerIiNS8_11hip_rocprim5par_tENS8_11use_defaultESE_EEEESG_ZNS1_13binary_searchIS3_S5_NS8_10device_ptrIiEESG_SG_NS1_16binary_search_opENS9_16wrapped_functionINS8_6system6detail7generic6detail18binary_search_lessEbEEEE10hipError_tPvRmT1_T2_T3_mmT4_T5_P12ihipStream_tbEUlRKiE_EESS_SW_SX_mSY_S11_bEUlT_E_NS1_11comp_targetILNS1_3genE4ELNS1_11target_archE910ELNS1_3gpuE8ELNS1_3repE0EEENS1_30default_config_static_selectorELNS0_4arch9wavefront6targetE0EEEvSV_.has_indirect_call, 0
	.section	.AMDGPU.csdata,"",@progbits
; Kernel info:
; codeLenInByte = 0
; TotalNumSgprs: 0
; NumVgprs: 0
; ScratchSize: 0
; MemoryBound: 0
; FloatMode: 240
; IeeeMode: 1
; LDSByteSize: 0 bytes/workgroup (compile time only)
; SGPRBlocks: 0
; VGPRBlocks: 0
; NumSGPRsForWavesPerEU: 1
; NumVGPRsForWavesPerEU: 1
; Occupancy: 16
; WaveLimiterHint : 0
; COMPUTE_PGM_RSRC2:SCRATCH_EN: 0
; COMPUTE_PGM_RSRC2:USER_SGPR: 6
; COMPUTE_PGM_RSRC2:TRAP_HANDLER: 0
; COMPUTE_PGM_RSRC2:TGID_X_EN: 1
; COMPUTE_PGM_RSRC2:TGID_Y_EN: 0
; COMPUTE_PGM_RSRC2:TGID_Z_EN: 0
; COMPUTE_PGM_RSRC2:TIDIG_COMP_CNT: 0
	.section	.text._ZN7rocprim17ROCPRIM_400000_NS6detail17trampoline_kernelINS0_14default_configENS1_29binary_search_config_selectorIiiEEZNS1_14transform_implILb0ES3_S5_N6thrust23THRUST_200600_302600_NS6detail15normal_iteratorINS8_7pointerIiNS8_11hip_rocprim5par_tENS8_11use_defaultESE_EEEESG_ZNS1_13binary_searchIS3_S5_NS8_10device_ptrIiEESG_SG_NS1_16binary_search_opENS9_16wrapped_functionINS8_6system6detail7generic6detail18binary_search_lessEbEEEE10hipError_tPvRmT1_T2_T3_mmT4_T5_P12ihipStream_tbEUlRKiE_EESS_SW_SX_mSY_S11_bEUlT_E_NS1_11comp_targetILNS1_3genE3ELNS1_11target_archE908ELNS1_3gpuE7ELNS1_3repE0EEENS1_30default_config_static_selectorELNS0_4arch9wavefront6targetE0EEEvSV_,"axG",@progbits,_ZN7rocprim17ROCPRIM_400000_NS6detail17trampoline_kernelINS0_14default_configENS1_29binary_search_config_selectorIiiEEZNS1_14transform_implILb0ES3_S5_N6thrust23THRUST_200600_302600_NS6detail15normal_iteratorINS8_7pointerIiNS8_11hip_rocprim5par_tENS8_11use_defaultESE_EEEESG_ZNS1_13binary_searchIS3_S5_NS8_10device_ptrIiEESG_SG_NS1_16binary_search_opENS9_16wrapped_functionINS8_6system6detail7generic6detail18binary_search_lessEbEEEE10hipError_tPvRmT1_T2_T3_mmT4_T5_P12ihipStream_tbEUlRKiE_EESS_SW_SX_mSY_S11_bEUlT_E_NS1_11comp_targetILNS1_3genE3ELNS1_11target_archE908ELNS1_3gpuE7ELNS1_3repE0EEENS1_30default_config_static_selectorELNS0_4arch9wavefront6targetE0EEEvSV_,comdat
	.protected	_ZN7rocprim17ROCPRIM_400000_NS6detail17trampoline_kernelINS0_14default_configENS1_29binary_search_config_selectorIiiEEZNS1_14transform_implILb0ES3_S5_N6thrust23THRUST_200600_302600_NS6detail15normal_iteratorINS8_7pointerIiNS8_11hip_rocprim5par_tENS8_11use_defaultESE_EEEESG_ZNS1_13binary_searchIS3_S5_NS8_10device_ptrIiEESG_SG_NS1_16binary_search_opENS9_16wrapped_functionINS8_6system6detail7generic6detail18binary_search_lessEbEEEE10hipError_tPvRmT1_T2_T3_mmT4_T5_P12ihipStream_tbEUlRKiE_EESS_SW_SX_mSY_S11_bEUlT_E_NS1_11comp_targetILNS1_3genE3ELNS1_11target_archE908ELNS1_3gpuE7ELNS1_3repE0EEENS1_30default_config_static_selectorELNS0_4arch9wavefront6targetE0EEEvSV_ ; -- Begin function _ZN7rocprim17ROCPRIM_400000_NS6detail17trampoline_kernelINS0_14default_configENS1_29binary_search_config_selectorIiiEEZNS1_14transform_implILb0ES3_S5_N6thrust23THRUST_200600_302600_NS6detail15normal_iteratorINS8_7pointerIiNS8_11hip_rocprim5par_tENS8_11use_defaultESE_EEEESG_ZNS1_13binary_searchIS3_S5_NS8_10device_ptrIiEESG_SG_NS1_16binary_search_opENS9_16wrapped_functionINS8_6system6detail7generic6detail18binary_search_lessEbEEEE10hipError_tPvRmT1_T2_T3_mmT4_T5_P12ihipStream_tbEUlRKiE_EESS_SW_SX_mSY_S11_bEUlT_E_NS1_11comp_targetILNS1_3genE3ELNS1_11target_archE908ELNS1_3gpuE7ELNS1_3repE0EEENS1_30default_config_static_selectorELNS0_4arch9wavefront6targetE0EEEvSV_
	.globl	_ZN7rocprim17ROCPRIM_400000_NS6detail17trampoline_kernelINS0_14default_configENS1_29binary_search_config_selectorIiiEEZNS1_14transform_implILb0ES3_S5_N6thrust23THRUST_200600_302600_NS6detail15normal_iteratorINS8_7pointerIiNS8_11hip_rocprim5par_tENS8_11use_defaultESE_EEEESG_ZNS1_13binary_searchIS3_S5_NS8_10device_ptrIiEESG_SG_NS1_16binary_search_opENS9_16wrapped_functionINS8_6system6detail7generic6detail18binary_search_lessEbEEEE10hipError_tPvRmT1_T2_T3_mmT4_T5_P12ihipStream_tbEUlRKiE_EESS_SW_SX_mSY_S11_bEUlT_E_NS1_11comp_targetILNS1_3genE3ELNS1_11target_archE908ELNS1_3gpuE7ELNS1_3repE0EEENS1_30default_config_static_selectorELNS0_4arch9wavefront6targetE0EEEvSV_
	.p2align	8
	.type	_ZN7rocprim17ROCPRIM_400000_NS6detail17trampoline_kernelINS0_14default_configENS1_29binary_search_config_selectorIiiEEZNS1_14transform_implILb0ES3_S5_N6thrust23THRUST_200600_302600_NS6detail15normal_iteratorINS8_7pointerIiNS8_11hip_rocprim5par_tENS8_11use_defaultESE_EEEESG_ZNS1_13binary_searchIS3_S5_NS8_10device_ptrIiEESG_SG_NS1_16binary_search_opENS9_16wrapped_functionINS8_6system6detail7generic6detail18binary_search_lessEbEEEE10hipError_tPvRmT1_T2_T3_mmT4_T5_P12ihipStream_tbEUlRKiE_EESS_SW_SX_mSY_S11_bEUlT_E_NS1_11comp_targetILNS1_3genE3ELNS1_11target_archE908ELNS1_3gpuE7ELNS1_3repE0EEENS1_30default_config_static_selectorELNS0_4arch9wavefront6targetE0EEEvSV_,@function
_ZN7rocprim17ROCPRIM_400000_NS6detail17trampoline_kernelINS0_14default_configENS1_29binary_search_config_selectorIiiEEZNS1_14transform_implILb0ES3_S5_N6thrust23THRUST_200600_302600_NS6detail15normal_iteratorINS8_7pointerIiNS8_11hip_rocprim5par_tENS8_11use_defaultESE_EEEESG_ZNS1_13binary_searchIS3_S5_NS8_10device_ptrIiEESG_SG_NS1_16binary_search_opENS9_16wrapped_functionINS8_6system6detail7generic6detail18binary_search_lessEbEEEE10hipError_tPvRmT1_T2_T3_mmT4_T5_P12ihipStream_tbEUlRKiE_EESS_SW_SX_mSY_S11_bEUlT_E_NS1_11comp_targetILNS1_3genE3ELNS1_11target_archE908ELNS1_3gpuE7ELNS1_3repE0EEENS1_30default_config_static_selectorELNS0_4arch9wavefront6targetE0EEEvSV_: ; @_ZN7rocprim17ROCPRIM_400000_NS6detail17trampoline_kernelINS0_14default_configENS1_29binary_search_config_selectorIiiEEZNS1_14transform_implILb0ES3_S5_N6thrust23THRUST_200600_302600_NS6detail15normal_iteratorINS8_7pointerIiNS8_11hip_rocprim5par_tENS8_11use_defaultESE_EEEESG_ZNS1_13binary_searchIS3_S5_NS8_10device_ptrIiEESG_SG_NS1_16binary_search_opENS9_16wrapped_functionINS8_6system6detail7generic6detail18binary_search_lessEbEEEE10hipError_tPvRmT1_T2_T3_mmT4_T5_P12ihipStream_tbEUlRKiE_EESS_SW_SX_mSY_S11_bEUlT_E_NS1_11comp_targetILNS1_3genE3ELNS1_11target_archE908ELNS1_3gpuE7ELNS1_3repE0EEENS1_30default_config_static_selectorELNS0_4arch9wavefront6targetE0EEEvSV_
; %bb.0:
	.section	.rodata,"a",@progbits
	.p2align	6, 0x0
	.amdhsa_kernel _ZN7rocprim17ROCPRIM_400000_NS6detail17trampoline_kernelINS0_14default_configENS1_29binary_search_config_selectorIiiEEZNS1_14transform_implILb0ES3_S5_N6thrust23THRUST_200600_302600_NS6detail15normal_iteratorINS8_7pointerIiNS8_11hip_rocprim5par_tENS8_11use_defaultESE_EEEESG_ZNS1_13binary_searchIS3_S5_NS8_10device_ptrIiEESG_SG_NS1_16binary_search_opENS9_16wrapped_functionINS8_6system6detail7generic6detail18binary_search_lessEbEEEE10hipError_tPvRmT1_T2_T3_mmT4_T5_P12ihipStream_tbEUlRKiE_EESS_SW_SX_mSY_S11_bEUlT_E_NS1_11comp_targetILNS1_3genE3ELNS1_11target_archE908ELNS1_3gpuE7ELNS1_3repE0EEENS1_30default_config_static_selectorELNS0_4arch9wavefront6targetE0EEEvSV_
		.amdhsa_group_segment_fixed_size 0
		.amdhsa_private_segment_fixed_size 0
		.amdhsa_kernarg_size 56
		.amdhsa_user_sgpr_count 6
		.amdhsa_user_sgpr_private_segment_buffer 1
		.amdhsa_user_sgpr_dispatch_ptr 0
		.amdhsa_user_sgpr_queue_ptr 0
		.amdhsa_user_sgpr_kernarg_segment_ptr 1
		.amdhsa_user_sgpr_dispatch_id 0
		.amdhsa_user_sgpr_flat_scratch_init 0
		.amdhsa_user_sgpr_private_segment_size 0
		.amdhsa_wavefront_size32 1
		.amdhsa_uses_dynamic_stack 0
		.amdhsa_system_sgpr_private_segment_wavefront_offset 0
		.amdhsa_system_sgpr_workgroup_id_x 1
		.amdhsa_system_sgpr_workgroup_id_y 0
		.amdhsa_system_sgpr_workgroup_id_z 0
		.amdhsa_system_sgpr_workgroup_info 0
		.amdhsa_system_vgpr_workitem_id 0
		.amdhsa_next_free_vgpr 1
		.amdhsa_next_free_sgpr 1
		.amdhsa_reserve_vcc 0
		.amdhsa_reserve_flat_scratch 0
		.amdhsa_float_round_mode_32 0
		.amdhsa_float_round_mode_16_64 0
		.amdhsa_float_denorm_mode_32 3
		.amdhsa_float_denorm_mode_16_64 3
		.amdhsa_dx10_clamp 1
		.amdhsa_ieee_mode 1
		.amdhsa_fp16_overflow 0
		.amdhsa_workgroup_processor_mode 1
		.amdhsa_memory_ordered 1
		.amdhsa_forward_progress 1
		.amdhsa_shared_vgpr_count 0
		.amdhsa_exception_fp_ieee_invalid_op 0
		.amdhsa_exception_fp_denorm_src 0
		.amdhsa_exception_fp_ieee_div_zero 0
		.amdhsa_exception_fp_ieee_overflow 0
		.amdhsa_exception_fp_ieee_underflow 0
		.amdhsa_exception_fp_ieee_inexact 0
		.amdhsa_exception_int_div_zero 0
	.end_amdhsa_kernel
	.section	.text._ZN7rocprim17ROCPRIM_400000_NS6detail17trampoline_kernelINS0_14default_configENS1_29binary_search_config_selectorIiiEEZNS1_14transform_implILb0ES3_S5_N6thrust23THRUST_200600_302600_NS6detail15normal_iteratorINS8_7pointerIiNS8_11hip_rocprim5par_tENS8_11use_defaultESE_EEEESG_ZNS1_13binary_searchIS3_S5_NS8_10device_ptrIiEESG_SG_NS1_16binary_search_opENS9_16wrapped_functionINS8_6system6detail7generic6detail18binary_search_lessEbEEEE10hipError_tPvRmT1_T2_T3_mmT4_T5_P12ihipStream_tbEUlRKiE_EESS_SW_SX_mSY_S11_bEUlT_E_NS1_11comp_targetILNS1_3genE3ELNS1_11target_archE908ELNS1_3gpuE7ELNS1_3repE0EEENS1_30default_config_static_selectorELNS0_4arch9wavefront6targetE0EEEvSV_,"axG",@progbits,_ZN7rocprim17ROCPRIM_400000_NS6detail17trampoline_kernelINS0_14default_configENS1_29binary_search_config_selectorIiiEEZNS1_14transform_implILb0ES3_S5_N6thrust23THRUST_200600_302600_NS6detail15normal_iteratorINS8_7pointerIiNS8_11hip_rocprim5par_tENS8_11use_defaultESE_EEEESG_ZNS1_13binary_searchIS3_S5_NS8_10device_ptrIiEESG_SG_NS1_16binary_search_opENS9_16wrapped_functionINS8_6system6detail7generic6detail18binary_search_lessEbEEEE10hipError_tPvRmT1_T2_T3_mmT4_T5_P12ihipStream_tbEUlRKiE_EESS_SW_SX_mSY_S11_bEUlT_E_NS1_11comp_targetILNS1_3genE3ELNS1_11target_archE908ELNS1_3gpuE7ELNS1_3repE0EEENS1_30default_config_static_selectorELNS0_4arch9wavefront6targetE0EEEvSV_,comdat
.Lfunc_end791:
	.size	_ZN7rocprim17ROCPRIM_400000_NS6detail17trampoline_kernelINS0_14default_configENS1_29binary_search_config_selectorIiiEEZNS1_14transform_implILb0ES3_S5_N6thrust23THRUST_200600_302600_NS6detail15normal_iteratorINS8_7pointerIiNS8_11hip_rocprim5par_tENS8_11use_defaultESE_EEEESG_ZNS1_13binary_searchIS3_S5_NS8_10device_ptrIiEESG_SG_NS1_16binary_search_opENS9_16wrapped_functionINS8_6system6detail7generic6detail18binary_search_lessEbEEEE10hipError_tPvRmT1_T2_T3_mmT4_T5_P12ihipStream_tbEUlRKiE_EESS_SW_SX_mSY_S11_bEUlT_E_NS1_11comp_targetILNS1_3genE3ELNS1_11target_archE908ELNS1_3gpuE7ELNS1_3repE0EEENS1_30default_config_static_selectorELNS0_4arch9wavefront6targetE0EEEvSV_, .Lfunc_end791-_ZN7rocprim17ROCPRIM_400000_NS6detail17trampoline_kernelINS0_14default_configENS1_29binary_search_config_selectorIiiEEZNS1_14transform_implILb0ES3_S5_N6thrust23THRUST_200600_302600_NS6detail15normal_iteratorINS8_7pointerIiNS8_11hip_rocprim5par_tENS8_11use_defaultESE_EEEESG_ZNS1_13binary_searchIS3_S5_NS8_10device_ptrIiEESG_SG_NS1_16binary_search_opENS9_16wrapped_functionINS8_6system6detail7generic6detail18binary_search_lessEbEEEE10hipError_tPvRmT1_T2_T3_mmT4_T5_P12ihipStream_tbEUlRKiE_EESS_SW_SX_mSY_S11_bEUlT_E_NS1_11comp_targetILNS1_3genE3ELNS1_11target_archE908ELNS1_3gpuE7ELNS1_3repE0EEENS1_30default_config_static_selectorELNS0_4arch9wavefront6targetE0EEEvSV_
                                        ; -- End function
	.set _ZN7rocprim17ROCPRIM_400000_NS6detail17trampoline_kernelINS0_14default_configENS1_29binary_search_config_selectorIiiEEZNS1_14transform_implILb0ES3_S5_N6thrust23THRUST_200600_302600_NS6detail15normal_iteratorINS8_7pointerIiNS8_11hip_rocprim5par_tENS8_11use_defaultESE_EEEESG_ZNS1_13binary_searchIS3_S5_NS8_10device_ptrIiEESG_SG_NS1_16binary_search_opENS9_16wrapped_functionINS8_6system6detail7generic6detail18binary_search_lessEbEEEE10hipError_tPvRmT1_T2_T3_mmT4_T5_P12ihipStream_tbEUlRKiE_EESS_SW_SX_mSY_S11_bEUlT_E_NS1_11comp_targetILNS1_3genE3ELNS1_11target_archE908ELNS1_3gpuE7ELNS1_3repE0EEENS1_30default_config_static_selectorELNS0_4arch9wavefront6targetE0EEEvSV_.num_vgpr, 0
	.set _ZN7rocprim17ROCPRIM_400000_NS6detail17trampoline_kernelINS0_14default_configENS1_29binary_search_config_selectorIiiEEZNS1_14transform_implILb0ES3_S5_N6thrust23THRUST_200600_302600_NS6detail15normal_iteratorINS8_7pointerIiNS8_11hip_rocprim5par_tENS8_11use_defaultESE_EEEESG_ZNS1_13binary_searchIS3_S5_NS8_10device_ptrIiEESG_SG_NS1_16binary_search_opENS9_16wrapped_functionINS8_6system6detail7generic6detail18binary_search_lessEbEEEE10hipError_tPvRmT1_T2_T3_mmT4_T5_P12ihipStream_tbEUlRKiE_EESS_SW_SX_mSY_S11_bEUlT_E_NS1_11comp_targetILNS1_3genE3ELNS1_11target_archE908ELNS1_3gpuE7ELNS1_3repE0EEENS1_30default_config_static_selectorELNS0_4arch9wavefront6targetE0EEEvSV_.num_agpr, 0
	.set _ZN7rocprim17ROCPRIM_400000_NS6detail17trampoline_kernelINS0_14default_configENS1_29binary_search_config_selectorIiiEEZNS1_14transform_implILb0ES3_S5_N6thrust23THRUST_200600_302600_NS6detail15normal_iteratorINS8_7pointerIiNS8_11hip_rocprim5par_tENS8_11use_defaultESE_EEEESG_ZNS1_13binary_searchIS3_S5_NS8_10device_ptrIiEESG_SG_NS1_16binary_search_opENS9_16wrapped_functionINS8_6system6detail7generic6detail18binary_search_lessEbEEEE10hipError_tPvRmT1_T2_T3_mmT4_T5_P12ihipStream_tbEUlRKiE_EESS_SW_SX_mSY_S11_bEUlT_E_NS1_11comp_targetILNS1_3genE3ELNS1_11target_archE908ELNS1_3gpuE7ELNS1_3repE0EEENS1_30default_config_static_selectorELNS0_4arch9wavefront6targetE0EEEvSV_.numbered_sgpr, 0
	.set _ZN7rocprim17ROCPRIM_400000_NS6detail17trampoline_kernelINS0_14default_configENS1_29binary_search_config_selectorIiiEEZNS1_14transform_implILb0ES3_S5_N6thrust23THRUST_200600_302600_NS6detail15normal_iteratorINS8_7pointerIiNS8_11hip_rocprim5par_tENS8_11use_defaultESE_EEEESG_ZNS1_13binary_searchIS3_S5_NS8_10device_ptrIiEESG_SG_NS1_16binary_search_opENS9_16wrapped_functionINS8_6system6detail7generic6detail18binary_search_lessEbEEEE10hipError_tPvRmT1_T2_T3_mmT4_T5_P12ihipStream_tbEUlRKiE_EESS_SW_SX_mSY_S11_bEUlT_E_NS1_11comp_targetILNS1_3genE3ELNS1_11target_archE908ELNS1_3gpuE7ELNS1_3repE0EEENS1_30default_config_static_selectorELNS0_4arch9wavefront6targetE0EEEvSV_.num_named_barrier, 0
	.set _ZN7rocprim17ROCPRIM_400000_NS6detail17trampoline_kernelINS0_14default_configENS1_29binary_search_config_selectorIiiEEZNS1_14transform_implILb0ES3_S5_N6thrust23THRUST_200600_302600_NS6detail15normal_iteratorINS8_7pointerIiNS8_11hip_rocprim5par_tENS8_11use_defaultESE_EEEESG_ZNS1_13binary_searchIS3_S5_NS8_10device_ptrIiEESG_SG_NS1_16binary_search_opENS9_16wrapped_functionINS8_6system6detail7generic6detail18binary_search_lessEbEEEE10hipError_tPvRmT1_T2_T3_mmT4_T5_P12ihipStream_tbEUlRKiE_EESS_SW_SX_mSY_S11_bEUlT_E_NS1_11comp_targetILNS1_3genE3ELNS1_11target_archE908ELNS1_3gpuE7ELNS1_3repE0EEENS1_30default_config_static_selectorELNS0_4arch9wavefront6targetE0EEEvSV_.private_seg_size, 0
	.set _ZN7rocprim17ROCPRIM_400000_NS6detail17trampoline_kernelINS0_14default_configENS1_29binary_search_config_selectorIiiEEZNS1_14transform_implILb0ES3_S5_N6thrust23THRUST_200600_302600_NS6detail15normal_iteratorINS8_7pointerIiNS8_11hip_rocprim5par_tENS8_11use_defaultESE_EEEESG_ZNS1_13binary_searchIS3_S5_NS8_10device_ptrIiEESG_SG_NS1_16binary_search_opENS9_16wrapped_functionINS8_6system6detail7generic6detail18binary_search_lessEbEEEE10hipError_tPvRmT1_T2_T3_mmT4_T5_P12ihipStream_tbEUlRKiE_EESS_SW_SX_mSY_S11_bEUlT_E_NS1_11comp_targetILNS1_3genE3ELNS1_11target_archE908ELNS1_3gpuE7ELNS1_3repE0EEENS1_30default_config_static_selectorELNS0_4arch9wavefront6targetE0EEEvSV_.uses_vcc, 0
	.set _ZN7rocprim17ROCPRIM_400000_NS6detail17trampoline_kernelINS0_14default_configENS1_29binary_search_config_selectorIiiEEZNS1_14transform_implILb0ES3_S5_N6thrust23THRUST_200600_302600_NS6detail15normal_iteratorINS8_7pointerIiNS8_11hip_rocprim5par_tENS8_11use_defaultESE_EEEESG_ZNS1_13binary_searchIS3_S5_NS8_10device_ptrIiEESG_SG_NS1_16binary_search_opENS9_16wrapped_functionINS8_6system6detail7generic6detail18binary_search_lessEbEEEE10hipError_tPvRmT1_T2_T3_mmT4_T5_P12ihipStream_tbEUlRKiE_EESS_SW_SX_mSY_S11_bEUlT_E_NS1_11comp_targetILNS1_3genE3ELNS1_11target_archE908ELNS1_3gpuE7ELNS1_3repE0EEENS1_30default_config_static_selectorELNS0_4arch9wavefront6targetE0EEEvSV_.uses_flat_scratch, 0
	.set _ZN7rocprim17ROCPRIM_400000_NS6detail17trampoline_kernelINS0_14default_configENS1_29binary_search_config_selectorIiiEEZNS1_14transform_implILb0ES3_S5_N6thrust23THRUST_200600_302600_NS6detail15normal_iteratorINS8_7pointerIiNS8_11hip_rocprim5par_tENS8_11use_defaultESE_EEEESG_ZNS1_13binary_searchIS3_S5_NS8_10device_ptrIiEESG_SG_NS1_16binary_search_opENS9_16wrapped_functionINS8_6system6detail7generic6detail18binary_search_lessEbEEEE10hipError_tPvRmT1_T2_T3_mmT4_T5_P12ihipStream_tbEUlRKiE_EESS_SW_SX_mSY_S11_bEUlT_E_NS1_11comp_targetILNS1_3genE3ELNS1_11target_archE908ELNS1_3gpuE7ELNS1_3repE0EEENS1_30default_config_static_selectorELNS0_4arch9wavefront6targetE0EEEvSV_.has_dyn_sized_stack, 0
	.set _ZN7rocprim17ROCPRIM_400000_NS6detail17trampoline_kernelINS0_14default_configENS1_29binary_search_config_selectorIiiEEZNS1_14transform_implILb0ES3_S5_N6thrust23THRUST_200600_302600_NS6detail15normal_iteratorINS8_7pointerIiNS8_11hip_rocprim5par_tENS8_11use_defaultESE_EEEESG_ZNS1_13binary_searchIS3_S5_NS8_10device_ptrIiEESG_SG_NS1_16binary_search_opENS9_16wrapped_functionINS8_6system6detail7generic6detail18binary_search_lessEbEEEE10hipError_tPvRmT1_T2_T3_mmT4_T5_P12ihipStream_tbEUlRKiE_EESS_SW_SX_mSY_S11_bEUlT_E_NS1_11comp_targetILNS1_3genE3ELNS1_11target_archE908ELNS1_3gpuE7ELNS1_3repE0EEENS1_30default_config_static_selectorELNS0_4arch9wavefront6targetE0EEEvSV_.has_recursion, 0
	.set _ZN7rocprim17ROCPRIM_400000_NS6detail17trampoline_kernelINS0_14default_configENS1_29binary_search_config_selectorIiiEEZNS1_14transform_implILb0ES3_S5_N6thrust23THRUST_200600_302600_NS6detail15normal_iteratorINS8_7pointerIiNS8_11hip_rocprim5par_tENS8_11use_defaultESE_EEEESG_ZNS1_13binary_searchIS3_S5_NS8_10device_ptrIiEESG_SG_NS1_16binary_search_opENS9_16wrapped_functionINS8_6system6detail7generic6detail18binary_search_lessEbEEEE10hipError_tPvRmT1_T2_T3_mmT4_T5_P12ihipStream_tbEUlRKiE_EESS_SW_SX_mSY_S11_bEUlT_E_NS1_11comp_targetILNS1_3genE3ELNS1_11target_archE908ELNS1_3gpuE7ELNS1_3repE0EEENS1_30default_config_static_selectorELNS0_4arch9wavefront6targetE0EEEvSV_.has_indirect_call, 0
	.section	.AMDGPU.csdata,"",@progbits
; Kernel info:
; codeLenInByte = 0
; TotalNumSgprs: 0
; NumVgprs: 0
; ScratchSize: 0
; MemoryBound: 0
; FloatMode: 240
; IeeeMode: 1
; LDSByteSize: 0 bytes/workgroup (compile time only)
; SGPRBlocks: 0
; VGPRBlocks: 0
; NumSGPRsForWavesPerEU: 1
; NumVGPRsForWavesPerEU: 1
; Occupancy: 16
; WaveLimiterHint : 0
; COMPUTE_PGM_RSRC2:SCRATCH_EN: 0
; COMPUTE_PGM_RSRC2:USER_SGPR: 6
; COMPUTE_PGM_RSRC2:TRAP_HANDLER: 0
; COMPUTE_PGM_RSRC2:TGID_X_EN: 1
; COMPUTE_PGM_RSRC2:TGID_Y_EN: 0
; COMPUTE_PGM_RSRC2:TGID_Z_EN: 0
; COMPUTE_PGM_RSRC2:TIDIG_COMP_CNT: 0
	.section	.text._ZN7rocprim17ROCPRIM_400000_NS6detail17trampoline_kernelINS0_14default_configENS1_29binary_search_config_selectorIiiEEZNS1_14transform_implILb0ES3_S5_N6thrust23THRUST_200600_302600_NS6detail15normal_iteratorINS8_7pointerIiNS8_11hip_rocprim5par_tENS8_11use_defaultESE_EEEESG_ZNS1_13binary_searchIS3_S5_NS8_10device_ptrIiEESG_SG_NS1_16binary_search_opENS9_16wrapped_functionINS8_6system6detail7generic6detail18binary_search_lessEbEEEE10hipError_tPvRmT1_T2_T3_mmT4_T5_P12ihipStream_tbEUlRKiE_EESS_SW_SX_mSY_S11_bEUlT_E_NS1_11comp_targetILNS1_3genE2ELNS1_11target_archE906ELNS1_3gpuE6ELNS1_3repE0EEENS1_30default_config_static_selectorELNS0_4arch9wavefront6targetE0EEEvSV_,"axG",@progbits,_ZN7rocprim17ROCPRIM_400000_NS6detail17trampoline_kernelINS0_14default_configENS1_29binary_search_config_selectorIiiEEZNS1_14transform_implILb0ES3_S5_N6thrust23THRUST_200600_302600_NS6detail15normal_iteratorINS8_7pointerIiNS8_11hip_rocprim5par_tENS8_11use_defaultESE_EEEESG_ZNS1_13binary_searchIS3_S5_NS8_10device_ptrIiEESG_SG_NS1_16binary_search_opENS9_16wrapped_functionINS8_6system6detail7generic6detail18binary_search_lessEbEEEE10hipError_tPvRmT1_T2_T3_mmT4_T5_P12ihipStream_tbEUlRKiE_EESS_SW_SX_mSY_S11_bEUlT_E_NS1_11comp_targetILNS1_3genE2ELNS1_11target_archE906ELNS1_3gpuE6ELNS1_3repE0EEENS1_30default_config_static_selectorELNS0_4arch9wavefront6targetE0EEEvSV_,comdat
	.protected	_ZN7rocprim17ROCPRIM_400000_NS6detail17trampoline_kernelINS0_14default_configENS1_29binary_search_config_selectorIiiEEZNS1_14transform_implILb0ES3_S5_N6thrust23THRUST_200600_302600_NS6detail15normal_iteratorINS8_7pointerIiNS8_11hip_rocprim5par_tENS8_11use_defaultESE_EEEESG_ZNS1_13binary_searchIS3_S5_NS8_10device_ptrIiEESG_SG_NS1_16binary_search_opENS9_16wrapped_functionINS8_6system6detail7generic6detail18binary_search_lessEbEEEE10hipError_tPvRmT1_T2_T3_mmT4_T5_P12ihipStream_tbEUlRKiE_EESS_SW_SX_mSY_S11_bEUlT_E_NS1_11comp_targetILNS1_3genE2ELNS1_11target_archE906ELNS1_3gpuE6ELNS1_3repE0EEENS1_30default_config_static_selectorELNS0_4arch9wavefront6targetE0EEEvSV_ ; -- Begin function _ZN7rocprim17ROCPRIM_400000_NS6detail17trampoline_kernelINS0_14default_configENS1_29binary_search_config_selectorIiiEEZNS1_14transform_implILb0ES3_S5_N6thrust23THRUST_200600_302600_NS6detail15normal_iteratorINS8_7pointerIiNS8_11hip_rocprim5par_tENS8_11use_defaultESE_EEEESG_ZNS1_13binary_searchIS3_S5_NS8_10device_ptrIiEESG_SG_NS1_16binary_search_opENS9_16wrapped_functionINS8_6system6detail7generic6detail18binary_search_lessEbEEEE10hipError_tPvRmT1_T2_T3_mmT4_T5_P12ihipStream_tbEUlRKiE_EESS_SW_SX_mSY_S11_bEUlT_E_NS1_11comp_targetILNS1_3genE2ELNS1_11target_archE906ELNS1_3gpuE6ELNS1_3repE0EEENS1_30default_config_static_selectorELNS0_4arch9wavefront6targetE0EEEvSV_
	.globl	_ZN7rocprim17ROCPRIM_400000_NS6detail17trampoline_kernelINS0_14default_configENS1_29binary_search_config_selectorIiiEEZNS1_14transform_implILb0ES3_S5_N6thrust23THRUST_200600_302600_NS6detail15normal_iteratorINS8_7pointerIiNS8_11hip_rocprim5par_tENS8_11use_defaultESE_EEEESG_ZNS1_13binary_searchIS3_S5_NS8_10device_ptrIiEESG_SG_NS1_16binary_search_opENS9_16wrapped_functionINS8_6system6detail7generic6detail18binary_search_lessEbEEEE10hipError_tPvRmT1_T2_T3_mmT4_T5_P12ihipStream_tbEUlRKiE_EESS_SW_SX_mSY_S11_bEUlT_E_NS1_11comp_targetILNS1_3genE2ELNS1_11target_archE906ELNS1_3gpuE6ELNS1_3repE0EEENS1_30default_config_static_selectorELNS0_4arch9wavefront6targetE0EEEvSV_
	.p2align	8
	.type	_ZN7rocprim17ROCPRIM_400000_NS6detail17trampoline_kernelINS0_14default_configENS1_29binary_search_config_selectorIiiEEZNS1_14transform_implILb0ES3_S5_N6thrust23THRUST_200600_302600_NS6detail15normal_iteratorINS8_7pointerIiNS8_11hip_rocprim5par_tENS8_11use_defaultESE_EEEESG_ZNS1_13binary_searchIS3_S5_NS8_10device_ptrIiEESG_SG_NS1_16binary_search_opENS9_16wrapped_functionINS8_6system6detail7generic6detail18binary_search_lessEbEEEE10hipError_tPvRmT1_T2_T3_mmT4_T5_P12ihipStream_tbEUlRKiE_EESS_SW_SX_mSY_S11_bEUlT_E_NS1_11comp_targetILNS1_3genE2ELNS1_11target_archE906ELNS1_3gpuE6ELNS1_3repE0EEENS1_30default_config_static_selectorELNS0_4arch9wavefront6targetE0EEEvSV_,@function
_ZN7rocprim17ROCPRIM_400000_NS6detail17trampoline_kernelINS0_14default_configENS1_29binary_search_config_selectorIiiEEZNS1_14transform_implILb0ES3_S5_N6thrust23THRUST_200600_302600_NS6detail15normal_iteratorINS8_7pointerIiNS8_11hip_rocprim5par_tENS8_11use_defaultESE_EEEESG_ZNS1_13binary_searchIS3_S5_NS8_10device_ptrIiEESG_SG_NS1_16binary_search_opENS9_16wrapped_functionINS8_6system6detail7generic6detail18binary_search_lessEbEEEE10hipError_tPvRmT1_T2_T3_mmT4_T5_P12ihipStream_tbEUlRKiE_EESS_SW_SX_mSY_S11_bEUlT_E_NS1_11comp_targetILNS1_3genE2ELNS1_11target_archE906ELNS1_3gpuE6ELNS1_3repE0EEENS1_30default_config_static_selectorELNS0_4arch9wavefront6targetE0EEEvSV_: ; @_ZN7rocprim17ROCPRIM_400000_NS6detail17trampoline_kernelINS0_14default_configENS1_29binary_search_config_selectorIiiEEZNS1_14transform_implILb0ES3_S5_N6thrust23THRUST_200600_302600_NS6detail15normal_iteratorINS8_7pointerIiNS8_11hip_rocprim5par_tENS8_11use_defaultESE_EEEESG_ZNS1_13binary_searchIS3_S5_NS8_10device_ptrIiEESG_SG_NS1_16binary_search_opENS9_16wrapped_functionINS8_6system6detail7generic6detail18binary_search_lessEbEEEE10hipError_tPvRmT1_T2_T3_mmT4_T5_P12ihipStream_tbEUlRKiE_EESS_SW_SX_mSY_S11_bEUlT_E_NS1_11comp_targetILNS1_3genE2ELNS1_11target_archE906ELNS1_3gpuE6ELNS1_3repE0EEENS1_30default_config_static_selectorELNS0_4arch9wavefront6targetE0EEEvSV_
; %bb.0:
	.section	.rodata,"a",@progbits
	.p2align	6, 0x0
	.amdhsa_kernel _ZN7rocprim17ROCPRIM_400000_NS6detail17trampoline_kernelINS0_14default_configENS1_29binary_search_config_selectorIiiEEZNS1_14transform_implILb0ES3_S5_N6thrust23THRUST_200600_302600_NS6detail15normal_iteratorINS8_7pointerIiNS8_11hip_rocprim5par_tENS8_11use_defaultESE_EEEESG_ZNS1_13binary_searchIS3_S5_NS8_10device_ptrIiEESG_SG_NS1_16binary_search_opENS9_16wrapped_functionINS8_6system6detail7generic6detail18binary_search_lessEbEEEE10hipError_tPvRmT1_T2_T3_mmT4_T5_P12ihipStream_tbEUlRKiE_EESS_SW_SX_mSY_S11_bEUlT_E_NS1_11comp_targetILNS1_3genE2ELNS1_11target_archE906ELNS1_3gpuE6ELNS1_3repE0EEENS1_30default_config_static_selectorELNS0_4arch9wavefront6targetE0EEEvSV_
		.amdhsa_group_segment_fixed_size 0
		.amdhsa_private_segment_fixed_size 0
		.amdhsa_kernarg_size 56
		.amdhsa_user_sgpr_count 6
		.amdhsa_user_sgpr_private_segment_buffer 1
		.amdhsa_user_sgpr_dispatch_ptr 0
		.amdhsa_user_sgpr_queue_ptr 0
		.amdhsa_user_sgpr_kernarg_segment_ptr 1
		.amdhsa_user_sgpr_dispatch_id 0
		.amdhsa_user_sgpr_flat_scratch_init 0
		.amdhsa_user_sgpr_private_segment_size 0
		.amdhsa_wavefront_size32 1
		.amdhsa_uses_dynamic_stack 0
		.amdhsa_system_sgpr_private_segment_wavefront_offset 0
		.amdhsa_system_sgpr_workgroup_id_x 1
		.amdhsa_system_sgpr_workgroup_id_y 0
		.amdhsa_system_sgpr_workgroup_id_z 0
		.amdhsa_system_sgpr_workgroup_info 0
		.amdhsa_system_vgpr_workitem_id 0
		.amdhsa_next_free_vgpr 1
		.amdhsa_next_free_sgpr 1
		.amdhsa_reserve_vcc 0
		.amdhsa_reserve_flat_scratch 0
		.amdhsa_float_round_mode_32 0
		.amdhsa_float_round_mode_16_64 0
		.amdhsa_float_denorm_mode_32 3
		.amdhsa_float_denorm_mode_16_64 3
		.amdhsa_dx10_clamp 1
		.amdhsa_ieee_mode 1
		.amdhsa_fp16_overflow 0
		.amdhsa_workgroup_processor_mode 1
		.amdhsa_memory_ordered 1
		.amdhsa_forward_progress 1
		.amdhsa_shared_vgpr_count 0
		.amdhsa_exception_fp_ieee_invalid_op 0
		.amdhsa_exception_fp_denorm_src 0
		.amdhsa_exception_fp_ieee_div_zero 0
		.amdhsa_exception_fp_ieee_overflow 0
		.amdhsa_exception_fp_ieee_underflow 0
		.amdhsa_exception_fp_ieee_inexact 0
		.amdhsa_exception_int_div_zero 0
	.end_amdhsa_kernel
	.section	.text._ZN7rocprim17ROCPRIM_400000_NS6detail17trampoline_kernelINS0_14default_configENS1_29binary_search_config_selectorIiiEEZNS1_14transform_implILb0ES3_S5_N6thrust23THRUST_200600_302600_NS6detail15normal_iteratorINS8_7pointerIiNS8_11hip_rocprim5par_tENS8_11use_defaultESE_EEEESG_ZNS1_13binary_searchIS3_S5_NS8_10device_ptrIiEESG_SG_NS1_16binary_search_opENS9_16wrapped_functionINS8_6system6detail7generic6detail18binary_search_lessEbEEEE10hipError_tPvRmT1_T2_T3_mmT4_T5_P12ihipStream_tbEUlRKiE_EESS_SW_SX_mSY_S11_bEUlT_E_NS1_11comp_targetILNS1_3genE2ELNS1_11target_archE906ELNS1_3gpuE6ELNS1_3repE0EEENS1_30default_config_static_selectorELNS0_4arch9wavefront6targetE0EEEvSV_,"axG",@progbits,_ZN7rocprim17ROCPRIM_400000_NS6detail17trampoline_kernelINS0_14default_configENS1_29binary_search_config_selectorIiiEEZNS1_14transform_implILb0ES3_S5_N6thrust23THRUST_200600_302600_NS6detail15normal_iteratorINS8_7pointerIiNS8_11hip_rocprim5par_tENS8_11use_defaultESE_EEEESG_ZNS1_13binary_searchIS3_S5_NS8_10device_ptrIiEESG_SG_NS1_16binary_search_opENS9_16wrapped_functionINS8_6system6detail7generic6detail18binary_search_lessEbEEEE10hipError_tPvRmT1_T2_T3_mmT4_T5_P12ihipStream_tbEUlRKiE_EESS_SW_SX_mSY_S11_bEUlT_E_NS1_11comp_targetILNS1_3genE2ELNS1_11target_archE906ELNS1_3gpuE6ELNS1_3repE0EEENS1_30default_config_static_selectorELNS0_4arch9wavefront6targetE0EEEvSV_,comdat
.Lfunc_end792:
	.size	_ZN7rocprim17ROCPRIM_400000_NS6detail17trampoline_kernelINS0_14default_configENS1_29binary_search_config_selectorIiiEEZNS1_14transform_implILb0ES3_S5_N6thrust23THRUST_200600_302600_NS6detail15normal_iteratorINS8_7pointerIiNS8_11hip_rocprim5par_tENS8_11use_defaultESE_EEEESG_ZNS1_13binary_searchIS3_S5_NS8_10device_ptrIiEESG_SG_NS1_16binary_search_opENS9_16wrapped_functionINS8_6system6detail7generic6detail18binary_search_lessEbEEEE10hipError_tPvRmT1_T2_T3_mmT4_T5_P12ihipStream_tbEUlRKiE_EESS_SW_SX_mSY_S11_bEUlT_E_NS1_11comp_targetILNS1_3genE2ELNS1_11target_archE906ELNS1_3gpuE6ELNS1_3repE0EEENS1_30default_config_static_selectorELNS0_4arch9wavefront6targetE0EEEvSV_, .Lfunc_end792-_ZN7rocprim17ROCPRIM_400000_NS6detail17trampoline_kernelINS0_14default_configENS1_29binary_search_config_selectorIiiEEZNS1_14transform_implILb0ES3_S5_N6thrust23THRUST_200600_302600_NS6detail15normal_iteratorINS8_7pointerIiNS8_11hip_rocprim5par_tENS8_11use_defaultESE_EEEESG_ZNS1_13binary_searchIS3_S5_NS8_10device_ptrIiEESG_SG_NS1_16binary_search_opENS9_16wrapped_functionINS8_6system6detail7generic6detail18binary_search_lessEbEEEE10hipError_tPvRmT1_T2_T3_mmT4_T5_P12ihipStream_tbEUlRKiE_EESS_SW_SX_mSY_S11_bEUlT_E_NS1_11comp_targetILNS1_3genE2ELNS1_11target_archE906ELNS1_3gpuE6ELNS1_3repE0EEENS1_30default_config_static_selectorELNS0_4arch9wavefront6targetE0EEEvSV_
                                        ; -- End function
	.set _ZN7rocprim17ROCPRIM_400000_NS6detail17trampoline_kernelINS0_14default_configENS1_29binary_search_config_selectorIiiEEZNS1_14transform_implILb0ES3_S5_N6thrust23THRUST_200600_302600_NS6detail15normal_iteratorINS8_7pointerIiNS8_11hip_rocprim5par_tENS8_11use_defaultESE_EEEESG_ZNS1_13binary_searchIS3_S5_NS8_10device_ptrIiEESG_SG_NS1_16binary_search_opENS9_16wrapped_functionINS8_6system6detail7generic6detail18binary_search_lessEbEEEE10hipError_tPvRmT1_T2_T3_mmT4_T5_P12ihipStream_tbEUlRKiE_EESS_SW_SX_mSY_S11_bEUlT_E_NS1_11comp_targetILNS1_3genE2ELNS1_11target_archE906ELNS1_3gpuE6ELNS1_3repE0EEENS1_30default_config_static_selectorELNS0_4arch9wavefront6targetE0EEEvSV_.num_vgpr, 0
	.set _ZN7rocprim17ROCPRIM_400000_NS6detail17trampoline_kernelINS0_14default_configENS1_29binary_search_config_selectorIiiEEZNS1_14transform_implILb0ES3_S5_N6thrust23THRUST_200600_302600_NS6detail15normal_iteratorINS8_7pointerIiNS8_11hip_rocprim5par_tENS8_11use_defaultESE_EEEESG_ZNS1_13binary_searchIS3_S5_NS8_10device_ptrIiEESG_SG_NS1_16binary_search_opENS9_16wrapped_functionINS8_6system6detail7generic6detail18binary_search_lessEbEEEE10hipError_tPvRmT1_T2_T3_mmT4_T5_P12ihipStream_tbEUlRKiE_EESS_SW_SX_mSY_S11_bEUlT_E_NS1_11comp_targetILNS1_3genE2ELNS1_11target_archE906ELNS1_3gpuE6ELNS1_3repE0EEENS1_30default_config_static_selectorELNS0_4arch9wavefront6targetE0EEEvSV_.num_agpr, 0
	.set _ZN7rocprim17ROCPRIM_400000_NS6detail17trampoline_kernelINS0_14default_configENS1_29binary_search_config_selectorIiiEEZNS1_14transform_implILb0ES3_S5_N6thrust23THRUST_200600_302600_NS6detail15normal_iteratorINS8_7pointerIiNS8_11hip_rocprim5par_tENS8_11use_defaultESE_EEEESG_ZNS1_13binary_searchIS3_S5_NS8_10device_ptrIiEESG_SG_NS1_16binary_search_opENS9_16wrapped_functionINS8_6system6detail7generic6detail18binary_search_lessEbEEEE10hipError_tPvRmT1_T2_T3_mmT4_T5_P12ihipStream_tbEUlRKiE_EESS_SW_SX_mSY_S11_bEUlT_E_NS1_11comp_targetILNS1_3genE2ELNS1_11target_archE906ELNS1_3gpuE6ELNS1_3repE0EEENS1_30default_config_static_selectorELNS0_4arch9wavefront6targetE0EEEvSV_.numbered_sgpr, 0
	.set _ZN7rocprim17ROCPRIM_400000_NS6detail17trampoline_kernelINS0_14default_configENS1_29binary_search_config_selectorIiiEEZNS1_14transform_implILb0ES3_S5_N6thrust23THRUST_200600_302600_NS6detail15normal_iteratorINS8_7pointerIiNS8_11hip_rocprim5par_tENS8_11use_defaultESE_EEEESG_ZNS1_13binary_searchIS3_S5_NS8_10device_ptrIiEESG_SG_NS1_16binary_search_opENS9_16wrapped_functionINS8_6system6detail7generic6detail18binary_search_lessEbEEEE10hipError_tPvRmT1_T2_T3_mmT4_T5_P12ihipStream_tbEUlRKiE_EESS_SW_SX_mSY_S11_bEUlT_E_NS1_11comp_targetILNS1_3genE2ELNS1_11target_archE906ELNS1_3gpuE6ELNS1_3repE0EEENS1_30default_config_static_selectorELNS0_4arch9wavefront6targetE0EEEvSV_.num_named_barrier, 0
	.set _ZN7rocprim17ROCPRIM_400000_NS6detail17trampoline_kernelINS0_14default_configENS1_29binary_search_config_selectorIiiEEZNS1_14transform_implILb0ES3_S5_N6thrust23THRUST_200600_302600_NS6detail15normal_iteratorINS8_7pointerIiNS8_11hip_rocprim5par_tENS8_11use_defaultESE_EEEESG_ZNS1_13binary_searchIS3_S5_NS8_10device_ptrIiEESG_SG_NS1_16binary_search_opENS9_16wrapped_functionINS8_6system6detail7generic6detail18binary_search_lessEbEEEE10hipError_tPvRmT1_T2_T3_mmT4_T5_P12ihipStream_tbEUlRKiE_EESS_SW_SX_mSY_S11_bEUlT_E_NS1_11comp_targetILNS1_3genE2ELNS1_11target_archE906ELNS1_3gpuE6ELNS1_3repE0EEENS1_30default_config_static_selectorELNS0_4arch9wavefront6targetE0EEEvSV_.private_seg_size, 0
	.set _ZN7rocprim17ROCPRIM_400000_NS6detail17trampoline_kernelINS0_14default_configENS1_29binary_search_config_selectorIiiEEZNS1_14transform_implILb0ES3_S5_N6thrust23THRUST_200600_302600_NS6detail15normal_iteratorINS8_7pointerIiNS8_11hip_rocprim5par_tENS8_11use_defaultESE_EEEESG_ZNS1_13binary_searchIS3_S5_NS8_10device_ptrIiEESG_SG_NS1_16binary_search_opENS9_16wrapped_functionINS8_6system6detail7generic6detail18binary_search_lessEbEEEE10hipError_tPvRmT1_T2_T3_mmT4_T5_P12ihipStream_tbEUlRKiE_EESS_SW_SX_mSY_S11_bEUlT_E_NS1_11comp_targetILNS1_3genE2ELNS1_11target_archE906ELNS1_3gpuE6ELNS1_3repE0EEENS1_30default_config_static_selectorELNS0_4arch9wavefront6targetE0EEEvSV_.uses_vcc, 0
	.set _ZN7rocprim17ROCPRIM_400000_NS6detail17trampoline_kernelINS0_14default_configENS1_29binary_search_config_selectorIiiEEZNS1_14transform_implILb0ES3_S5_N6thrust23THRUST_200600_302600_NS6detail15normal_iteratorINS8_7pointerIiNS8_11hip_rocprim5par_tENS8_11use_defaultESE_EEEESG_ZNS1_13binary_searchIS3_S5_NS8_10device_ptrIiEESG_SG_NS1_16binary_search_opENS9_16wrapped_functionINS8_6system6detail7generic6detail18binary_search_lessEbEEEE10hipError_tPvRmT1_T2_T3_mmT4_T5_P12ihipStream_tbEUlRKiE_EESS_SW_SX_mSY_S11_bEUlT_E_NS1_11comp_targetILNS1_3genE2ELNS1_11target_archE906ELNS1_3gpuE6ELNS1_3repE0EEENS1_30default_config_static_selectorELNS0_4arch9wavefront6targetE0EEEvSV_.uses_flat_scratch, 0
	.set _ZN7rocprim17ROCPRIM_400000_NS6detail17trampoline_kernelINS0_14default_configENS1_29binary_search_config_selectorIiiEEZNS1_14transform_implILb0ES3_S5_N6thrust23THRUST_200600_302600_NS6detail15normal_iteratorINS8_7pointerIiNS8_11hip_rocprim5par_tENS8_11use_defaultESE_EEEESG_ZNS1_13binary_searchIS3_S5_NS8_10device_ptrIiEESG_SG_NS1_16binary_search_opENS9_16wrapped_functionINS8_6system6detail7generic6detail18binary_search_lessEbEEEE10hipError_tPvRmT1_T2_T3_mmT4_T5_P12ihipStream_tbEUlRKiE_EESS_SW_SX_mSY_S11_bEUlT_E_NS1_11comp_targetILNS1_3genE2ELNS1_11target_archE906ELNS1_3gpuE6ELNS1_3repE0EEENS1_30default_config_static_selectorELNS0_4arch9wavefront6targetE0EEEvSV_.has_dyn_sized_stack, 0
	.set _ZN7rocprim17ROCPRIM_400000_NS6detail17trampoline_kernelINS0_14default_configENS1_29binary_search_config_selectorIiiEEZNS1_14transform_implILb0ES3_S5_N6thrust23THRUST_200600_302600_NS6detail15normal_iteratorINS8_7pointerIiNS8_11hip_rocprim5par_tENS8_11use_defaultESE_EEEESG_ZNS1_13binary_searchIS3_S5_NS8_10device_ptrIiEESG_SG_NS1_16binary_search_opENS9_16wrapped_functionINS8_6system6detail7generic6detail18binary_search_lessEbEEEE10hipError_tPvRmT1_T2_T3_mmT4_T5_P12ihipStream_tbEUlRKiE_EESS_SW_SX_mSY_S11_bEUlT_E_NS1_11comp_targetILNS1_3genE2ELNS1_11target_archE906ELNS1_3gpuE6ELNS1_3repE0EEENS1_30default_config_static_selectorELNS0_4arch9wavefront6targetE0EEEvSV_.has_recursion, 0
	.set _ZN7rocprim17ROCPRIM_400000_NS6detail17trampoline_kernelINS0_14default_configENS1_29binary_search_config_selectorIiiEEZNS1_14transform_implILb0ES3_S5_N6thrust23THRUST_200600_302600_NS6detail15normal_iteratorINS8_7pointerIiNS8_11hip_rocprim5par_tENS8_11use_defaultESE_EEEESG_ZNS1_13binary_searchIS3_S5_NS8_10device_ptrIiEESG_SG_NS1_16binary_search_opENS9_16wrapped_functionINS8_6system6detail7generic6detail18binary_search_lessEbEEEE10hipError_tPvRmT1_T2_T3_mmT4_T5_P12ihipStream_tbEUlRKiE_EESS_SW_SX_mSY_S11_bEUlT_E_NS1_11comp_targetILNS1_3genE2ELNS1_11target_archE906ELNS1_3gpuE6ELNS1_3repE0EEENS1_30default_config_static_selectorELNS0_4arch9wavefront6targetE0EEEvSV_.has_indirect_call, 0
	.section	.AMDGPU.csdata,"",@progbits
; Kernel info:
; codeLenInByte = 0
; TotalNumSgprs: 0
; NumVgprs: 0
; ScratchSize: 0
; MemoryBound: 0
; FloatMode: 240
; IeeeMode: 1
; LDSByteSize: 0 bytes/workgroup (compile time only)
; SGPRBlocks: 0
; VGPRBlocks: 0
; NumSGPRsForWavesPerEU: 1
; NumVGPRsForWavesPerEU: 1
; Occupancy: 16
; WaveLimiterHint : 0
; COMPUTE_PGM_RSRC2:SCRATCH_EN: 0
; COMPUTE_PGM_RSRC2:USER_SGPR: 6
; COMPUTE_PGM_RSRC2:TRAP_HANDLER: 0
; COMPUTE_PGM_RSRC2:TGID_X_EN: 1
; COMPUTE_PGM_RSRC2:TGID_Y_EN: 0
; COMPUTE_PGM_RSRC2:TGID_Z_EN: 0
; COMPUTE_PGM_RSRC2:TIDIG_COMP_CNT: 0
	.section	.text._ZN7rocprim17ROCPRIM_400000_NS6detail17trampoline_kernelINS0_14default_configENS1_29binary_search_config_selectorIiiEEZNS1_14transform_implILb0ES3_S5_N6thrust23THRUST_200600_302600_NS6detail15normal_iteratorINS8_7pointerIiNS8_11hip_rocprim5par_tENS8_11use_defaultESE_EEEESG_ZNS1_13binary_searchIS3_S5_NS8_10device_ptrIiEESG_SG_NS1_16binary_search_opENS9_16wrapped_functionINS8_6system6detail7generic6detail18binary_search_lessEbEEEE10hipError_tPvRmT1_T2_T3_mmT4_T5_P12ihipStream_tbEUlRKiE_EESS_SW_SX_mSY_S11_bEUlT_E_NS1_11comp_targetILNS1_3genE10ELNS1_11target_archE1201ELNS1_3gpuE5ELNS1_3repE0EEENS1_30default_config_static_selectorELNS0_4arch9wavefront6targetE0EEEvSV_,"axG",@progbits,_ZN7rocprim17ROCPRIM_400000_NS6detail17trampoline_kernelINS0_14default_configENS1_29binary_search_config_selectorIiiEEZNS1_14transform_implILb0ES3_S5_N6thrust23THRUST_200600_302600_NS6detail15normal_iteratorINS8_7pointerIiNS8_11hip_rocprim5par_tENS8_11use_defaultESE_EEEESG_ZNS1_13binary_searchIS3_S5_NS8_10device_ptrIiEESG_SG_NS1_16binary_search_opENS9_16wrapped_functionINS8_6system6detail7generic6detail18binary_search_lessEbEEEE10hipError_tPvRmT1_T2_T3_mmT4_T5_P12ihipStream_tbEUlRKiE_EESS_SW_SX_mSY_S11_bEUlT_E_NS1_11comp_targetILNS1_3genE10ELNS1_11target_archE1201ELNS1_3gpuE5ELNS1_3repE0EEENS1_30default_config_static_selectorELNS0_4arch9wavefront6targetE0EEEvSV_,comdat
	.protected	_ZN7rocprim17ROCPRIM_400000_NS6detail17trampoline_kernelINS0_14default_configENS1_29binary_search_config_selectorIiiEEZNS1_14transform_implILb0ES3_S5_N6thrust23THRUST_200600_302600_NS6detail15normal_iteratorINS8_7pointerIiNS8_11hip_rocprim5par_tENS8_11use_defaultESE_EEEESG_ZNS1_13binary_searchIS3_S5_NS8_10device_ptrIiEESG_SG_NS1_16binary_search_opENS9_16wrapped_functionINS8_6system6detail7generic6detail18binary_search_lessEbEEEE10hipError_tPvRmT1_T2_T3_mmT4_T5_P12ihipStream_tbEUlRKiE_EESS_SW_SX_mSY_S11_bEUlT_E_NS1_11comp_targetILNS1_3genE10ELNS1_11target_archE1201ELNS1_3gpuE5ELNS1_3repE0EEENS1_30default_config_static_selectorELNS0_4arch9wavefront6targetE0EEEvSV_ ; -- Begin function _ZN7rocprim17ROCPRIM_400000_NS6detail17trampoline_kernelINS0_14default_configENS1_29binary_search_config_selectorIiiEEZNS1_14transform_implILb0ES3_S5_N6thrust23THRUST_200600_302600_NS6detail15normal_iteratorINS8_7pointerIiNS8_11hip_rocprim5par_tENS8_11use_defaultESE_EEEESG_ZNS1_13binary_searchIS3_S5_NS8_10device_ptrIiEESG_SG_NS1_16binary_search_opENS9_16wrapped_functionINS8_6system6detail7generic6detail18binary_search_lessEbEEEE10hipError_tPvRmT1_T2_T3_mmT4_T5_P12ihipStream_tbEUlRKiE_EESS_SW_SX_mSY_S11_bEUlT_E_NS1_11comp_targetILNS1_3genE10ELNS1_11target_archE1201ELNS1_3gpuE5ELNS1_3repE0EEENS1_30default_config_static_selectorELNS0_4arch9wavefront6targetE0EEEvSV_
	.globl	_ZN7rocprim17ROCPRIM_400000_NS6detail17trampoline_kernelINS0_14default_configENS1_29binary_search_config_selectorIiiEEZNS1_14transform_implILb0ES3_S5_N6thrust23THRUST_200600_302600_NS6detail15normal_iteratorINS8_7pointerIiNS8_11hip_rocprim5par_tENS8_11use_defaultESE_EEEESG_ZNS1_13binary_searchIS3_S5_NS8_10device_ptrIiEESG_SG_NS1_16binary_search_opENS9_16wrapped_functionINS8_6system6detail7generic6detail18binary_search_lessEbEEEE10hipError_tPvRmT1_T2_T3_mmT4_T5_P12ihipStream_tbEUlRKiE_EESS_SW_SX_mSY_S11_bEUlT_E_NS1_11comp_targetILNS1_3genE10ELNS1_11target_archE1201ELNS1_3gpuE5ELNS1_3repE0EEENS1_30default_config_static_selectorELNS0_4arch9wavefront6targetE0EEEvSV_
	.p2align	8
	.type	_ZN7rocprim17ROCPRIM_400000_NS6detail17trampoline_kernelINS0_14default_configENS1_29binary_search_config_selectorIiiEEZNS1_14transform_implILb0ES3_S5_N6thrust23THRUST_200600_302600_NS6detail15normal_iteratorINS8_7pointerIiNS8_11hip_rocprim5par_tENS8_11use_defaultESE_EEEESG_ZNS1_13binary_searchIS3_S5_NS8_10device_ptrIiEESG_SG_NS1_16binary_search_opENS9_16wrapped_functionINS8_6system6detail7generic6detail18binary_search_lessEbEEEE10hipError_tPvRmT1_T2_T3_mmT4_T5_P12ihipStream_tbEUlRKiE_EESS_SW_SX_mSY_S11_bEUlT_E_NS1_11comp_targetILNS1_3genE10ELNS1_11target_archE1201ELNS1_3gpuE5ELNS1_3repE0EEENS1_30default_config_static_selectorELNS0_4arch9wavefront6targetE0EEEvSV_,@function
_ZN7rocprim17ROCPRIM_400000_NS6detail17trampoline_kernelINS0_14default_configENS1_29binary_search_config_selectorIiiEEZNS1_14transform_implILb0ES3_S5_N6thrust23THRUST_200600_302600_NS6detail15normal_iteratorINS8_7pointerIiNS8_11hip_rocprim5par_tENS8_11use_defaultESE_EEEESG_ZNS1_13binary_searchIS3_S5_NS8_10device_ptrIiEESG_SG_NS1_16binary_search_opENS9_16wrapped_functionINS8_6system6detail7generic6detail18binary_search_lessEbEEEE10hipError_tPvRmT1_T2_T3_mmT4_T5_P12ihipStream_tbEUlRKiE_EESS_SW_SX_mSY_S11_bEUlT_E_NS1_11comp_targetILNS1_3genE10ELNS1_11target_archE1201ELNS1_3gpuE5ELNS1_3repE0EEENS1_30default_config_static_selectorELNS0_4arch9wavefront6targetE0EEEvSV_: ; @_ZN7rocprim17ROCPRIM_400000_NS6detail17trampoline_kernelINS0_14default_configENS1_29binary_search_config_selectorIiiEEZNS1_14transform_implILb0ES3_S5_N6thrust23THRUST_200600_302600_NS6detail15normal_iteratorINS8_7pointerIiNS8_11hip_rocprim5par_tENS8_11use_defaultESE_EEEESG_ZNS1_13binary_searchIS3_S5_NS8_10device_ptrIiEESG_SG_NS1_16binary_search_opENS9_16wrapped_functionINS8_6system6detail7generic6detail18binary_search_lessEbEEEE10hipError_tPvRmT1_T2_T3_mmT4_T5_P12ihipStream_tbEUlRKiE_EESS_SW_SX_mSY_S11_bEUlT_E_NS1_11comp_targetILNS1_3genE10ELNS1_11target_archE1201ELNS1_3gpuE5ELNS1_3repE0EEENS1_30default_config_static_selectorELNS0_4arch9wavefront6targetE0EEEvSV_
; %bb.0:
	.section	.rodata,"a",@progbits
	.p2align	6, 0x0
	.amdhsa_kernel _ZN7rocprim17ROCPRIM_400000_NS6detail17trampoline_kernelINS0_14default_configENS1_29binary_search_config_selectorIiiEEZNS1_14transform_implILb0ES3_S5_N6thrust23THRUST_200600_302600_NS6detail15normal_iteratorINS8_7pointerIiNS8_11hip_rocprim5par_tENS8_11use_defaultESE_EEEESG_ZNS1_13binary_searchIS3_S5_NS8_10device_ptrIiEESG_SG_NS1_16binary_search_opENS9_16wrapped_functionINS8_6system6detail7generic6detail18binary_search_lessEbEEEE10hipError_tPvRmT1_T2_T3_mmT4_T5_P12ihipStream_tbEUlRKiE_EESS_SW_SX_mSY_S11_bEUlT_E_NS1_11comp_targetILNS1_3genE10ELNS1_11target_archE1201ELNS1_3gpuE5ELNS1_3repE0EEENS1_30default_config_static_selectorELNS0_4arch9wavefront6targetE0EEEvSV_
		.amdhsa_group_segment_fixed_size 0
		.amdhsa_private_segment_fixed_size 0
		.amdhsa_kernarg_size 56
		.amdhsa_user_sgpr_count 6
		.amdhsa_user_sgpr_private_segment_buffer 1
		.amdhsa_user_sgpr_dispatch_ptr 0
		.amdhsa_user_sgpr_queue_ptr 0
		.amdhsa_user_sgpr_kernarg_segment_ptr 1
		.amdhsa_user_sgpr_dispatch_id 0
		.amdhsa_user_sgpr_flat_scratch_init 0
		.amdhsa_user_sgpr_private_segment_size 0
		.amdhsa_wavefront_size32 1
		.amdhsa_uses_dynamic_stack 0
		.amdhsa_system_sgpr_private_segment_wavefront_offset 0
		.amdhsa_system_sgpr_workgroup_id_x 1
		.amdhsa_system_sgpr_workgroup_id_y 0
		.amdhsa_system_sgpr_workgroup_id_z 0
		.amdhsa_system_sgpr_workgroup_info 0
		.amdhsa_system_vgpr_workitem_id 0
		.amdhsa_next_free_vgpr 1
		.amdhsa_next_free_sgpr 1
		.amdhsa_reserve_vcc 0
		.amdhsa_reserve_flat_scratch 0
		.amdhsa_float_round_mode_32 0
		.amdhsa_float_round_mode_16_64 0
		.amdhsa_float_denorm_mode_32 3
		.amdhsa_float_denorm_mode_16_64 3
		.amdhsa_dx10_clamp 1
		.amdhsa_ieee_mode 1
		.amdhsa_fp16_overflow 0
		.amdhsa_workgroup_processor_mode 1
		.amdhsa_memory_ordered 1
		.amdhsa_forward_progress 1
		.amdhsa_shared_vgpr_count 0
		.amdhsa_exception_fp_ieee_invalid_op 0
		.amdhsa_exception_fp_denorm_src 0
		.amdhsa_exception_fp_ieee_div_zero 0
		.amdhsa_exception_fp_ieee_overflow 0
		.amdhsa_exception_fp_ieee_underflow 0
		.amdhsa_exception_fp_ieee_inexact 0
		.amdhsa_exception_int_div_zero 0
	.end_amdhsa_kernel
	.section	.text._ZN7rocprim17ROCPRIM_400000_NS6detail17trampoline_kernelINS0_14default_configENS1_29binary_search_config_selectorIiiEEZNS1_14transform_implILb0ES3_S5_N6thrust23THRUST_200600_302600_NS6detail15normal_iteratorINS8_7pointerIiNS8_11hip_rocprim5par_tENS8_11use_defaultESE_EEEESG_ZNS1_13binary_searchIS3_S5_NS8_10device_ptrIiEESG_SG_NS1_16binary_search_opENS9_16wrapped_functionINS8_6system6detail7generic6detail18binary_search_lessEbEEEE10hipError_tPvRmT1_T2_T3_mmT4_T5_P12ihipStream_tbEUlRKiE_EESS_SW_SX_mSY_S11_bEUlT_E_NS1_11comp_targetILNS1_3genE10ELNS1_11target_archE1201ELNS1_3gpuE5ELNS1_3repE0EEENS1_30default_config_static_selectorELNS0_4arch9wavefront6targetE0EEEvSV_,"axG",@progbits,_ZN7rocprim17ROCPRIM_400000_NS6detail17trampoline_kernelINS0_14default_configENS1_29binary_search_config_selectorIiiEEZNS1_14transform_implILb0ES3_S5_N6thrust23THRUST_200600_302600_NS6detail15normal_iteratorINS8_7pointerIiNS8_11hip_rocprim5par_tENS8_11use_defaultESE_EEEESG_ZNS1_13binary_searchIS3_S5_NS8_10device_ptrIiEESG_SG_NS1_16binary_search_opENS9_16wrapped_functionINS8_6system6detail7generic6detail18binary_search_lessEbEEEE10hipError_tPvRmT1_T2_T3_mmT4_T5_P12ihipStream_tbEUlRKiE_EESS_SW_SX_mSY_S11_bEUlT_E_NS1_11comp_targetILNS1_3genE10ELNS1_11target_archE1201ELNS1_3gpuE5ELNS1_3repE0EEENS1_30default_config_static_selectorELNS0_4arch9wavefront6targetE0EEEvSV_,comdat
.Lfunc_end793:
	.size	_ZN7rocprim17ROCPRIM_400000_NS6detail17trampoline_kernelINS0_14default_configENS1_29binary_search_config_selectorIiiEEZNS1_14transform_implILb0ES3_S5_N6thrust23THRUST_200600_302600_NS6detail15normal_iteratorINS8_7pointerIiNS8_11hip_rocprim5par_tENS8_11use_defaultESE_EEEESG_ZNS1_13binary_searchIS3_S5_NS8_10device_ptrIiEESG_SG_NS1_16binary_search_opENS9_16wrapped_functionINS8_6system6detail7generic6detail18binary_search_lessEbEEEE10hipError_tPvRmT1_T2_T3_mmT4_T5_P12ihipStream_tbEUlRKiE_EESS_SW_SX_mSY_S11_bEUlT_E_NS1_11comp_targetILNS1_3genE10ELNS1_11target_archE1201ELNS1_3gpuE5ELNS1_3repE0EEENS1_30default_config_static_selectorELNS0_4arch9wavefront6targetE0EEEvSV_, .Lfunc_end793-_ZN7rocprim17ROCPRIM_400000_NS6detail17trampoline_kernelINS0_14default_configENS1_29binary_search_config_selectorIiiEEZNS1_14transform_implILb0ES3_S5_N6thrust23THRUST_200600_302600_NS6detail15normal_iteratorINS8_7pointerIiNS8_11hip_rocprim5par_tENS8_11use_defaultESE_EEEESG_ZNS1_13binary_searchIS3_S5_NS8_10device_ptrIiEESG_SG_NS1_16binary_search_opENS9_16wrapped_functionINS8_6system6detail7generic6detail18binary_search_lessEbEEEE10hipError_tPvRmT1_T2_T3_mmT4_T5_P12ihipStream_tbEUlRKiE_EESS_SW_SX_mSY_S11_bEUlT_E_NS1_11comp_targetILNS1_3genE10ELNS1_11target_archE1201ELNS1_3gpuE5ELNS1_3repE0EEENS1_30default_config_static_selectorELNS0_4arch9wavefront6targetE0EEEvSV_
                                        ; -- End function
	.set _ZN7rocprim17ROCPRIM_400000_NS6detail17trampoline_kernelINS0_14default_configENS1_29binary_search_config_selectorIiiEEZNS1_14transform_implILb0ES3_S5_N6thrust23THRUST_200600_302600_NS6detail15normal_iteratorINS8_7pointerIiNS8_11hip_rocprim5par_tENS8_11use_defaultESE_EEEESG_ZNS1_13binary_searchIS3_S5_NS8_10device_ptrIiEESG_SG_NS1_16binary_search_opENS9_16wrapped_functionINS8_6system6detail7generic6detail18binary_search_lessEbEEEE10hipError_tPvRmT1_T2_T3_mmT4_T5_P12ihipStream_tbEUlRKiE_EESS_SW_SX_mSY_S11_bEUlT_E_NS1_11comp_targetILNS1_3genE10ELNS1_11target_archE1201ELNS1_3gpuE5ELNS1_3repE0EEENS1_30default_config_static_selectorELNS0_4arch9wavefront6targetE0EEEvSV_.num_vgpr, 0
	.set _ZN7rocprim17ROCPRIM_400000_NS6detail17trampoline_kernelINS0_14default_configENS1_29binary_search_config_selectorIiiEEZNS1_14transform_implILb0ES3_S5_N6thrust23THRUST_200600_302600_NS6detail15normal_iteratorINS8_7pointerIiNS8_11hip_rocprim5par_tENS8_11use_defaultESE_EEEESG_ZNS1_13binary_searchIS3_S5_NS8_10device_ptrIiEESG_SG_NS1_16binary_search_opENS9_16wrapped_functionINS8_6system6detail7generic6detail18binary_search_lessEbEEEE10hipError_tPvRmT1_T2_T3_mmT4_T5_P12ihipStream_tbEUlRKiE_EESS_SW_SX_mSY_S11_bEUlT_E_NS1_11comp_targetILNS1_3genE10ELNS1_11target_archE1201ELNS1_3gpuE5ELNS1_3repE0EEENS1_30default_config_static_selectorELNS0_4arch9wavefront6targetE0EEEvSV_.num_agpr, 0
	.set _ZN7rocprim17ROCPRIM_400000_NS6detail17trampoline_kernelINS0_14default_configENS1_29binary_search_config_selectorIiiEEZNS1_14transform_implILb0ES3_S5_N6thrust23THRUST_200600_302600_NS6detail15normal_iteratorINS8_7pointerIiNS8_11hip_rocprim5par_tENS8_11use_defaultESE_EEEESG_ZNS1_13binary_searchIS3_S5_NS8_10device_ptrIiEESG_SG_NS1_16binary_search_opENS9_16wrapped_functionINS8_6system6detail7generic6detail18binary_search_lessEbEEEE10hipError_tPvRmT1_T2_T3_mmT4_T5_P12ihipStream_tbEUlRKiE_EESS_SW_SX_mSY_S11_bEUlT_E_NS1_11comp_targetILNS1_3genE10ELNS1_11target_archE1201ELNS1_3gpuE5ELNS1_3repE0EEENS1_30default_config_static_selectorELNS0_4arch9wavefront6targetE0EEEvSV_.numbered_sgpr, 0
	.set _ZN7rocprim17ROCPRIM_400000_NS6detail17trampoline_kernelINS0_14default_configENS1_29binary_search_config_selectorIiiEEZNS1_14transform_implILb0ES3_S5_N6thrust23THRUST_200600_302600_NS6detail15normal_iteratorINS8_7pointerIiNS8_11hip_rocprim5par_tENS8_11use_defaultESE_EEEESG_ZNS1_13binary_searchIS3_S5_NS8_10device_ptrIiEESG_SG_NS1_16binary_search_opENS9_16wrapped_functionINS8_6system6detail7generic6detail18binary_search_lessEbEEEE10hipError_tPvRmT1_T2_T3_mmT4_T5_P12ihipStream_tbEUlRKiE_EESS_SW_SX_mSY_S11_bEUlT_E_NS1_11comp_targetILNS1_3genE10ELNS1_11target_archE1201ELNS1_3gpuE5ELNS1_3repE0EEENS1_30default_config_static_selectorELNS0_4arch9wavefront6targetE0EEEvSV_.num_named_barrier, 0
	.set _ZN7rocprim17ROCPRIM_400000_NS6detail17trampoline_kernelINS0_14default_configENS1_29binary_search_config_selectorIiiEEZNS1_14transform_implILb0ES3_S5_N6thrust23THRUST_200600_302600_NS6detail15normal_iteratorINS8_7pointerIiNS8_11hip_rocprim5par_tENS8_11use_defaultESE_EEEESG_ZNS1_13binary_searchIS3_S5_NS8_10device_ptrIiEESG_SG_NS1_16binary_search_opENS9_16wrapped_functionINS8_6system6detail7generic6detail18binary_search_lessEbEEEE10hipError_tPvRmT1_T2_T3_mmT4_T5_P12ihipStream_tbEUlRKiE_EESS_SW_SX_mSY_S11_bEUlT_E_NS1_11comp_targetILNS1_3genE10ELNS1_11target_archE1201ELNS1_3gpuE5ELNS1_3repE0EEENS1_30default_config_static_selectorELNS0_4arch9wavefront6targetE0EEEvSV_.private_seg_size, 0
	.set _ZN7rocprim17ROCPRIM_400000_NS6detail17trampoline_kernelINS0_14default_configENS1_29binary_search_config_selectorIiiEEZNS1_14transform_implILb0ES3_S5_N6thrust23THRUST_200600_302600_NS6detail15normal_iteratorINS8_7pointerIiNS8_11hip_rocprim5par_tENS8_11use_defaultESE_EEEESG_ZNS1_13binary_searchIS3_S5_NS8_10device_ptrIiEESG_SG_NS1_16binary_search_opENS9_16wrapped_functionINS8_6system6detail7generic6detail18binary_search_lessEbEEEE10hipError_tPvRmT1_T2_T3_mmT4_T5_P12ihipStream_tbEUlRKiE_EESS_SW_SX_mSY_S11_bEUlT_E_NS1_11comp_targetILNS1_3genE10ELNS1_11target_archE1201ELNS1_3gpuE5ELNS1_3repE0EEENS1_30default_config_static_selectorELNS0_4arch9wavefront6targetE0EEEvSV_.uses_vcc, 0
	.set _ZN7rocprim17ROCPRIM_400000_NS6detail17trampoline_kernelINS0_14default_configENS1_29binary_search_config_selectorIiiEEZNS1_14transform_implILb0ES3_S5_N6thrust23THRUST_200600_302600_NS6detail15normal_iteratorINS8_7pointerIiNS8_11hip_rocprim5par_tENS8_11use_defaultESE_EEEESG_ZNS1_13binary_searchIS3_S5_NS8_10device_ptrIiEESG_SG_NS1_16binary_search_opENS9_16wrapped_functionINS8_6system6detail7generic6detail18binary_search_lessEbEEEE10hipError_tPvRmT1_T2_T3_mmT4_T5_P12ihipStream_tbEUlRKiE_EESS_SW_SX_mSY_S11_bEUlT_E_NS1_11comp_targetILNS1_3genE10ELNS1_11target_archE1201ELNS1_3gpuE5ELNS1_3repE0EEENS1_30default_config_static_selectorELNS0_4arch9wavefront6targetE0EEEvSV_.uses_flat_scratch, 0
	.set _ZN7rocprim17ROCPRIM_400000_NS6detail17trampoline_kernelINS0_14default_configENS1_29binary_search_config_selectorIiiEEZNS1_14transform_implILb0ES3_S5_N6thrust23THRUST_200600_302600_NS6detail15normal_iteratorINS8_7pointerIiNS8_11hip_rocprim5par_tENS8_11use_defaultESE_EEEESG_ZNS1_13binary_searchIS3_S5_NS8_10device_ptrIiEESG_SG_NS1_16binary_search_opENS9_16wrapped_functionINS8_6system6detail7generic6detail18binary_search_lessEbEEEE10hipError_tPvRmT1_T2_T3_mmT4_T5_P12ihipStream_tbEUlRKiE_EESS_SW_SX_mSY_S11_bEUlT_E_NS1_11comp_targetILNS1_3genE10ELNS1_11target_archE1201ELNS1_3gpuE5ELNS1_3repE0EEENS1_30default_config_static_selectorELNS0_4arch9wavefront6targetE0EEEvSV_.has_dyn_sized_stack, 0
	.set _ZN7rocprim17ROCPRIM_400000_NS6detail17trampoline_kernelINS0_14default_configENS1_29binary_search_config_selectorIiiEEZNS1_14transform_implILb0ES3_S5_N6thrust23THRUST_200600_302600_NS6detail15normal_iteratorINS8_7pointerIiNS8_11hip_rocprim5par_tENS8_11use_defaultESE_EEEESG_ZNS1_13binary_searchIS3_S5_NS8_10device_ptrIiEESG_SG_NS1_16binary_search_opENS9_16wrapped_functionINS8_6system6detail7generic6detail18binary_search_lessEbEEEE10hipError_tPvRmT1_T2_T3_mmT4_T5_P12ihipStream_tbEUlRKiE_EESS_SW_SX_mSY_S11_bEUlT_E_NS1_11comp_targetILNS1_3genE10ELNS1_11target_archE1201ELNS1_3gpuE5ELNS1_3repE0EEENS1_30default_config_static_selectorELNS0_4arch9wavefront6targetE0EEEvSV_.has_recursion, 0
	.set _ZN7rocprim17ROCPRIM_400000_NS6detail17trampoline_kernelINS0_14default_configENS1_29binary_search_config_selectorIiiEEZNS1_14transform_implILb0ES3_S5_N6thrust23THRUST_200600_302600_NS6detail15normal_iteratorINS8_7pointerIiNS8_11hip_rocprim5par_tENS8_11use_defaultESE_EEEESG_ZNS1_13binary_searchIS3_S5_NS8_10device_ptrIiEESG_SG_NS1_16binary_search_opENS9_16wrapped_functionINS8_6system6detail7generic6detail18binary_search_lessEbEEEE10hipError_tPvRmT1_T2_T3_mmT4_T5_P12ihipStream_tbEUlRKiE_EESS_SW_SX_mSY_S11_bEUlT_E_NS1_11comp_targetILNS1_3genE10ELNS1_11target_archE1201ELNS1_3gpuE5ELNS1_3repE0EEENS1_30default_config_static_selectorELNS0_4arch9wavefront6targetE0EEEvSV_.has_indirect_call, 0
	.section	.AMDGPU.csdata,"",@progbits
; Kernel info:
; codeLenInByte = 0
; TotalNumSgprs: 0
; NumVgprs: 0
; ScratchSize: 0
; MemoryBound: 0
; FloatMode: 240
; IeeeMode: 1
; LDSByteSize: 0 bytes/workgroup (compile time only)
; SGPRBlocks: 0
; VGPRBlocks: 0
; NumSGPRsForWavesPerEU: 1
; NumVGPRsForWavesPerEU: 1
; Occupancy: 16
; WaveLimiterHint : 0
; COMPUTE_PGM_RSRC2:SCRATCH_EN: 0
; COMPUTE_PGM_RSRC2:USER_SGPR: 6
; COMPUTE_PGM_RSRC2:TRAP_HANDLER: 0
; COMPUTE_PGM_RSRC2:TGID_X_EN: 1
; COMPUTE_PGM_RSRC2:TGID_Y_EN: 0
; COMPUTE_PGM_RSRC2:TGID_Z_EN: 0
; COMPUTE_PGM_RSRC2:TIDIG_COMP_CNT: 0
	.section	.text._ZN7rocprim17ROCPRIM_400000_NS6detail17trampoline_kernelINS0_14default_configENS1_29binary_search_config_selectorIiiEEZNS1_14transform_implILb0ES3_S5_N6thrust23THRUST_200600_302600_NS6detail15normal_iteratorINS8_7pointerIiNS8_11hip_rocprim5par_tENS8_11use_defaultESE_EEEESG_ZNS1_13binary_searchIS3_S5_NS8_10device_ptrIiEESG_SG_NS1_16binary_search_opENS9_16wrapped_functionINS8_6system6detail7generic6detail18binary_search_lessEbEEEE10hipError_tPvRmT1_T2_T3_mmT4_T5_P12ihipStream_tbEUlRKiE_EESS_SW_SX_mSY_S11_bEUlT_E_NS1_11comp_targetILNS1_3genE10ELNS1_11target_archE1200ELNS1_3gpuE4ELNS1_3repE0EEENS1_30default_config_static_selectorELNS0_4arch9wavefront6targetE0EEEvSV_,"axG",@progbits,_ZN7rocprim17ROCPRIM_400000_NS6detail17trampoline_kernelINS0_14default_configENS1_29binary_search_config_selectorIiiEEZNS1_14transform_implILb0ES3_S5_N6thrust23THRUST_200600_302600_NS6detail15normal_iteratorINS8_7pointerIiNS8_11hip_rocprim5par_tENS8_11use_defaultESE_EEEESG_ZNS1_13binary_searchIS3_S5_NS8_10device_ptrIiEESG_SG_NS1_16binary_search_opENS9_16wrapped_functionINS8_6system6detail7generic6detail18binary_search_lessEbEEEE10hipError_tPvRmT1_T2_T3_mmT4_T5_P12ihipStream_tbEUlRKiE_EESS_SW_SX_mSY_S11_bEUlT_E_NS1_11comp_targetILNS1_3genE10ELNS1_11target_archE1200ELNS1_3gpuE4ELNS1_3repE0EEENS1_30default_config_static_selectorELNS0_4arch9wavefront6targetE0EEEvSV_,comdat
	.protected	_ZN7rocprim17ROCPRIM_400000_NS6detail17trampoline_kernelINS0_14default_configENS1_29binary_search_config_selectorIiiEEZNS1_14transform_implILb0ES3_S5_N6thrust23THRUST_200600_302600_NS6detail15normal_iteratorINS8_7pointerIiNS8_11hip_rocprim5par_tENS8_11use_defaultESE_EEEESG_ZNS1_13binary_searchIS3_S5_NS8_10device_ptrIiEESG_SG_NS1_16binary_search_opENS9_16wrapped_functionINS8_6system6detail7generic6detail18binary_search_lessEbEEEE10hipError_tPvRmT1_T2_T3_mmT4_T5_P12ihipStream_tbEUlRKiE_EESS_SW_SX_mSY_S11_bEUlT_E_NS1_11comp_targetILNS1_3genE10ELNS1_11target_archE1200ELNS1_3gpuE4ELNS1_3repE0EEENS1_30default_config_static_selectorELNS0_4arch9wavefront6targetE0EEEvSV_ ; -- Begin function _ZN7rocprim17ROCPRIM_400000_NS6detail17trampoline_kernelINS0_14default_configENS1_29binary_search_config_selectorIiiEEZNS1_14transform_implILb0ES3_S5_N6thrust23THRUST_200600_302600_NS6detail15normal_iteratorINS8_7pointerIiNS8_11hip_rocprim5par_tENS8_11use_defaultESE_EEEESG_ZNS1_13binary_searchIS3_S5_NS8_10device_ptrIiEESG_SG_NS1_16binary_search_opENS9_16wrapped_functionINS8_6system6detail7generic6detail18binary_search_lessEbEEEE10hipError_tPvRmT1_T2_T3_mmT4_T5_P12ihipStream_tbEUlRKiE_EESS_SW_SX_mSY_S11_bEUlT_E_NS1_11comp_targetILNS1_3genE10ELNS1_11target_archE1200ELNS1_3gpuE4ELNS1_3repE0EEENS1_30default_config_static_selectorELNS0_4arch9wavefront6targetE0EEEvSV_
	.globl	_ZN7rocprim17ROCPRIM_400000_NS6detail17trampoline_kernelINS0_14default_configENS1_29binary_search_config_selectorIiiEEZNS1_14transform_implILb0ES3_S5_N6thrust23THRUST_200600_302600_NS6detail15normal_iteratorINS8_7pointerIiNS8_11hip_rocprim5par_tENS8_11use_defaultESE_EEEESG_ZNS1_13binary_searchIS3_S5_NS8_10device_ptrIiEESG_SG_NS1_16binary_search_opENS9_16wrapped_functionINS8_6system6detail7generic6detail18binary_search_lessEbEEEE10hipError_tPvRmT1_T2_T3_mmT4_T5_P12ihipStream_tbEUlRKiE_EESS_SW_SX_mSY_S11_bEUlT_E_NS1_11comp_targetILNS1_3genE10ELNS1_11target_archE1200ELNS1_3gpuE4ELNS1_3repE0EEENS1_30default_config_static_selectorELNS0_4arch9wavefront6targetE0EEEvSV_
	.p2align	8
	.type	_ZN7rocprim17ROCPRIM_400000_NS6detail17trampoline_kernelINS0_14default_configENS1_29binary_search_config_selectorIiiEEZNS1_14transform_implILb0ES3_S5_N6thrust23THRUST_200600_302600_NS6detail15normal_iteratorINS8_7pointerIiNS8_11hip_rocprim5par_tENS8_11use_defaultESE_EEEESG_ZNS1_13binary_searchIS3_S5_NS8_10device_ptrIiEESG_SG_NS1_16binary_search_opENS9_16wrapped_functionINS8_6system6detail7generic6detail18binary_search_lessEbEEEE10hipError_tPvRmT1_T2_T3_mmT4_T5_P12ihipStream_tbEUlRKiE_EESS_SW_SX_mSY_S11_bEUlT_E_NS1_11comp_targetILNS1_3genE10ELNS1_11target_archE1200ELNS1_3gpuE4ELNS1_3repE0EEENS1_30default_config_static_selectorELNS0_4arch9wavefront6targetE0EEEvSV_,@function
_ZN7rocprim17ROCPRIM_400000_NS6detail17trampoline_kernelINS0_14default_configENS1_29binary_search_config_selectorIiiEEZNS1_14transform_implILb0ES3_S5_N6thrust23THRUST_200600_302600_NS6detail15normal_iteratorINS8_7pointerIiNS8_11hip_rocprim5par_tENS8_11use_defaultESE_EEEESG_ZNS1_13binary_searchIS3_S5_NS8_10device_ptrIiEESG_SG_NS1_16binary_search_opENS9_16wrapped_functionINS8_6system6detail7generic6detail18binary_search_lessEbEEEE10hipError_tPvRmT1_T2_T3_mmT4_T5_P12ihipStream_tbEUlRKiE_EESS_SW_SX_mSY_S11_bEUlT_E_NS1_11comp_targetILNS1_3genE10ELNS1_11target_archE1200ELNS1_3gpuE4ELNS1_3repE0EEENS1_30default_config_static_selectorELNS0_4arch9wavefront6targetE0EEEvSV_: ; @_ZN7rocprim17ROCPRIM_400000_NS6detail17trampoline_kernelINS0_14default_configENS1_29binary_search_config_selectorIiiEEZNS1_14transform_implILb0ES3_S5_N6thrust23THRUST_200600_302600_NS6detail15normal_iteratorINS8_7pointerIiNS8_11hip_rocprim5par_tENS8_11use_defaultESE_EEEESG_ZNS1_13binary_searchIS3_S5_NS8_10device_ptrIiEESG_SG_NS1_16binary_search_opENS9_16wrapped_functionINS8_6system6detail7generic6detail18binary_search_lessEbEEEE10hipError_tPvRmT1_T2_T3_mmT4_T5_P12ihipStream_tbEUlRKiE_EESS_SW_SX_mSY_S11_bEUlT_E_NS1_11comp_targetILNS1_3genE10ELNS1_11target_archE1200ELNS1_3gpuE4ELNS1_3repE0EEENS1_30default_config_static_selectorELNS0_4arch9wavefront6targetE0EEEvSV_
; %bb.0:
	.section	.rodata,"a",@progbits
	.p2align	6, 0x0
	.amdhsa_kernel _ZN7rocprim17ROCPRIM_400000_NS6detail17trampoline_kernelINS0_14default_configENS1_29binary_search_config_selectorIiiEEZNS1_14transform_implILb0ES3_S5_N6thrust23THRUST_200600_302600_NS6detail15normal_iteratorINS8_7pointerIiNS8_11hip_rocprim5par_tENS8_11use_defaultESE_EEEESG_ZNS1_13binary_searchIS3_S5_NS8_10device_ptrIiEESG_SG_NS1_16binary_search_opENS9_16wrapped_functionINS8_6system6detail7generic6detail18binary_search_lessEbEEEE10hipError_tPvRmT1_T2_T3_mmT4_T5_P12ihipStream_tbEUlRKiE_EESS_SW_SX_mSY_S11_bEUlT_E_NS1_11comp_targetILNS1_3genE10ELNS1_11target_archE1200ELNS1_3gpuE4ELNS1_3repE0EEENS1_30default_config_static_selectorELNS0_4arch9wavefront6targetE0EEEvSV_
		.amdhsa_group_segment_fixed_size 0
		.amdhsa_private_segment_fixed_size 0
		.amdhsa_kernarg_size 56
		.amdhsa_user_sgpr_count 6
		.amdhsa_user_sgpr_private_segment_buffer 1
		.amdhsa_user_sgpr_dispatch_ptr 0
		.amdhsa_user_sgpr_queue_ptr 0
		.amdhsa_user_sgpr_kernarg_segment_ptr 1
		.amdhsa_user_sgpr_dispatch_id 0
		.amdhsa_user_sgpr_flat_scratch_init 0
		.amdhsa_user_sgpr_private_segment_size 0
		.amdhsa_wavefront_size32 1
		.amdhsa_uses_dynamic_stack 0
		.amdhsa_system_sgpr_private_segment_wavefront_offset 0
		.amdhsa_system_sgpr_workgroup_id_x 1
		.amdhsa_system_sgpr_workgroup_id_y 0
		.amdhsa_system_sgpr_workgroup_id_z 0
		.amdhsa_system_sgpr_workgroup_info 0
		.amdhsa_system_vgpr_workitem_id 0
		.amdhsa_next_free_vgpr 1
		.amdhsa_next_free_sgpr 1
		.amdhsa_reserve_vcc 0
		.amdhsa_reserve_flat_scratch 0
		.amdhsa_float_round_mode_32 0
		.amdhsa_float_round_mode_16_64 0
		.amdhsa_float_denorm_mode_32 3
		.amdhsa_float_denorm_mode_16_64 3
		.amdhsa_dx10_clamp 1
		.amdhsa_ieee_mode 1
		.amdhsa_fp16_overflow 0
		.amdhsa_workgroup_processor_mode 1
		.amdhsa_memory_ordered 1
		.amdhsa_forward_progress 1
		.amdhsa_shared_vgpr_count 0
		.amdhsa_exception_fp_ieee_invalid_op 0
		.amdhsa_exception_fp_denorm_src 0
		.amdhsa_exception_fp_ieee_div_zero 0
		.amdhsa_exception_fp_ieee_overflow 0
		.amdhsa_exception_fp_ieee_underflow 0
		.amdhsa_exception_fp_ieee_inexact 0
		.amdhsa_exception_int_div_zero 0
	.end_amdhsa_kernel
	.section	.text._ZN7rocprim17ROCPRIM_400000_NS6detail17trampoline_kernelINS0_14default_configENS1_29binary_search_config_selectorIiiEEZNS1_14transform_implILb0ES3_S5_N6thrust23THRUST_200600_302600_NS6detail15normal_iteratorINS8_7pointerIiNS8_11hip_rocprim5par_tENS8_11use_defaultESE_EEEESG_ZNS1_13binary_searchIS3_S5_NS8_10device_ptrIiEESG_SG_NS1_16binary_search_opENS9_16wrapped_functionINS8_6system6detail7generic6detail18binary_search_lessEbEEEE10hipError_tPvRmT1_T2_T3_mmT4_T5_P12ihipStream_tbEUlRKiE_EESS_SW_SX_mSY_S11_bEUlT_E_NS1_11comp_targetILNS1_3genE10ELNS1_11target_archE1200ELNS1_3gpuE4ELNS1_3repE0EEENS1_30default_config_static_selectorELNS0_4arch9wavefront6targetE0EEEvSV_,"axG",@progbits,_ZN7rocprim17ROCPRIM_400000_NS6detail17trampoline_kernelINS0_14default_configENS1_29binary_search_config_selectorIiiEEZNS1_14transform_implILb0ES3_S5_N6thrust23THRUST_200600_302600_NS6detail15normal_iteratorINS8_7pointerIiNS8_11hip_rocprim5par_tENS8_11use_defaultESE_EEEESG_ZNS1_13binary_searchIS3_S5_NS8_10device_ptrIiEESG_SG_NS1_16binary_search_opENS9_16wrapped_functionINS8_6system6detail7generic6detail18binary_search_lessEbEEEE10hipError_tPvRmT1_T2_T3_mmT4_T5_P12ihipStream_tbEUlRKiE_EESS_SW_SX_mSY_S11_bEUlT_E_NS1_11comp_targetILNS1_3genE10ELNS1_11target_archE1200ELNS1_3gpuE4ELNS1_3repE0EEENS1_30default_config_static_selectorELNS0_4arch9wavefront6targetE0EEEvSV_,comdat
.Lfunc_end794:
	.size	_ZN7rocprim17ROCPRIM_400000_NS6detail17trampoline_kernelINS0_14default_configENS1_29binary_search_config_selectorIiiEEZNS1_14transform_implILb0ES3_S5_N6thrust23THRUST_200600_302600_NS6detail15normal_iteratorINS8_7pointerIiNS8_11hip_rocprim5par_tENS8_11use_defaultESE_EEEESG_ZNS1_13binary_searchIS3_S5_NS8_10device_ptrIiEESG_SG_NS1_16binary_search_opENS9_16wrapped_functionINS8_6system6detail7generic6detail18binary_search_lessEbEEEE10hipError_tPvRmT1_T2_T3_mmT4_T5_P12ihipStream_tbEUlRKiE_EESS_SW_SX_mSY_S11_bEUlT_E_NS1_11comp_targetILNS1_3genE10ELNS1_11target_archE1200ELNS1_3gpuE4ELNS1_3repE0EEENS1_30default_config_static_selectorELNS0_4arch9wavefront6targetE0EEEvSV_, .Lfunc_end794-_ZN7rocprim17ROCPRIM_400000_NS6detail17trampoline_kernelINS0_14default_configENS1_29binary_search_config_selectorIiiEEZNS1_14transform_implILb0ES3_S5_N6thrust23THRUST_200600_302600_NS6detail15normal_iteratorINS8_7pointerIiNS8_11hip_rocprim5par_tENS8_11use_defaultESE_EEEESG_ZNS1_13binary_searchIS3_S5_NS8_10device_ptrIiEESG_SG_NS1_16binary_search_opENS9_16wrapped_functionINS8_6system6detail7generic6detail18binary_search_lessEbEEEE10hipError_tPvRmT1_T2_T3_mmT4_T5_P12ihipStream_tbEUlRKiE_EESS_SW_SX_mSY_S11_bEUlT_E_NS1_11comp_targetILNS1_3genE10ELNS1_11target_archE1200ELNS1_3gpuE4ELNS1_3repE0EEENS1_30default_config_static_selectorELNS0_4arch9wavefront6targetE0EEEvSV_
                                        ; -- End function
	.set _ZN7rocprim17ROCPRIM_400000_NS6detail17trampoline_kernelINS0_14default_configENS1_29binary_search_config_selectorIiiEEZNS1_14transform_implILb0ES3_S5_N6thrust23THRUST_200600_302600_NS6detail15normal_iteratorINS8_7pointerIiNS8_11hip_rocprim5par_tENS8_11use_defaultESE_EEEESG_ZNS1_13binary_searchIS3_S5_NS8_10device_ptrIiEESG_SG_NS1_16binary_search_opENS9_16wrapped_functionINS8_6system6detail7generic6detail18binary_search_lessEbEEEE10hipError_tPvRmT1_T2_T3_mmT4_T5_P12ihipStream_tbEUlRKiE_EESS_SW_SX_mSY_S11_bEUlT_E_NS1_11comp_targetILNS1_3genE10ELNS1_11target_archE1200ELNS1_3gpuE4ELNS1_3repE0EEENS1_30default_config_static_selectorELNS0_4arch9wavefront6targetE0EEEvSV_.num_vgpr, 0
	.set _ZN7rocprim17ROCPRIM_400000_NS6detail17trampoline_kernelINS0_14default_configENS1_29binary_search_config_selectorIiiEEZNS1_14transform_implILb0ES3_S5_N6thrust23THRUST_200600_302600_NS6detail15normal_iteratorINS8_7pointerIiNS8_11hip_rocprim5par_tENS8_11use_defaultESE_EEEESG_ZNS1_13binary_searchIS3_S5_NS8_10device_ptrIiEESG_SG_NS1_16binary_search_opENS9_16wrapped_functionINS8_6system6detail7generic6detail18binary_search_lessEbEEEE10hipError_tPvRmT1_T2_T3_mmT4_T5_P12ihipStream_tbEUlRKiE_EESS_SW_SX_mSY_S11_bEUlT_E_NS1_11comp_targetILNS1_3genE10ELNS1_11target_archE1200ELNS1_3gpuE4ELNS1_3repE0EEENS1_30default_config_static_selectorELNS0_4arch9wavefront6targetE0EEEvSV_.num_agpr, 0
	.set _ZN7rocprim17ROCPRIM_400000_NS6detail17trampoline_kernelINS0_14default_configENS1_29binary_search_config_selectorIiiEEZNS1_14transform_implILb0ES3_S5_N6thrust23THRUST_200600_302600_NS6detail15normal_iteratorINS8_7pointerIiNS8_11hip_rocprim5par_tENS8_11use_defaultESE_EEEESG_ZNS1_13binary_searchIS3_S5_NS8_10device_ptrIiEESG_SG_NS1_16binary_search_opENS9_16wrapped_functionINS8_6system6detail7generic6detail18binary_search_lessEbEEEE10hipError_tPvRmT1_T2_T3_mmT4_T5_P12ihipStream_tbEUlRKiE_EESS_SW_SX_mSY_S11_bEUlT_E_NS1_11comp_targetILNS1_3genE10ELNS1_11target_archE1200ELNS1_3gpuE4ELNS1_3repE0EEENS1_30default_config_static_selectorELNS0_4arch9wavefront6targetE0EEEvSV_.numbered_sgpr, 0
	.set _ZN7rocprim17ROCPRIM_400000_NS6detail17trampoline_kernelINS0_14default_configENS1_29binary_search_config_selectorIiiEEZNS1_14transform_implILb0ES3_S5_N6thrust23THRUST_200600_302600_NS6detail15normal_iteratorINS8_7pointerIiNS8_11hip_rocprim5par_tENS8_11use_defaultESE_EEEESG_ZNS1_13binary_searchIS3_S5_NS8_10device_ptrIiEESG_SG_NS1_16binary_search_opENS9_16wrapped_functionINS8_6system6detail7generic6detail18binary_search_lessEbEEEE10hipError_tPvRmT1_T2_T3_mmT4_T5_P12ihipStream_tbEUlRKiE_EESS_SW_SX_mSY_S11_bEUlT_E_NS1_11comp_targetILNS1_3genE10ELNS1_11target_archE1200ELNS1_3gpuE4ELNS1_3repE0EEENS1_30default_config_static_selectorELNS0_4arch9wavefront6targetE0EEEvSV_.num_named_barrier, 0
	.set _ZN7rocprim17ROCPRIM_400000_NS6detail17trampoline_kernelINS0_14default_configENS1_29binary_search_config_selectorIiiEEZNS1_14transform_implILb0ES3_S5_N6thrust23THRUST_200600_302600_NS6detail15normal_iteratorINS8_7pointerIiNS8_11hip_rocprim5par_tENS8_11use_defaultESE_EEEESG_ZNS1_13binary_searchIS3_S5_NS8_10device_ptrIiEESG_SG_NS1_16binary_search_opENS9_16wrapped_functionINS8_6system6detail7generic6detail18binary_search_lessEbEEEE10hipError_tPvRmT1_T2_T3_mmT4_T5_P12ihipStream_tbEUlRKiE_EESS_SW_SX_mSY_S11_bEUlT_E_NS1_11comp_targetILNS1_3genE10ELNS1_11target_archE1200ELNS1_3gpuE4ELNS1_3repE0EEENS1_30default_config_static_selectorELNS0_4arch9wavefront6targetE0EEEvSV_.private_seg_size, 0
	.set _ZN7rocprim17ROCPRIM_400000_NS6detail17trampoline_kernelINS0_14default_configENS1_29binary_search_config_selectorIiiEEZNS1_14transform_implILb0ES3_S5_N6thrust23THRUST_200600_302600_NS6detail15normal_iteratorINS8_7pointerIiNS8_11hip_rocprim5par_tENS8_11use_defaultESE_EEEESG_ZNS1_13binary_searchIS3_S5_NS8_10device_ptrIiEESG_SG_NS1_16binary_search_opENS9_16wrapped_functionINS8_6system6detail7generic6detail18binary_search_lessEbEEEE10hipError_tPvRmT1_T2_T3_mmT4_T5_P12ihipStream_tbEUlRKiE_EESS_SW_SX_mSY_S11_bEUlT_E_NS1_11comp_targetILNS1_3genE10ELNS1_11target_archE1200ELNS1_3gpuE4ELNS1_3repE0EEENS1_30default_config_static_selectorELNS0_4arch9wavefront6targetE0EEEvSV_.uses_vcc, 0
	.set _ZN7rocprim17ROCPRIM_400000_NS6detail17trampoline_kernelINS0_14default_configENS1_29binary_search_config_selectorIiiEEZNS1_14transform_implILb0ES3_S5_N6thrust23THRUST_200600_302600_NS6detail15normal_iteratorINS8_7pointerIiNS8_11hip_rocprim5par_tENS8_11use_defaultESE_EEEESG_ZNS1_13binary_searchIS3_S5_NS8_10device_ptrIiEESG_SG_NS1_16binary_search_opENS9_16wrapped_functionINS8_6system6detail7generic6detail18binary_search_lessEbEEEE10hipError_tPvRmT1_T2_T3_mmT4_T5_P12ihipStream_tbEUlRKiE_EESS_SW_SX_mSY_S11_bEUlT_E_NS1_11comp_targetILNS1_3genE10ELNS1_11target_archE1200ELNS1_3gpuE4ELNS1_3repE0EEENS1_30default_config_static_selectorELNS0_4arch9wavefront6targetE0EEEvSV_.uses_flat_scratch, 0
	.set _ZN7rocprim17ROCPRIM_400000_NS6detail17trampoline_kernelINS0_14default_configENS1_29binary_search_config_selectorIiiEEZNS1_14transform_implILb0ES3_S5_N6thrust23THRUST_200600_302600_NS6detail15normal_iteratorINS8_7pointerIiNS8_11hip_rocprim5par_tENS8_11use_defaultESE_EEEESG_ZNS1_13binary_searchIS3_S5_NS8_10device_ptrIiEESG_SG_NS1_16binary_search_opENS9_16wrapped_functionINS8_6system6detail7generic6detail18binary_search_lessEbEEEE10hipError_tPvRmT1_T2_T3_mmT4_T5_P12ihipStream_tbEUlRKiE_EESS_SW_SX_mSY_S11_bEUlT_E_NS1_11comp_targetILNS1_3genE10ELNS1_11target_archE1200ELNS1_3gpuE4ELNS1_3repE0EEENS1_30default_config_static_selectorELNS0_4arch9wavefront6targetE0EEEvSV_.has_dyn_sized_stack, 0
	.set _ZN7rocprim17ROCPRIM_400000_NS6detail17trampoline_kernelINS0_14default_configENS1_29binary_search_config_selectorIiiEEZNS1_14transform_implILb0ES3_S5_N6thrust23THRUST_200600_302600_NS6detail15normal_iteratorINS8_7pointerIiNS8_11hip_rocprim5par_tENS8_11use_defaultESE_EEEESG_ZNS1_13binary_searchIS3_S5_NS8_10device_ptrIiEESG_SG_NS1_16binary_search_opENS9_16wrapped_functionINS8_6system6detail7generic6detail18binary_search_lessEbEEEE10hipError_tPvRmT1_T2_T3_mmT4_T5_P12ihipStream_tbEUlRKiE_EESS_SW_SX_mSY_S11_bEUlT_E_NS1_11comp_targetILNS1_3genE10ELNS1_11target_archE1200ELNS1_3gpuE4ELNS1_3repE0EEENS1_30default_config_static_selectorELNS0_4arch9wavefront6targetE0EEEvSV_.has_recursion, 0
	.set _ZN7rocprim17ROCPRIM_400000_NS6detail17trampoline_kernelINS0_14default_configENS1_29binary_search_config_selectorIiiEEZNS1_14transform_implILb0ES3_S5_N6thrust23THRUST_200600_302600_NS6detail15normal_iteratorINS8_7pointerIiNS8_11hip_rocprim5par_tENS8_11use_defaultESE_EEEESG_ZNS1_13binary_searchIS3_S5_NS8_10device_ptrIiEESG_SG_NS1_16binary_search_opENS9_16wrapped_functionINS8_6system6detail7generic6detail18binary_search_lessEbEEEE10hipError_tPvRmT1_T2_T3_mmT4_T5_P12ihipStream_tbEUlRKiE_EESS_SW_SX_mSY_S11_bEUlT_E_NS1_11comp_targetILNS1_3genE10ELNS1_11target_archE1200ELNS1_3gpuE4ELNS1_3repE0EEENS1_30default_config_static_selectorELNS0_4arch9wavefront6targetE0EEEvSV_.has_indirect_call, 0
	.section	.AMDGPU.csdata,"",@progbits
; Kernel info:
; codeLenInByte = 0
; TotalNumSgprs: 0
; NumVgprs: 0
; ScratchSize: 0
; MemoryBound: 0
; FloatMode: 240
; IeeeMode: 1
; LDSByteSize: 0 bytes/workgroup (compile time only)
; SGPRBlocks: 0
; VGPRBlocks: 0
; NumSGPRsForWavesPerEU: 1
; NumVGPRsForWavesPerEU: 1
; Occupancy: 16
; WaveLimiterHint : 0
; COMPUTE_PGM_RSRC2:SCRATCH_EN: 0
; COMPUTE_PGM_RSRC2:USER_SGPR: 6
; COMPUTE_PGM_RSRC2:TRAP_HANDLER: 0
; COMPUTE_PGM_RSRC2:TGID_X_EN: 1
; COMPUTE_PGM_RSRC2:TGID_Y_EN: 0
; COMPUTE_PGM_RSRC2:TGID_Z_EN: 0
; COMPUTE_PGM_RSRC2:TIDIG_COMP_CNT: 0
	.section	.text._ZN7rocprim17ROCPRIM_400000_NS6detail17trampoline_kernelINS0_14default_configENS1_29binary_search_config_selectorIiiEEZNS1_14transform_implILb0ES3_S5_N6thrust23THRUST_200600_302600_NS6detail15normal_iteratorINS8_7pointerIiNS8_11hip_rocprim5par_tENS8_11use_defaultESE_EEEESG_ZNS1_13binary_searchIS3_S5_NS8_10device_ptrIiEESG_SG_NS1_16binary_search_opENS9_16wrapped_functionINS8_6system6detail7generic6detail18binary_search_lessEbEEEE10hipError_tPvRmT1_T2_T3_mmT4_T5_P12ihipStream_tbEUlRKiE_EESS_SW_SX_mSY_S11_bEUlT_E_NS1_11comp_targetILNS1_3genE9ELNS1_11target_archE1100ELNS1_3gpuE3ELNS1_3repE0EEENS1_30default_config_static_selectorELNS0_4arch9wavefront6targetE0EEEvSV_,"axG",@progbits,_ZN7rocprim17ROCPRIM_400000_NS6detail17trampoline_kernelINS0_14default_configENS1_29binary_search_config_selectorIiiEEZNS1_14transform_implILb0ES3_S5_N6thrust23THRUST_200600_302600_NS6detail15normal_iteratorINS8_7pointerIiNS8_11hip_rocprim5par_tENS8_11use_defaultESE_EEEESG_ZNS1_13binary_searchIS3_S5_NS8_10device_ptrIiEESG_SG_NS1_16binary_search_opENS9_16wrapped_functionINS8_6system6detail7generic6detail18binary_search_lessEbEEEE10hipError_tPvRmT1_T2_T3_mmT4_T5_P12ihipStream_tbEUlRKiE_EESS_SW_SX_mSY_S11_bEUlT_E_NS1_11comp_targetILNS1_3genE9ELNS1_11target_archE1100ELNS1_3gpuE3ELNS1_3repE0EEENS1_30default_config_static_selectorELNS0_4arch9wavefront6targetE0EEEvSV_,comdat
	.protected	_ZN7rocprim17ROCPRIM_400000_NS6detail17trampoline_kernelINS0_14default_configENS1_29binary_search_config_selectorIiiEEZNS1_14transform_implILb0ES3_S5_N6thrust23THRUST_200600_302600_NS6detail15normal_iteratorINS8_7pointerIiNS8_11hip_rocprim5par_tENS8_11use_defaultESE_EEEESG_ZNS1_13binary_searchIS3_S5_NS8_10device_ptrIiEESG_SG_NS1_16binary_search_opENS9_16wrapped_functionINS8_6system6detail7generic6detail18binary_search_lessEbEEEE10hipError_tPvRmT1_T2_T3_mmT4_T5_P12ihipStream_tbEUlRKiE_EESS_SW_SX_mSY_S11_bEUlT_E_NS1_11comp_targetILNS1_3genE9ELNS1_11target_archE1100ELNS1_3gpuE3ELNS1_3repE0EEENS1_30default_config_static_selectorELNS0_4arch9wavefront6targetE0EEEvSV_ ; -- Begin function _ZN7rocprim17ROCPRIM_400000_NS6detail17trampoline_kernelINS0_14default_configENS1_29binary_search_config_selectorIiiEEZNS1_14transform_implILb0ES3_S5_N6thrust23THRUST_200600_302600_NS6detail15normal_iteratorINS8_7pointerIiNS8_11hip_rocprim5par_tENS8_11use_defaultESE_EEEESG_ZNS1_13binary_searchIS3_S5_NS8_10device_ptrIiEESG_SG_NS1_16binary_search_opENS9_16wrapped_functionINS8_6system6detail7generic6detail18binary_search_lessEbEEEE10hipError_tPvRmT1_T2_T3_mmT4_T5_P12ihipStream_tbEUlRKiE_EESS_SW_SX_mSY_S11_bEUlT_E_NS1_11comp_targetILNS1_3genE9ELNS1_11target_archE1100ELNS1_3gpuE3ELNS1_3repE0EEENS1_30default_config_static_selectorELNS0_4arch9wavefront6targetE0EEEvSV_
	.globl	_ZN7rocprim17ROCPRIM_400000_NS6detail17trampoline_kernelINS0_14default_configENS1_29binary_search_config_selectorIiiEEZNS1_14transform_implILb0ES3_S5_N6thrust23THRUST_200600_302600_NS6detail15normal_iteratorINS8_7pointerIiNS8_11hip_rocprim5par_tENS8_11use_defaultESE_EEEESG_ZNS1_13binary_searchIS3_S5_NS8_10device_ptrIiEESG_SG_NS1_16binary_search_opENS9_16wrapped_functionINS8_6system6detail7generic6detail18binary_search_lessEbEEEE10hipError_tPvRmT1_T2_T3_mmT4_T5_P12ihipStream_tbEUlRKiE_EESS_SW_SX_mSY_S11_bEUlT_E_NS1_11comp_targetILNS1_3genE9ELNS1_11target_archE1100ELNS1_3gpuE3ELNS1_3repE0EEENS1_30default_config_static_selectorELNS0_4arch9wavefront6targetE0EEEvSV_
	.p2align	8
	.type	_ZN7rocprim17ROCPRIM_400000_NS6detail17trampoline_kernelINS0_14default_configENS1_29binary_search_config_selectorIiiEEZNS1_14transform_implILb0ES3_S5_N6thrust23THRUST_200600_302600_NS6detail15normal_iteratorINS8_7pointerIiNS8_11hip_rocprim5par_tENS8_11use_defaultESE_EEEESG_ZNS1_13binary_searchIS3_S5_NS8_10device_ptrIiEESG_SG_NS1_16binary_search_opENS9_16wrapped_functionINS8_6system6detail7generic6detail18binary_search_lessEbEEEE10hipError_tPvRmT1_T2_T3_mmT4_T5_P12ihipStream_tbEUlRKiE_EESS_SW_SX_mSY_S11_bEUlT_E_NS1_11comp_targetILNS1_3genE9ELNS1_11target_archE1100ELNS1_3gpuE3ELNS1_3repE0EEENS1_30default_config_static_selectorELNS0_4arch9wavefront6targetE0EEEvSV_,@function
_ZN7rocprim17ROCPRIM_400000_NS6detail17trampoline_kernelINS0_14default_configENS1_29binary_search_config_selectorIiiEEZNS1_14transform_implILb0ES3_S5_N6thrust23THRUST_200600_302600_NS6detail15normal_iteratorINS8_7pointerIiNS8_11hip_rocprim5par_tENS8_11use_defaultESE_EEEESG_ZNS1_13binary_searchIS3_S5_NS8_10device_ptrIiEESG_SG_NS1_16binary_search_opENS9_16wrapped_functionINS8_6system6detail7generic6detail18binary_search_lessEbEEEE10hipError_tPvRmT1_T2_T3_mmT4_T5_P12ihipStream_tbEUlRKiE_EESS_SW_SX_mSY_S11_bEUlT_E_NS1_11comp_targetILNS1_3genE9ELNS1_11target_archE1100ELNS1_3gpuE3ELNS1_3repE0EEENS1_30default_config_static_selectorELNS0_4arch9wavefront6targetE0EEEvSV_: ; @_ZN7rocprim17ROCPRIM_400000_NS6detail17trampoline_kernelINS0_14default_configENS1_29binary_search_config_selectorIiiEEZNS1_14transform_implILb0ES3_S5_N6thrust23THRUST_200600_302600_NS6detail15normal_iteratorINS8_7pointerIiNS8_11hip_rocprim5par_tENS8_11use_defaultESE_EEEESG_ZNS1_13binary_searchIS3_S5_NS8_10device_ptrIiEESG_SG_NS1_16binary_search_opENS9_16wrapped_functionINS8_6system6detail7generic6detail18binary_search_lessEbEEEE10hipError_tPvRmT1_T2_T3_mmT4_T5_P12ihipStream_tbEUlRKiE_EESS_SW_SX_mSY_S11_bEUlT_E_NS1_11comp_targetILNS1_3genE9ELNS1_11target_archE1100ELNS1_3gpuE3ELNS1_3repE0EEENS1_30default_config_static_selectorELNS0_4arch9wavefront6targetE0EEEvSV_
; %bb.0:
	.section	.rodata,"a",@progbits
	.p2align	6, 0x0
	.amdhsa_kernel _ZN7rocprim17ROCPRIM_400000_NS6detail17trampoline_kernelINS0_14default_configENS1_29binary_search_config_selectorIiiEEZNS1_14transform_implILb0ES3_S5_N6thrust23THRUST_200600_302600_NS6detail15normal_iteratorINS8_7pointerIiNS8_11hip_rocprim5par_tENS8_11use_defaultESE_EEEESG_ZNS1_13binary_searchIS3_S5_NS8_10device_ptrIiEESG_SG_NS1_16binary_search_opENS9_16wrapped_functionINS8_6system6detail7generic6detail18binary_search_lessEbEEEE10hipError_tPvRmT1_T2_T3_mmT4_T5_P12ihipStream_tbEUlRKiE_EESS_SW_SX_mSY_S11_bEUlT_E_NS1_11comp_targetILNS1_3genE9ELNS1_11target_archE1100ELNS1_3gpuE3ELNS1_3repE0EEENS1_30default_config_static_selectorELNS0_4arch9wavefront6targetE0EEEvSV_
		.amdhsa_group_segment_fixed_size 0
		.amdhsa_private_segment_fixed_size 0
		.amdhsa_kernarg_size 56
		.amdhsa_user_sgpr_count 6
		.amdhsa_user_sgpr_private_segment_buffer 1
		.amdhsa_user_sgpr_dispatch_ptr 0
		.amdhsa_user_sgpr_queue_ptr 0
		.amdhsa_user_sgpr_kernarg_segment_ptr 1
		.amdhsa_user_sgpr_dispatch_id 0
		.amdhsa_user_sgpr_flat_scratch_init 0
		.amdhsa_user_sgpr_private_segment_size 0
		.amdhsa_wavefront_size32 1
		.amdhsa_uses_dynamic_stack 0
		.amdhsa_system_sgpr_private_segment_wavefront_offset 0
		.amdhsa_system_sgpr_workgroup_id_x 1
		.amdhsa_system_sgpr_workgroup_id_y 0
		.amdhsa_system_sgpr_workgroup_id_z 0
		.amdhsa_system_sgpr_workgroup_info 0
		.amdhsa_system_vgpr_workitem_id 0
		.amdhsa_next_free_vgpr 1
		.amdhsa_next_free_sgpr 1
		.amdhsa_reserve_vcc 0
		.amdhsa_reserve_flat_scratch 0
		.amdhsa_float_round_mode_32 0
		.amdhsa_float_round_mode_16_64 0
		.amdhsa_float_denorm_mode_32 3
		.amdhsa_float_denorm_mode_16_64 3
		.amdhsa_dx10_clamp 1
		.amdhsa_ieee_mode 1
		.amdhsa_fp16_overflow 0
		.amdhsa_workgroup_processor_mode 1
		.amdhsa_memory_ordered 1
		.amdhsa_forward_progress 1
		.amdhsa_shared_vgpr_count 0
		.amdhsa_exception_fp_ieee_invalid_op 0
		.amdhsa_exception_fp_denorm_src 0
		.amdhsa_exception_fp_ieee_div_zero 0
		.amdhsa_exception_fp_ieee_overflow 0
		.amdhsa_exception_fp_ieee_underflow 0
		.amdhsa_exception_fp_ieee_inexact 0
		.amdhsa_exception_int_div_zero 0
	.end_amdhsa_kernel
	.section	.text._ZN7rocprim17ROCPRIM_400000_NS6detail17trampoline_kernelINS0_14default_configENS1_29binary_search_config_selectorIiiEEZNS1_14transform_implILb0ES3_S5_N6thrust23THRUST_200600_302600_NS6detail15normal_iteratorINS8_7pointerIiNS8_11hip_rocprim5par_tENS8_11use_defaultESE_EEEESG_ZNS1_13binary_searchIS3_S5_NS8_10device_ptrIiEESG_SG_NS1_16binary_search_opENS9_16wrapped_functionINS8_6system6detail7generic6detail18binary_search_lessEbEEEE10hipError_tPvRmT1_T2_T3_mmT4_T5_P12ihipStream_tbEUlRKiE_EESS_SW_SX_mSY_S11_bEUlT_E_NS1_11comp_targetILNS1_3genE9ELNS1_11target_archE1100ELNS1_3gpuE3ELNS1_3repE0EEENS1_30default_config_static_selectorELNS0_4arch9wavefront6targetE0EEEvSV_,"axG",@progbits,_ZN7rocprim17ROCPRIM_400000_NS6detail17trampoline_kernelINS0_14default_configENS1_29binary_search_config_selectorIiiEEZNS1_14transform_implILb0ES3_S5_N6thrust23THRUST_200600_302600_NS6detail15normal_iteratorINS8_7pointerIiNS8_11hip_rocprim5par_tENS8_11use_defaultESE_EEEESG_ZNS1_13binary_searchIS3_S5_NS8_10device_ptrIiEESG_SG_NS1_16binary_search_opENS9_16wrapped_functionINS8_6system6detail7generic6detail18binary_search_lessEbEEEE10hipError_tPvRmT1_T2_T3_mmT4_T5_P12ihipStream_tbEUlRKiE_EESS_SW_SX_mSY_S11_bEUlT_E_NS1_11comp_targetILNS1_3genE9ELNS1_11target_archE1100ELNS1_3gpuE3ELNS1_3repE0EEENS1_30default_config_static_selectorELNS0_4arch9wavefront6targetE0EEEvSV_,comdat
.Lfunc_end795:
	.size	_ZN7rocprim17ROCPRIM_400000_NS6detail17trampoline_kernelINS0_14default_configENS1_29binary_search_config_selectorIiiEEZNS1_14transform_implILb0ES3_S5_N6thrust23THRUST_200600_302600_NS6detail15normal_iteratorINS8_7pointerIiNS8_11hip_rocprim5par_tENS8_11use_defaultESE_EEEESG_ZNS1_13binary_searchIS3_S5_NS8_10device_ptrIiEESG_SG_NS1_16binary_search_opENS9_16wrapped_functionINS8_6system6detail7generic6detail18binary_search_lessEbEEEE10hipError_tPvRmT1_T2_T3_mmT4_T5_P12ihipStream_tbEUlRKiE_EESS_SW_SX_mSY_S11_bEUlT_E_NS1_11comp_targetILNS1_3genE9ELNS1_11target_archE1100ELNS1_3gpuE3ELNS1_3repE0EEENS1_30default_config_static_selectorELNS0_4arch9wavefront6targetE0EEEvSV_, .Lfunc_end795-_ZN7rocprim17ROCPRIM_400000_NS6detail17trampoline_kernelINS0_14default_configENS1_29binary_search_config_selectorIiiEEZNS1_14transform_implILb0ES3_S5_N6thrust23THRUST_200600_302600_NS6detail15normal_iteratorINS8_7pointerIiNS8_11hip_rocprim5par_tENS8_11use_defaultESE_EEEESG_ZNS1_13binary_searchIS3_S5_NS8_10device_ptrIiEESG_SG_NS1_16binary_search_opENS9_16wrapped_functionINS8_6system6detail7generic6detail18binary_search_lessEbEEEE10hipError_tPvRmT1_T2_T3_mmT4_T5_P12ihipStream_tbEUlRKiE_EESS_SW_SX_mSY_S11_bEUlT_E_NS1_11comp_targetILNS1_3genE9ELNS1_11target_archE1100ELNS1_3gpuE3ELNS1_3repE0EEENS1_30default_config_static_selectorELNS0_4arch9wavefront6targetE0EEEvSV_
                                        ; -- End function
	.set _ZN7rocprim17ROCPRIM_400000_NS6detail17trampoline_kernelINS0_14default_configENS1_29binary_search_config_selectorIiiEEZNS1_14transform_implILb0ES3_S5_N6thrust23THRUST_200600_302600_NS6detail15normal_iteratorINS8_7pointerIiNS8_11hip_rocprim5par_tENS8_11use_defaultESE_EEEESG_ZNS1_13binary_searchIS3_S5_NS8_10device_ptrIiEESG_SG_NS1_16binary_search_opENS9_16wrapped_functionINS8_6system6detail7generic6detail18binary_search_lessEbEEEE10hipError_tPvRmT1_T2_T3_mmT4_T5_P12ihipStream_tbEUlRKiE_EESS_SW_SX_mSY_S11_bEUlT_E_NS1_11comp_targetILNS1_3genE9ELNS1_11target_archE1100ELNS1_3gpuE3ELNS1_3repE0EEENS1_30default_config_static_selectorELNS0_4arch9wavefront6targetE0EEEvSV_.num_vgpr, 0
	.set _ZN7rocprim17ROCPRIM_400000_NS6detail17trampoline_kernelINS0_14default_configENS1_29binary_search_config_selectorIiiEEZNS1_14transform_implILb0ES3_S5_N6thrust23THRUST_200600_302600_NS6detail15normal_iteratorINS8_7pointerIiNS8_11hip_rocprim5par_tENS8_11use_defaultESE_EEEESG_ZNS1_13binary_searchIS3_S5_NS8_10device_ptrIiEESG_SG_NS1_16binary_search_opENS9_16wrapped_functionINS8_6system6detail7generic6detail18binary_search_lessEbEEEE10hipError_tPvRmT1_T2_T3_mmT4_T5_P12ihipStream_tbEUlRKiE_EESS_SW_SX_mSY_S11_bEUlT_E_NS1_11comp_targetILNS1_3genE9ELNS1_11target_archE1100ELNS1_3gpuE3ELNS1_3repE0EEENS1_30default_config_static_selectorELNS0_4arch9wavefront6targetE0EEEvSV_.num_agpr, 0
	.set _ZN7rocprim17ROCPRIM_400000_NS6detail17trampoline_kernelINS0_14default_configENS1_29binary_search_config_selectorIiiEEZNS1_14transform_implILb0ES3_S5_N6thrust23THRUST_200600_302600_NS6detail15normal_iteratorINS8_7pointerIiNS8_11hip_rocprim5par_tENS8_11use_defaultESE_EEEESG_ZNS1_13binary_searchIS3_S5_NS8_10device_ptrIiEESG_SG_NS1_16binary_search_opENS9_16wrapped_functionINS8_6system6detail7generic6detail18binary_search_lessEbEEEE10hipError_tPvRmT1_T2_T3_mmT4_T5_P12ihipStream_tbEUlRKiE_EESS_SW_SX_mSY_S11_bEUlT_E_NS1_11comp_targetILNS1_3genE9ELNS1_11target_archE1100ELNS1_3gpuE3ELNS1_3repE0EEENS1_30default_config_static_selectorELNS0_4arch9wavefront6targetE0EEEvSV_.numbered_sgpr, 0
	.set _ZN7rocprim17ROCPRIM_400000_NS6detail17trampoline_kernelINS0_14default_configENS1_29binary_search_config_selectorIiiEEZNS1_14transform_implILb0ES3_S5_N6thrust23THRUST_200600_302600_NS6detail15normal_iteratorINS8_7pointerIiNS8_11hip_rocprim5par_tENS8_11use_defaultESE_EEEESG_ZNS1_13binary_searchIS3_S5_NS8_10device_ptrIiEESG_SG_NS1_16binary_search_opENS9_16wrapped_functionINS8_6system6detail7generic6detail18binary_search_lessEbEEEE10hipError_tPvRmT1_T2_T3_mmT4_T5_P12ihipStream_tbEUlRKiE_EESS_SW_SX_mSY_S11_bEUlT_E_NS1_11comp_targetILNS1_3genE9ELNS1_11target_archE1100ELNS1_3gpuE3ELNS1_3repE0EEENS1_30default_config_static_selectorELNS0_4arch9wavefront6targetE0EEEvSV_.num_named_barrier, 0
	.set _ZN7rocprim17ROCPRIM_400000_NS6detail17trampoline_kernelINS0_14default_configENS1_29binary_search_config_selectorIiiEEZNS1_14transform_implILb0ES3_S5_N6thrust23THRUST_200600_302600_NS6detail15normal_iteratorINS8_7pointerIiNS8_11hip_rocprim5par_tENS8_11use_defaultESE_EEEESG_ZNS1_13binary_searchIS3_S5_NS8_10device_ptrIiEESG_SG_NS1_16binary_search_opENS9_16wrapped_functionINS8_6system6detail7generic6detail18binary_search_lessEbEEEE10hipError_tPvRmT1_T2_T3_mmT4_T5_P12ihipStream_tbEUlRKiE_EESS_SW_SX_mSY_S11_bEUlT_E_NS1_11comp_targetILNS1_3genE9ELNS1_11target_archE1100ELNS1_3gpuE3ELNS1_3repE0EEENS1_30default_config_static_selectorELNS0_4arch9wavefront6targetE0EEEvSV_.private_seg_size, 0
	.set _ZN7rocprim17ROCPRIM_400000_NS6detail17trampoline_kernelINS0_14default_configENS1_29binary_search_config_selectorIiiEEZNS1_14transform_implILb0ES3_S5_N6thrust23THRUST_200600_302600_NS6detail15normal_iteratorINS8_7pointerIiNS8_11hip_rocprim5par_tENS8_11use_defaultESE_EEEESG_ZNS1_13binary_searchIS3_S5_NS8_10device_ptrIiEESG_SG_NS1_16binary_search_opENS9_16wrapped_functionINS8_6system6detail7generic6detail18binary_search_lessEbEEEE10hipError_tPvRmT1_T2_T3_mmT4_T5_P12ihipStream_tbEUlRKiE_EESS_SW_SX_mSY_S11_bEUlT_E_NS1_11comp_targetILNS1_3genE9ELNS1_11target_archE1100ELNS1_3gpuE3ELNS1_3repE0EEENS1_30default_config_static_selectorELNS0_4arch9wavefront6targetE0EEEvSV_.uses_vcc, 0
	.set _ZN7rocprim17ROCPRIM_400000_NS6detail17trampoline_kernelINS0_14default_configENS1_29binary_search_config_selectorIiiEEZNS1_14transform_implILb0ES3_S5_N6thrust23THRUST_200600_302600_NS6detail15normal_iteratorINS8_7pointerIiNS8_11hip_rocprim5par_tENS8_11use_defaultESE_EEEESG_ZNS1_13binary_searchIS3_S5_NS8_10device_ptrIiEESG_SG_NS1_16binary_search_opENS9_16wrapped_functionINS8_6system6detail7generic6detail18binary_search_lessEbEEEE10hipError_tPvRmT1_T2_T3_mmT4_T5_P12ihipStream_tbEUlRKiE_EESS_SW_SX_mSY_S11_bEUlT_E_NS1_11comp_targetILNS1_3genE9ELNS1_11target_archE1100ELNS1_3gpuE3ELNS1_3repE0EEENS1_30default_config_static_selectorELNS0_4arch9wavefront6targetE0EEEvSV_.uses_flat_scratch, 0
	.set _ZN7rocprim17ROCPRIM_400000_NS6detail17trampoline_kernelINS0_14default_configENS1_29binary_search_config_selectorIiiEEZNS1_14transform_implILb0ES3_S5_N6thrust23THRUST_200600_302600_NS6detail15normal_iteratorINS8_7pointerIiNS8_11hip_rocprim5par_tENS8_11use_defaultESE_EEEESG_ZNS1_13binary_searchIS3_S5_NS8_10device_ptrIiEESG_SG_NS1_16binary_search_opENS9_16wrapped_functionINS8_6system6detail7generic6detail18binary_search_lessEbEEEE10hipError_tPvRmT1_T2_T3_mmT4_T5_P12ihipStream_tbEUlRKiE_EESS_SW_SX_mSY_S11_bEUlT_E_NS1_11comp_targetILNS1_3genE9ELNS1_11target_archE1100ELNS1_3gpuE3ELNS1_3repE0EEENS1_30default_config_static_selectorELNS0_4arch9wavefront6targetE0EEEvSV_.has_dyn_sized_stack, 0
	.set _ZN7rocprim17ROCPRIM_400000_NS6detail17trampoline_kernelINS0_14default_configENS1_29binary_search_config_selectorIiiEEZNS1_14transform_implILb0ES3_S5_N6thrust23THRUST_200600_302600_NS6detail15normal_iteratorINS8_7pointerIiNS8_11hip_rocprim5par_tENS8_11use_defaultESE_EEEESG_ZNS1_13binary_searchIS3_S5_NS8_10device_ptrIiEESG_SG_NS1_16binary_search_opENS9_16wrapped_functionINS8_6system6detail7generic6detail18binary_search_lessEbEEEE10hipError_tPvRmT1_T2_T3_mmT4_T5_P12ihipStream_tbEUlRKiE_EESS_SW_SX_mSY_S11_bEUlT_E_NS1_11comp_targetILNS1_3genE9ELNS1_11target_archE1100ELNS1_3gpuE3ELNS1_3repE0EEENS1_30default_config_static_selectorELNS0_4arch9wavefront6targetE0EEEvSV_.has_recursion, 0
	.set _ZN7rocprim17ROCPRIM_400000_NS6detail17trampoline_kernelINS0_14default_configENS1_29binary_search_config_selectorIiiEEZNS1_14transform_implILb0ES3_S5_N6thrust23THRUST_200600_302600_NS6detail15normal_iteratorINS8_7pointerIiNS8_11hip_rocprim5par_tENS8_11use_defaultESE_EEEESG_ZNS1_13binary_searchIS3_S5_NS8_10device_ptrIiEESG_SG_NS1_16binary_search_opENS9_16wrapped_functionINS8_6system6detail7generic6detail18binary_search_lessEbEEEE10hipError_tPvRmT1_T2_T3_mmT4_T5_P12ihipStream_tbEUlRKiE_EESS_SW_SX_mSY_S11_bEUlT_E_NS1_11comp_targetILNS1_3genE9ELNS1_11target_archE1100ELNS1_3gpuE3ELNS1_3repE0EEENS1_30default_config_static_selectorELNS0_4arch9wavefront6targetE0EEEvSV_.has_indirect_call, 0
	.section	.AMDGPU.csdata,"",@progbits
; Kernel info:
; codeLenInByte = 0
; TotalNumSgprs: 0
; NumVgprs: 0
; ScratchSize: 0
; MemoryBound: 0
; FloatMode: 240
; IeeeMode: 1
; LDSByteSize: 0 bytes/workgroup (compile time only)
; SGPRBlocks: 0
; VGPRBlocks: 0
; NumSGPRsForWavesPerEU: 1
; NumVGPRsForWavesPerEU: 1
; Occupancy: 16
; WaveLimiterHint : 0
; COMPUTE_PGM_RSRC2:SCRATCH_EN: 0
; COMPUTE_PGM_RSRC2:USER_SGPR: 6
; COMPUTE_PGM_RSRC2:TRAP_HANDLER: 0
; COMPUTE_PGM_RSRC2:TGID_X_EN: 1
; COMPUTE_PGM_RSRC2:TGID_Y_EN: 0
; COMPUTE_PGM_RSRC2:TGID_Z_EN: 0
; COMPUTE_PGM_RSRC2:TIDIG_COMP_CNT: 0
	.section	.text._ZN7rocprim17ROCPRIM_400000_NS6detail17trampoline_kernelINS0_14default_configENS1_29binary_search_config_selectorIiiEEZNS1_14transform_implILb0ES3_S5_N6thrust23THRUST_200600_302600_NS6detail15normal_iteratorINS8_7pointerIiNS8_11hip_rocprim5par_tENS8_11use_defaultESE_EEEESG_ZNS1_13binary_searchIS3_S5_NS8_10device_ptrIiEESG_SG_NS1_16binary_search_opENS9_16wrapped_functionINS8_6system6detail7generic6detail18binary_search_lessEbEEEE10hipError_tPvRmT1_T2_T3_mmT4_T5_P12ihipStream_tbEUlRKiE_EESS_SW_SX_mSY_S11_bEUlT_E_NS1_11comp_targetILNS1_3genE8ELNS1_11target_archE1030ELNS1_3gpuE2ELNS1_3repE0EEENS1_30default_config_static_selectorELNS0_4arch9wavefront6targetE0EEEvSV_,"axG",@progbits,_ZN7rocprim17ROCPRIM_400000_NS6detail17trampoline_kernelINS0_14default_configENS1_29binary_search_config_selectorIiiEEZNS1_14transform_implILb0ES3_S5_N6thrust23THRUST_200600_302600_NS6detail15normal_iteratorINS8_7pointerIiNS8_11hip_rocprim5par_tENS8_11use_defaultESE_EEEESG_ZNS1_13binary_searchIS3_S5_NS8_10device_ptrIiEESG_SG_NS1_16binary_search_opENS9_16wrapped_functionINS8_6system6detail7generic6detail18binary_search_lessEbEEEE10hipError_tPvRmT1_T2_T3_mmT4_T5_P12ihipStream_tbEUlRKiE_EESS_SW_SX_mSY_S11_bEUlT_E_NS1_11comp_targetILNS1_3genE8ELNS1_11target_archE1030ELNS1_3gpuE2ELNS1_3repE0EEENS1_30default_config_static_selectorELNS0_4arch9wavefront6targetE0EEEvSV_,comdat
	.protected	_ZN7rocprim17ROCPRIM_400000_NS6detail17trampoline_kernelINS0_14default_configENS1_29binary_search_config_selectorIiiEEZNS1_14transform_implILb0ES3_S5_N6thrust23THRUST_200600_302600_NS6detail15normal_iteratorINS8_7pointerIiNS8_11hip_rocprim5par_tENS8_11use_defaultESE_EEEESG_ZNS1_13binary_searchIS3_S5_NS8_10device_ptrIiEESG_SG_NS1_16binary_search_opENS9_16wrapped_functionINS8_6system6detail7generic6detail18binary_search_lessEbEEEE10hipError_tPvRmT1_T2_T3_mmT4_T5_P12ihipStream_tbEUlRKiE_EESS_SW_SX_mSY_S11_bEUlT_E_NS1_11comp_targetILNS1_3genE8ELNS1_11target_archE1030ELNS1_3gpuE2ELNS1_3repE0EEENS1_30default_config_static_selectorELNS0_4arch9wavefront6targetE0EEEvSV_ ; -- Begin function _ZN7rocprim17ROCPRIM_400000_NS6detail17trampoline_kernelINS0_14default_configENS1_29binary_search_config_selectorIiiEEZNS1_14transform_implILb0ES3_S5_N6thrust23THRUST_200600_302600_NS6detail15normal_iteratorINS8_7pointerIiNS8_11hip_rocprim5par_tENS8_11use_defaultESE_EEEESG_ZNS1_13binary_searchIS3_S5_NS8_10device_ptrIiEESG_SG_NS1_16binary_search_opENS9_16wrapped_functionINS8_6system6detail7generic6detail18binary_search_lessEbEEEE10hipError_tPvRmT1_T2_T3_mmT4_T5_P12ihipStream_tbEUlRKiE_EESS_SW_SX_mSY_S11_bEUlT_E_NS1_11comp_targetILNS1_3genE8ELNS1_11target_archE1030ELNS1_3gpuE2ELNS1_3repE0EEENS1_30default_config_static_selectorELNS0_4arch9wavefront6targetE0EEEvSV_
	.globl	_ZN7rocprim17ROCPRIM_400000_NS6detail17trampoline_kernelINS0_14default_configENS1_29binary_search_config_selectorIiiEEZNS1_14transform_implILb0ES3_S5_N6thrust23THRUST_200600_302600_NS6detail15normal_iteratorINS8_7pointerIiNS8_11hip_rocprim5par_tENS8_11use_defaultESE_EEEESG_ZNS1_13binary_searchIS3_S5_NS8_10device_ptrIiEESG_SG_NS1_16binary_search_opENS9_16wrapped_functionINS8_6system6detail7generic6detail18binary_search_lessEbEEEE10hipError_tPvRmT1_T2_T3_mmT4_T5_P12ihipStream_tbEUlRKiE_EESS_SW_SX_mSY_S11_bEUlT_E_NS1_11comp_targetILNS1_3genE8ELNS1_11target_archE1030ELNS1_3gpuE2ELNS1_3repE0EEENS1_30default_config_static_selectorELNS0_4arch9wavefront6targetE0EEEvSV_
	.p2align	8
	.type	_ZN7rocprim17ROCPRIM_400000_NS6detail17trampoline_kernelINS0_14default_configENS1_29binary_search_config_selectorIiiEEZNS1_14transform_implILb0ES3_S5_N6thrust23THRUST_200600_302600_NS6detail15normal_iteratorINS8_7pointerIiNS8_11hip_rocprim5par_tENS8_11use_defaultESE_EEEESG_ZNS1_13binary_searchIS3_S5_NS8_10device_ptrIiEESG_SG_NS1_16binary_search_opENS9_16wrapped_functionINS8_6system6detail7generic6detail18binary_search_lessEbEEEE10hipError_tPvRmT1_T2_T3_mmT4_T5_P12ihipStream_tbEUlRKiE_EESS_SW_SX_mSY_S11_bEUlT_E_NS1_11comp_targetILNS1_3genE8ELNS1_11target_archE1030ELNS1_3gpuE2ELNS1_3repE0EEENS1_30default_config_static_selectorELNS0_4arch9wavefront6targetE0EEEvSV_,@function
_ZN7rocprim17ROCPRIM_400000_NS6detail17trampoline_kernelINS0_14default_configENS1_29binary_search_config_selectorIiiEEZNS1_14transform_implILb0ES3_S5_N6thrust23THRUST_200600_302600_NS6detail15normal_iteratorINS8_7pointerIiNS8_11hip_rocprim5par_tENS8_11use_defaultESE_EEEESG_ZNS1_13binary_searchIS3_S5_NS8_10device_ptrIiEESG_SG_NS1_16binary_search_opENS9_16wrapped_functionINS8_6system6detail7generic6detail18binary_search_lessEbEEEE10hipError_tPvRmT1_T2_T3_mmT4_T5_P12ihipStream_tbEUlRKiE_EESS_SW_SX_mSY_S11_bEUlT_E_NS1_11comp_targetILNS1_3genE8ELNS1_11target_archE1030ELNS1_3gpuE2ELNS1_3repE0EEENS1_30default_config_static_selectorELNS0_4arch9wavefront6targetE0EEEvSV_: ; @_ZN7rocprim17ROCPRIM_400000_NS6detail17trampoline_kernelINS0_14default_configENS1_29binary_search_config_selectorIiiEEZNS1_14transform_implILb0ES3_S5_N6thrust23THRUST_200600_302600_NS6detail15normal_iteratorINS8_7pointerIiNS8_11hip_rocprim5par_tENS8_11use_defaultESE_EEEESG_ZNS1_13binary_searchIS3_S5_NS8_10device_ptrIiEESG_SG_NS1_16binary_search_opENS9_16wrapped_functionINS8_6system6detail7generic6detail18binary_search_lessEbEEEE10hipError_tPvRmT1_T2_T3_mmT4_T5_P12ihipStream_tbEUlRKiE_EESS_SW_SX_mSY_S11_bEUlT_E_NS1_11comp_targetILNS1_3genE8ELNS1_11target_archE1030ELNS1_3gpuE2ELNS1_3repE0EEENS1_30default_config_static_selectorELNS0_4arch9wavefront6targetE0EEEvSV_
; %bb.0:
	s_clause 0x3
	s_load_dwordx4 s[16:19], s[4:5], 0x0
	s_load_dword s3, s[4:5], 0x38
	s_load_dwordx2 s[0:1], s[4:5], 0x28
	s_load_dwordx4 s[8:11], s[4:5], 0x18
	s_waitcnt lgkmcnt(0)
	s_lshl_b64 s[12:13], s[18:19], 2
	s_add_u32 s14, s16, s12
	s_addc_u32 s15, s17, s13
	s_add_i32 s7, s3, -1
	s_lshl_b32 s2, s6, 8
	s_mov_b32 s3, 0
	s_cmp_lg_u32 s6, s7
	s_mov_b32 s16, -1
	s_cbranch_scc0 .LBB796_6
; %bb.1:
	v_lshlrev_b32_e32 v1, 2, v0
	s_lshl_b64 s[6:7], s[2:3], 2
	s_add_u32 s6, s14, s6
	s_addc_u32 s7, s15, s7
	v_add_co_u32 v1, s6, s6, v1
	v_add_co_ci_u32_e64 v2, null, s7, 0, s6
	s_cmp_eq_u64 s[0:1], 0
	flat_load_dword v6, v[1:2]
	v_mov_b32_e32 v2, 0
	v_mov_b32_e32 v1, 0
	;; [unrolled: 1-line block ×3, first 2 shown]
	s_cbranch_scc1 .LBB796_5
; %bb.2:
	v_mov_b32_e32 v5, s1
	v_mov_b32_e32 v4, s0
	s_mov_b32 s6, 0
	s_inst_prefetch 0x1
	.p2align	6
.LBB796_3:                              ; =>This Inner Loop Header: Depth=1
	v_sub_co_u32 v7, vcc_lo, v4, v2
	v_sub_co_ci_u32_e64 v8, null, v5, v3, vcc_lo
	v_lshrrev_b64 v[9:10], 1, v[7:8]
	v_lshrrev_b64 v[7:8], 6, v[7:8]
	v_add_co_u32 v9, vcc_lo, v9, v2
	v_add_co_ci_u32_e64 v10, null, v10, v3, vcc_lo
	v_add_co_u32 v7, vcc_lo, v9, v7
	v_add_co_ci_u32_e64 v8, null, v10, v8, vcc_lo
	v_lshlrev_b64 v[9:10], 2, v[7:8]
	v_add_co_u32 v9, vcc_lo, s10, v9
	v_add_co_ci_u32_e64 v10, null, s11, v10, vcc_lo
	global_load_dword v9, v[9:10], off
	v_add_co_u32 v10, vcc_lo, v7, 1
	v_add_co_ci_u32_e64 v11, null, 0, v8, vcc_lo
	s_waitcnt vmcnt(0) lgkmcnt(0)
	v_cmp_lt_i32_e32 vcc_lo, v9, v6
	v_cndmask_b32_e32 v5, v8, v5, vcc_lo
	v_cndmask_b32_e32 v4, v7, v4, vcc_lo
	;; [unrolled: 1-line block ×4, first 2 shown]
	v_cmp_ge_u64_e32 vcc_lo, v[2:3], v[4:5]
	s_or_b32 s6, vcc_lo, s6
	s_andn2_b32 exec_lo, exec_lo, s6
	s_cbranch_execnz .LBB796_3
; %bb.4:
	s_inst_prefetch 0x2
	s_or_b32 exec_lo, exec_lo, s6
.LBB796_5:
	v_cmp_eq_u64_e64 s6, s[0:1], v[2:3]
	v_cmp_ne_u64_e64 s7, s[0:1], v[2:3]
	s_branch .LBB796_14
.LBB796_6:
	s_mov_b32 s7, s3
	s_mov_b32 s6, s3
                                        ; implicit-def: $vgpr6
                                        ; implicit-def: $vgpr2_vgpr3
	s_and_b32 vcc_lo, exec_lo, s16
	s_cbranch_vccz .LBB796_14
; %bb.7:
	s_load_dword s4, s[4:5], 0x10
                                        ; implicit-def: $vgpr6
                                        ; implicit-def: $vgpr2_vgpr3
	s_waitcnt lgkmcnt(0)
	s_sub_i32 s4, s4, s2
	v_cmp_gt_u32_e32 vcc_lo, s4, v0
	s_and_saveexec_b32 s4, vcc_lo
	s_cbranch_execz .LBB796_13
; %bb.8:
	v_lshlrev_b32_e32 v1, 2, v0
	s_lshl_b64 s[16:17], s[2:3], 2
	s_add_u32 s5, s14, s16
	s_addc_u32 s14, s15, s17
	v_add_co_u32 v1, s5, s5, v1
	v_add_co_ci_u32_e64 v2, null, s14, 0, s5
	s_cmp_eq_u64 s[0:1], 0
	s_waitcnt vmcnt(0)
	flat_load_dword v6, v[1:2]
	v_mov_b32_e32 v2, 0
	v_mov_b32_e32 v1, 0
	v_mov_b32_e32 v3, 0
	s_cbranch_scc1 .LBB796_12
; %bb.9:
	v_mov_b32_e32 v5, s1
	v_mov_b32_e32 v4, s0
	s_mov_b32 s5, 0
	s_inst_prefetch 0x1
	.p2align	6
.LBB796_10:                             ; =>This Inner Loop Header: Depth=1
	v_sub_co_u32 v7, vcc_lo, v4, v2
	v_sub_co_ci_u32_e64 v8, null, v5, v3, vcc_lo
	v_lshrrev_b64 v[9:10], 1, v[7:8]
	v_lshrrev_b64 v[7:8], 6, v[7:8]
	v_add_co_u32 v9, vcc_lo, v9, v2
	v_add_co_ci_u32_e64 v10, null, v10, v3, vcc_lo
	v_add_co_u32 v7, vcc_lo, v9, v7
	v_add_co_ci_u32_e64 v8, null, v10, v8, vcc_lo
	v_lshlrev_b64 v[9:10], 2, v[7:8]
	v_add_co_u32 v9, vcc_lo, s10, v9
	v_add_co_ci_u32_e64 v10, null, s11, v10, vcc_lo
	global_load_dword v9, v[9:10], off
	v_add_co_u32 v10, vcc_lo, v7, 1
	v_add_co_ci_u32_e64 v11, null, 0, v8, vcc_lo
	s_waitcnt vmcnt(0) lgkmcnt(0)
	v_cmp_lt_i32_e32 vcc_lo, v9, v6
	v_cndmask_b32_e32 v5, v8, v5, vcc_lo
	v_cndmask_b32_e32 v4, v7, v4, vcc_lo
	;; [unrolled: 1-line block ×4, first 2 shown]
	v_cmp_ge_u64_e32 vcc_lo, v[2:3], v[4:5]
	s_or_b32 s5, vcc_lo, s5
	s_andn2_b32 exec_lo, exec_lo, s5
	s_cbranch_execnz .LBB796_10
; %bb.11:
	s_inst_prefetch 0x2
	s_or_b32 exec_lo, exec_lo, s5
.LBB796_12:
	v_cmp_eq_u64_e32 vcc_lo, s[0:1], v[2:3]
	v_cmp_ne_u64_e64 s0, s[0:1], v[2:3]
	s_andn2_b32 s1, s6, exec_lo
	s_andn2_b32 s5, s7, exec_lo
	s_and_b32 s6, vcc_lo, exec_lo
	s_and_b32 s0, s0, exec_lo
	s_or_b32 s6, s1, s6
	s_or_b32 s7, s5, s0
.LBB796_13:
	s_or_b32 exec_lo, exec_lo, s4
.LBB796_14:
	v_mov_b32_e32 v4, 0
	s_and_saveexec_b32 s0, s7
	s_cbranch_execnz .LBB796_17
; %bb.15:
	s_or_b32 exec_lo, exec_lo, s0
	s_and_saveexec_b32 s0, s6
	s_cbranch_execnz .LBB796_18
.LBB796_16:
	s_endpgm
.LBB796_17:
	v_lshlrev_b64 v[2:3], 2, v[2:3]
	s_or_b32 s6, s6, exec_lo
	v_add_co_u32 v2, vcc_lo, s10, v2
	v_add_co_ci_u32_e64 v3, null, s11, v3, vcc_lo
	global_load_dword v2, v[2:3], off
	s_waitcnt vmcnt(0) lgkmcnt(0)
	v_cmp_ge_i32_e32 vcc_lo, v6, v2
	v_cndmask_b32_e64 v4, 0, 1, vcc_lo
	s_or_b32 exec_lo, exec_lo, s0
	s_and_saveexec_b32 s0, s6
	s_cbranch_execz .LBB796_16
.LBB796_18:
	v_lshlrev_b64 v[0:1], 2, v[0:1]
	s_add_u32 s4, s8, s12
	s_addc_u32 s5, s9, s13
	s_lshl_b64 s[0:1], s[2:3], 2
	s_add_u32 s0, s4, s0
	s_addc_u32 s1, s5, s1
	v_add_co_u32 v0, vcc_lo, s0, v0
	v_add_co_ci_u32_e64 v1, null, s1, v1, vcc_lo
	flat_store_dword v[0:1], v4
	s_endpgm
	.section	.rodata,"a",@progbits
	.p2align	6, 0x0
	.amdhsa_kernel _ZN7rocprim17ROCPRIM_400000_NS6detail17trampoline_kernelINS0_14default_configENS1_29binary_search_config_selectorIiiEEZNS1_14transform_implILb0ES3_S5_N6thrust23THRUST_200600_302600_NS6detail15normal_iteratorINS8_7pointerIiNS8_11hip_rocprim5par_tENS8_11use_defaultESE_EEEESG_ZNS1_13binary_searchIS3_S5_NS8_10device_ptrIiEESG_SG_NS1_16binary_search_opENS9_16wrapped_functionINS8_6system6detail7generic6detail18binary_search_lessEbEEEE10hipError_tPvRmT1_T2_T3_mmT4_T5_P12ihipStream_tbEUlRKiE_EESS_SW_SX_mSY_S11_bEUlT_E_NS1_11comp_targetILNS1_3genE8ELNS1_11target_archE1030ELNS1_3gpuE2ELNS1_3repE0EEENS1_30default_config_static_selectorELNS0_4arch9wavefront6targetE0EEEvSV_
		.amdhsa_group_segment_fixed_size 0
		.amdhsa_private_segment_fixed_size 0
		.amdhsa_kernarg_size 312
		.amdhsa_user_sgpr_count 6
		.amdhsa_user_sgpr_private_segment_buffer 1
		.amdhsa_user_sgpr_dispatch_ptr 0
		.amdhsa_user_sgpr_queue_ptr 0
		.amdhsa_user_sgpr_kernarg_segment_ptr 1
		.amdhsa_user_sgpr_dispatch_id 0
		.amdhsa_user_sgpr_flat_scratch_init 0
		.amdhsa_user_sgpr_private_segment_size 0
		.amdhsa_wavefront_size32 1
		.amdhsa_uses_dynamic_stack 0
		.amdhsa_system_sgpr_private_segment_wavefront_offset 0
		.amdhsa_system_sgpr_workgroup_id_x 1
		.amdhsa_system_sgpr_workgroup_id_y 0
		.amdhsa_system_sgpr_workgroup_id_z 0
		.amdhsa_system_sgpr_workgroup_info 0
		.amdhsa_system_vgpr_workitem_id 0
		.amdhsa_next_free_vgpr 12
		.amdhsa_next_free_sgpr 20
		.amdhsa_reserve_vcc 1
		.amdhsa_reserve_flat_scratch 0
		.amdhsa_float_round_mode_32 0
		.amdhsa_float_round_mode_16_64 0
		.amdhsa_float_denorm_mode_32 3
		.amdhsa_float_denorm_mode_16_64 3
		.amdhsa_dx10_clamp 1
		.amdhsa_ieee_mode 1
		.amdhsa_fp16_overflow 0
		.amdhsa_workgroup_processor_mode 1
		.amdhsa_memory_ordered 1
		.amdhsa_forward_progress 1
		.amdhsa_shared_vgpr_count 0
		.amdhsa_exception_fp_ieee_invalid_op 0
		.amdhsa_exception_fp_denorm_src 0
		.amdhsa_exception_fp_ieee_div_zero 0
		.amdhsa_exception_fp_ieee_overflow 0
		.amdhsa_exception_fp_ieee_underflow 0
		.amdhsa_exception_fp_ieee_inexact 0
		.amdhsa_exception_int_div_zero 0
	.end_amdhsa_kernel
	.section	.text._ZN7rocprim17ROCPRIM_400000_NS6detail17trampoline_kernelINS0_14default_configENS1_29binary_search_config_selectorIiiEEZNS1_14transform_implILb0ES3_S5_N6thrust23THRUST_200600_302600_NS6detail15normal_iteratorINS8_7pointerIiNS8_11hip_rocprim5par_tENS8_11use_defaultESE_EEEESG_ZNS1_13binary_searchIS3_S5_NS8_10device_ptrIiEESG_SG_NS1_16binary_search_opENS9_16wrapped_functionINS8_6system6detail7generic6detail18binary_search_lessEbEEEE10hipError_tPvRmT1_T2_T3_mmT4_T5_P12ihipStream_tbEUlRKiE_EESS_SW_SX_mSY_S11_bEUlT_E_NS1_11comp_targetILNS1_3genE8ELNS1_11target_archE1030ELNS1_3gpuE2ELNS1_3repE0EEENS1_30default_config_static_selectorELNS0_4arch9wavefront6targetE0EEEvSV_,"axG",@progbits,_ZN7rocprim17ROCPRIM_400000_NS6detail17trampoline_kernelINS0_14default_configENS1_29binary_search_config_selectorIiiEEZNS1_14transform_implILb0ES3_S5_N6thrust23THRUST_200600_302600_NS6detail15normal_iteratorINS8_7pointerIiNS8_11hip_rocprim5par_tENS8_11use_defaultESE_EEEESG_ZNS1_13binary_searchIS3_S5_NS8_10device_ptrIiEESG_SG_NS1_16binary_search_opENS9_16wrapped_functionINS8_6system6detail7generic6detail18binary_search_lessEbEEEE10hipError_tPvRmT1_T2_T3_mmT4_T5_P12ihipStream_tbEUlRKiE_EESS_SW_SX_mSY_S11_bEUlT_E_NS1_11comp_targetILNS1_3genE8ELNS1_11target_archE1030ELNS1_3gpuE2ELNS1_3repE0EEENS1_30default_config_static_selectorELNS0_4arch9wavefront6targetE0EEEvSV_,comdat
.Lfunc_end796:
	.size	_ZN7rocprim17ROCPRIM_400000_NS6detail17trampoline_kernelINS0_14default_configENS1_29binary_search_config_selectorIiiEEZNS1_14transform_implILb0ES3_S5_N6thrust23THRUST_200600_302600_NS6detail15normal_iteratorINS8_7pointerIiNS8_11hip_rocprim5par_tENS8_11use_defaultESE_EEEESG_ZNS1_13binary_searchIS3_S5_NS8_10device_ptrIiEESG_SG_NS1_16binary_search_opENS9_16wrapped_functionINS8_6system6detail7generic6detail18binary_search_lessEbEEEE10hipError_tPvRmT1_T2_T3_mmT4_T5_P12ihipStream_tbEUlRKiE_EESS_SW_SX_mSY_S11_bEUlT_E_NS1_11comp_targetILNS1_3genE8ELNS1_11target_archE1030ELNS1_3gpuE2ELNS1_3repE0EEENS1_30default_config_static_selectorELNS0_4arch9wavefront6targetE0EEEvSV_, .Lfunc_end796-_ZN7rocprim17ROCPRIM_400000_NS6detail17trampoline_kernelINS0_14default_configENS1_29binary_search_config_selectorIiiEEZNS1_14transform_implILb0ES3_S5_N6thrust23THRUST_200600_302600_NS6detail15normal_iteratorINS8_7pointerIiNS8_11hip_rocprim5par_tENS8_11use_defaultESE_EEEESG_ZNS1_13binary_searchIS3_S5_NS8_10device_ptrIiEESG_SG_NS1_16binary_search_opENS9_16wrapped_functionINS8_6system6detail7generic6detail18binary_search_lessEbEEEE10hipError_tPvRmT1_T2_T3_mmT4_T5_P12ihipStream_tbEUlRKiE_EESS_SW_SX_mSY_S11_bEUlT_E_NS1_11comp_targetILNS1_3genE8ELNS1_11target_archE1030ELNS1_3gpuE2ELNS1_3repE0EEENS1_30default_config_static_selectorELNS0_4arch9wavefront6targetE0EEEvSV_
                                        ; -- End function
	.set _ZN7rocprim17ROCPRIM_400000_NS6detail17trampoline_kernelINS0_14default_configENS1_29binary_search_config_selectorIiiEEZNS1_14transform_implILb0ES3_S5_N6thrust23THRUST_200600_302600_NS6detail15normal_iteratorINS8_7pointerIiNS8_11hip_rocprim5par_tENS8_11use_defaultESE_EEEESG_ZNS1_13binary_searchIS3_S5_NS8_10device_ptrIiEESG_SG_NS1_16binary_search_opENS9_16wrapped_functionINS8_6system6detail7generic6detail18binary_search_lessEbEEEE10hipError_tPvRmT1_T2_T3_mmT4_T5_P12ihipStream_tbEUlRKiE_EESS_SW_SX_mSY_S11_bEUlT_E_NS1_11comp_targetILNS1_3genE8ELNS1_11target_archE1030ELNS1_3gpuE2ELNS1_3repE0EEENS1_30default_config_static_selectorELNS0_4arch9wavefront6targetE0EEEvSV_.num_vgpr, 12
	.set _ZN7rocprim17ROCPRIM_400000_NS6detail17trampoline_kernelINS0_14default_configENS1_29binary_search_config_selectorIiiEEZNS1_14transform_implILb0ES3_S5_N6thrust23THRUST_200600_302600_NS6detail15normal_iteratorINS8_7pointerIiNS8_11hip_rocprim5par_tENS8_11use_defaultESE_EEEESG_ZNS1_13binary_searchIS3_S5_NS8_10device_ptrIiEESG_SG_NS1_16binary_search_opENS9_16wrapped_functionINS8_6system6detail7generic6detail18binary_search_lessEbEEEE10hipError_tPvRmT1_T2_T3_mmT4_T5_P12ihipStream_tbEUlRKiE_EESS_SW_SX_mSY_S11_bEUlT_E_NS1_11comp_targetILNS1_3genE8ELNS1_11target_archE1030ELNS1_3gpuE2ELNS1_3repE0EEENS1_30default_config_static_selectorELNS0_4arch9wavefront6targetE0EEEvSV_.num_agpr, 0
	.set _ZN7rocprim17ROCPRIM_400000_NS6detail17trampoline_kernelINS0_14default_configENS1_29binary_search_config_selectorIiiEEZNS1_14transform_implILb0ES3_S5_N6thrust23THRUST_200600_302600_NS6detail15normal_iteratorINS8_7pointerIiNS8_11hip_rocprim5par_tENS8_11use_defaultESE_EEEESG_ZNS1_13binary_searchIS3_S5_NS8_10device_ptrIiEESG_SG_NS1_16binary_search_opENS9_16wrapped_functionINS8_6system6detail7generic6detail18binary_search_lessEbEEEE10hipError_tPvRmT1_T2_T3_mmT4_T5_P12ihipStream_tbEUlRKiE_EESS_SW_SX_mSY_S11_bEUlT_E_NS1_11comp_targetILNS1_3genE8ELNS1_11target_archE1030ELNS1_3gpuE2ELNS1_3repE0EEENS1_30default_config_static_selectorELNS0_4arch9wavefront6targetE0EEEvSV_.numbered_sgpr, 20
	.set _ZN7rocprim17ROCPRIM_400000_NS6detail17trampoline_kernelINS0_14default_configENS1_29binary_search_config_selectorIiiEEZNS1_14transform_implILb0ES3_S5_N6thrust23THRUST_200600_302600_NS6detail15normal_iteratorINS8_7pointerIiNS8_11hip_rocprim5par_tENS8_11use_defaultESE_EEEESG_ZNS1_13binary_searchIS3_S5_NS8_10device_ptrIiEESG_SG_NS1_16binary_search_opENS9_16wrapped_functionINS8_6system6detail7generic6detail18binary_search_lessEbEEEE10hipError_tPvRmT1_T2_T3_mmT4_T5_P12ihipStream_tbEUlRKiE_EESS_SW_SX_mSY_S11_bEUlT_E_NS1_11comp_targetILNS1_3genE8ELNS1_11target_archE1030ELNS1_3gpuE2ELNS1_3repE0EEENS1_30default_config_static_selectorELNS0_4arch9wavefront6targetE0EEEvSV_.num_named_barrier, 0
	.set _ZN7rocprim17ROCPRIM_400000_NS6detail17trampoline_kernelINS0_14default_configENS1_29binary_search_config_selectorIiiEEZNS1_14transform_implILb0ES3_S5_N6thrust23THRUST_200600_302600_NS6detail15normal_iteratorINS8_7pointerIiNS8_11hip_rocprim5par_tENS8_11use_defaultESE_EEEESG_ZNS1_13binary_searchIS3_S5_NS8_10device_ptrIiEESG_SG_NS1_16binary_search_opENS9_16wrapped_functionINS8_6system6detail7generic6detail18binary_search_lessEbEEEE10hipError_tPvRmT1_T2_T3_mmT4_T5_P12ihipStream_tbEUlRKiE_EESS_SW_SX_mSY_S11_bEUlT_E_NS1_11comp_targetILNS1_3genE8ELNS1_11target_archE1030ELNS1_3gpuE2ELNS1_3repE0EEENS1_30default_config_static_selectorELNS0_4arch9wavefront6targetE0EEEvSV_.private_seg_size, 0
	.set _ZN7rocprim17ROCPRIM_400000_NS6detail17trampoline_kernelINS0_14default_configENS1_29binary_search_config_selectorIiiEEZNS1_14transform_implILb0ES3_S5_N6thrust23THRUST_200600_302600_NS6detail15normal_iteratorINS8_7pointerIiNS8_11hip_rocprim5par_tENS8_11use_defaultESE_EEEESG_ZNS1_13binary_searchIS3_S5_NS8_10device_ptrIiEESG_SG_NS1_16binary_search_opENS9_16wrapped_functionINS8_6system6detail7generic6detail18binary_search_lessEbEEEE10hipError_tPvRmT1_T2_T3_mmT4_T5_P12ihipStream_tbEUlRKiE_EESS_SW_SX_mSY_S11_bEUlT_E_NS1_11comp_targetILNS1_3genE8ELNS1_11target_archE1030ELNS1_3gpuE2ELNS1_3repE0EEENS1_30default_config_static_selectorELNS0_4arch9wavefront6targetE0EEEvSV_.uses_vcc, 1
	.set _ZN7rocprim17ROCPRIM_400000_NS6detail17trampoline_kernelINS0_14default_configENS1_29binary_search_config_selectorIiiEEZNS1_14transform_implILb0ES3_S5_N6thrust23THRUST_200600_302600_NS6detail15normal_iteratorINS8_7pointerIiNS8_11hip_rocprim5par_tENS8_11use_defaultESE_EEEESG_ZNS1_13binary_searchIS3_S5_NS8_10device_ptrIiEESG_SG_NS1_16binary_search_opENS9_16wrapped_functionINS8_6system6detail7generic6detail18binary_search_lessEbEEEE10hipError_tPvRmT1_T2_T3_mmT4_T5_P12ihipStream_tbEUlRKiE_EESS_SW_SX_mSY_S11_bEUlT_E_NS1_11comp_targetILNS1_3genE8ELNS1_11target_archE1030ELNS1_3gpuE2ELNS1_3repE0EEENS1_30default_config_static_selectorELNS0_4arch9wavefront6targetE0EEEvSV_.uses_flat_scratch, 0
	.set _ZN7rocprim17ROCPRIM_400000_NS6detail17trampoline_kernelINS0_14default_configENS1_29binary_search_config_selectorIiiEEZNS1_14transform_implILb0ES3_S5_N6thrust23THRUST_200600_302600_NS6detail15normal_iteratorINS8_7pointerIiNS8_11hip_rocprim5par_tENS8_11use_defaultESE_EEEESG_ZNS1_13binary_searchIS3_S5_NS8_10device_ptrIiEESG_SG_NS1_16binary_search_opENS9_16wrapped_functionINS8_6system6detail7generic6detail18binary_search_lessEbEEEE10hipError_tPvRmT1_T2_T3_mmT4_T5_P12ihipStream_tbEUlRKiE_EESS_SW_SX_mSY_S11_bEUlT_E_NS1_11comp_targetILNS1_3genE8ELNS1_11target_archE1030ELNS1_3gpuE2ELNS1_3repE0EEENS1_30default_config_static_selectorELNS0_4arch9wavefront6targetE0EEEvSV_.has_dyn_sized_stack, 0
	.set _ZN7rocprim17ROCPRIM_400000_NS6detail17trampoline_kernelINS0_14default_configENS1_29binary_search_config_selectorIiiEEZNS1_14transform_implILb0ES3_S5_N6thrust23THRUST_200600_302600_NS6detail15normal_iteratorINS8_7pointerIiNS8_11hip_rocprim5par_tENS8_11use_defaultESE_EEEESG_ZNS1_13binary_searchIS3_S5_NS8_10device_ptrIiEESG_SG_NS1_16binary_search_opENS9_16wrapped_functionINS8_6system6detail7generic6detail18binary_search_lessEbEEEE10hipError_tPvRmT1_T2_T3_mmT4_T5_P12ihipStream_tbEUlRKiE_EESS_SW_SX_mSY_S11_bEUlT_E_NS1_11comp_targetILNS1_3genE8ELNS1_11target_archE1030ELNS1_3gpuE2ELNS1_3repE0EEENS1_30default_config_static_selectorELNS0_4arch9wavefront6targetE0EEEvSV_.has_recursion, 0
	.set _ZN7rocprim17ROCPRIM_400000_NS6detail17trampoline_kernelINS0_14default_configENS1_29binary_search_config_selectorIiiEEZNS1_14transform_implILb0ES3_S5_N6thrust23THRUST_200600_302600_NS6detail15normal_iteratorINS8_7pointerIiNS8_11hip_rocprim5par_tENS8_11use_defaultESE_EEEESG_ZNS1_13binary_searchIS3_S5_NS8_10device_ptrIiEESG_SG_NS1_16binary_search_opENS9_16wrapped_functionINS8_6system6detail7generic6detail18binary_search_lessEbEEEE10hipError_tPvRmT1_T2_T3_mmT4_T5_P12ihipStream_tbEUlRKiE_EESS_SW_SX_mSY_S11_bEUlT_E_NS1_11comp_targetILNS1_3genE8ELNS1_11target_archE1030ELNS1_3gpuE2ELNS1_3repE0EEENS1_30default_config_static_selectorELNS0_4arch9wavefront6targetE0EEEvSV_.has_indirect_call, 0
	.section	.AMDGPU.csdata,"",@progbits
; Kernel info:
; codeLenInByte = 860
; TotalNumSgprs: 22
; NumVgprs: 12
; ScratchSize: 0
; MemoryBound: 0
; FloatMode: 240
; IeeeMode: 1
; LDSByteSize: 0 bytes/workgroup (compile time only)
; SGPRBlocks: 0
; VGPRBlocks: 1
; NumSGPRsForWavesPerEU: 22
; NumVGPRsForWavesPerEU: 12
; Occupancy: 16
; WaveLimiterHint : 0
; COMPUTE_PGM_RSRC2:SCRATCH_EN: 0
; COMPUTE_PGM_RSRC2:USER_SGPR: 6
; COMPUTE_PGM_RSRC2:TRAP_HANDLER: 0
; COMPUTE_PGM_RSRC2:TGID_X_EN: 1
; COMPUTE_PGM_RSRC2:TGID_Y_EN: 0
; COMPUTE_PGM_RSRC2:TGID_Z_EN: 0
; COMPUTE_PGM_RSRC2:TIDIG_COMP_CNT: 0
	.text
	.p2alignl 6, 3214868480
	.fill 48, 4, 3214868480
	.section	.AMDGPU.gpr_maximums,"",@progbits
	.set amdgpu.max_num_vgpr, 0
	.set amdgpu.max_num_agpr, 0
	.set amdgpu.max_num_sgpr, 0
	.text
	.type	__hip_cuid_53405c55d24f03ad,@object ; @__hip_cuid_53405c55d24f03ad
	.section	.bss,"aw",@nobits
	.globl	__hip_cuid_53405c55d24f03ad
__hip_cuid_53405c55d24f03ad:
	.byte	0                               ; 0x0
	.size	__hip_cuid_53405c55d24f03ad, 1

	.ident	"AMD clang version 22.0.0git (https://github.com/RadeonOpenCompute/llvm-project roc-7.2.4 26084 f58b06dce1f9c15707c5f808fd002e18c2accf7e)"
	.section	".note.GNU-stack","",@progbits
	.addrsig
	.addrsig_sym __hip_cuid_53405c55d24f03ad
	.amdgpu_metadata
---
amdhsa.kernels:
  - .args:
      - .offset:         0
        .size:           4
        .value_kind:     by_value
      - .address_space:  global
        .offset:         8
        .size:           8
        .value_kind:     global_buffer
      - .address_space:  global
        .offset:         16
        .size:           8
        .value_kind:     global_buffer
      - .offset:         24
        .size:           4
        .value_kind:     by_value
    .group_segment_fixed_size: 0
    .kernarg_segment_align: 8
    .kernarg_segment_size: 28
    .language:       OpenCL C
    .language_version:
      - 2
      - 0
    .max_flat_workgroup_size: 256
    .name:           _Z18BinarySearchKerneliPiS_i
    .private_segment_fixed_size: 0
    .sgpr_count:     18
    .sgpr_spill_count: 0
    .symbol:         _Z18BinarySearchKerneliPiS_i.kd
    .uniform_work_group_size: 1
    .uses_dynamic_stack: false
    .vgpr_count:     2
    .vgpr_spill_count: 0
    .wavefront_size: 32
    .workgroup_processor_mode: 1
  - .args:
      - .offset:         0
        .size:           16
        .value_kind:     by_value
      - .offset:         16
        .size:           8
        .value_kind:     by_value
      - .offset:         24
        .size:           8
        .value_kind:     by_value
    .group_segment_fixed_size: 0
    .kernarg_segment_align: 8
    .kernarg_segment_size: 32
    .language:       OpenCL C
    .language_version:
      - 2
      - 0
    .max_flat_workgroup_size: 256
    .name:           _ZN6thrust23THRUST_200600_302600_NS11hip_rocprim14__parallel_for6kernelILj256ENS1_20__uninitialized_fill7functorINS0_10device_ptrIdEEdEEmLj1EEEvT0_T1_SA_
    .private_segment_fixed_size: 0
    .sgpr_count:     18
    .sgpr_spill_count: 0
    .symbol:         _ZN6thrust23THRUST_200600_302600_NS11hip_rocprim14__parallel_for6kernelILj256ENS1_20__uninitialized_fill7functorINS0_10device_ptrIdEEdEEmLj1EEEvT0_T1_SA_.kd
    .uniform_work_group_size: 1
    .uses_dynamic_stack: false
    .vgpr_count:     5
    .vgpr_spill_count: 0
    .wavefront_size: 32
    .workgroup_processor_mode: 1
  - .args:
      - .offset:         0
        .size:           16
        .value_kind:     by_value
      - .offset:         16
        .size:           8
        .value_kind:     by_value
      - .offset:         24
        .size:           8
        .value_kind:     by_value
    .group_segment_fixed_size: 0
    .kernarg_segment_align: 8
    .kernarg_segment_size: 32
    .language:       OpenCL C
    .language_version:
      - 2
      - 0
    .max_flat_workgroup_size: 256
    .name:           _ZN6thrust23THRUST_200600_302600_NS11hip_rocprim14__parallel_for6kernelILj256ENS1_20__uninitialized_fill7functorINS0_10device_ptrIlEElEEmLj1EEEvT0_T1_SA_
    .private_segment_fixed_size: 0
    .sgpr_count:     18
    .sgpr_spill_count: 0
    .symbol:         _ZN6thrust23THRUST_200600_302600_NS11hip_rocprim14__parallel_for6kernelILj256ENS1_20__uninitialized_fill7functorINS0_10device_ptrIlEElEEmLj1EEEvT0_T1_SA_.kd
    .uniform_work_group_size: 1
    .uses_dynamic_stack: false
    .vgpr_count:     5
    .vgpr_spill_count: 0
    .wavefront_size: 32
    .workgroup_processor_mode: 1
  - .args:
      - .offset:         0
        .size:           8
        .value_kind:     by_value
      - .address_space:  global
        .offset:         8
        .size:           8
        .value_kind:     global_buffer
      - .address_space:  global
        .offset:         16
        .size:           8
        .value_kind:     global_buffer
    .group_segment_fixed_size: 0
    .kernarg_segment_align: 8
    .kernarg_segment_size: 24
    .language:       OpenCL C
    .language_version:
      - 2
      - 0
    .max_flat_workgroup_size: 256
    .name:           _Z18lower_bound_kernelIdEvmPT_Pl
    .private_segment_fixed_size: 0
    .sgpr_count:     18
    .sgpr_spill_count: 0
    .symbol:         _Z18lower_bound_kernelIdEvmPT_Pl.kd
    .uniform_work_group_size: 1
    .uses_dynamic_stack: false
    .vgpr_count:     3
    .vgpr_spill_count: 0
    .wavefront_size: 32
    .workgroup_processor_mode: 1
  - .args:
      - .offset:         0
        .size:           56
        .value_kind:     by_value
    .group_segment_fixed_size: 0
    .kernarg_segment_align: 8
    .kernarg_segment_size: 56
    .language:       OpenCL C
    .language_version:
      - 2
      - 0
    .max_flat_workgroup_size: 64
    .name:           _ZN7rocprim17ROCPRIM_400000_NS6detail17trampoline_kernelINS0_14default_configENS1_27lower_bound_config_selectorIdlEEZNS1_14transform_implILb0ES3_S5_N6thrust23THRUST_200600_302600_NS6detail15normal_iteratorINS8_7pointerIdNS8_11hip_rocprim5par_tENS8_11use_defaultESE_EEEENSA_INSB_IlSD_SE_SE_EEEEZNS1_13binary_searchIS3_S5_PdSG_SI_NS1_21lower_bound_search_opENS9_16wrapped_functionI11custom_lessbEEEE10hipError_tPvRmT1_T2_T3_mmT4_T5_P12ihipStream_tbEUlRKdE_EESP_ST_SU_mSV_SY_bEUlT_E_NS1_11comp_targetILNS1_3genE0ELNS1_11target_archE4294967295ELNS1_3gpuE0ELNS1_3repE0EEENS1_30default_config_static_selectorELNS0_4arch9wavefront6targetE0EEEvSS_
    .private_segment_fixed_size: 0
    .sgpr_count:     0
    .sgpr_spill_count: 0
    .symbol:         _ZN7rocprim17ROCPRIM_400000_NS6detail17trampoline_kernelINS0_14default_configENS1_27lower_bound_config_selectorIdlEEZNS1_14transform_implILb0ES3_S5_N6thrust23THRUST_200600_302600_NS6detail15normal_iteratorINS8_7pointerIdNS8_11hip_rocprim5par_tENS8_11use_defaultESE_EEEENSA_INSB_IlSD_SE_SE_EEEEZNS1_13binary_searchIS3_S5_PdSG_SI_NS1_21lower_bound_search_opENS9_16wrapped_functionI11custom_lessbEEEE10hipError_tPvRmT1_T2_T3_mmT4_T5_P12ihipStream_tbEUlRKdE_EESP_ST_SU_mSV_SY_bEUlT_E_NS1_11comp_targetILNS1_3genE0ELNS1_11target_archE4294967295ELNS1_3gpuE0ELNS1_3repE0EEENS1_30default_config_static_selectorELNS0_4arch9wavefront6targetE0EEEvSS_.kd
    .uniform_work_group_size: 1
    .uses_dynamic_stack: false
    .vgpr_count:     0
    .vgpr_spill_count: 0
    .wavefront_size: 32
    .workgroup_processor_mode: 1
  - .args:
      - .offset:         0
        .size:           56
        .value_kind:     by_value
    .group_segment_fixed_size: 0
    .kernarg_segment_align: 8
    .kernarg_segment_size: 56
    .language:       OpenCL C
    .language_version:
      - 2
      - 0
    .max_flat_workgroup_size: 64
    .name:           _ZN7rocprim17ROCPRIM_400000_NS6detail17trampoline_kernelINS0_14default_configENS1_27lower_bound_config_selectorIdlEEZNS1_14transform_implILb0ES3_S5_N6thrust23THRUST_200600_302600_NS6detail15normal_iteratorINS8_7pointerIdNS8_11hip_rocprim5par_tENS8_11use_defaultESE_EEEENSA_INSB_IlSD_SE_SE_EEEEZNS1_13binary_searchIS3_S5_PdSG_SI_NS1_21lower_bound_search_opENS9_16wrapped_functionI11custom_lessbEEEE10hipError_tPvRmT1_T2_T3_mmT4_T5_P12ihipStream_tbEUlRKdE_EESP_ST_SU_mSV_SY_bEUlT_E_NS1_11comp_targetILNS1_3genE5ELNS1_11target_archE942ELNS1_3gpuE9ELNS1_3repE0EEENS1_30default_config_static_selectorELNS0_4arch9wavefront6targetE0EEEvSS_
    .private_segment_fixed_size: 0
    .sgpr_count:     0
    .sgpr_spill_count: 0
    .symbol:         _ZN7rocprim17ROCPRIM_400000_NS6detail17trampoline_kernelINS0_14default_configENS1_27lower_bound_config_selectorIdlEEZNS1_14transform_implILb0ES3_S5_N6thrust23THRUST_200600_302600_NS6detail15normal_iteratorINS8_7pointerIdNS8_11hip_rocprim5par_tENS8_11use_defaultESE_EEEENSA_INSB_IlSD_SE_SE_EEEEZNS1_13binary_searchIS3_S5_PdSG_SI_NS1_21lower_bound_search_opENS9_16wrapped_functionI11custom_lessbEEEE10hipError_tPvRmT1_T2_T3_mmT4_T5_P12ihipStream_tbEUlRKdE_EESP_ST_SU_mSV_SY_bEUlT_E_NS1_11comp_targetILNS1_3genE5ELNS1_11target_archE942ELNS1_3gpuE9ELNS1_3repE0EEENS1_30default_config_static_selectorELNS0_4arch9wavefront6targetE0EEEvSS_.kd
    .uniform_work_group_size: 1
    .uses_dynamic_stack: false
    .vgpr_count:     0
    .vgpr_spill_count: 0
    .wavefront_size: 32
    .workgroup_processor_mode: 1
  - .args:
      - .offset:         0
        .size:           56
        .value_kind:     by_value
    .group_segment_fixed_size: 0
    .kernarg_segment_align: 8
    .kernarg_segment_size: 56
    .language:       OpenCL C
    .language_version:
      - 2
      - 0
    .max_flat_workgroup_size: 64
    .name:           _ZN7rocprim17ROCPRIM_400000_NS6detail17trampoline_kernelINS0_14default_configENS1_27lower_bound_config_selectorIdlEEZNS1_14transform_implILb0ES3_S5_N6thrust23THRUST_200600_302600_NS6detail15normal_iteratorINS8_7pointerIdNS8_11hip_rocprim5par_tENS8_11use_defaultESE_EEEENSA_INSB_IlSD_SE_SE_EEEEZNS1_13binary_searchIS3_S5_PdSG_SI_NS1_21lower_bound_search_opENS9_16wrapped_functionI11custom_lessbEEEE10hipError_tPvRmT1_T2_T3_mmT4_T5_P12ihipStream_tbEUlRKdE_EESP_ST_SU_mSV_SY_bEUlT_E_NS1_11comp_targetILNS1_3genE4ELNS1_11target_archE910ELNS1_3gpuE8ELNS1_3repE0EEENS1_30default_config_static_selectorELNS0_4arch9wavefront6targetE0EEEvSS_
    .private_segment_fixed_size: 0
    .sgpr_count:     0
    .sgpr_spill_count: 0
    .symbol:         _ZN7rocprim17ROCPRIM_400000_NS6detail17trampoline_kernelINS0_14default_configENS1_27lower_bound_config_selectorIdlEEZNS1_14transform_implILb0ES3_S5_N6thrust23THRUST_200600_302600_NS6detail15normal_iteratorINS8_7pointerIdNS8_11hip_rocprim5par_tENS8_11use_defaultESE_EEEENSA_INSB_IlSD_SE_SE_EEEEZNS1_13binary_searchIS3_S5_PdSG_SI_NS1_21lower_bound_search_opENS9_16wrapped_functionI11custom_lessbEEEE10hipError_tPvRmT1_T2_T3_mmT4_T5_P12ihipStream_tbEUlRKdE_EESP_ST_SU_mSV_SY_bEUlT_E_NS1_11comp_targetILNS1_3genE4ELNS1_11target_archE910ELNS1_3gpuE8ELNS1_3repE0EEENS1_30default_config_static_selectorELNS0_4arch9wavefront6targetE0EEEvSS_.kd
    .uniform_work_group_size: 1
    .uses_dynamic_stack: false
    .vgpr_count:     0
    .vgpr_spill_count: 0
    .wavefront_size: 32
    .workgroup_processor_mode: 1
  - .args:
      - .offset:         0
        .size:           56
        .value_kind:     by_value
    .group_segment_fixed_size: 0
    .kernarg_segment_align: 8
    .kernarg_segment_size: 56
    .language:       OpenCL C
    .language_version:
      - 2
      - 0
    .max_flat_workgroup_size: 64
    .name:           _ZN7rocprim17ROCPRIM_400000_NS6detail17trampoline_kernelINS0_14default_configENS1_27lower_bound_config_selectorIdlEEZNS1_14transform_implILb0ES3_S5_N6thrust23THRUST_200600_302600_NS6detail15normal_iteratorINS8_7pointerIdNS8_11hip_rocprim5par_tENS8_11use_defaultESE_EEEENSA_INSB_IlSD_SE_SE_EEEEZNS1_13binary_searchIS3_S5_PdSG_SI_NS1_21lower_bound_search_opENS9_16wrapped_functionI11custom_lessbEEEE10hipError_tPvRmT1_T2_T3_mmT4_T5_P12ihipStream_tbEUlRKdE_EESP_ST_SU_mSV_SY_bEUlT_E_NS1_11comp_targetILNS1_3genE3ELNS1_11target_archE908ELNS1_3gpuE7ELNS1_3repE0EEENS1_30default_config_static_selectorELNS0_4arch9wavefront6targetE0EEEvSS_
    .private_segment_fixed_size: 0
    .sgpr_count:     0
    .sgpr_spill_count: 0
    .symbol:         _ZN7rocprim17ROCPRIM_400000_NS6detail17trampoline_kernelINS0_14default_configENS1_27lower_bound_config_selectorIdlEEZNS1_14transform_implILb0ES3_S5_N6thrust23THRUST_200600_302600_NS6detail15normal_iteratorINS8_7pointerIdNS8_11hip_rocprim5par_tENS8_11use_defaultESE_EEEENSA_INSB_IlSD_SE_SE_EEEEZNS1_13binary_searchIS3_S5_PdSG_SI_NS1_21lower_bound_search_opENS9_16wrapped_functionI11custom_lessbEEEE10hipError_tPvRmT1_T2_T3_mmT4_T5_P12ihipStream_tbEUlRKdE_EESP_ST_SU_mSV_SY_bEUlT_E_NS1_11comp_targetILNS1_3genE3ELNS1_11target_archE908ELNS1_3gpuE7ELNS1_3repE0EEENS1_30default_config_static_selectorELNS0_4arch9wavefront6targetE0EEEvSS_.kd
    .uniform_work_group_size: 1
    .uses_dynamic_stack: false
    .vgpr_count:     0
    .vgpr_spill_count: 0
    .wavefront_size: 32
    .workgroup_processor_mode: 1
  - .args:
      - .offset:         0
        .size:           56
        .value_kind:     by_value
    .group_segment_fixed_size: 0
    .kernarg_segment_align: 8
    .kernarg_segment_size: 56
    .language:       OpenCL C
    .language_version:
      - 2
      - 0
    .max_flat_workgroup_size: 256
    .name:           _ZN7rocprim17ROCPRIM_400000_NS6detail17trampoline_kernelINS0_14default_configENS1_27lower_bound_config_selectorIdlEEZNS1_14transform_implILb0ES3_S5_N6thrust23THRUST_200600_302600_NS6detail15normal_iteratorINS8_7pointerIdNS8_11hip_rocprim5par_tENS8_11use_defaultESE_EEEENSA_INSB_IlSD_SE_SE_EEEEZNS1_13binary_searchIS3_S5_PdSG_SI_NS1_21lower_bound_search_opENS9_16wrapped_functionI11custom_lessbEEEE10hipError_tPvRmT1_T2_T3_mmT4_T5_P12ihipStream_tbEUlRKdE_EESP_ST_SU_mSV_SY_bEUlT_E_NS1_11comp_targetILNS1_3genE2ELNS1_11target_archE906ELNS1_3gpuE6ELNS1_3repE0EEENS1_30default_config_static_selectorELNS0_4arch9wavefront6targetE0EEEvSS_
    .private_segment_fixed_size: 0
    .sgpr_count:     0
    .sgpr_spill_count: 0
    .symbol:         _ZN7rocprim17ROCPRIM_400000_NS6detail17trampoline_kernelINS0_14default_configENS1_27lower_bound_config_selectorIdlEEZNS1_14transform_implILb0ES3_S5_N6thrust23THRUST_200600_302600_NS6detail15normal_iteratorINS8_7pointerIdNS8_11hip_rocprim5par_tENS8_11use_defaultESE_EEEENSA_INSB_IlSD_SE_SE_EEEEZNS1_13binary_searchIS3_S5_PdSG_SI_NS1_21lower_bound_search_opENS9_16wrapped_functionI11custom_lessbEEEE10hipError_tPvRmT1_T2_T3_mmT4_T5_P12ihipStream_tbEUlRKdE_EESP_ST_SU_mSV_SY_bEUlT_E_NS1_11comp_targetILNS1_3genE2ELNS1_11target_archE906ELNS1_3gpuE6ELNS1_3repE0EEENS1_30default_config_static_selectorELNS0_4arch9wavefront6targetE0EEEvSS_.kd
    .uniform_work_group_size: 1
    .uses_dynamic_stack: false
    .vgpr_count:     0
    .vgpr_spill_count: 0
    .wavefront_size: 32
    .workgroup_processor_mode: 1
  - .args:
      - .offset:         0
        .size:           56
        .value_kind:     by_value
    .group_segment_fixed_size: 0
    .kernarg_segment_align: 8
    .kernarg_segment_size: 56
    .language:       OpenCL C
    .language_version:
      - 2
      - 0
    .max_flat_workgroup_size: 128
    .name:           _ZN7rocprim17ROCPRIM_400000_NS6detail17trampoline_kernelINS0_14default_configENS1_27lower_bound_config_selectorIdlEEZNS1_14transform_implILb0ES3_S5_N6thrust23THRUST_200600_302600_NS6detail15normal_iteratorINS8_7pointerIdNS8_11hip_rocprim5par_tENS8_11use_defaultESE_EEEENSA_INSB_IlSD_SE_SE_EEEEZNS1_13binary_searchIS3_S5_PdSG_SI_NS1_21lower_bound_search_opENS9_16wrapped_functionI11custom_lessbEEEE10hipError_tPvRmT1_T2_T3_mmT4_T5_P12ihipStream_tbEUlRKdE_EESP_ST_SU_mSV_SY_bEUlT_E_NS1_11comp_targetILNS1_3genE10ELNS1_11target_archE1201ELNS1_3gpuE5ELNS1_3repE0EEENS1_30default_config_static_selectorELNS0_4arch9wavefront6targetE0EEEvSS_
    .private_segment_fixed_size: 0
    .sgpr_count:     0
    .sgpr_spill_count: 0
    .symbol:         _ZN7rocprim17ROCPRIM_400000_NS6detail17trampoline_kernelINS0_14default_configENS1_27lower_bound_config_selectorIdlEEZNS1_14transform_implILb0ES3_S5_N6thrust23THRUST_200600_302600_NS6detail15normal_iteratorINS8_7pointerIdNS8_11hip_rocprim5par_tENS8_11use_defaultESE_EEEENSA_INSB_IlSD_SE_SE_EEEEZNS1_13binary_searchIS3_S5_PdSG_SI_NS1_21lower_bound_search_opENS9_16wrapped_functionI11custom_lessbEEEE10hipError_tPvRmT1_T2_T3_mmT4_T5_P12ihipStream_tbEUlRKdE_EESP_ST_SU_mSV_SY_bEUlT_E_NS1_11comp_targetILNS1_3genE10ELNS1_11target_archE1201ELNS1_3gpuE5ELNS1_3repE0EEENS1_30default_config_static_selectorELNS0_4arch9wavefront6targetE0EEEvSS_.kd
    .uniform_work_group_size: 1
    .uses_dynamic_stack: false
    .vgpr_count:     0
    .vgpr_spill_count: 0
    .wavefront_size: 32
    .workgroup_processor_mode: 1
  - .args:
      - .offset:         0
        .size:           56
        .value_kind:     by_value
    .group_segment_fixed_size: 0
    .kernarg_segment_align: 8
    .kernarg_segment_size: 56
    .language:       OpenCL C
    .language_version:
      - 2
      - 0
    .max_flat_workgroup_size: 128
    .name:           _ZN7rocprim17ROCPRIM_400000_NS6detail17trampoline_kernelINS0_14default_configENS1_27lower_bound_config_selectorIdlEEZNS1_14transform_implILb0ES3_S5_N6thrust23THRUST_200600_302600_NS6detail15normal_iteratorINS8_7pointerIdNS8_11hip_rocprim5par_tENS8_11use_defaultESE_EEEENSA_INSB_IlSD_SE_SE_EEEEZNS1_13binary_searchIS3_S5_PdSG_SI_NS1_21lower_bound_search_opENS9_16wrapped_functionI11custom_lessbEEEE10hipError_tPvRmT1_T2_T3_mmT4_T5_P12ihipStream_tbEUlRKdE_EESP_ST_SU_mSV_SY_bEUlT_E_NS1_11comp_targetILNS1_3genE10ELNS1_11target_archE1200ELNS1_3gpuE4ELNS1_3repE0EEENS1_30default_config_static_selectorELNS0_4arch9wavefront6targetE0EEEvSS_
    .private_segment_fixed_size: 0
    .sgpr_count:     0
    .sgpr_spill_count: 0
    .symbol:         _ZN7rocprim17ROCPRIM_400000_NS6detail17trampoline_kernelINS0_14default_configENS1_27lower_bound_config_selectorIdlEEZNS1_14transform_implILb0ES3_S5_N6thrust23THRUST_200600_302600_NS6detail15normal_iteratorINS8_7pointerIdNS8_11hip_rocprim5par_tENS8_11use_defaultESE_EEEENSA_INSB_IlSD_SE_SE_EEEEZNS1_13binary_searchIS3_S5_PdSG_SI_NS1_21lower_bound_search_opENS9_16wrapped_functionI11custom_lessbEEEE10hipError_tPvRmT1_T2_T3_mmT4_T5_P12ihipStream_tbEUlRKdE_EESP_ST_SU_mSV_SY_bEUlT_E_NS1_11comp_targetILNS1_3genE10ELNS1_11target_archE1200ELNS1_3gpuE4ELNS1_3repE0EEENS1_30default_config_static_selectorELNS0_4arch9wavefront6targetE0EEEvSS_.kd
    .uniform_work_group_size: 1
    .uses_dynamic_stack: false
    .vgpr_count:     0
    .vgpr_spill_count: 0
    .wavefront_size: 32
    .workgroup_processor_mode: 1
  - .args:
      - .offset:         0
        .size:           56
        .value_kind:     by_value
    .group_segment_fixed_size: 0
    .kernarg_segment_align: 8
    .kernarg_segment_size: 56
    .language:       OpenCL C
    .language_version:
      - 2
      - 0
    .max_flat_workgroup_size: 256
    .name:           _ZN7rocprim17ROCPRIM_400000_NS6detail17trampoline_kernelINS0_14default_configENS1_27lower_bound_config_selectorIdlEEZNS1_14transform_implILb0ES3_S5_N6thrust23THRUST_200600_302600_NS6detail15normal_iteratorINS8_7pointerIdNS8_11hip_rocprim5par_tENS8_11use_defaultESE_EEEENSA_INSB_IlSD_SE_SE_EEEEZNS1_13binary_searchIS3_S5_PdSG_SI_NS1_21lower_bound_search_opENS9_16wrapped_functionI11custom_lessbEEEE10hipError_tPvRmT1_T2_T3_mmT4_T5_P12ihipStream_tbEUlRKdE_EESP_ST_SU_mSV_SY_bEUlT_E_NS1_11comp_targetILNS1_3genE9ELNS1_11target_archE1100ELNS1_3gpuE3ELNS1_3repE0EEENS1_30default_config_static_selectorELNS0_4arch9wavefront6targetE0EEEvSS_
    .private_segment_fixed_size: 0
    .sgpr_count:     0
    .sgpr_spill_count: 0
    .symbol:         _ZN7rocprim17ROCPRIM_400000_NS6detail17trampoline_kernelINS0_14default_configENS1_27lower_bound_config_selectorIdlEEZNS1_14transform_implILb0ES3_S5_N6thrust23THRUST_200600_302600_NS6detail15normal_iteratorINS8_7pointerIdNS8_11hip_rocprim5par_tENS8_11use_defaultESE_EEEENSA_INSB_IlSD_SE_SE_EEEEZNS1_13binary_searchIS3_S5_PdSG_SI_NS1_21lower_bound_search_opENS9_16wrapped_functionI11custom_lessbEEEE10hipError_tPvRmT1_T2_T3_mmT4_T5_P12ihipStream_tbEUlRKdE_EESP_ST_SU_mSV_SY_bEUlT_E_NS1_11comp_targetILNS1_3genE9ELNS1_11target_archE1100ELNS1_3gpuE3ELNS1_3repE0EEENS1_30default_config_static_selectorELNS0_4arch9wavefront6targetE0EEEvSS_.kd
    .uniform_work_group_size: 1
    .uses_dynamic_stack: false
    .vgpr_count:     0
    .vgpr_spill_count: 0
    .wavefront_size: 32
    .workgroup_processor_mode: 1
  - .args:
      - .offset:         0
        .size:           56
        .value_kind:     by_value
      - .offset:         56
        .size:           4
        .value_kind:     hidden_block_count_x
      - .offset:         60
        .size:           4
        .value_kind:     hidden_block_count_y
      - .offset:         64
        .size:           4
        .value_kind:     hidden_block_count_z
      - .offset:         68
        .size:           2
        .value_kind:     hidden_group_size_x
      - .offset:         70
        .size:           2
        .value_kind:     hidden_group_size_y
      - .offset:         72
        .size:           2
        .value_kind:     hidden_group_size_z
      - .offset:         74
        .size:           2
        .value_kind:     hidden_remainder_x
      - .offset:         76
        .size:           2
        .value_kind:     hidden_remainder_y
      - .offset:         78
        .size:           2
        .value_kind:     hidden_remainder_z
      - .offset:         96
        .size:           8
        .value_kind:     hidden_global_offset_x
      - .offset:         104
        .size:           8
        .value_kind:     hidden_global_offset_y
      - .offset:         112
        .size:           8
        .value_kind:     hidden_global_offset_z
      - .offset:         120
        .size:           2
        .value_kind:     hidden_grid_dims
    .group_segment_fixed_size: 0
    .kernarg_segment_align: 8
    .kernarg_segment_size: 312
    .language:       OpenCL C
    .language_version:
      - 2
      - 0
    .max_flat_workgroup_size: 256
    .name:           _ZN7rocprim17ROCPRIM_400000_NS6detail17trampoline_kernelINS0_14default_configENS1_27lower_bound_config_selectorIdlEEZNS1_14transform_implILb0ES3_S5_N6thrust23THRUST_200600_302600_NS6detail15normal_iteratorINS8_7pointerIdNS8_11hip_rocprim5par_tENS8_11use_defaultESE_EEEENSA_INSB_IlSD_SE_SE_EEEEZNS1_13binary_searchIS3_S5_PdSG_SI_NS1_21lower_bound_search_opENS9_16wrapped_functionI11custom_lessbEEEE10hipError_tPvRmT1_T2_T3_mmT4_T5_P12ihipStream_tbEUlRKdE_EESP_ST_SU_mSV_SY_bEUlT_E_NS1_11comp_targetILNS1_3genE8ELNS1_11target_archE1030ELNS1_3gpuE2ELNS1_3repE0EEENS1_30default_config_static_selectorELNS0_4arch9wavefront6targetE0EEEvSS_
    .private_segment_fixed_size: 0
    .sgpr_count:     22
    .sgpr_spill_count: 0
    .symbol:         _ZN7rocprim17ROCPRIM_400000_NS6detail17trampoline_kernelINS0_14default_configENS1_27lower_bound_config_selectorIdlEEZNS1_14transform_implILb0ES3_S5_N6thrust23THRUST_200600_302600_NS6detail15normal_iteratorINS8_7pointerIdNS8_11hip_rocprim5par_tENS8_11use_defaultESE_EEEENSA_INSB_IlSD_SE_SE_EEEEZNS1_13binary_searchIS3_S5_PdSG_SI_NS1_21lower_bound_search_opENS9_16wrapped_functionI11custom_lessbEEEE10hipError_tPvRmT1_T2_T3_mmT4_T5_P12ihipStream_tbEUlRKdE_EESP_ST_SU_mSV_SY_bEUlT_E_NS1_11comp_targetILNS1_3genE8ELNS1_11target_archE1030ELNS1_3gpuE2ELNS1_3repE0EEENS1_30default_config_static_selectorELNS0_4arch9wavefront6targetE0EEEvSS_.kd
    .uniform_work_group_size: 1
    .uses_dynamic_stack: false
    .vgpr_count:     11
    .vgpr_spill_count: 0
    .wavefront_size: 32
    .workgroup_processor_mode: 1
  - .args:
      - .offset:         0
        .size:           56
        .value_kind:     by_value
    .group_segment_fixed_size: 0
    .kernarg_segment_align: 8
    .kernarg_segment_size: 56
    .language:       OpenCL C
    .language_version:
      - 2
      - 0
    .max_flat_workgroup_size: 64
    .name:           _ZN7rocprim17ROCPRIM_400000_NS6detail17trampoline_kernelINS0_14default_configENS1_27lower_bound_config_selectorIdlEEZNS1_14transform_implILb0ES3_S5_N6thrust23THRUST_200600_302600_NS6detail15normal_iteratorINS8_7pointerIdNS8_11hip_rocprim5par_tENS8_11use_defaultESE_EEEENSA_INSB_IlSD_SE_SE_EEEEZNS1_13binary_searchIS3_S5_PdSG_SI_NS1_21lower_bound_search_opENS9_16wrapped_functionINS8_6system6detail7generic6detail18binary_search_lessEbEEEE10hipError_tPvRmT1_T2_T3_mmT4_T5_P12ihipStream_tbEUlRKdE_EEST_SX_SY_mSZ_S12_bEUlT_E_NS1_11comp_targetILNS1_3genE0ELNS1_11target_archE4294967295ELNS1_3gpuE0ELNS1_3repE0EEENS1_30default_config_static_selectorELNS0_4arch9wavefront6targetE0EEEvSW_
    .private_segment_fixed_size: 0
    .sgpr_count:     0
    .sgpr_spill_count: 0
    .symbol:         _ZN7rocprim17ROCPRIM_400000_NS6detail17trampoline_kernelINS0_14default_configENS1_27lower_bound_config_selectorIdlEEZNS1_14transform_implILb0ES3_S5_N6thrust23THRUST_200600_302600_NS6detail15normal_iteratorINS8_7pointerIdNS8_11hip_rocprim5par_tENS8_11use_defaultESE_EEEENSA_INSB_IlSD_SE_SE_EEEEZNS1_13binary_searchIS3_S5_PdSG_SI_NS1_21lower_bound_search_opENS9_16wrapped_functionINS8_6system6detail7generic6detail18binary_search_lessEbEEEE10hipError_tPvRmT1_T2_T3_mmT4_T5_P12ihipStream_tbEUlRKdE_EEST_SX_SY_mSZ_S12_bEUlT_E_NS1_11comp_targetILNS1_3genE0ELNS1_11target_archE4294967295ELNS1_3gpuE0ELNS1_3repE0EEENS1_30default_config_static_selectorELNS0_4arch9wavefront6targetE0EEEvSW_.kd
    .uniform_work_group_size: 1
    .uses_dynamic_stack: false
    .vgpr_count:     0
    .vgpr_spill_count: 0
    .wavefront_size: 32
    .workgroup_processor_mode: 1
  - .args:
      - .offset:         0
        .size:           56
        .value_kind:     by_value
    .group_segment_fixed_size: 0
    .kernarg_segment_align: 8
    .kernarg_segment_size: 56
    .language:       OpenCL C
    .language_version:
      - 2
      - 0
    .max_flat_workgroup_size: 64
    .name:           _ZN7rocprim17ROCPRIM_400000_NS6detail17trampoline_kernelINS0_14default_configENS1_27lower_bound_config_selectorIdlEEZNS1_14transform_implILb0ES3_S5_N6thrust23THRUST_200600_302600_NS6detail15normal_iteratorINS8_7pointerIdNS8_11hip_rocprim5par_tENS8_11use_defaultESE_EEEENSA_INSB_IlSD_SE_SE_EEEEZNS1_13binary_searchIS3_S5_PdSG_SI_NS1_21lower_bound_search_opENS9_16wrapped_functionINS8_6system6detail7generic6detail18binary_search_lessEbEEEE10hipError_tPvRmT1_T2_T3_mmT4_T5_P12ihipStream_tbEUlRKdE_EEST_SX_SY_mSZ_S12_bEUlT_E_NS1_11comp_targetILNS1_3genE5ELNS1_11target_archE942ELNS1_3gpuE9ELNS1_3repE0EEENS1_30default_config_static_selectorELNS0_4arch9wavefront6targetE0EEEvSW_
    .private_segment_fixed_size: 0
    .sgpr_count:     0
    .sgpr_spill_count: 0
    .symbol:         _ZN7rocprim17ROCPRIM_400000_NS6detail17trampoline_kernelINS0_14default_configENS1_27lower_bound_config_selectorIdlEEZNS1_14transform_implILb0ES3_S5_N6thrust23THRUST_200600_302600_NS6detail15normal_iteratorINS8_7pointerIdNS8_11hip_rocprim5par_tENS8_11use_defaultESE_EEEENSA_INSB_IlSD_SE_SE_EEEEZNS1_13binary_searchIS3_S5_PdSG_SI_NS1_21lower_bound_search_opENS9_16wrapped_functionINS8_6system6detail7generic6detail18binary_search_lessEbEEEE10hipError_tPvRmT1_T2_T3_mmT4_T5_P12ihipStream_tbEUlRKdE_EEST_SX_SY_mSZ_S12_bEUlT_E_NS1_11comp_targetILNS1_3genE5ELNS1_11target_archE942ELNS1_3gpuE9ELNS1_3repE0EEENS1_30default_config_static_selectorELNS0_4arch9wavefront6targetE0EEEvSW_.kd
    .uniform_work_group_size: 1
    .uses_dynamic_stack: false
    .vgpr_count:     0
    .vgpr_spill_count: 0
    .wavefront_size: 32
    .workgroup_processor_mode: 1
  - .args:
      - .offset:         0
        .size:           56
        .value_kind:     by_value
    .group_segment_fixed_size: 0
    .kernarg_segment_align: 8
    .kernarg_segment_size: 56
    .language:       OpenCL C
    .language_version:
      - 2
      - 0
    .max_flat_workgroup_size: 64
    .name:           _ZN7rocprim17ROCPRIM_400000_NS6detail17trampoline_kernelINS0_14default_configENS1_27lower_bound_config_selectorIdlEEZNS1_14transform_implILb0ES3_S5_N6thrust23THRUST_200600_302600_NS6detail15normal_iteratorINS8_7pointerIdNS8_11hip_rocprim5par_tENS8_11use_defaultESE_EEEENSA_INSB_IlSD_SE_SE_EEEEZNS1_13binary_searchIS3_S5_PdSG_SI_NS1_21lower_bound_search_opENS9_16wrapped_functionINS8_6system6detail7generic6detail18binary_search_lessEbEEEE10hipError_tPvRmT1_T2_T3_mmT4_T5_P12ihipStream_tbEUlRKdE_EEST_SX_SY_mSZ_S12_bEUlT_E_NS1_11comp_targetILNS1_3genE4ELNS1_11target_archE910ELNS1_3gpuE8ELNS1_3repE0EEENS1_30default_config_static_selectorELNS0_4arch9wavefront6targetE0EEEvSW_
    .private_segment_fixed_size: 0
    .sgpr_count:     0
    .sgpr_spill_count: 0
    .symbol:         _ZN7rocprim17ROCPRIM_400000_NS6detail17trampoline_kernelINS0_14default_configENS1_27lower_bound_config_selectorIdlEEZNS1_14transform_implILb0ES3_S5_N6thrust23THRUST_200600_302600_NS6detail15normal_iteratorINS8_7pointerIdNS8_11hip_rocprim5par_tENS8_11use_defaultESE_EEEENSA_INSB_IlSD_SE_SE_EEEEZNS1_13binary_searchIS3_S5_PdSG_SI_NS1_21lower_bound_search_opENS9_16wrapped_functionINS8_6system6detail7generic6detail18binary_search_lessEbEEEE10hipError_tPvRmT1_T2_T3_mmT4_T5_P12ihipStream_tbEUlRKdE_EEST_SX_SY_mSZ_S12_bEUlT_E_NS1_11comp_targetILNS1_3genE4ELNS1_11target_archE910ELNS1_3gpuE8ELNS1_3repE0EEENS1_30default_config_static_selectorELNS0_4arch9wavefront6targetE0EEEvSW_.kd
    .uniform_work_group_size: 1
    .uses_dynamic_stack: false
    .vgpr_count:     0
    .vgpr_spill_count: 0
    .wavefront_size: 32
    .workgroup_processor_mode: 1
  - .args:
      - .offset:         0
        .size:           56
        .value_kind:     by_value
    .group_segment_fixed_size: 0
    .kernarg_segment_align: 8
    .kernarg_segment_size: 56
    .language:       OpenCL C
    .language_version:
      - 2
      - 0
    .max_flat_workgroup_size: 64
    .name:           _ZN7rocprim17ROCPRIM_400000_NS6detail17trampoline_kernelINS0_14default_configENS1_27lower_bound_config_selectorIdlEEZNS1_14transform_implILb0ES3_S5_N6thrust23THRUST_200600_302600_NS6detail15normal_iteratorINS8_7pointerIdNS8_11hip_rocprim5par_tENS8_11use_defaultESE_EEEENSA_INSB_IlSD_SE_SE_EEEEZNS1_13binary_searchIS3_S5_PdSG_SI_NS1_21lower_bound_search_opENS9_16wrapped_functionINS8_6system6detail7generic6detail18binary_search_lessEbEEEE10hipError_tPvRmT1_T2_T3_mmT4_T5_P12ihipStream_tbEUlRKdE_EEST_SX_SY_mSZ_S12_bEUlT_E_NS1_11comp_targetILNS1_3genE3ELNS1_11target_archE908ELNS1_3gpuE7ELNS1_3repE0EEENS1_30default_config_static_selectorELNS0_4arch9wavefront6targetE0EEEvSW_
    .private_segment_fixed_size: 0
    .sgpr_count:     0
    .sgpr_spill_count: 0
    .symbol:         _ZN7rocprim17ROCPRIM_400000_NS6detail17trampoline_kernelINS0_14default_configENS1_27lower_bound_config_selectorIdlEEZNS1_14transform_implILb0ES3_S5_N6thrust23THRUST_200600_302600_NS6detail15normal_iteratorINS8_7pointerIdNS8_11hip_rocprim5par_tENS8_11use_defaultESE_EEEENSA_INSB_IlSD_SE_SE_EEEEZNS1_13binary_searchIS3_S5_PdSG_SI_NS1_21lower_bound_search_opENS9_16wrapped_functionINS8_6system6detail7generic6detail18binary_search_lessEbEEEE10hipError_tPvRmT1_T2_T3_mmT4_T5_P12ihipStream_tbEUlRKdE_EEST_SX_SY_mSZ_S12_bEUlT_E_NS1_11comp_targetILNS1_3genE3ELNS1_11target_archE908ELNS1_3gpuE7ELNS1_3repE0EEENS1_30default_config_static_selectorELNS0_4arch9wavefront6targetE0EEEvSW_.kd
    .uniform_work_group_size: 1
    .uses_dynamic_stack: false
    .vgpr_count:     0
    .vgpr_spill_count: 0
    .wavefront_size: 32
    .workgroup_processor_mode: 1
  - .args:
      - .offset:         0
        .size:           56
        .value_kind:     by_value
    .group_segment_fixed_size: 0
    .kernarg_segment_align: 8
    .kernarg_segment_size: 56
    .language:       OpenCL C
    .language_version:
      - 2
      - 0
    .max_flat_workgroup_size: 256
    .name:           _ZN7rocprim17ROCPRIM_400000_NS6detail17trampoline_kernelINS0_14default_configENS1_27lower_bound_config_selectorIdlEEZNS1_14transform_implILb0ES3_S5_N6thrust23THRUST_200600_302600_NS6detail15normal_iteratorINS8_7pointerIdNS8_11hip_rocprim5par_tENS8_11use_defaultESE_EEEENSA_INSB_IlSD_SE_SE_EEEEZNS1_13binary_searchIS3_S5_PdSG_SI_NS1_21lower_bound_search_opENS9_16wrapped_functionINS8_6system6detail7generic6detail18binary_search_lessEbEEEE10hipError_tPvRmT1_T2_T3_mmT4_T5_P12ihipStream_tbEUlRKdE_EEST_SX_SY_mSZ_S12_bEUlT_E_NS1_11comp_targetILNS1_3genE2ELNS1_11target_archE906ELNS1_3gpuE6ELNS1_3repE0EEENS1_30default_config_static_selectorELNS0_4arch9wavefront6targetE0EEEvSW_
    .private_segment_fixed_size: 0
    .sgpr_count:     0
    .sgpr_spill_count: 0
    .symbol:         _ZN7rocprim17ROCPRIM_400000_NS6detail17trampoline_kernelINS0_14default_configENS1_27lower_bound_config_selectorIdlEEZNS1_14transform_implILb0ES3_S5_N6thrust23THRUST_200600_302600_NS6detail15normal_iteratorINS8_7pointerIdNS8_11hip_rocprim5par_tENS8_11use_defaultESE_EEEENSA_INSB_IlSD_SE_SE_EEEEZNS1_13binary_searchIS3_S5_PdSG_SI_NS1_21lower_bound_search_opENS9_16wrapped_functionINS8_6system6detail7generic6detail18binary_search_lessEbEEEE10hipError_tPvRmT1_T2_T3_mmT4_T5_P12ihipStream_tbEUlRKdE_EEST_SX_SY_mSZ_S12_bEUlT_E_NS1_11comp_targetILNS1_3genE2ELNS1_11target_archE906ELNS1_3gpuE6ELNS1_3repE0EEENS1_30default_config_static_selectorELNS0_4arch9wavefront6targetE0EEEvSW_.kd
    .uniform_work_group_size: 1
    .uses_dynamic_stack: false
    .vgpr_count:     0
    .vgpr_spill_count: 0
    .wavefront_size: 32
    .workgroup_processor_mode: 1
  - .args:
      - .offset:         0
        .size:           56
        .value_kind:     by_value
    .group_segment_fixed_size: 0
    .kernarg_segment_align: 8
    .kernarg_segment_size: 56
    .language:       OpenCL C
    .language_version:
      - 2
      - 0
    .max_flat_workgroup_size: 128
    .name:           _ZN7rocprim17ROCPRIM_400000_NS6detail17trampoline_kernelINS0_14default_configENS1_27lower_bound_config_selectorIdlEEZNS1_14transform_implILb0ES3_S5_N6thrust23THRUST_200600_302600_NS6detail15normal_iteratorINS8_7pointerIdNS8_11hip_rocprim5par_tENS8_11use_defaultESE_EEEENSA_INSB_IlSD_SE_SE_EEEEZNS1_13binary_searchIS3_S5_PdSG_SI_NS1_21lower_bound_search_opENS9_16wrapped_functionINS8_6system6detail7generic6detail18binary_search_lessEbEEEE10hipError_tPvRmT1_T2_T3_mmT4_T5_P12ihipStream_tbEUlRKdE_EEST_SX_SY_mSZ_S12_bEUlT_E_NS1_11comp_targetILNS1_3genE10ELNS1_11target_archE1201ELNS1_3gpuE5ELNS1_3repE0EEENS1_30default_config_static_selectorELNS0_4arch9wavefront6targetE0EEEvSW_
    .private_segment_fixed_size: 0
    .sgpr_count:     0
    .sgpr_spill_count: 0
    .symbol:         _ZN7rocprim17ROCPRIM_400000_NS6detail17trampoline_kernelINS0_14default_configENS1_27lower_bound_config_selectorIdlEEZNS1_14transform_implILb0ES3_S5_N6thrust23THRUST_200600_302600_NS6detail15normal_iteratorINS8_7pointerIdNS8_11hip_rocprim5par_tENS8_11use_defaultESE_EEEENSA_INSB_IlSD_SE_SE_EEEEZNS1_13binary_searchIS3_S5_PdSG_SI_NS1_21lower_bound_search_opENS9_16wrapped_functionINS8_6system6detail7generic6detail18binary_search_lessEbEEEE10hipError_tPvRmT1_T2_T3_mmT4_T5_P12ihipStream_tbEUlRKdE_EEST_SX_SY_mSZ_S12_bEUlT_E_NS1_11comp_targetILNS1_3genE10ELNS1_11target_archE1201ELNS1_3gpuE5ELNS1_3repE0EEENS1_30default_config_static_selectorELNS0_4arch9wavefront6targetE0EEEvSW_.kd
    .uniform_work_group_size: 1
    .uses_dynamic_stack: false
    .vgpr_count:     0
    .vgpr_spill_count: 0
    .wavefront_size: 32
    .workgroup_processor_mode: 1
  - .args:
      - .offset:         0
        .size:           56
        .value_kind:     by_value
    .group_segment_fixed_size: 0
    .kernarg_segment_align: 8
    .kernarg_segment_size: 56
    .language:       OpenCL C
    .language_version:
      - 2
      - 0
    .max_flat_workgroup_size: 128
    .name:           _ZN7rocprim17ROCPRIM_400000_NS6detail17trampoline_kernelINS0_14default_configENS1_27lower_bound_config_selectorIdlEEZNS1_14transform_implILb0ES3_S5_N6thrust23THRUST_200600_302600_NS6detail15normal_iteratorINS8_7pointerIdNS8_11hip_rocprim5par_tENS8_11use_defaultESE_EEEENSA_INSB_IlSD_SE_SE_EEEEZNS1_13binary_searchIS3_S5_PdSG_SI_NS1_21lower_bound_search_opENS9_16wrapped_functionINS8_6system6detail7generic6detail18binary_search_lessEbEEEE10hipError_tPvRmT1_T2_T3_mmT4_T5_P12ihipStream_tbEUlRKdE_EEST_SX_SY_mSZ_S12_bEUlT_E_NS1_11comp_targetILNS1_3genE10ELNS1_11target_archE1200ELNS1_3gpuE4ELNS1_3repE0EEENS1_30default_config_static_selectorELNS0_4arch9wavefront6targetE0EEEvSW_
    .private_segment_fixed_size: 0
    .sgpr_count:     0
    .sgpr_spill_count: 0
    .symbol:         _ZN7rocprim17ROCPRIM_400000_NS6detail17trampoline_kernelINS0_14default_configENS1_27lower_bound_config_selectorIdlEEZNS1_14transform_implILb0ES3_S5_N6thrust23THRUST_200600_302600_NS6detail15normal_iteratorINS8_7pointerIdNS8_11hip_rocprim5par_tENS8_11use_defaultESE_EEEENSA_INSB_IlSD_SE_SE_EEEEZNS1_13binary_searchIS3_S5_PdSG_SI_NS1_21lower_bound_search_opENS9_16wrapped_functionINS8_6system6detail7generic6detail18binary_search_lessEbEEEE10hipError_tPvRmT1_T2_T3_mmT4_T5_P12ihipStream_tbEUlRKdE_EEST_SX_SY_mSZ_S12_bEUlT_E_NS1_11comp_targetILNS1_3genE10ELNS1_11target_archE1200ELNS1_3gpuE4ELNS1_3repE0EEENS1_30default_config_static_selectorELNS0_4arch9wavefront6targetE0EEEvSW_.kd
    .uniform_work_group_size: 1
    .uses_dynamic_stack: false
    .vgpr_count:     0
    .vgpr_spill_count: 0
    .wavefront_size: 32
    .workgroup_processor_mode: 1
  - .args:
      - .offset:         0
        .size:           56
        .value_kind:     by_value
    .group_segment_fixed_size: 0
    .kernarg_segment_align: 8
    .kernarg_segment_size: 56
    .language:       OpenCL C
    .language_version:
      - 2
      - 0
    .max_flat_workgroup_size: 256
    .name:           _ZN7rocprim17ROCPRIM_400000_NS6detail17trampoline_kernelINS0_14default_configENS1_27lower_bound_config_selectorIdlEEZNS1_14transform_implILb0ES3_S5_N6thrust23THRUST_200600_302600_NS6detail15normal_iteratorINS8_7pointerIdNS8_11hip_rocprim5par_tENS8_11use_defaultESE_EEEENSA_INSB_IlSD_SE_SE_EEEEZNS1_13binary_searchIS3_S5_PdSG_SI_NS1_21lower_bound_search_opENS9_16wrapped_functionINS8_6system6detail7generic6detail18binary_search_lessEbEEEE10hipError_tPvRmT1_T2_T3_mmT4_T5_P12ihipStream_tbEUlRKdE_EEST_SX_SY_mSZ_S12_bEUlT_E_NS1_11comp_targetILNS1_3genE9ELNS1_11target_archE1100ELNS1_3gpuE3ELNS1_3repE0EEENS1_30default_config_static_selectorELNS0_4arch9wavefront6targetE0EEEvSW_
    .private_segment_fixed_size: 0
    .sgpr_count:     0
    .sgpr_spill_count: 0
    .symbol:         _ZN7rocprim17ROCPRIM_400000_NS6detail17trampoline_kernelINS0_14default_configENS1_27lower_bound_config_selectorIdlEEZNS1_14transform_implILb0ES3_S5_N6thrust23THRUST_200600_302600_NS6detail15normal_iteratorINS8_7pointerIdNS8_11hip_rocprim5par_tENS8_11use_defaultESE_EEEENSA_INSB_IlSD_SE_SE_EEEEZNS1_13binary_searchIS3_S5_PdSG_SI_NS1_21lower_bound_search_opENS9_16wrapped_functionINS8_6system6detail7generic6detail18binary_search_lessEbEEEE10hipError_tPvRmT1_T2_T3_mmT4_T5_P12ihipStream_tbEUlRKdE_EEST_SX_SY_mSZ_S12_bEUlT_E_NS1_11comp_targetILNS1_3genE9ELNS1_11target_archE1100ELNS1_3gpuE3ELNS1_3repE0EEENS1_30default_config_static_selectorELNS0_4arch9wavefront6targetE0EEEvSW_.kd
    .uniform_work_group_size: 1
    .uses_dynamic_stack: false
    .vgpr_count:     0
    .vgpr_spill_count: 0
    .wavefront_size: 32
    .workgroup_processor_mode: 1
  - .args:
      - .offset:         0
        .size:           56
        .value_kind:     by_value
      - .offset:         56
        .size:           4
        .value_kind:     hidden_block_count_x
      - .offset:         60
        .size:           4
        .value_kind:     hidden_block_count_y
      - .offset:         64
        .size:           4
        .value_kind:     hidden_block_count_z
      - .offset:         68
        .size:           2
        .value_kind:     hidden_group_size_x
      - .offset:         70
        .size:           2
        .value_kind:     hidden_group_size_y
      - .offset:         72
        .size:           2
        .value_kind:     hidden_group_size_z
      - .offset:         74
        .size:           2
        .value_kind:     hidden_remainder_x
      - .offset:         76
        .size:           2
        .value_kind:     hidden_remainder_y
      - .offset:         78
        .size:           2
        .value_kind:     hidden_remainder_z
      - .offset:         96
        .size:           8
        .value_kind:     hidden_global_offset_x
      - .offset:         104
        .size:           8
        .value_kind:     hidden_global_offset_y
      - .offset:         112
        .size:           8
        .value_kind:     hidden_global_offset_z
      - .offset:         120
        .size:           2
        .value_kind:     hidden_grid_dims
    .group_segment_fixed_size: 0
    .kernarg_segment_align: 8
    .kernarg_segment_size: 312
    .language:       OpenCL C
    .language_version:
      - 2
      - 0
    .max_flat_workgroup_size: 256
    .name:           _ZN7rocprim17ROCPRIM_400000_NS6detail17trampoline_kernelINS0_14default_configENS1_27lower_bound_config_selectorIdlEEZNS1_14transform_implILb0ES3_S5_N6thrust23THRUST_200600_302600_NS6detail15normal_iteratorINS8_7pointerIdNS8_11hip_rocprim5par_tENS8_11use_defaultESE_EEEENSA_INSB_IlSD_SE_SE_EEEEZNS1_13binary_searchIS3_S5_PdSG_SI_NS1_21lower_bound_search_opENS9_16wrapped_functionINS8_6system6detail7generic6detail18binary_search_lessEbEEEE10hipError_tPvRmT1_T2_T3_mmT4_T5_P12ihipStream_tbEUlRKdE_EEST_SX_SY_mSZ_S12_bEUlT_E_NS1_11comp_targetILNS1_3genE8ELNS1_11target_archE1030ELNS1_3gpuE2ELNS1_3repE0EEENS1_30default_config_static_selectorELNS0_4arch9wavefront6targetE0EEEvSW_
    .private_segment_fixed_size: 0
    .sgpr_count:     22
    .sgpr_spill_count: 0
    .symbol:         _ZN7rocprim17ROCPRIM_400000_NS6detail17trampoline_kernelINS0_14default_configENS1_27lower_bound_config_selectorIdlEEZNS1_14transform_implILb0ES3_S5_N6thrust23THRUST_200600_302600_NS6detail15normal_iteratorINS8_7pointerIdNS8_11hip_rocprim5par_tENS8_11use_defaultESE_EEEENSA_INSB_IlSD_SE_SE_EEEEZNS1_13binary_searchIS3_S5_PdSG_SI_NS1_21lower_bound_search_opENS9_16wrapped_functionINS8_6system6detail7generic6detail18binary_search_lessEbEEEE10hipError_tPvRmT1_T2_T3_mmT4_T5_P12ihipStream_tbEUlRKdE_EEST_SX_SY_mSZ_S12_bEUlT_E_NS1_11comp_targetILNS1_3genE8ELNS1_11target_archE1030ELNS1_3gpuE2ELNS1_3repE0EEENS1_30default_config_static_selectorELNS0_4arch9wavefront6targetE0EEEvSW_.kd
    .uniform_work_group_size: 1
    .uses_dynamic_stack: false
    .vgpr_count:     11
    .vgpr_spill_count: 0
    .wavefront_size: 32
    .workgroup_processor_mode: 1
  - .args:
      - .offset:         0
        .size:           16
        .value_kind:     by_value
      - .offset:         16
        .size:           8
        .value_kind:     by_value
      - .offset:         24
        .size:           8
        .value_kind:     by_value
    .group_segment_fixed_size: 0
    .kernarg_segment_align: 8
    .kernarg_segment_size: 32
    .language:       OpenCL C
    .language_version:
      - 2
      - 0
    .max_flat_workgroup_size: 256
    .name:           _ZN6thrust23THRUST_200600_302600_NS11hip_rocprim14__parallel_for6kernelILj256ENS1_20__uninitialized_fill7functorINS0_10device_ptrIfEEfEEmLj1EEEvT0_T1_SA_
    .private_segment_fixed_size: 0
    .sgpr_count:     14
    .sgpr_spill_count: 0
    .symbol:         _ZN6thrust23THRUST_200600_302600_NS11hip_rocprim14__parallel_for6kernelILj256ENS1_20__uninitialized_fill7functorINS0_10device_ptrIfEEfEEmLj1EEEvT0_T1_SA_.kd
    .uniform_work_group_size: 1
    .uses_dynamic_stack: false
    .vgpr_count:     4
    .vgpr_spill_count: 0
    .wavefront_size: 32
    .workgroup_processor_mode: 1
  - .args:
      - .offset:         0
        .size:           8
        .value_kind:     by_value
      - .address_space:  global
        .offset:         8
        .size:           8
        .value_kind:     global_buffer
      - .address_space:  global
        .offset:         16
        .size:           8
        .value_kind:     global_buffer
    .group_segment_fixed_size: 0
    .kernarg_segment_align: 8
    .kernarg_segment_size: 24
    .language:       OpenCL C
    .language_version:
      - 2
      - 0
    .max_flat_workgroup_size: 256
    .name:           _Z18lower_bound_kernelIfEvmPT_Pl
    .private_segment_fixed_size: 0
    .sgpr_count:     18
    .sgpr_spill_count: 0
    .symbol:         _Z18lower_bound_kernelIfEvmPT_Pl.kd
    .uniform_work_group_size: 1
    .uses_dynamic_stack: false
    .vgpr_count:     3
    .vgpr_spill_count: 0
    .wavefront_size: 32
    .workgroup_processor_mode: 1
  - .args:
      - .offset:         0
        .size:           56
        .value_kind:     by_value
    .group_segment_fixed_size: 0
    .kernarg_segment_align: 8
    .kernarg_segment_size: 56
    .language:       OpenCL C
    .language_version:
      - 2
      - 0
    .max_flat_workgroup_size: 256
    .name:           _ZN7rocprim17ROCPRIM_400000_NS6detail17trampoline_kernelINS0_14default_configENS1_27lower_bound_config_selectorIflEEZNS1_14transform_implILb0ES3_S5_N6thrust23THRUST_200600_302600_NS6detail15normal_iteratorINS8_7pointerIfNS8_11hip_rocprim5par_tENS8_11use_defaultESE_EEEENSA_INSB_IlSD_SE_SE_EEEEZNS1_13binary_searchIS3_S5_PfSG_SI_NS1_21lower_bound_search_opENS9_16wrapped_functionI11custom_lessbEEEE10hipError_tPvRmT1_T2_T3_mmT4_T5_P12ihipStream_tbEUlRKfE_EESP_ST_SU_mSV_SY_bEUlT_E_NS1_11comp_targetILNS1_3genE0ELNS1_11target_archE4294967295ELNS1_3gpuE0ELNS1_3repE0EEENS1_30default_config_static_selectorELNS0_4arch9wavefront6targetE0EEEvSS_
    .private_segment_fixed_size: 0
    .sgpr_count:     0
    .sgpr_spill_count: 0
    .symbol:         _ZN7rocprim17ROCPRIM_400000_NS6detail17trampoline_kernelINS0_14default_configENS1_27lower_bound_config_selectorIflEEZNS1_14transform_implILb0ES3_S5_N6thrust23THRUST_200600_302600_NS6detail15normal_iteratorINS8_7pointerIfNS8_11hip_rocprim5par_tENS8_11use_defaultESE_EEEENSA_INSB_IlSD_SE_SE_EEEEZNS1_13binary_searchIS3_S5_PfSG_SI_NS1_21lower_bound_search_opENS9_16wrapped_functionI11custom_lessbEEEE10hipError_tPvRmT1_T2_T3_mmT4_T5_P12ihipStream_tbEUlRKfE_EESP_ST_SU_mSV_SY_bEUlT_E_NS1_11comp_targetILNS1_3genE0ELNS1_11target_archE4294967295ELNS1_3gpuE0ELNS1_3repE0EEENS1_30default_config_static_selectorELNS0_4arch9wavefront6targetE0EEEvSS_.kd
    .uniform_work_group_size: 1
    .uses_dynamic_stack: false
    .vgpr_count:     0
    .vgpr_spill_count: 0
    .wavefront_size: 32
    .workgroup_processor_mode: 1
  - .args:
      - .offset:         0
        .size:           56
        .value_kind:     by_value
    .group_segment_fixed_size: 0
    .kernarg_segment_align: 8
    .kernarg_segment_size: 56
    .language:       OpenCL C
    .language_version:
      - 2
      - 0
    .max_flat_workgroup_size: 256
    .name:           _ZN7rocprim17ROCPRIM_400000_NS6detail17trampoline_kernelINS0_14default_configENS1_27lower_bound_config_selectorIflEEZNS1_14transform_implILb0ES3_S5_N6thrust23THRUST_200600_302600_NS6detail15normal_iteratorINS8_7pointerIfNS8_11hip_rocprim5par_tENS8_11use_defaultESE_EEEENSA_INSB_IlSD_SE_SE_EEEEZNS1_13binary_searchIS3_S5_PfSG_SI_NS1_21lower_bound_search_opENS9_16wrapped_functionI11custom_lessbEEEE10hipError_tPvRmT1_T2_T3_mmT4_T5_P12ihipStream_tbEUlRKfE_EESP_ST_SU_mSV_SY_bEUlT_E_NS1_11comp_targetILNS1_3genE5ELNS1_11target_archE942ELNS1_3gpuE9ELNS1_3repE0EEENS1_30default_config_static_selectorELNS0_4arch9wavefront6targetE0EEEvSS_
    .private_segment_fixed_size: 0
    .sgpr_count:     0
    .sgpr_spill_count: 0
    .symbol:         _ZN7rocprim17ROCPRIM_400000_NS6detail17trampoline_kernelINS0_14default_configENS1_27lower_bound_config_selectorIflEEZNS1_14transform_implILb0ES3_S5_N6thrust23THRUST_200600_302600_NS6detail15normal_iteratorINS8_7pointerIfNS8_11hip_rocprim5par_tENS8_11use_defaultESE_EEEENSA_INSB_IlSD_SE_SE_EEEEZNS1_13binary_searchIS3_S5_PfSG_SI_NS1_21lower_bound_search_opENS9_16wrapped_functionI11custom_lessbEEEE10hipError_tPvRmT1_T2_T3_mmT4_T5_P12ihipStream_tbEUlRKfE_EESP_ST_SU_mSV_SY_bEUlT_E_NS1_11comp_targetILNS1_3genE5ELNS1_11target_archE942ELNS1_3gpuE9ELNS1_3repE0EEENS1_30default_config_static_selectorELNS0_4arch9wavefront6targetE0EEEvSS_.kd
    .uniform_work_group_size: 1
    .uses_dynamic_stack: false
    .vgpr_count:     0
    .vgpr_spill_count: 0
    .wavefront_size: 32
    .workgroup_processor_mode: 1
  - .args:
      - .offset:         0
        .size:           56
        .value_kind:     by_value
    .group_segment_fixed_size: 0
    .kernarg_segment_align: 8
    .kernarg_segment_size: 56
    .language:       OpenCL C
    .language_version:
      - 2
      - 0
    .max_flat_workgroup_size: 256
    .name:           _ZN7rocprim17ROCPRIM_400000_NS6detail17trampoline_kernelINS0_14default_configENS1_27lower_bound_config_selectorIflEEZNS1_14transform_implILb0ES3_S5_N6thrust23THRUST_200600_302600_NS6detail15normal_iteratorINS8_7pointerIfNS8_11hip_rocprim5par_tENS8_11use_defaultESE_EEEENSA_INSB_IlSD_SE_SE_EEEEZNS1_13binary_searchIS3_S5_PfSG_SI_NS1_21lower_bound_search_opENS9_16wrapped_functionI11custom_lessbEEEE10hipError_tPvRmT1_T2_T3_mmT4_T5_P12ihipStream_tbEUlRKfE_EESP_ST_SU_mSV_SY_bEUlT_E_NS1_11comp_targetILNS1_3genE4ELNS1_11target_archE910ELNS1_3gpuE8ELNS1_3repE0EEENS1_30default_config_static_selectorELNS0_4arch9wavefront6targetE0EEEvSS_
    .private_segment_fixed_size: 0
    .sgpr_count:     0
    .sgpr_spill_count: 0
    .symbol:         _ZN7rocprim17ROCPRIM_400000_NS6detail17trampoline_kernelINS0_14default_configENS1_27lower_bound_config_selectorIflEEZNS1_14transform_implILb0ES3_S5_N6thrust23THRUST_200600_302600_NS6detail15normal_iteratorINS8_7pointerIfNS8_11hip_rocprim5par_tENS8_11use_defaultESE_EEEENSA_INSB_IlSD_SE_SE_EEEEZNS1_13binary_searchIS3_S5_PfSG_SI_NS1_21lower_bound_search_opENS9_16wrapped_functionI11custom_lessbEEEE10hipError_tPvRmT1_T2_T3_mmT4_T5_P12ihipStream_tbEUlRKfE_EESP_ST_SU_mSV_SY_bEUlT_E_NS1_11comp_targetILNS1_3genE4ELNS1_11target_archE910ELNS1_3gpuE8ELNS1_3repE0EEENS1_30default_config_static_selectorELNS0_4arch9wavefront6targetE0EEEvSS_.kd
    .uniform_work_group_size: 1
    .uses_dynamic_stack: false
    .vgpr_count:     0
    .vgpr_spill_count: 0
    .wavefront_size: 32
    .workgroup_processor_mode: 1
  - .args:
      - .offset:         0
        .size:           56
        .value_kind:     by_value
    .group_segment_fixed_size: 0
    .kernarg_segment_align: 8
    .kernarg_segment_size: 56
    .language:       OpenCL C
    .language_version:
      - 2
      - 0
    .max_flat_workgroup_size: 256
    .name:           _ZN7rocprim17ROCPRIM_400000_NS6detail17trampoline_kernelINS0_14default_configENS1_27lower_bound_config_selectorIflEEZNS1_14transform_implILb0ES3_S5_N6thrust23THRUST_200600_302600_NS6detail15normal_iteratorINS8_7pointerIfNS8_11hip_rocprim5par_tENS8_11use_defaultESE_EEEENSA_INSB_IlSD_SE_SE_EEEEZNS1_13binary_searchIS3_S5_PfSG_SI_NS1_21lower_bound_search_opENS9_16wrapped_functionI11custom_lessbEEEE10hipError_tPvRmT1_T2_T3_mmT4_T5_P12ihipStream_tbEUlRKfE_EESP_ST_SU_mSV_SY_bEUlT_E_NS1_11comp_targetILNS1_3genE3ELNS1_11target_archE908ELNS1_3gpuE7ELNS1_3repE0EEENS1_30default_config_static_selectorELNS0_4arch9wavefront6targetE0EEEvSS_
    .private_segment_fixed_size: 0
    .sgpr_count:     0
    .sgpr_spill_count: 0
    .symbol:         _ZN7rocprim17ROCPRIM_400000_NS6detail17trampoline_kernelINS0_14default_configENS1_27lower_bound_config_selectorIflEEZNS1_14transform_implILb0ES3_S5_N6thrust23THRUST_200600_302600_NS6detail15normal_iteratorINS8_7pointerIfNS8_11hip_rocprim5par_tENS8_11use_defaultESE_EEEENSA_INSB_IlSD_SE_SE_EEEEZNS1_13binary_searchIS3_S5_PfSG_SI_NS1_21lower_bound_search_opENS9_16wrapped_functionI11custom_lessbEEEE10hipError_tPvRmT1_T2_T3_mmT4_T5_P12ihipStream_tbEUlRKfE_EESP_ST_SU_mSV_SY_bEUlT_E_NS1_11comp_targetILNS1_3genE3ELNS1_11target_archE908ELNS1_3gpuE7ELNS1_3repE0EEENS1_30default_config_static_selectorELNS0_4arch9wavefront6targetE0EEEvSS_.kd
    .uniform_work_group_size: 1
    .uses_dynamic_stack: false
    .vgpr_count:     0
    .vgpr_spill_count: 0
    .wavefront_size: 32
    .workgroup_processor_mode: 1
  - .args:
      - .offset:         0
        .size:           56
        .value_kind:     by_value
    .group_segment_fixed_size: 0
    .kernarg_segment_align: 8
    .kernarg_segment_size: 56
    .language:       OpenCL C
    .language_version:
      - 2
      - 0
    .max_flat_workgroup_size: 256
    .name:           _ZN7rocprim17ROCPRIM_400000_NS6detail17trampoline_kernelINS0_14default_configENS1_27lower_bound_config_selectorIflEEZNS1_14transform_implILb0ES3_S5_N6thrust23THRUST_200600_302600_NS6detail15normal_iteratorINS8_7pointerIfNS8_11hip_rocprim5par_tENS8_11use_defaultESE_EEEENSA_INSB_IlSD_SE_SE_EEEEZNS1_13binary_searchIS3_S5_PfSG_SI_NS1_21lower_bound_search_opENS9_16wrapped_functionI11custom_lessbEEEE10hipError_tPvRmT1_T2_T3_mmT4_T5_P12ihipStream_tbEUlRKfE_EESP_ST_SU_mSV_SY_bEUlT_E_NS1_11comp_targetILNS1_3genE2ELNS1_11target_archE906ELNS1_3gpuE6ELNS1_3repE0EEENS1_30default_config_static_selectorELNS0_4arch9wavefront6targetE0EEEvSS_
    .private_segment_fixed_size: 0
    .sgpr_count:     0
    .sgpr_spill_count: 0
    .symbol:         _ZN7rocprim17ROCPRIM_400000_NS6detail17trampoline_kernelINS0_14default_configENS1_27lower_bound_config_selectorIflEEZNS1_14transform_implILb0ES3_S5_N6thrust23THRUST_200600_302600_NS6detail15normal_iteratorINS8_7pointerIfNS8_11hip_rocprim5par_tENS8_11use_defaultESE_EEEENSA_INSB_IlSD_SE_SE_EEEEZNS1_13binary_searchIS3_S5_PfSG_SI_NS1_21lower_bound_search_opENS9_16wrapped_functionI11custom_lessbEEEE10hipError_tPvRmT1_T2_T3_mmT4_T5_P12ihipStream_tbEUlRKfE_EESP_ST_SU_mSV_SY_bEUlT_E_NS1_11comp_targetILNS1_3genE2ELNS1_11target_archE906ELNS1_3gpuE6ELNS1_3repE0EEENS1_30default_config_static_selectorELNS0_4arch9wavefront6targetE0EEEvSS_.kd
    .uniform_work_group_size: 1
    .uses_dynamic_stack: false
    .vgpr_count:     0
    .vgpr_spill_count: 0
    .wavefront_size: 32
    .workgroup_processor_mode: 1
  - .args:
      - .offset:         0
        .size:           56
        .value_kind:     by_value
    .group_segment_fixed_size: 0
    .kernarg_segment_align: 8
    .kernarg_segment_size: 56
    .language:       OpenCL C
    .language_version:
      - 2
      - 0
    .max_flat_workgroup_size: 128
    .name:           _ZN7rocprim17ROCPRIM_400000_NS6detail17trampoline_kernelINS0_14default_configENS1_27lower_bound_config_selectorIflEEZNS1_14transform_implILb0ES3_S5_N6thrust23THRUST_200600_302600_NS6detail15normal_iteratorINS8_7pointerIfNS8_11hip_rocprim5par_tENS8_11use_defaultESE_EEEENSA_INSB_IlSD_SE_SE_EEEEZNS1_13binary_searchIS3_S5_PfSG_SI_NS1_21lower_bound_search_opENS9_16wrapped_functionI11custom_lessbEEEE10hipError_tPvRmT1_T2_T3_mmT4_T5_P12ihipStream_tbEUlRKfE_EESP_ST_SU_mSV_SY_bEUlT_E_NS1_11comp_targetILNS1_3genE10ELNS1_11target_archE1201ELNS1_3gpuE5ELNS1_3repE0EEENS1_30default_config_static_selectorELNS0_4arch9wavefront6targetE0EEEvSS_
    .private_segment_fixed_size: 0
    .sgpr_count:     0
    .sgpr_spill_count: 0
    .symbol:         _ZN7rocprim17ROCPRIM_400000_NS6detail17trampoline_kernelINS0_14default_configENS1_27lower_bound_config_selectorIflEEZNS1_14transform_implILb0ES3_S5_N6thrust23THRUST_200600_302600_NS6detail15normal_iteratorINS8_7pointerIfNS8_11hip_rocprim5par_tENS8_11use_defaultESE_EEEENSA_INSB_IlSD_SE_SE_EEEEZNS1_13binary_searchIS3_S5_PfSG_SI_NS1_21lower_bound_search_opENS9_16wrapped_functionI11custom_lessbEEEE10hipError_tPvRmT1_T2_T3_mmT4_T5_P12ihipStream_tbEUlRKfE_EESP_ST_SU_mSV_SY_bEUlT_E_NS1_11comp_targetILNS1_3genE10ELNS1_11target_archE1201ELNS1_3gpuE5ELNS1_3repE0EEENS1_30default_config_static_selectorELNS0_4arch9wavefront6targetE0EEEvSS_.kd
    .uniform_work_group_size: 1
    .uses_dynamic_stack: false
    .vgpr_count:     0
    .vgpr_spill_count: 0
    .wavefront_size: 32
    .workgroup_processor_mode: 1
  - .args:
      - .offset:         0
        .size:           56
        .value_kind:     by_value
    .group_segment_fixed_size: 0
    .kernarg_segment_align: 8
    .kernarg_segment_size: 56
    .language:       OpenCL C
    .language_version:
      - 2
      - 0
    .max_flat_workgroup_size: 128
    .name:           _ZN7rocprim17ROCPRIM_400000_NS6detail17trampoline_kernelINS0_14default_configENS1_27lower_bound_config_selectorIflEEZNS1_14transform_implILb0ES3_S5_N6thrust23THRUST_200600_302600_NS6detail15normal_iteratorINS8_7pointerIfNS8_11hip_rocprim5par_tENS8_11use_defaultESE_EEEENSA_INSB_IlSD_SE_SE_EEEEZNS1_13binary_searchIS3_S5_PfSG_SI_NS1_21lower_bound_search_opENS9_16wrapped_functionI11custom_lessbEEEE10hipError_tPvRmT1_T2_T3_mmT4_T5_P12ihipStream_tbEUlRKfE_EESP_ST_SU_mSV_SY_bEUlT_E_NS1_11comp_targetILNS1_3genE10ELNS1_11target_archE1200ELNS1_3gpuE4ELNS1_3repE0EEENS1_30default_config_static_selectorELNS0_4arch9wavefront6targetE0EEEvSS_
    .private_segment_fixed_size: 0
    .sgpr_count:     0
    .sgpr_spill_count: 0
    .symbol:         _ZN7rocprim17ROCPRIM_400000_NS6detail17trampoline_kernelINS0_14default_configENS1_27lower_bound_config_selectorIflEEZNS1_14transform_implILb0ES3_S5_N6thrust23THRUST_200600_302600_NS6detail15normal_iteratorINS8_7pointerIfNS8_11hip_rocprim5par_tENS8_11use_defaultESE_EEEENSA_INSB_IlSD_SE_SE_EEEEZNS1_13binary_searchIS3_S5_PfSG_SI_NS1_21lower_bound_search_opENS9_16wrapped_functionI11custom_lessbEEEE10hipError_tPvRmT1_T2_T3_mmT4_T5_P12ihipStream_tbEUlRKfE_EESP_ST_SU_mSV_SY_bEUlT_E_NS1_11comp_targetILNS1_3genE10ELNS1_11target_archE1200ELNS1_3gpuE4ELNS1_3repE0EEENS1_30default_config_static_selectorELNS0_4arch9wavefront6targetE0EEEvSS_.kd
    .uniform_work_group_size: 1
    .uses_dynamic_stack: false
    .vgpr_count:     0
    .vgpr_spill_count: 0
    .wavefront_size: 32
    .workgroup_processor_mode: 1
  - .args:
      - .offset:         0
        .size:           56
        .value_kind:     by_value
    .group_segment_fixed_size: 0
    .kernarg_segment_align: 8
    .kernarg_segment_size: 56
    .language:       OpenCL C
    .language_version:
      - 2
      - 0
    .max_flat_workgroup_size: 256
    .name:           _ZN7rocprim17ROCPRIM_400000_NS6detail17trampoline_kernelINS0_14default_configENS1_27lower_bound_config_selectorIflEEZNS1_14transform_implILb0ES3_S5_N6thrust23THRUST_200600_302600_NS6detail15normal_iteratorINS8_7pointerIfNS8_11hip_rocprim5par_tENS8_11use_defaultESE_EEEENSA_INSB_IlSD_SE_SE_EEEEZNS1_13binary_searchIS3_S5_PfSG_SI_NS1_21lower_bound_search_opENS9_16wrapped_functionI11custom_lessbEEEE10hipError_tPvRmT1_T2_T3_mmT4_T5_P12ihipStream_tbEUlRKfE_EESP_ST_SU_mSV_SY_bEUlT_E_NS1_11comp_targetILNS1_3genE9ELNS1_11target_archE1100ELNS1_3gpuE3ELNS1_3repE0EEENS1_30default_config_static_selectorELNS0_4arch9wavefront6targetE0EEEvSS_
    .private_segment_fixed_size: 0
    .sgpr_count:     0
    .sgpr_spill_count: 0
    .symbol:         _ZN7rocprim17ROCPRIM_400000_NS6detail17trampoline_kernelINS0_14default_configENS1_27lower_bound_config_selectorIflEEZNS1_14transform_implILb0ES3_S5_N6thrust23THRUST_200600_302600_NS6detail15normal_iteratorINS8_7pointerIfNS8_11hip_rocprim5par_tENS8_11use_defaultESE_EEEENSA_INSB_IlSD_SE_SE_EEEEZNS1_13binary_searchIS3_S5_PfSG_SI_NS1_21lower_bound_search_opENS9_16wrapped_functionI11custom_lessbEEEE10hipError_tPvRmT1_T2_T3_mmT4_T5_P12ihipStream_tbEUlRKfE_EESP_ST_SU_mSV_SY_bEUlT_E_NS1_11comp_targetILNS1_3genE9ELNS1_11target_archE1100ELNS1_3gpuE3ELNS1_3repE0EEENS1_30default_config_static_selectorELNS0_4arch9wavefront6targetE0EEEvSS_.kd
    .uniform_work_group_size: 1
    .uses_dynamic_stack: false
    .vgpr_count:     0
    .vgpr_spill_count: 0
    .wavefront_size: 32
    .workgroup_processor_mode: 1
  - .args:
      - .offset:         0
        .size:           56
        .value_kind:     by_value
      - .offset:         56
        .size:           4
        .value_kind:     hidden_block_count_x
      - .offset:         60
        .size:           4
        .value_kind:     hidden_block_count_y
      - .offset:         64
        .size:           4
        .value_kind:     hidden_block_count_z
      - .offset:         68
        .size:           2
        .value_kind:     hidden_group_size_x
      - .offset:         70
        .size:           2
        .value_kind:     hidden_group_size_y
      - .offset:         72
        .size:           2
        .value_kind:     hidden_group_size_z
      - .offset:         74
        .size:           2
        .value_kind:     hidden_remainder_x
      - .offset:         76
        .size:           2
        .value_kind:     hidden_remainder_y
      - .offset:         78
        .size:           2
        .value_kind:     hidden_remainder_z
      - .offset:         96
        .size:           8
        .value_kind:     hidden_global_offset_x
      - .offset:         104
        .size:           8
        .value_kind:     hidden_global_offset_y
      - .offset:         112
        .size:           8
        .value_kind:     hidden_global_offset_z
      - .offset:         120
        .size:           2
        .value_kind:     hidden_grid_dims
    .group_segment_fixed_size: 0
    .kernarg_segment_align: 8
    .kernarg_segment_size: 312
    .language:       OpenCL C
    .language_version:
      - 2
      - 0
    .max_flat_workgroup_size: 256
    .name:           _ZN7rocprim17ROCPRIM_400000_NS6detail17trampoline_kernelINS0_14default_configENS1_27lower_bound_config_selectorIflEEZNS1_14transform_implILb0ES3_S5_N6thrust23THRUST_200600_302600_NS6detail15normal_iteratorINS8_7pointerIfNS8_11hip_rocprim5par_tENS8_11use_defaultESE_EEEENSA_INSB_IlSD_SE_SE_EEEEZNS1_13binary_searchIS3_S5_PfSG_SI_NS1_21lower_bound_search_opENS9_16wrapped_functionI11custom_lessbEEEE10hipError_tPvRmT1_T2_T3_mmT4_T5_P12ihipStream_tbEUlRKfE_EESP_ST_SU_mSV_SY_bEUlT_E_NS1_11comp_targetILNS1_3genE8ELNS1_11target_archE1030ELNS1_3gpuE2ELNS1_3repE0EEENS1_30default_config_static_selectorELNS0_4arch9wavefront6targetE0EEEvSS_
    .private_segment_fixed_size: 0
    .sgpr_count:     19
    .sgpr_spill_count: 0
    .symbol:         _ZN7rocprim17ROCPRIM_400000_NS6detail17trampoline_kernelINS0_14default_configENS1_27lower_bound_config_selectorIflEEZNS1_14transform_implILb0ES3_S5_N6thrust23THRUST_200600_302600_NS6detail15normal_iteratorINS8_7pointerIfNS8_11hip_rocprim5par_tENS8_11use_defaultESE_EEEENSA_INSB_IlSD_SE_SE_EEEEZNS1_13binary_searchIS3_S5_PfSG_SI_NS1_21lower_bound_search_opENS9_16wrapped_functionI11custom_lessbEEEE10hipError_tPvRmT1_T2_T3_mmT4_T5_P12ihipStream_tbEUlRKfE_EESP_ST_SU_mSV_SY_bEUlT_E_NS1_11comp_targetILNS1_3genE8ELNS1_11target_archE1030ELNS1_3gpuE2ELNS1_3repE0EEENS1_30default_config_static_selectorELNS0_4arch9wavefront6targetE0EEEvSS_.kd
    .uniform_work_group_size: 1
    .uses_dynamic_stack: false
    .vgpr_count:     11
    .vgpr_spill_count: 0
    .wavefront_size: 32
    .workgroup_processor_mode: 1
  - .args:
      - .offset:         0
        .size:           56
        .value_kind:     by_value
    .group_segment_fixed_size: 0
    .kernarg_segment_align: 8
    .kernarg_segment_size: 56
    .language:       OpenCL C
    .language_version:
      - 2
      - 0
    .max_flat_workgroup_size: 256
    .name:           _ZN7rocprim17ROCPRIM_400000_NS6detail17trampoline_kernelINS0_14default_configENS1_27lower_bound_config_selectorIflEEZNS1_14transform_implILb0ES3_S5_N6thrust23THRUST_200600_302600_NS6detail15normal_iteratorINS8_7pointerIfNS8_11hip_rocprim5par_tENS8_11use_defaultESE_EEEENSA_INSB_IlSD_SE_SE_EEEEZNS1_13binary_searchIS3_S5_PfSG_SI_NS1_21lower_bound_search_opENS9_16wrapped_functionINS8_6system6detail7generic6detail18binary_search_lessEbEEEE10hipError_tPvRmT1_T2_T3_mmT4_T5_P12ihipStream_tbEUlRKfE_EEST_SX_SY_mSZ_S12_bEUlT_E_NS1_11comp_targetILNS1_3genE0ELNS1_11target_archE4294967295ELNS1_3gpuE0ELNS1_3repE0EEENS1_30default_config_static_selectorELNS0_4arch9wavefront6targetE0EEEvSW_
    .private_segment_fixed_size: 0
    .sgpr_count:     0
    .sgpr_spill_count: 0
    .symbol:         _ZN7rocprim17ROCPRIM_400000_NS6detail17trampoline_kernelINS0_14default_configENS1_27lower_bound_config_selectorIflEEZNS1_14transform_implILb0ES3_S5_N6thrust23THRUST_200600_302600_NS6detail15normal_iteratorINS8_7pointerIfNS8_11hip_rocprim5par_tENS8_11use_defaultESE_EEEENSA_INSB_IlSD_SE_SE_EEEEZNS1_13binary_searchIS3_S5_PfSG_SI_NS1_21lower_bound_search_opENS9_16wrapped_functionINS8_6system6detail7generic6detail18binary_search_lessEbEEEE10hipError_tPvRmT1_T2_T3_mmT4_T5_P12ihipStream_tbEUlRKfE_EEST_SX_SY_mSZ_S12_bEUlT_E_NS1_11comp_targetILNS1_3genE0ELNS1_11target_archE4294967295ELNS1_3gpuE0ELNS1_3repE0EEENS1_30default_config_static_selectorELNS0_4arch9wavefront6targetE0EEEvSW_.kd
    .uniform_work_group_size: 1
    .uses_dynamic_stack: false
    .vgpr_count:     0
    .vgpr_spill_count: 0
    .wavefront_size: 32
    .workgroup_processor_mode: 1
  - .args:
      - .offset:         0
        .size:           56
        .value_kind:     by_value
    .group_segment_fixed_size: 0
    .kernarg_segment_align: 8
    .kernarg_segment_size: 56
    .language:       OpenCL C
    .language_version:
      - 2
      - 0
    .max_flat_workgroup_size: 256
    .name:           _ZN7rocprim17ROCPRIM_400000_NS6detail17trampoline_kernelINS0_14default_configENS1_27lower_bound_config_selectorIflEEZNS1_14transform_implILb0ES3_S5_N6thrust23THRUST_200600_302600_NS6detail15normal_iteratorINS8_7pointerIfNS8_11hip_rocprim5par_tENS8_11use_defaultESE_EEEENSA_INSB_IlSD_SE_SE_EEEEZNS1_13binary_searchIS3_S5_PfSG_SI_NS1_21lower_bound_search_opENS9_16wrapped_functionINS8_6system6detail7generic6detail18binary_search_lessEbEEEE10hipError_tPvRmT1_T2_T3_mmT4_T5_P12ihipStream_tbEUlRKfE_EEST_SX_SY_mSZ_S12_bEUlT_E_NS1_11comp_targetILNS1_3genE5ELNS1_11target_archE942ELNS1_3gpuE9ELNS1_3repE0EEENS1_30default_config_static_selectorELNS0_4arch9wavefront6targetE0EEEvSW_
    .private_segment_fixed_size: 0
    .sgpr_count:     0
    .sgpr_spill_count: 0
    .symbol:         _ZN7rocprim17ROCPRIM_400000_NS6detail17trampoline_kernelINS0_14default_configENS1_27lower_bound_config_selectorIflEEZNS1_14transform_implILb0ES3_S5_N6thrust23THRUST_200600_302600_NS6detail15normal_iteratorINS8_7pointerIfNS8_11hip_rocprim5par_tENS8_11use_defaultESE_EEEENSA_INSB_IlSD_SE_SE_EEEEZNS1_13binary_searchIS3_S5_PfSG_SI_NS1_21lower_bound_search_opENS9_16wrapped_functionINS8_6system6detail7generic6detail18binary_search_lessEbEEEE10hipError_tPvRmT1_T2_T3_mmT4_T5_P12ihipStream_tbEUlRKfE_EEST_SX_SY_mSZ_S12_bEUlT_E_NS1_11comp_targetILNS1_3genE5ELNS1_11target_archE942ELNS1_3gpuE9ELNS1_3repE0EEENS1_30default_config_static_selectorELNS0_4arch9wavefront6targetE0EEEvSW_.kd
    .uniform_work_group_size: 1
    .uses_dynamic_stack: false
    .vgpr_count:     0
    .vgpr_spill_count: 0
    .wavefront_size: 32
    .workgroup_processor_mode: 1
  - .args:
      - .offset:         0
        .size:           56
        .value_kind:     by_value
    .group_segment_fixed_size: 0
    .kernarg_segment_align: 8
    .kernarg_segment_size: 56
    .language:       OpenCL C
    .language_version:
      - 2
      - 0
    .max_flat_workgroup_size: 256
    .name:           _ZN7rocprim17ROCPRIM_400000_NS6detail17trampoline_kernelINS0_14default_configENS1_27lower_bound_config_selectorIflEEZNS1_14transform_implILb0ES3_S5_N6thrust23THRUST_200600_302600_NS6detail15normal_iteratorINS8_7pointerIfNS8_11hip_rocprim5par_tENS8_11use_defaultESE_EEEENSA_INSB_IlSD_SE_SE_EEEEZNS1_13binary_searchIS3_S5_PfSG_SI_NS1_21lower_bound_search_opENS9_16wrapped_functionINS8_6system6detail7generic6detail18binary_search_lessEbEEEE10hipError_tPvRmT1_T2_T3_mmT4_T5_P12ihipStream_tbEUlRKfE_EEST_SX_SY_mSZ_S12_bEUlT_E_NS1_11comp_targetILNS1_3genE4ELNS1_11target_archE910ELNS1_3gpuE8ELNS1_3repE0EEENS1_30default_config_static_selectorELNS0_4arch9wavefront6targetE0EEEvSW_
    .private_segment_fixed_size: 0
    .sgpr_count:     0
    .sgpr_spill_count: 0
    .symbol:         _ZN7rocprim17ROCPRIM_400000_NS6detail17trampoline_kernelINS0_14default_configENS1_27lower_bound_config_selectorIflEEZNS1_14transform_implILb0ES3_S5_N6thrust23THRUST_200600_302600_NS6detail15normal_iteratorINS8_7pointerIfNS8_11hip_rocprim5par_tENS8_11use_defaultESE_EEEENSA_INSB_IlSD_SE_SE_EEEEZNS1_13binary_searchIS3_S5_PfSG_SI_NS1_21lower_bound_search_opENS9_16wrapped_functionINS8_6system6detail7generic6detail18binary_search_lessEbEEEE10hipError_tPvRmT1_T2_T3_mmT4_T5_P12ihipStream_tbEUlRKfE_EEST_SX_SY_mSZ_S12_bEUlT_E_NS1_11comp_targetILNS1_3genE4ELNS1_11target_archE910ELNS1_3gpuE8ELNS1_3repE0EEENS1_30default_config_static_selectorELNS0_4arch9wavefront6targetE0EEEvSW_.kd
    .uniform_work_group_size: 1
    .uses_dynamic_stack: false
    .vgpr_count:     0
    .vgpr_spill_count: 0
    .wavefront_size: 32
    .workgroup_processor_mode: 1
  - .args:
      - .offset:         0
        .size:           56
        .value_kind:     by_value
    .group_segment_fixed_size: 0
    .kernarg_segment_align: 8
    .kernarg_segment_size: 56
    .language:       OpenCL C
    .language_version:
      - 2
      - 0
    .max_flat_workgroup_size: 256
    .name:           _ZN7rocprim17ROCPRIM_400000_NS6detail17trampoline_kernelINS0_14default_configENS1_27lower_bound_config_selectorIflEEZNS1_14transform_implILb0ES3_S5_N6thrust23THRUST_200600_302600_NS6detail15normal_iteratorINS8_7pointerIfNS8_11hip_rocprim5par_tENS8_11use_defaultESE_EEEENSA_INSB_IlSD_SE_SE_EEEEZNS1_13binary_searchIS3_S5_PfSG_SI_NS1_21lower_bound_search_opENS9_16wrapped_functionINS8_6system6detail7generic6detail18binary_search_lessEbEEEE10hipError_tPvRmT1_T2_T3_mmT4_T5_P12ihipStream_tbEUlRKfE_EEST_SX_SY_mSZ_S12_bEUlT_E_NS1_11comp_targetILNS1_3genE3ELNS1_11target_archE908ELNS1_3gpuE7ELNS1_3repE0EEENS1_30default_config_static_selectorELNS0_4arch9wavefront6targetE0EEEvSW_
    .private_segment_fixed_size: 0
    .sgpr_count:     0
    .sgpr_spill_count: 0
    .symbol:         _ZN7rocprim17ROCPRIM_400000_NS6detail17trampoline_kernelINS0_14default_configENS1_27lower_bound_config_selectorIflEEZNS1_14transform_implILb0ES3_S5_N6thrust23THRUST_200600_302600_NS6detail15normal_iteratorINS8_7pointerIfNS8_11hip_rocprim5par_tENS8_11use_defaultESE_EEEENSA_INSB_IlSD_SE_SE_EEEEZNS1_13binary_searchIS3_S5_PfSG_SI_NS1_21lower_bound_search_opENS9_16wrapped_functionINS8_6system6detail7generic6detail18binary_search_lessEbEEEE10hipError_tPvRmT1_T2_T3_mmT4_T5_P12ihipStream_tbEUlRKfE_EEST_SX_SY_mSZ_S12_bEUlT_E_NS1_11comp_targetILNS1_3genE3ELNS1_11target_archE908ELNS1_3gpuE7ELNS1_3repE0EEENS1_30default_config_static_selectorELNS0_4arch9wavefront6targetE0EEEvSW_.kd
    .uniform_work_group_size: 1
    .uses_dynamic_stack: false
    .vgpr_count:     0
    .vgpr_spill_count: 0
    .wavefront_size: 32
    .workgroup_processor_mode: 1
  - .args:
      - .offset:         0
        .size:           56
        .value_kind:     by_value
    .group_segment_fixed_size: 0
    .kernarg_segment_align: 8
    .kernarg_segment_size: 56
    .language:       OpenCL C
    .language_version:
      - 2
      - 0
    .max_flat_workgroup_size: 256
    .name:           _ZN7rocprim17ROCPRIM_400000_NS6detail17trampoline_kernelINS0_14default_configENS1_27lower_bound_config_selectorIflEEZNS1_14transform_implILb0ES3_S5_N6thrust23THRUST_200600_302600_NS6detail15normal_iteratorINS8_7pointerIfNS8_11hip_rocprim5par_tENS8_11use_defaultESE_EEEENSA_INSB_IlSD_SE_SE_EEEEZNS1_13binary_searchIS3_S5_PfSG_SI_NS1_21lower_bound_search_opENS9_16wrapped_functionINS8_6system6detail7generic6detail18binary_search_lessEbEEEE10hipError_tPvRmT1_T2_T3_mmT4_T5_P12ihipStream_tbEUlRKfE_EEST_SX_SY_mSZ_S12_bEUlT_E_NS1_11comp_targetILNS1_3genE2ELNS1_11target_archE906ELNS1_3gpuE6ELNS1_3repE0EEENS1_30default_config_static_selectorELNS0_4arch9wavefront6targetE0EEEvSW_
    .private_segment_fixed_size: 0
    .sgpr_count:     0
    .sgpr_spill_count: 0
    .symbol:         _ZN7rocprim17ROCPRIM_400000_NS6detail17trampoline_kernelINS0_14default_configENS1_27lower_bound_config_selectorIflEEZNS1_14transform_implILb0ES3_S5_N6thrust23THRUST_200600_302600_NS6detail15normal_iteratorINS8_7pointerIfNS8_11hip_rocprim5par_tENS8_11use_defaultESE_EEEENSA_INSB_IlSD_SE_SE_EEEEZNS1_13binary_searchIS3_S5_PfSG_SI_NS1_21lower_bound_search_opENS9_16wrapped_functionINS8_6system6detail7generic6detail18binary_search_lessEbEEEE10hipError_tPvRmT1_T2_T3_mmT4_T5_P12ihipStream_tbEUlRKfE_EEST_SX_SY_mSZ_S12_bEUlT_E_NS1_11comp_targetILNS1_3genE2ELNS1_11target_archE906ELNS1_3gpuE6ELNS1_3repE0EEENS1_30default_config_static_selectorELNS0_4arch9wavefront6targetE0EEEvSW_.kd
    .uniform_work_group_size: 1
    .uses_dynamic_stack: false
    .vgpr_count:     0
    .vgpr_spill_count: 0
    .wavefront_size: 32
    .workgroup_processor_mode: 1
  - .args:
      - .offset:         0
        .size:           56
        .value_kind:     by_value
    .group_segment_fixed_size: 0
    .kernarg_segment_align: 8
    .kernarg_segment_size: 56
    .language:       OpenCL C
    .language_version:
      - 2
      - 0
    .max_flat_workgroup_size: 128
    .name:           _ZN7rocprim17ROCPRIM_400000_NS6detail17trampoline_kernelINS0_14default_configENS1_27lower_bound_config_selectorIflEEZNS1_14transform_implILb0ES3_S5_N6thrust23THRUST_200600_302600_NS6detail15normal_iteratorINS8_7pointerIfNS8_11hip_rocprim5par_tENS8_11use_defaultESE_EEEENSA_INSB_IlSD_SE_SE_EEEEZNS1_13binary_searchIS3_S5_PfSG_SI_NS1_21lower_bound_search_opENS9_16wrapped_functionINS8_6system6detail7generic6detail18binary_search_lessEbEEEE10hipError_tPvRmT1_T2_T3_mmT4_T5_P12ihipStream_tbEUlRKfE_EEST_SX_SY_mSZ_S12_bEUlT_E_NS1_11comp_targetILNS1_3genE10ELNS1_11target_archE1201ELNS1_3gpuE5ELNS1_3repE0EEENS1_30default_config_static_selectorELNS0_4arch9wavefront6targetE0EEEvSW_
    .private_segment_fixed_size: 0
    .sgpr_count:     0
    .sgpr_spill_count: 0
    .symbol:         _ZN7rocprim17ROCPRIM_400000_NS6detail17trampoline_kernelINS0_14default_configENS1_27lower_bound_config_selectorIflEEZNS1_14transform_implILb0ES3_S5_N6thrust23THRUST_200600_302600_NS6detail15normal_iteratorINS8_7pointerIfNS8_11hip_rocprim5par_tENS8_11use_defaultESE_EEEENSA_INSB_IlSD_SE_SE_EEEEZNS1_13binary_searchIS3_S5_PfSG_SI_NS1_21lower_bound_search_opENS9_16wrapped_functionINS8_6system6detail7generic6detail18binary_search_lessEbEEEE10hipError_tPvRmT1_T2_T3_mmT4_T5_P12ihipStream_tbEUlRKfE_EEST_SX_SY_mSZ_S12_bEUlT_E_NS1_11comp_targetILNS1_3genE10ELNS1_11target_archE1201ELNS1_3gpuE5ELNS1_3repE0EEENS1_30default_config_static_selectorELNS0_4arch9wavefront6targetE0EEEvSW_.kd
    .uniform_work_group_size: 1
    .uses_dynamic_stack: false
    .vgpr_count:     0
    .vgpr_spill_count: 0
    .wavefront_size: 32
    .workgroup_processor_mode: 1
  - .args:
      - .offset:         0
        .size:           56
        .value_kind:     by_value
    .group_segment_fixed_size: 0
    .kernarg_segment_align: 8
    .kernarg_segment_size: 56
    .language:       OpenCL C
    .language_version:
      - 2
      - 0
    .max_flat_workgroup_size: 128
    .name:           _ZN7rocprim17ROCPRIM_400000_NS6detail17trampoline_kernelINS0_14default_configENS1_27lower_bound_config_selectorIflEEZNS1_14transform_implILb0ES3_S5_N6thrust23THRUST_200600_302600_NS6detail15normal_iteratorINS8_7pointerIfNS8_11hip_rocprim5par_tENS8_11use_defaultESE_EEEENSA_INSB_IlSD_SE_SE_EEEEZNS1_13binary_searchIS3_S5_PfSG_SI_NS1_21lower_bound_search_opENS9_16wrapped_functionINS8_6system6detail7generic6detail18binary_search_lessEbEEEE10hipError_tPvRmT1_T2_T3_mmT4_T5_P12ihipStream_tbEUlRKfE_EEST_SX_SY_mSZ_S12_bEUlT_E_NS1_11comp_targetILNS1_3genE10ELNS1_11target_archE1200ELNS1_3gpuE4ELNS1_3repE0EEENS1_30default_config_static_selectorELNS0_4arch9wavefront6targetE0EEEvSW_
    .private_segment_fixed_size: 0
    .sgpr_count:     0
    .sgpr_spill_count: 0
    .symbol:         _ZN7rocprim17ROCPRIM_400000_NS6detail17trampoline_kernelINS0_14default_configENS1_27lower_bound_config_selectorIflEEZNS1_14transform_implILb0ES3_S5_N6thrust23THRUST_200600_302600_NS6detail15normal_iteratorINS8_7pointerIfNS8_11hip_rocprim5par_tENS8_11use_defaultESE_EEEENSA_INSB_IlSD_SE_SE_EEEEZNS1_13binary_searchIS3_S5_PfSG_SI_NS1_21lower_bound_search_opENS9_16wrapped_functionINS8_6system6detail7generic6detail18binary_search_lessEbEEEE10hipError_tPvRmT1_T2_T3_mmT4_T5_P12ihipStream_tbEUlRKfE_EEST_SX_SY_mSZ_S12_bEUlT_E_NS1_11comp_targetILNS1_3genE10ELNS1_11target_archE1200ELNS1_3gpuE4ELNS1_3repE0EEENS1_30default_config_static_selectorELNS0_4arch9wavefront6targetE0EEEvSW_.kd
    .uniform_work_group_size: 1
    .uses_dynamic_stack: false
    .vgpr_count:     0
    .vgpr_spill_count: 0
    .wavefront_size: 32
    .workgroup_processor_mode: 1
  - .args:
      - .offset:         0
        .size:           56
        .value_kind:     by_value
    .group_segment_fixed_size: 0
    .kernarg_segment_align: 8
    .kernarg_segment_size: 56
    .language:       OpenCL C
    .language_version:
      - 2
      - 0
    .max_flat_workgroup_size: 256
    .name:           _ZN7rocprim17ROCPRIM_400000_NS6detail17trampoline_kernelINS0_14default_configENS1_27lower_bound_config_selectorIflEEZNS1_14transform_implILb0ES3_S5_N6thrust23THRUST_200600_302600_NS6detail15normal_iteratorINS8_7pointerIfNS8_11hip_rocprim5par_tENS8_11use_defaultESE_EEEENSA_INSB_IlSD_SE_SE_EEEEZNS1_13binary_searchIS3_S5_PfSG_SI_NS1_21lower_bound_search_opENS9_16wrapped_functionINS8_6system6detail7generic6detail18binary_search_lessEbEEEE10hipError_tPvRmT1_T2_T3_mmT4_T5_P12ihipStream_tbEUlRKfE_EEST_SX_SY_mSZ_S12_bEUlT_E_NS1_11comp_targetILNS1_3genE9ELNS1_11target_archE1100ELNS1_3gpuE3ELNS1_3repE0EEENS1_30default_config_static_selectorELNS0_4arch9wavefront6targetE0EEEvSW_
    .private_segment_fixed_size: 0
    .sgpr_count:     0
    .sgpr_spill_count: 0
    .symbol:         _ZN7rocprim17ROCPRIM_400000_NS6detail17trampoline_kernelINS0_14default_configENS1_27lower_bound_config_selectorIflEEZNS1_14transform_implILb0ES3_S5_N6thrust23THRUST_200600_302600_NS6detail15normal_iteratorINS8_7pointerIfNS8_11hip_rocprim5par_tENS8_11use_defaultESE_EEEENSA_INSB_IlSD_SE_SE_EEEEZNS1_13binary_searchIS3_S5_PfSG_SI_NS1_21lower_bound_search_opENS9_16wrapped_functionINS8_6system6detail7generic6detail18binary_search_lessEbEEEE10hipError_tPvRmT1_T2_T3_mmT4_T5_P12ihipStream_tbEUlRKfE_EEST_SX_SY_mSZ_S12_bEUlT_E_NS1_11comp_targetILNS1_3genE9ELNS1_11target_archE1100ELNS1_3gpuE3ELNS1_3repE0EEENS1_30default_config_static_selectorELNS0_4arch9wavefront6targetE0EEEvSW_.kd
    .uniform_work_group_size: 1
    .uses_dynamic_stack: false
    .vgpr_count:     0
    .vgpr_spill_count: 0
    .wavefront_size: 32
    .workgroup_processor_mode: 1
  - .args:
      - .offset:         0
        .size:           56
        .value_kind:     by_value
      - .offset:         56
        .size:           4
        .value_kind:     hidden_block_count_x
      - .offset:         60
        .size:           4
        .value_kind:     hidden_block_count_y
      - .offset:         64
        .size:           4
        .value_kind:     hidden_block_count_z
      - .offset:         68
        .size:           2
        .value_kind:     hidden_group_size_x
      - .offset:         70
        .size:           2
        .value_kind:     hidden_group_size_y
      - .offset:         72
        .size:           2
        .value_kind:     hidden_group_size_z
      - .offset:         74
        .size:           2
        .value_kind:     hidden_remainder_x
      - .offset:         76
        .size:           2
        .value_kind:     hidden_remainder_y
      - .offset:         78
        .size:           2
        .value_kind:     hidden_remainder_z
      - .offset:         96
        .size:           8
        .value_kind:     hidden_global_offset_x
      - .offset:         104
        .size:           8
        .value_kind:     hidden_global_offset_y
      - .offset:         112
        .size:           8
        .value_kind:     hidden_global_offset_z
      - .offset:         120
        .size:           2
        .value_kind:     hidden_grid_dims
    .group_segment_fixed_size: 0
    .kernarg_segment_align: 8
    .kernarg_segment_size: 312
    .language:       OpenCL C
    .language_version:
      - 2
      - 0
    .max_flat_workgroup_size: 256
    .name:           _ZN7rocprim17ROCPRIM_400000_NS6detail17trampoline_kernelINS0_14default_configENS1_27lower_bound_config_selectorIflEEZNS1_14transform_implILb0ES3_S5_N6thrust23THRUST_200600_302600_NS6detail15normal_iteratorINS8_7pointerIfNS8_11hip_rocprim5par_tENS8_11use_defaultESE_EEEENSA_INSB_IlSD_SE_SE_EEEEZNS1_13binary_searchIS3_S5_PfSG_SI_NS1_21lower_bound_search_opENS9_16wrapped_functionINS8_6system6detail7generic6detail18binary_search_lessEbEEEE10hipError_tPvRmT1_T2_T3_mmT4_T5_P12ihipStream_tbEUlRKfE_EEST_SX_SY_mSZ_S12_bEUlT_E_NS1_11comp_targetILNS1_3genE8ELNS1_11target_archE1030ELNS1_3gpuE2ELNS1_3repE0EEENS1_30default_config_static_selectorELNS0_4arch9wavefront6targetE0EEEvSW_
    .private_segment_fixed_size: 0
    .sgpr_count:     19
    .sgpr_spill_count: 0
    .symbol:         _ZN7rocprim17ROCPRIM_400000_NS6detail17trampoline_kernelINS0_14default_configENS1_27lower_bound_config_selectorIflEEZNS1_14transform_implILb0ES3_S5_N6thrust23THRUST_200600_302600_NS6detail15normal_iteratorINS8_7pointerIfNS8_11hip_rocprim5par_tENS8_11use_defaultESE_EEEENSA_INSB_IlSD_SE_SE_EEEEZNS1_13binary_searchIS3_S5_PfSG_SI_NS1_21lower_bound_search_opENS9_16wrapped_functionINS8_6system6detail7generic6detail18binary_search_lessEbEEEE10hipError_tPvRmT1_T2_T3_mmT4_T5_P12ihipStream_tbEUlRKfE_EEST_SX_SY_mSZ_S12_bEUlT_E_NS1_11comp_targetILNS1_3genE8ELNS1_11target_archE1030ELNS1_3gpuE2ELNS1_3repE0EEENS1_30default_config_static_selectorELNS0_4arch9wavefront6targetE0EEEvSW_.kd
    .uniform_work_group_size: 1
    .uses_dynamic_stack: false
    .vgpr_count:     11
    .vgpr_spill_count: 0
    .wavefront_size: 32
    .workgroup_processor_mode: 1
  - .args:
      - .offset:         0
        .size:           16
        .value_kind:     by_value
      - .offset:         16
        .size:           8
        .value_kind:     by_value
      - .offset:         24
        .size:           8
        .value_kind:     by_value
    .group_segment_fixed_size: 0
    .kernarg_segment_align: 8
    .kernarg_segment_size: 32
    .language:       OpenCL C
    .language_version:
      - 2
      - 0
    .max_flat_workgroup_size: 256
    .name:           _ZN6thrust23THRUST_200600_302600_NS11hip_rocprim14__parallel_for6kernelILj256ENS1_20__uninitialized_fill7functorINS0_10device_ptrIyEEyEEmLj1EEEvT0_T1_SA_
    .private_segment_fixed_size: 0
    .sgpr_count:     18
    .sgpr_spill_count: 0
    .symbol:         _ZN6thrust23THRUST_200600_302600_NS11hip_rocprim14__parallel_for6kernelILj256ENS1_20__uninitialized_fill7functorINS0_10device_ptrIyEEyEEmLj1EEEvT0_T1_SA_.kd
    .uniform_work_group_size: 1
    .uses_dynamic_stack: false
    .vgpr_count:     5
    .vgpr_spill_count: 0
    .wavefront_size: 32
    .workgroup_processor_mode: 1
  - .args:
      - .offset:         0
        .size:           8
        .value_kind:     by_value
      - .address_space:  global
        .offset:         8
        .size:           8
        .value_kind:     global_buffer
      - .address_space:  global
        .offset:         16
        .size:           8
        .value_kind:     global_buffer
    .group_segment_fixed_size: 0
    .kernarg_segment_align: 8
    .kernarg_segment_size: 24
    .language:       OpenCL C
    .language_version:
      - 2
      - 0
    .max_flat_workgroup_size: 256
    .name:           _Z18lower_bound_kernelIyEvmPT_Pl
    .private_segment_fixed_size: 0
    .sgpr_count:     19
    .sgpr_spill_count: 0
    .symbol:         _Z18lower_bound_kernelIyEvmPT_Pl.kd
    .uniform_work_group_size: 1
    .uses_dynamic_stack: false
    .vgpr_count:     4
    .vgpr_spill_count: 0
    .wavefront_size: 32
    .workgroup_processor_mode: 1
  - .args:
      - .offset:         0
        .size:           56
        .value_kind:     by_value
    .group_segment_fixed_size: 0
    .kernarg_segment_align: 8
    .kernarg_segment_size: 56
    .language:       OpenCL C
    .language_version:
      - 2
      - 0
    .max_flat_workgroup_size: 128
    .name:           _ZN7rocprim17ROCPRIM_400000_NS6detail17trampoline_kernelINS0_14default_configENS1_27lower_bound_config_selectorIylEEZNS1_14transform_implILb0ES3_S5_N6thrust23THRUST_200600_302600_NS6detail15normal_iteratorINS8_7pointerIyNS8_11hip_rocprim5par_tENS8_11use_defaultESE_EEEENSA_INSB_IlSD_SE_SE_EEEEZNS1_13binary_searchIS3_S5_PySG_SI_NS1_21lower_bound_search_opENS9_16wrapped_functionI11custom_lessbEEEE10hipError_tPvRmT1_T2_T3_mmT4_T5_P12ihipStream_tbEUlRKyE_EESP_ST_SU_mSV_SY_bEUlT_E_NS1_11comp_targetILNS1_3genE0ELNS1_11target_archE4294967295ELNS1_3gpuE0ELNS1_3repE0EEENS1_30default_config_static_selectorELNS0_4arch9wavefront6targetE0EEEvSS_
    .private_segment_fixed_size: 0
    .sgpr_count:     0
    .sgpr_spill_count: 0
    .symbol:         _ZN7rocprim17ROCPRIM_400000_NS6detail17trampoline_kernelINS0_14default_configENS1_27lower_bound_config_selectorIylEEZNS1_14transform_implILb0ES3_S5_N6thrust23THRUST_200600_302600_NS6detail15normal_iteratorINS8_7pointerIyNS8_11hip_rocprim5par_tENS8_11use_defaultESE_EEEENSA_INSB_IlSD_SE_SE_EEEEZNS1_13binary_searchIS3_S5_PySG_SI_NS1_21lower_bound_search_opENS9_16wrapped_functionI11custom_lessbEEEE10hipError_tPvRmT1_T2_T3_mmT4_T5_P12ihipStream_tbEUlRKyE_EESP_ST_SU_mSV_SY_bEUlT_E_NS1_11comp_targetILNS1_3genE0ELNS1_11target_archE4294967295ELNS1_3gpuE0ELNS1_3repE0EEENS1_30default_config_static_selectorELNS0_4arch9wavefront6targetE0EEEvSS_.kd
    .uniform_work_group_size: 1
    .uses_dynamic_stack: false
    .vgpr_count:     0
    .vgpr_spill_count: 0
    .wavefront_size: 32
    .workgroup_processor_mode: 1
  - .args:
      - .offset:         0
        .size:           56
        .value_kind:     by_value
    .group_segment_fixed_size: 0
    .kernarg_segment_align: 8
    .kernarg_segment_size: 56
    .language:       OpenCL C
    .language_version:
      - 2
      - 0
    .max_flat_workgroup_size: 64
    .name:           _ZN7rocprim17ROCPRIM_400000_NS6detail17trampoline_kernelINS0_14default_configENS1_27lower_bound_config_selectorIylEEZNS1_14transform_implILb0ES3_S5_N6thrust23THRUST_200600_302600_NS6detail15normal_iteratorINS8_7pointerIyNS8_11hip_rocprim5par_tENS8_11use_defaultESE_EEEENSA_INSB_IlSD_SE_SE_EEEEZNS1_13binary_searchIS3_S5_PySG_SI_NS1_21lower_bound_search_opENS9_16wrapped_functionI11custom_lessbEEEE10hipError_tPvRmT1_T2_T3_mmT4_T5_P12ihipStream_tbEUlRKyE_EESP_ST_SU_mSV_SY_bEUlT_E_NS1_11comp_targetILNS1_3genE5ELNS1_11target_archE942ELNS1_3gpuE9ELNS1_3repE0EEENS1_30default_config_static_selectorELNS0_4arch9wavefront6targetE0EEEvSS_
    .private_segment_fixed_size: 0
    .sgpr_count:     0
    .sgpr_spill_count: 0
    .symbol:         _ZN7rocprim17ROCPRIM_400000_NS6detail17trampoline_kernelINS0_14default_configENS1_27lower_bound_config_selectorIylEEZNS1_14transform_implILb0ES3_S5_N6thrust23THRUST_200600_302600_NS6detail15normal_iteratorINS8_7pointerIyNS8_11hip_rocprim5par_tENS8_11use_defaultESE_EEEENSA_INSB_IlSD_SE_SE_EEEEZNS1_13binary_searchIS3_S5_PySG_SI_NS1_21lower_bound_search_opENS9_16wrapped_functionI11custom_lessbEEEE10hipError_tPvRmT1_T2_T3_mmT4_T5_P12ihipStream_tbEUlRKyE_EESP_ST_SU_mSV_SY_bEUlT_E_NS1_11comp_targetILNS1_3genE5ELNS1_11target_archE942ELNS1_3gpuE9ELNS1_3repE0EEENS1_30default_config_static_selectorELNS0_4arch9wavefront6targetE0EEEvSS_.kd
    .uniform_work_group_size: 1
    .uses_dynamic_stack: false
    .vgpr_count:     0
    .vgpr_spill_count: 0
    .wavefront_size: 32
    .workgroup_processor_mode: 1
  - .args:
      - .offset:         0
        .size:           56
        .value_kind:     by_value
    .group_segment_fixed_size: 0
    .kernarg_segment_align: 8
    .kernarg_segment_size: 56
    .language:       OpenCL C
    .language_version:
      - 2
      - 0
    .max_flat_workgroup_size: 64
    .name:           _ZN7rocprim17ROCPRIM_400000_NS6detail17trampoline_kernelINS0_14default_configENS1_27lower_bound_config_selectorIylEEZNS1_14transform_implILb0ES3_S5_N6thrust23THRUST_200600_302600_NS6detail15normal_iteratorINS8_7pointerIyNS8_11hip_rocprim5par_tENS8_11use_defaultESE_EEEENSA_INSB_IlSD_SE_SE_EEEEZNS1_13binary_searchIS3_S5_PySG_SI_NS1_21lower_bound_search_opENS9_16wrapped_functionI11custom_lessbEEEE10hipError_tPvRmT1_T2_T3_mmT4_T5_P12ihipStream_tbEUlRKyE_EESP_ST_SU_mSV_SY_bEUlT_E_NS1_11comp_targetILNS1_3genE4ELNS1_11target_archE910ELNS1_3gpuE8ELNS1_3repE0EEENS1_30default_config_static_selectorELNS0_4arch9wavefront6targetE0EEEvSS_
    .private_segment_fixed_size: 0
    .sgpr_count:     0
    .sgpr_spill_count: 0
    .symbol:         _ZN7rocprim17ROCPRIM_400000_NS6detail17trampoline_kernelINS0_14default_configENS1_27lower_bound_config_selectorIylEEZNS1_14transform_implILb0ES3_S5_N6thrust23THRUST_200600_302600_NS6detail15normal_iteratorINS8_7pointerIyNS8_11hip_rocprim5par_tENS8_11use_defaultESE_EEEENSA_INSB_IlSD_SE_SE_EEEEZNS1_13binary_searchIS3_S5_PySG_SI_NS1_21lower_bound_search_opENS9_16wrapped_functionI11custom_lessbEEEE10hipError_tPvRmT1_T2_T3_mmT4_T5_P12ihipStream_tbEUlRKyE_EESP_ST_SU_mSV_SY_bEUlT_E_NS1_11comp_targetILNS1_3genE4ELNS1_11target_archE910ELNS1_3gpuE8ELNS1_3repE0EEENS1_30default_config_static_selectorELNS0_4arch9wavefront6targetE0EEEvSS_.kd
    .uniform_work_group_size: 1
    .uses_dynamic_stack: false
    .vgpr_count:     0
    .vgpr_spill_count: 0
    .wavefront_size: 32
    .workgroup_processor_mode: 1
  - .args:
      - .offset:         0
        .size:           56
        .value_kind:     by_value
    .group_segment_fixed_size: 0
    .kernarg_segment_align: 8
    .kernarg_segment_size: 56
    .language:       OpenCL C
    .language_version:
      - 2
      - 0
    .max_flat_workgroup_size: 128
    .name:           _ZN7rocprim17ROCPRIM_400000_NS6detail17trampoline_kernelINS0_14default_configENS1_27lower_bound_config_selectorIylEEZNS1_14transform_implILb0ES3_S5_N6thrust23THRUST_200600_302600_NS6detail15normal_iteratorINS8_7pointerIyNS8_11hip_rocprim5par_tENS8_11use_defaultESE_EEEENSA_INSB_IlSD_SE_SE_EEEEZNS1_13binary_searchIS3_S5_PySG_SI_NS1_21lower_bound_search_opENS9_16wrapped_functionI11custom_lessbEEEE10hipError_tPvRmT1_T2_T3_mmT4_T5_P12ihipStream_tbEUlRKyE_EESP_ST_SU_mSV_SY_bEUlT_E_NS1_11comp_targetILNS1_3genE3ELNS1_11target_archE908ELNS1_3gpuE7ELNS1_3repE0EEENS1_30default_config_static_selectorELNS0_4arch9wavefront6targetE0EEEvSS_
    .private_segment_fixed_size: 0
    .sgpr_count:     0
    .sgpr_spill_count: 0
    .symbol:         _ZN7rocprim17ROCPRIM_400000_NS6detail17trampoline_kernelINS0_14default_configENS1_27lower_bound_config_selectorIylEEZNS1_14transform_implILb0ES3_S5_N6thrust23THRUST_200600_302600_NS6detail15normal_iteratorINS8_7pointerIyNS8_11hip_rocprim5par_tENS8_11use_defaultESE_EEEENSA_INSB_IlSD_SE_SE_EEEEZNS1_13binary_searchIS3_S5_PySG_SI_NS1_21lower_bound_search_opENS9_16wrapped_functionI11custom_lessbEEEE10hipError_tPvRmT1_T2_T3_mmT4_T5_P12ihipStream_tbEUlRKyE_EESP_ST_SU_mSV_SY_bEUlT_E_NS1_11comp_targetILNS1_3genE3ELNS1_11target_archE908ELNS1_3gpuE7ELNS1_3repE0EEENS1_30default_config_static_selectorELNS0_4arch9wavefront6targetE0EEEvSS_.kd
    .uniform_work_group_size: 1
    .uses_dynamic_stack: false
    .vgpr_count:     0
    .vgpr_spill_count: 0
    .wavefront_size: 32
    .workgroup_processor_mode: 1
  - .args:
      - .offset:         0
        .size:           56
        .value_kind:     by_value
    .group_segment_fixed_size: 0
    .kernarg_segment_align: 8
    .kernarg_segment_size: 56
    .language:       OpenCL C
    .language_version:
      - 2
      - 0
    .max_flat_workgroup_size: 256
    .name:           _ZN7rocprim17ROCPRIM_400000_NS6detail17trampoline_kernelINS0_14default_configENS1_27lower_bound_config_selectorIylEEZNS1_14transform_implILb0ES3_S5_N6thrust23THRUST_200600_302600_NS6detail15normal_iteratorINS8_7pointerIyNS8_11hip_rocprim5par_tENS8_11use_defaultESE_EEEENSA_INSB_IlSD_SE_SE_EEEEZNS1_13binary_searchIS3_S5_PySG_SI_NS1_21lower_bound_search_opENS9_16wrapped_functionI11custom_lessbEEEE10hipError_tPvRmT1_T2_T3_mmT4_T5_P12ihipStream_tbEUlRKyE_EESP_ST_SU_mSV_SY_bEUlT_E_NS1_11comp_targetILNS1_3genE2ELNS1_11target_archE906ELNS1_3gpuE6ELNS1_3repE0EEENS1_30default_config_static_selectorELNS0_4arch9wavefront6targetE0EEEvSS_
    .private_segment_fixed_size: 0
    .sgpr_count:     0
    .sgpr_spill_count: 0
    .symbol:         _ZN7rocprim17ROCPRIM_400000_NS6detail17trampoline_kernelINS0_14default_configENS1_27lower_bound_config_selectorIylEEZNS1_14transform_implILb0ES3_S5_N6thrust23THRUST_200600_302600_NS6detail15normal_iteratorINS8_7pointerIyNS8_11hip_rocprim5par_tENS8_11use_defaultESE_EEEENSA_INSB_IlSD_SE_SE_EEEEZNS1_13binary_searchIS3_S5_PySG_SI_NS1_21lower_bound_search_opENS9_16wrapped_functionI11custom_lessbEEEE10hipError_tPvRmT1_T2_T3_mmT4_T5_P12ihipStream_tbEUlRKyE_EESP_ST_SU_mSV_SY_bEUlT_E_NS1_11comp_targetILNS1_3genE2ELNS1_11target_archE906ELNS1_3gpuE6ELNS1_3repE0EEENS1_30default_config_static_selectorELNS0_4arch9wavefront6targetE0EEEvSS_.kd
    .uniform_work_group_size: 1
    .uses_dynamic_stack: false
    .vgpr_count:     0
    .vgpr_spill_count: 0
    .wavefront_size: 32
    .workgroup_processor_mode: 1
  - .args:
      - .offset:         0
        .size:           56
        .value_kind:     by_value
    .group_segment_fixed_size: 0
    .kernarg_segment_align: 8
    .kernarg_segment_size: 56
    .language:       OpenCL C
    .language_version:
      - 2
      - 0
    .max_flat_workgroup_size: 128
    .name:           _ZN7rocprim17ROCPRIM_400000_NS6detail17trampoline_kernelINS0_14default_configENS1_27lower_bound_config_selectorIylEEZNS1_14transform_implILb0ES3_S5_N6thrust23THRUST_200600_302600_NS6detail15normal_iteratorINS8_7pointerIyNS8_11hip_rocprim5par_tENS8_11use_defaultESE_EEEENSA_INSB_IlSD_SE_SE_EEEEZNS1_13binary_searchIS3_S5_PySG_SI_NS1_21lower_bound_search_opENS9_16wrapped_functionI11custom_lessbEEEE10hipError_tPvRmT1_T2_T3_mmT4_T5_P12ihipStream_tbEUlRKyE_EESP_ST_SU_mSV_SY_bEUlT_E_NS1_11comp_targetILNS1_3genE10ELNS1_11target_archE1201ELNS1_3gpuE5ELNS1_3repE0EEENS1_30default_config_static_selectorELNS0_4arch9wavefront6targetE0EEEvSS_
    .private_segment_fixed_size: 0
    .sgpr_count:     0
    .sgpr_spill_count: 0
    .symbol:         _ZN7rocprim17ROCPRIM_400000_NS6detail17trampoline_kernelINS0_14default_configENS1_27lower_bound_config_selectorIylEEZNS1_14transform_implILb0ES3_S5_N6thrust23THRUST_200600_302600_NS6detail15normal_iteratorINS8_7pointerIyNS8_11hip_rocprim5par_tENS8_11use_defaultESE_EEEENSA_INSB_IlSD_SE_SE_EEEEZNS1_13binary_searchIS3_S5_PySG_SI_NS1_21lower_bound_search_opENS9_16wrapped_functionI11custom_lessbEEEE10hipError_tPvRmT1_T2_T3_mmT4_T5_P12ihipStream_tbEUlRKyE_EESP_ST_SU_mSV_SY_bEUlT_E_NS1_11comp_targetILNS1_3genE10ELNS1_11target_archE1201ELNS1_3gpuE5ELNS1_3repE0EEENS1_30default_config_static_selectorELNS0_4arch9wavefront6targetE0EEEvSS_.kd
    .uniform_work_group_size: 1
    .uses_dynamic_stack: false
    .vgpr_count:     0
    .vgpr_spill_count: 0
    .wavefront_size: 32
    .workgroup_processor_mode: 1
  - .args:
      - .offset:         0
        .size:           56
        .value_kind:     by_value
    .group_segment_fixed_size: 0
    .kernarg_segment_align: 8
    .kernarg_segment_size: 56
    .language:       OpenCL C
    .language_version:
      - 2
      - 0
    .max_flat_workgroup_size: 128
    .name:           _ZN7rocprim17ROCPRIM_400000_NS6detail17trampoline_kernelINS0_14default_configENS1_27lower_bound_config_selectorIylEEZNS1_14transform_implILb0ES3_S5_N6thrust23THRUST_200600_302600_NS6detail15normal_iteratorINS8_7pointerIyNS8_11hip_rocprim5par_tENS8_11use_defaultESE_EEEENSA_INSB_IlSD_SE_SE_EEEEZNS1_13binary_searchIS3_S5_PySG_SI_NS1_21lower_bound_search_opENS9_16wrapped_functionI11custom_lessbEEEE10hipError_tPvRmT1_T2_T3_mmT4_T5_P12ihipStream_tbEUlRKyE_EESP_ST_SU_mSV_SY_bEUlT_E_NS1_11comp_targetILNS1_3genE10ELNS1_11target_archE1200ELNS1_3gpuE4ELNS1_3repE0EEENS1_30default_config_static_selectorELNS0_4arch9wavefront6targetE0EEEvSS_
    .private_segment_fixed_size: 0
    .sgpr_count:     0
    .sgpr_spill_count: 0
    .symbol:         _ZN7rocprim17ROCPRIM_400000_NS6detail17trampoline_kernelINS0_14default_configENS1_27lower_bound_config_selectorIylEEZNS1_14transform_implILb0ES3_S5_N6thrust23THRUST_200600_302600_NS6detail15normal_iteratorINS8_7pointerIyNS8_11hip_rocprim5par_tENS8_11use_defaultESE_EEEENSA_INSB_IlSD_SE_SE_EEEEZNS1_13binary_searchIS3_S5_PySG_SI_NS1_21lower_bound_search_opENS9_16wrapped_functionI11custom_lessbEEEE10hipError_tPvRmT1_T2_T3_mmT4_T5_P12ihipStream_tbEUlRKyE_EESP_ST_SU_mSV_SY_bEUlT_E_NS1_11comp_targetILNS1_3genE10ELNS1_11target_archE1200ELNS1_3gpuE4ELNS1_3repE0EEENS1_30default_config_static_selectorELNS0_4arch9wavefront6targetE0EEEvSS_.kd
    .uniform_work_group_size: 1
    .uses_dynamic_stack: false
    .vgpr_count:     0
    .vgpr_spill_count: 0
    .wavefront_size: 32
    .workgroup_processor_mode: 1
  - .args:
      - .offset:         0
        .size:           56
        .value_kind:     by_value
    .group_segment_fixed_size: 0
    .kernarg_segment_align: 8
    .kernarg_segment_size: 56
    .language:       OpenCL C
    .language_version:
      - 2
      - 0
    .max_flat_workgroup_size: 256
    .name:           _ZN7rocprim17ROCPRIM_400000_NS6detail17trampoline_kernelINS0_14default_configENS1_27lower_bound_config_selectorIylEEZNS1_14transform_implILb0ES3_S5_N6thrust23THRUST_200600_302600_NS6detail15normal_iteratorINS8_7pointerIyNS8_11hip_rocprim5par_tENS8_11use_defaultESE_EEEENSA_INSB_IlSD_SE_SE_EEEEZNS1_13binary_searchIS3_S5_PySG_SI_NS1_21lower_bound_search_opENS9_16wrapped_functionI11custom_lessbEEEE10hipError_tPvRmT1_T2_T3_mmT4_T5_P12ihipStream_tbEUlRKyE_EESP_ST_SU_mSV_SY_bEUlT_E_NS1_11comp_targetILNS1_3genE9ELNS1_11target_archE1100ELNS1_3gpuE3ELNS1_3repE0EEENS1_30default_config_static_selectorELNS0_4arch9wavefront6targetE0EEEvSS_
    .private_segment_fixed_size: 0
    .sgpr_count:     0
    .sgpr_spill_count: 0
    .symbol:         _ZN7rocprim17ROCPRIM_400000_NS6detail17trampoline_kernelINS0_14default_configENS1_27lower_bound_config_selectorIylEEZNS1_14transform_implILb0ES3_S5_N6thrust23THRUST_200600_302600_NS6detail15normal_iteratorINS8_7pointerIyNS8_11hip_rocprim5par_tENS8_11use_defaultESE_EEEENSA_INSB_IlSD_SE_SE_EEEEZNS1_13binary_searchIS3_S5_PySG_SI_NS1_21lower_bound_search_opENS9_16wrapped_functionI11custom_lessbEEEE10hipError_tPvRmT1_T2_T3_mmT4_T5_P12ihipStream_tbEUlRKyE_EESP_ST_SU_mSV_SY_bEUlT_E_NS1_11comp_targetILNS1_3genE9ELNS1_11target_archE1100ELNS1_3gpuE3ELNS1_3repE0EEENS1_30default_config_static_selectorELNS0_4arch9wavefront6targetE0EEEvSS_.kd
    .uniform_work_group_size: 1
    .uses_dynamic_stack: false
    .vgpr_count:     0
    .vgpr_spill_count: 0
    .wavefront_size: 32
    .workgroup_processor_mode: 1
  - .args:
      - .offset:         0
        .size:           56
        .value_kind:     by_value
      - .offset:         56
        .size:           4
        .value_kind:     hidden_block_count_x
      - .offset:         60
        .size:           4
        .value_kind:     hidden_block_count_y
      - .offset:         64
        .size:           4
        .value_kind:     hidden_block_count_z
      - .offset:         68
        .size:           2
        .value_kind:     hidden_group_size_x
      - .offset:         70
        .size:           2
        .value_kind:     hidden_group_size_y
      - .offset:         72
        .size:           2
        .value_kind:     hidden_group_size_z
      - .offset:         74
        .size:           2
        .value_kind:     hidden_remainder_x
      - .offset:         76
        .size:           2
        .value_kind:     hidden_remainder_y
      - .offset:         78
        .size:           2
        .value_kind:     hidden_remainder_z
      - .offset:         96
        .size:           8
        .value_kind:     hidden_global_offset_x
      - .offset:         104
        .size:           8
        .value_kind:     hidden_global_offset_y
      - .offset:         112
        .size:           8
        .value_kind:     hidden_global_offset_z
      - .offset:         120
        .size:           2
        .value_kind:     hidden_grid_dims
    .group_segment_fixed_size: 0
    .kernarg_segment_align: 8
    .kernarg_segment_size: 312
    .language:       OpenCL C
    .language_version:
      - 2
      - 0
    .max_flat_workgroup_size: 256
    .name:           _ZN7rocprim17ROCPRIM_400000_NS6detail17trampoline_kernelINS0_14default_configENS1_27lower_bound_config_selectorIylEEZNS1_14transform_implILb0ES3_S5_N6thrust23THRUST_200600_302600_NS6detail15normal_iteratorINS8_7pointerIyNS8_11hip_rocprim5par_tENS8_11use_defaultESE_EEEENSA_INSB_IlSD_SE_SE_EEEEZNS1_13binary_searchIS3_S5_PySG_SI_NS1_21lower_bound_search_opENS9_16wrapped_functionI11custom_lessbEEEE10hipError_tPvRmT1_T2_T3_mmT4_T5_P12ihipStream_tbEUlRKyE_EESP_ST_SU_mSV_SY_bEUlT_E_NS1_11comp_targetILNS1_3genE8ELNS1_11target_archE1030ELNS1_3gpuE2ELNS1_3repE0EEENS1_30default_config_static_selectorELNS0_4arch9wavefront6targetE0EEEvSS_
    .private_segment_fixed_size: 0
    .sgpr_count:     22
    .sgpr_spill_count: 0
    .symbol:         _ZN7rocprim17ROCPRIM_400000_NS6detail17trampoline_kernelINS0_14default_configENS1_27lower_bound_config_selectorIylEEZNS1_14transform_implILb0ES3_S5_N6thrust23THRUST_200600_302600_NS6detail15normal_iteratorINS8_7pointerIyNS8_11hip_rocprim5par_tENS8_11use_defaultESE_EEEENSA_INSB_IlSD_SE_SE_EEEEZNS1_13binary_searchIS3_S5_PySG_SI_NS1_21lower_bound_search_opENS9_16wrapped_functionI11custom_lessbEEEE10hipError_tPvRmT1_T2_T3_mmT4_T5_P12ihipStream_tbEUlRKyE_EESP_ST_SU_mSV_SY_bEUlT_E_NS1_11comp_targetILNS1_3genE8ELNS1_11target_archE1030ELNS1_3gpuE2ELNS1_3repE0EEENS1_30default_config_static_selectorELNS0_4arch9wavefront6targetE0EEEvSS_.kd
    .uniform_work_group_size: 1
    .uses_dynamic_stack: false
    .vgpr_count:     12
    .vgpr_spill_count: 0
    .wavefront_size: 32
    .workgroup_processor_mode: 1
  - .args:
      - .offset:         0
        .size:           56
        .value_kind:     by_value
    .group_segment_fixed_size: 0
    .kernarg_segment_align: 8
    .kernarg_segment_size: 56
    .language:       OpenCL C
    .language_version:
      - 2
      - 0
    .max_flat_workgroup_size: 128
    .name:           _ZN7rocprim17ROCPRIM_400000_NS6detail17trampoline_kernelINS0_14default_configENS1_27lower_bound_config_selectorIylEEZNS1_14transform_implILb0ES3_S5_N6thrust23THRUST_200600_302600_NS6detail15normal_iteratorINS8_7pointerIyNS8_11hip_rocprim5par_tENS8_11use_defaultESE_EEEENSA_INSB_IlSD_SE_SE_EEEEZNS1_13binary_searchIS3_S5_PySG_SI_NS1_21lower_bound_search_opENS9_16wrapped_functionINS8_6system6detail7generic6detail18binary_search_lessEbEEEE10hipError_tPvRmT1_T2_T3_mmT4_T5_P12ihipStream_tbEUlRKyE_EEST_SX_SY_mSZ_S12_bEUlT_E_NS1_11comp_targetILNS1_3genE0ELNS1_11target_archE4294967295ELNS1_3gpuE0ELNS1_3repE0EEENS1_30default_config_static_selectorELNS0_4arch9wavefront6targetE0EEEvSW_
    .private_segment_fixed_size: 0
    .sgpr_count:     0
    .sgpr_spill_count: 0
    .symbol:         _ZN7rocprim17ROCPRIM_400000_NS6detail17trampoline_kernelINS0_14default_configENS1_27lower_bound_config_selectorIylEEZNS1_14transform_implILb0ES3_S5_N6thrust23THRUST_200600_302600_NS6detail15normal_iteratorINS8_7pointerIyNS8_11hip_rocprim5par_tENS8_11use_defaultESE_EEEENSA_INSB_IlSD_SE_SE_EEEEZNS1_13binary_searchIS3_S5_PySG_SI_NS1_21lower_bound_search_opENS9_16wrapped_functionINS8_6system6detail7generic6detail18binary_search_lessEbEEEE10hipError_tPvRmT1_T2_T3_mmT4_T5_P12ihipStream_tbEUlRKyE_EEST_SX_SY_mSZ_S12_bEUlT_E_NS1_11comp_targetILNS1_3genE0ELNS1_11target_archE4294967295ELNS1_3gpuE0ELNS1_3repE0EEENS1_30default_config_static_selectorELNS0_4arch9wavefront6targetE0EEEvSW_.kd
    .uniform_work_group_size: 1
    .uses_dynamic_stack: false
    .vgpr_count:     0
    .vgpr_spill_count: 0
    .wavefront_size: 32
    .workgroup_processor_mode: 1
  - .args:
      - .offset:         0
        .size:           56
        .value_kind:     by_value
    .group_segment_fixed_size: 0
    .kernarg_segment_align: 8
    .kernarg_segment_size: 56
    .language:       OpenCL C
    .language_version:
      - 2
      - 0
    .max_flat_workgroup_size: 64
    .name:           _ZN7rocprim17ROCPRIM_400000_NS6detail17trampoline_kernelINS0_14default_configENS1_27lower_bound_config_selectorIylEEZNS1_14transform_implILb0ES3_S5_N6thrust23THRUST_200600_302600_NS6detail15normal_iteratorINS8_7pointerIyNS8_11hip_rocprim5par_tENS8_11use_defaultESE_EEEENSA_INSB_IlSD_SE_SE_EEEEZNS1_13binary_searchIS3_S5_PySG_SI_NS1_21lower_bound_search_opENS9_16wrapped_functionINS8_6system6detail7generic6detail18binary_search_lessEbEEEE10hipError_tPvRmT1_T2_T3_mmT4_T5_P12ihipStream_tbEUlRKyE_EEST_SX_SY_mSZ_S12_bEUlT_E_NS1_11comp_targetILNS1_3genE5ELNS1_11target_archE942ELNS1_3gpuE9ELNS1_3repE0EEENS1_30default_config_static_selectorELNS0_4arch9wavefront6targetE0EEEvSW_
    .private_segment_fixed_size: 0
    .sgpr_count:     0
    .sgpr_spill_count: 0
    .symbol:         _ZN7rocprim17ROCPRIM_400000_NS6detail17trampoline_kernelINS0_14default_configENS1_27lower_bound_config_selectorIylEEZNS1_14transform_implILb0ES3_S5_N6thrust23THRUST_200600_302600_NS6detail15normal_iteratorINS8_7pointerIyNS8_11hip_rocprim5par_tENS8_11use_defaultESE_EEEENSA_INSB_IlSD_SE_SE_EEEEZNS1_13binary_searchIS3_S5_PySG_SI_NS1_21lower_bound_search_opENS9_16wrapped_functionINS8_6system6detail7generic6detail18binary_search_lessEbEEEE10hipError_tPvRmT1_T2_T3_mmT4_T5_P12ihipStream_tbEUlRKyE_EEST_SX_SY_mSZ_S12_bEUlT_E_NS1_11comp_targetILNS1_3genE5ELNS1_11target_archE942ELNS1_3gpuE9ELNS1_3repE0EEENS1_30default_config_static_selectorELNS0_4arch9wavefront6targetE0EEEvSW_.kd
    .uniform_work_group_size: 1
    .uses_dynamic_stack: false
    .vgpr_count:     0
    .vgpr_spill_count: 0
    .wavefront_size: 32
    .workgroup_processor_mode: 1
  - .args:
      - .offset:         0
        .size:           56
        .value_kind:     by_value
    .group_segment_fixed_size: 0
    .kernarg_segment_align: 8
    .kernarg_segment_size: 56
    .language:       OpenCL C
    .language_version:
      - 2
      - 0
    .max_flat_workgroup_size: 64
    .name:           _ZN7rocprim17ROCPRIM_400000_NS6detail17trampoline_kernelINS0_14default_configENS1_27lower_bound_config_selectorIylEEZNS1_14transform_implILb0ES3_S5_N6thrust23THRUST_200600_302600_NS6detail15normal_iteratorINS8_7pointerIyNS8_11hip_rocprim5par_tENS8_11use_defaultESE_EEEENSA_INSB_IlSD_SE_SE_EEEEZNS1_13binary_searchIS3_S5_PySG_SI_NS1_21lower_bound_search_opENS9_16wrapped_functionINS8_6system6detail7generic6detail18binary_search_lessEbEEEE10hipError_tPvRmT1_T2_T3_mmT4_T5_P12ihipStream_tbEUlRKyE_EEST_SX_SY_mSZ_S12_bEUlT_E_NS1_11comp_targetILNS1_3genE4ELNS1_11target_archE910ELNS1_3gpuE8ELNS1_3repE0EEENS1_30default_config_static_selectorELNS0_4arch9wavefront6targetE0EEEvSW_
    .private_segment_fixed_size: 0
    .sgpr_count:     0
    .sgpr_spill_count: 0
    .symbol:         _ZN7rocprim17ROCPRIM_400000_NS6detail17trampoline_kernelINS0_14default_configENS1_27lower_bound_config_selectorIylEEZNS1_14transform_implILb0ES3_S5_N6thrust23THRUST_200600_302600_NS6detail15normal_iteratorINS8_7pointerIyNS8_11hip_rocprim5par_tENS8_11use_defaultESE_EEEENSA_INSB_IlSD_SE_SE_EEEEZNS1_13binary_searchIS3_S5_PySG_SI_NS1_21lower_bound_search_opENS9_16wrapped_functionINS8_6system6detail7generic6detail18binary_search_lessEbEEEE10hipError_tPvRmT1_T2_T3_mmT4_T5_P12ihipStream_tbEUlRKyE_EEST_SX_SY_mSZ_S12_bEUlT_E_NS1_11comp_targetILNS1_3genE4ELNS1_11target_archE910ELNS1_3gpuE8ELNS1_3repE0EEENS1_30default_config_static_selectorELNS0_4arch9wavefront6targetE0EEEvSW_.kd
    .uniform_work_group_size: 1
    .uses_dynamic_stack: false
    .vgpr_count:     0
    .vgpr_spill_count: 0
    .wavefront_size: 32
    .workgroup_processor_mode: 1
  - .args:
      - .offset:         0
        .size:           56
        .value_kind:     by_value
    .group_segment_fixed_size: 0
    .kernarg_segment_align: 8
    .kernarg_segment_size: 56
    .language:       OpenCL C
    .language_version:
      - 2
      - 0
    .max_flat_workgroup_size: 128
    .name:           _ZN7rocprim17ROCPRIM_400000_NS6detail17trampoline_kernelINS0_14default_configENS1_27lower_bound_config_selectorIylEEZNS1_14transform_implILb0ES3_S5_N6thrust23THRUST_200600_302600_NS6detail15normal_iteratorINS8_7pointerIyNS8_11hip_rocprim5par_tENS8_11use_defaultESE_EEEENSA_INSB_IlSD_SE_SE_EEEEZNS1_13binary_searchIS3_S5_PySG_SI_NS1_21lower_bound_search_opENS9_16wrapped_functionINS8_6system6detail7generic6detail18binary_search_lessEbEEEE10hipError_tPvRmT1_T2_T3_mmT4_T5_P12ihipStream_tbEUlRKyE_EEST_SX_SY_mSZ_S12_bEUlT_E_NS1_11comp_targetILNS1_3genE3ELNS1_11target_archE908ELNS1_3gpuE7ELNS1_3repE0EEENS1_30default_config_static_selectorELNS0_4arch9wavefront6targetE0EEEvSW_
    .private_segment_fixed_size: 0
    .sgpr_count:     0
    .sgpr_spill_count: 0
    .symbol:         _ZN7rocprim17ROCPRIM_400000_NS6detail17trampoline_kernelINS0_14default_configENS1_27lower_bound_config_selectorIylEEZNS1_14transform_implILb0ES3_S5_N6thrust23THRUST_200600_302600_NS6detail15normal_iteratorINS8_7pointerIyNS8_11hip_rocprim5par_tENS8_11use_defaultESE_EEEENSA_INSB_IlSD_SE_SE_EEEEZNS1_13binary_searchIS3_S5_PySG_SI_NS1_21lower_bound_search_opENS9_16wrapped_functionINS8_6system6detail7generic6detail18binary_search_lessEbEEEE10hipError_tPvRmT1_T2_T3_mmT4_T5_P12ihipStream_tbEUlRKyE_EEST_SX_SY_mSZ_S12_bEUlT_E_NS1_11comp_targetILNS1_3genE3ELNS1_11target_archE908ELNS1_3gpuE7ELNS1_3repE0EEENS1_30default_config_static_selectorELNS0_4arch9wavefront6targetE0EEEvSW_.kd
    .uniform_work_group_size: 1
    .uses_dynamic_stack: false
    .vgpr_count:     0
    .vgpr_spill_count: 0
    .wavefront_size: 32
    .workgroup_processor_mode: 1
  - .args:
      - .offset:         0
        .size:           56
        .value_kind:     by_value
    .group_segment_fixed_size: 0
    .kernarg_segment_align: 8
    .kernarg_segment_size: 56
    .language:       OpenCL C
    .language_version:
      - 2
      - 0
    .max_flat_workgroup_size: 256
    .name:           _ZN7rocprim17ROCPRIM_400000_NS6detail17trampoline_kernelINS0_14default_configENS1_27lower_bound_config_selectorIylEEZNS1_14transform_implILb0ES3_S5_N6thrust23THRUST_200600_302600_NS6detail15normal_iteratorINS8_7pointerIyNS8_11hip_rocprim5par_tENS8_11use_defaultESE_EEEENSA_INSB_IlSD_SE_SE_EEEEZNS1_13binary_searchIS3_S5_PySG_SI_NS1_21lower_bound_search_opENS9_16wrapped_functionINS8_6system6detail7generic6detail18binary_search_lessEbEEEE10hipError_tPvRmT1_T2_T3_mmT4_T5_P12ihipStream_tbEUlRKyE_EEST_SX_SY_mSZ_S12_bEUlT_E_NS1_11comp_targetILNS1_3genE2ELNS1_11target_archE906ELNS1_3gpuE6ELNS1_3repE0EEENS1_30default_config_static_selectorELNS0_4arch9wavefront6targetE0EEEvSW_
    .private_segment_fixed_size: 0
    .sgpr_count:     0
    .sgpr_spill_count: 0
    .symbol:         _ZN7rocprim17ROCPRIM_400000_NS6detail17trampoline_kernelINS0_14default_configENS1_27lower_bound_config_selectorIylEEZNS1_14transform_implILb0ES3_S5_N6thrust23THRUST_200600_302600_NS6detail15normal_iteratorINS8_7pointerIyNS8_11hip_rocprim5par_tENS8_11use_defaultESE_EEEENSA_INSB_IlSD_SE_SE_EEEEZNS1_13binary_searchIS3_S5_PySG_SI_NS1_21lower_bound_search_opENS9_16wrapped_functionINS8_6system6detail7generic6detail18binary_search_lessEbEEEE10hipError_tPvRmT1_T2_T3_mmT4_T5_P12ihipStream_tbEUlRKyE_EEST_SX_SY_mSZ_S12_bEUlT_E_NS1_11comp_targetILNS1_3genE2ELNS1_11target_archE906ELNS1_3gpuE6ELNS1_3repE0EEENS1_30default_config_static_selectorELNS0_4arch9wavefront6targetE0EEEvSW_.kd
    .uniform_work_group_size: 1
    .uses_dynamic_stack: false
    .vgpr_count:     0
    .vgpr_spill_count: 0
    .wavefront_size: 32
    .workgroup_processor_mode: 1
  - .args:
      - .offset:         0
        .size:           56
        .value_kind:     by_value
    .group_segment_fixed_size: 0
    .kernarg_segment_align: 8
    .kernarg_segment_size: 56
    .language:       OpenCL C
    .language_version:
      - 2
      - 0
    .max_flat_workgroup_size: 128
    .name:           _ZN7rocprim17ROCPRIM_400000_NS6detail17trampoline_kernelINS0_14default_configENS1_27lower_bound_config_selectorIylEEZNS1_14transform_implILb0ES3_S5_N6thrust23THRUST_200600_302600_NS6detail15normal_iteratorINS8_7pointerIyNS8_11hip_rocprim5par_tENS8_11use_defaultESE_EEEENSA_INSB_IlSD_SE_SE_EEEEZNS1_13binary_searchIS3_S5_PySG_SI_NS1_21lower_bound_search_opENS9_16wrapped_functionINS8_6system6detail7generic6detail18binary_search_lessEbEEEE10hipError_tPvRmT1_T2_T3_mmT4_T5_P12ihipStream_tbEUlRKyE_EEST_SX_SY_mSZ_S12_bEUlT_E_NS1_11comp_targetILNS1_3genE10ELNS1_11target_archE1201ELNS1_3gpuE5ELNS1_3repE0EEENS1_30default_config_static_selectorELNS0_4arch9wavefront6targetE0EEEvSW_
    .private_segment_fixed_size: 0
    .sgpr_count:     0
    .sgpr_spill_count: 0
    .symbol:         _ZN7rocprim17ROCPRIM_400000_NS6detail17trampoline_kernelINS0_14default_configENS1_27lower_bound_config_selectorIylEEZNS1_14transform_implILb0ES3_S5_N6thrust23THRUST_200600_302600_NS6detail15normal_iteratorINS8_7pointerIyNS8_11hip_rocprim5par_tENS8_11use_defaultESE_EEEENSA_INSB_IlSD_SE_SE_EEEEZNS1_13binary_searchIS3_S5_PySG_SI_NS1_21lower_bound_search_opENS9_16wrapped_functionINS8_6system6detail7generic6detail18binary_search_lessEbEEEE10hipError_tPvRmT1_T2_T3_mmT4_T5_P12ihipStream_tbEUlRKyE_EEST_SX_SY_mSZ_S12_bEUlT_E_NS1_11comp_targetILNS1_3genE10ELNS1_11target_archE1201ELNS1_3gpuE5ELNS1_3repE0EEENS1_30default_config_static_selectorELNS0_4arch9wavefront6targetE0EEEvSW_.kd
    .uniform_work_group_size: 1
    .uses_dynamic_stack: false
    .vgpr_count:     0
    .vgpr_spill_count: 0
    .wavefront_size: 32
    .workgroup_processor_mode: 1
  - .args:
      - .offset:         0
        .size:           56
        .value_kind:     by_value
    .group_segment_fixed_size: 0
    .kernarg_segment_align: 8
    .kernarg_segment_size: 56
    .language:       OpenCL C
    .language_version:
      - 2
      - 0
    .max_flat_workgroup_size: 128
    .name:           _ZN7rocprim17ROCPRIM_400000_NS6detail17trampoline_kernelINS0_14default_configENS1_27lower_bound_config_selectorIylEEZNS1_14transform_implILb0ES3_S5_N6thrust23THRUST_200600_302600_NS6detail15normal_iteratorINS8_7pointerIyNS8_11hip_rocprim5par_tENS8_11use_defaultESE_EEEENSA_INSB_IlSD_SE_SE_EEEEZNS1_13binary_searchIS3_S5_PySG_SI_NS1_21lower_bound_search_opENS9_16wrapped_functionINS8_6system6detail7generic6detail18binary_search_lessEbEEEE10hipError_tPvRmT1_T2_T3_mmT4_T5_P12ihipStream_tbEUlRKyE_EEST_SX_SY_mSZ_S12_bEUlT_E_NS1_11comp_targetILNS1_3genE10ELNS1_11target_archE1200ELNS1_3gpuE4ELNS1_3repE0EEENS1_30default_config_static_selectorELNS0_4arch9wavefront6targetE0EEEvSW_
    .private_segment_fixed_size: 0
    .sgpr_count:     0
    .sgpr_spill_count: 0
    .symbol:         _ZN7rocprim17ROCPRIM_400000_NS6detail17trampoline_kernelINS0_14default_configENS1_27lower_bound_config_selectorIylEEZNS1_14transform_implILb0ES3_S5_N6thrust23THRUST_200600_302600_NS6detail15normal_iteratorINS8_7pointerIyNS8_11hip_rocprim5par_tENS8_11use_defaultESE_EEEENSA_INSB_IlSD_SE_SE_EEEEZNS1_13binary_searchIS3_S5_PySG_SI_NS1_21lower_bound_search_opENS9_16wrapped_functionINS8_6system6detail7generic6detail18binary_search_lessEbEEEE10hipError_tPvRmT1_T2_T3_mmT4_T5_P12ihipStream_tbEUlRKyE_EEST_SX_SY_mSZ_S12_bEUlT_E_NS1_11comp_targetILNS1_3genE10ELNS1_11target_archE1200ELNS1_3gpuE4ELNS1_3repE0EEENS1_30default_config_static_selectorELNS0_4arch9wavefront6targetE0EEEvSW_.kd
    .uniform_work_group_size: 1
    .uses_dynamic_stack: false
    .vgpr_count:     0
    .vgpr_spill_count: 0
    .wavefront_size: 32
    .workgroup_processor_mode: 1
  - .args:
      - .offset:         0
        .size:           56
        .value_kind:     by_value
    .group_segment_fixed_size: 0
    .kernarg_segment_align: 8
    .kernarg_segment_size: 56
    .language:       OpenCL C
    .language_version:
      - 2
      - 0
    .max_flat_workgroup_size: 256
    .name:           _ZN7rocprim17ROCPRIM_400000_NS6detail17trampoline_kernelINS0_14default_configENS1_27lower_bound_config_selectorIylEEZNS1_14transform_implILb0ES3_S5_N6thrust23THRUST_200600_302600_NS6detail15normal_iteratorINS8_7pointerIyNS8_11hip_rocprim5par_tENS8_11use_defaultESE_EEEENSA_INSB_IlSD_SE_SE_EEEEZNS1_13binary_searchIS3_S5_PySG_SI_NS1_21lower_bound_search_opENS9_16wrapped_functionINS8_6system6detail7generic6detail18binary_search_lessEbEEEE10hipError_tPvRmT1_T2_T3_mmT4_T5_P12ihipStream_tbEUlRKyE_EEST_SX_SY_mSZ_S12_bEUlT_E_NS1_11comp_targetILNS1_3genE9ELNS1_11target_archE1100ELNS1_3gpuE3ELNS1_3repE0EEENS1_30default_config_static_selectorELNS0_4arch9wavefront6targetE0EEEvSW_
    .private_segment_fixed_size: 0
    .sgpr_count:     0
    .sgpr_spill_count: 0
    .symbol:         _ZN7rocprim17ROCPRIM_400000_NS6detail17trampoline_kernelINS0_14default_configENS1_27lower_bound_config_selectorIylEEZNS1_14transform_implILb0ES3_S5_N6thrust23THRUST_200600_302600_NS6detail15normal_iteratorINS8_7pointerIyNS8_11hip_rocprim5par_tENS8_11use_defaultESE_EEEENSA_INSB_IlSD_SE_SE_EEEEZNS1_13binary_searchIS3_S5_PySG_SI_NS1_21lower_bound_search_opENS9_16wrapped_functionINS8_6system6detail7generic6detail18binary_search_lessEbEEEE10hipError_tPvRmT1_T2_T3_mmT4_T5_P12ihipStream_tbEUlRKyE_EEST_SX_SY_mSZ_S12_bEUlT_E_NS1_11comp_targetILNS1_3genE9ELNS1_11target_archE1100ELNS1_3gpuE3ELNS1_3repE0EEENS1_30default_config_static_selectorELNS0_4arch9wavefront6targetE0EEEvSW_.kd
    .uniform_work_group_size: 1
    .uses_dynamic_stack: false
    .vgpr_count:     0
    .vgpr_spill_count: 0
    .wavefront_size: 32
    .workgroup_processor_mode: 1
  - .args:
      - .offset:         0
        .size:           56
        .value_kind:     by_value
      - .offset:         56
        .size:           4
        .value_kind:     hidden_block_count_x
      - .offset:         60
        .size:           4
        .value_kind:     hidden_block_count_y
      - .offset:         64
        .size:           4
        .value_kind:     hidden_block_count_z
      - .offset:         68
        .size:           2
        .value_kind:     hidden_group_size_x
      - .offset:         70
        .size:           2
        .value_kind:     hidden_group_size_y
      - .offset:         72
        .size:           2
        .value_kind:     hidden_group_size_z
      - .offset:         74
        .size:           2
        .value_kind:     hidden_remainder_x
      - .offset:         76
        .size:           2
        .value_kind:     hidden_remainder_y
      - .offset:         78
        .size:           2
        .value_kind:     hidden_remainder_z
      - .offset:         96
        .size:           8
        .value_kind:     hidden_global_offset_x
      - .offset:         104
        .size:           8
        .value_kind:     hidden_global_offset_y
      - .offset:         112
        .size:           8
        .value_kind:     hidden_global_offset_z
      - .offset:         120
        .size:           2
        .value_kind:     hidden_grid_dims
    .group_segment_fixed_size: 0
    .kernarg_segment_align: 8
    .kernarg_segment_size: 312
    .language:       OpenCL C
    .language_version:
      - 2
      - 0
    .max_flat_workgroup_size: 256
    .name:           _ZN7rocprim17ROCPRIM_400000_NS6detail17trampoline_kernelINS0_14default_configENS1_27lower_bound_config_selectorIylEEZNS1_14transform_implILb0ES3_S5_N6thrust23THRUST_200600_302600_NS6detail15normal_iteratorINS8_7pointerIyNS8_11hip_rocprim5par_tENS8_11use_defaultESE_EEEENSA_INSB_IlSD_SE_SE_EEEEZNS1_13binary_searchIS3_S5_PySG_SI_NS1_21lower_bound_search_opENS9_16wrapped_functionINS8_6system6detail7generic6detail18binary_search_lessEbEEEE10hipError_tPvRmT1_T2_T3_mmT4_T5_P12ihipStream_tbEUlRKyE_EEST_SX_SY_mSZ_S12_bEUlT_E_NS1_11comp_targetILNS1_3genE8ELNS1_11target_archE1030ELNS1_3gpuE2ELNS1_3repE0EEENS1_30default_config_static_selectorELNS0_4arch9wavefront6targetE0EEEvSW_
    .private_segment_fixed_size: 0
    .sgpr_count:     22
    .sgpr_spill_count: 0
    .symbol:         _ZN7rocprim17ROCPRIM_400000_NS6detail17trampoline_kernelINS0_14default_configENS1_27lower_bound_config_selectorIylEEZNS1_14transform_implILb0ES3_S5_N6thrust23THRUST_200600_302600_NS6detail15normal_iteratorINS8_7pointerIyNS8_11hip_rocprim5par_tENS8_11use_defaultESE_EEEENSA_INSB_IlSD_SE_SE_EEEEZNS1_13binary_searchIS3_S5_PySG_SI_NS1_21lower_bound_search_opENS9_16wrapped_functionINS8_6system6detail7generic6detail18binary_search_lessEbEEEE10hipError_tPvRmT1_T2_T3_mmT4_T5_P12ihipStream_tbEUlRKyE_EEST_SX_SY_mSZ_S12_bEUlT_E_NS1_11comp_targetILNS1_3genE8ELNS1_11target_archE1030ELNS1_3gpuE2ELNS1_3repE0EEENS1_30default_config_static_selectorELNS0_4arch9wavefront6targetE0EEEvSW_.kd
    .uniform_work_group_size: 1
    .uses_dynamic_stack: false
    .vgpr_count:     12
    .vgpr_spill_count: 0
    .wavefront_size: 32
    .workgroup_processor_mode: 1
  - .args:
      - .offset:         0
        .size:           16
        .value_kind:     by_value
      - .offset:         16
        .size:           8
        .value_kind:     by_value
      - .offset:         24
        .size:           8
        .value_kind:     by_value
    .group_segment_fixed_size: 0
    .kernarg_segment_align: 8
    .kernarg_segment_size: 32
    .language:       OpenCL C
    .language_version:
      - 2
      - 0
    .max_flat_workgroup_size: 256
    .name:           _ZN6thrust23THRUST_200600_302600_NS11hip_rocprim14__parallel_for6kernelILj256ENS1_20__uninitialized_fill7functorINS0_10device_ptrIjEEjEEmLj1EEEvT0_T1_SA_
    .private_segment_fixed_size: 0
    .sgpr_count:     14
    .sgpr_spill_count: 0
    .symbol:         _ZN6thrust23THRUST_200600_302600_NS11hip_rocprim14__parallel_for6kernelILj256ENS1_20__uninitialized_fill7functorINS0_10device_ptrIjEEjEEmLj1EEEvT0_T1_SA_.kd
    .uniform_work_group_size: 1
    .uses_dynamic_stack: false
    .vgpr_count:     4
    .vgpr_spill_count: 0
    .wavefront_size: 32
    .workgroup_processor_mode: 1
  - .args:
      - .offset:         0
        .size:           8
        .value_kind:     by_value
      - .address_space:  global
        .offset:         8
        .size:           8
        .value_kind:     global_buffer
      - .address_space:  global
        .offset:         16
        .size:           8
        .value_kind:     global_buffer
    .group_segment_fixed_size: 0
    .kernarg_segment_align: 8
    .kernarg_segment_size: 24
    .language:       OpenCL C
    .language_version:
      - 2
      - 0
    .max_flat_workgroup_size: 256
    .name:           _Z18lower_bound_kernelIjEvmPT_Pl
    .private_segment_fixed_size: 0
    .sgpr_count:     18
    .sgpr_spill_count: 0
    .symbol:         _Z18lower_bound_kernelIjEvmPT_Pl.kd
    .uniform_work_group_size: 1
    .uses_dynamic_stack: false
    .vgpr_count:     4
    .vgpr_spill_count: 0
    .wavefront_size: 32
    .workgroup_processor_mode: 1
  - .args:
      - .offset:         0
        .size:           56
        .value_kind:     by_value
    .group_segment_fixed_size: 0
    .kernarg_segment_align: 8
    .kernarg_segment_size: 56
    .language:       OpenCL C
    .language_version:
      - 2
      - 0
    .max_flat_workgroup_size: 256
    .name:           _ZN7rocprim17ROCPRIM_400000_NS6detail17trampoline_kernelINS0_14default_configENS1_27lower_bound_config_selectorIjlEEZNS1_14transform_implILb0ES3_S5_N6thrust23THRUST_200600_302600_NS6detail15normal_iteratorINS8_7pointerIjNS8_11hip_rocprim5par_tENS8_11use_defaultESE_EEEENSA_INSB_IlSD_SE_SE_EEEEZNS1_13binary_searchIS3_S5_PjSG_SI_NS1_21lower_bound_search_opENS9_16wrapped_functionI11custom_lessbEEEE10hipError_tPvRmT1_T2_T3_mmT4_T5_P12ihipStream_tbEUlRKjE_EESP_ST_SU_mSV_SY_bEUlT_E_NS1_11comp_targetILNS1_3genE0ELNS1_11target_archE4294967295ELNS1_3gpuE0ELNS1_3repE0EEENS1_30default_config_static_selectorELNS0_4arch9wavefront6targetE0EEEvSS_
    .private_segment_fixed_size: 0
    .sgpr_count:     0
    .sgpr_spill_count: 0
    .symbol:         _ZN7rocprim17ROCPRIM_400000_NS6detail17trampoline_kernelINS0_14default_configENS1_27lower_bound_config_selectorIjlEEZNS1_14transform_implILb0ES3_S5_N6thrust23THRUST_200600_302600_NS6detail15normal_iteratorINS8_7pointerIjNS8_11hip_rocprim5par_tENS8_11use_defaultESE_EEEENSA_INSB_IlSD_SE_SE_EEEEZNS1_13binary_searchIS3_S5_PjSG_SI_NS1_21lower_bound_search_opENS9_16wrapped_functionI11custom_lessbEEEE10hipError_tPvRmT1_T2_T3_mmT4_T5_P12ihipStream_tbEUlRKjE_EESP_ST_SU_mSV_SY_bEUlT_E_NS1_11comp_targetILNS1_3genE0ELNS1_11target_archE4294967295ELNS1_3gpuE0ELNS1_3repE0EEENS1_30default_config_static_selectorELNS0_4arch9wavefront6targetE0EEEvSS_.kd
    .uniform_work_group_size: 1
    .uses_dynamic_stack: false
    .vgpr_count:     0
    .vgpr_spill_count: 0
    .wavefront_size: 32
    .workgroup_processor_mode: 1
  - .args:
      - .offset:         0
        .size:           56
        .value_kind:     by_value
    .group_segment_fixed_size: 0
    .kernarg_segment_align: 8
    .kernarg_segment_size: 56
    .language:       OpenCL C
    .language_version:
      - 2
      - 0
    .max_flat_workgroup_size: 256
    .name:           _ZN7rocprim17ROCPRIM_400000_NS6detail17trampoline_kernelINS0_14default_configENS1_27lower_bound_config_selectorIjlEEZNS1_14transform_implILb0ES3_S5_N6thrust23THRUST_200600_302600_NS6detail15normal_iteratorINS8_7pointerIjNS8_11hip_rocprim5par_tENS8_11use_defaultESE_EEEENSA_INSB_IlSD_SE_SE_EEEEZNS1_13binary_searchIS3_S5_PjSG_SI_NS1_21lower_bound_search_opENS9_16wrapped_functionI11custom_lessbEEEE10hipError_tPvRmT1_T2_T3_mmT4_T5_P12ihipStream_tbEUlRKjE_EESP_ST_SU_mSV_SY_bEUlT_E_NS1_11comp_targetILNS1_3genE5ELNS1_11target_archE942ELNS1_3gpuE9ELNS1_3repE0EEENS1_30default_config_static_selectorELNS0_4arch9wavefront6targetE0EEEvSS_
    .private_segment_fixed_size: 0
    .sgpr_count:     0
    .sgpr_spill_count: 0
    .symbol:         _ZN7rocprim17ROCPRIM_400000_NS6detail17trampoline_kernelINS0_14default_configENS1_27lower_bound_config_selectorIjlEEZNS1_14transform_implILb0ES3_S5_N6thrust23THRUST_200600_302600_NS6detail15normal_iteratorINS8_7pointerIjNS8_11hip_rocprim5par_tENS8_11use_defaultESE_EEEENSA_INSB_IlSD_SE_SE_EEEEZNS1_13binary_searchIS3_S5_PjSG_SI_NS1_21lower_bound_search_opENS9_16wrapped_functionI11custom_lessbEEEE10hipError_tPvRmT1_T2_T3_mmT4_T5_P12ihipStream_tbEUlRKjE_EESP_ST_SU_mSV_SY_bEUlT_E_NS1_11comp_targetILNS1_3genE5ELNS1_11target_archE942ELNS1_3gpuE9ELNS1_3repE0EEENS1_30default_config_static_selectorELNS0_4arch9wavefront6targetE0EEEvSS_.kd
    .uniform_work_group_size: 1
    .uses_dynamic_stack: false
    .vgpr_count:     0
    .vgpr_spill_count: 0
    .wavefront_size: 32
    .workgroup_processor_mode: 1
  - .args:
      - .offset:         0
        .size:           56
        .value_kind:     by_value
    .group_segment_fixed_size: 0
    .kernarg_segment_align: 8
    .kernarg_segment_size: 56
    .language:       OpenCL C
    .language_version:
      - 2
      - 0
    .max_flat_workgroup_size: 256
    .name:           _ZN7rocprim17ROCPRIM_400000_NS6detail17trampoline_kernelINS0_14default_configENS1_27lower_bound_config_selectorIjlEEZNS1_14transform_implILb0ES3_S5_N6thrust23THRUST_200600_302600_NS6detail15normal_iteratorINS8_7pointerIjNS8_11hip_rocprim5par_tENS8_11use_defaultESE_EEEENSA_INSB_IlSD_SE_SE_EEEEZNS1_13binary_searchIS3_S5_PjSG_SI_NS1_21lower_bound_search_opENS9_16wrapped_functionI11custom_lessbEEEE10hipError_tPvRmT1_T2_T3_mmT4_T5_P12ihipStream_tbEUlRKjE_EESP_ST_SU_mSV_SY_bEUlT_E_NS1_11comp_targetILNS1_3genE4ELNS1_11target_archE910ELNS1_3gpuE8ELNS1_3repE0EEENS1_30default_config_static_selectorELNS0_4arch9wavefront6targetE0EEEvSS_
    .private_segment_fixed_size: 0
    .sgpr_count:     0
    .sgpr_spill_count: 0
    .symbol:         _ZN7rocprim17ROCPRIM_400000_NS6detail17trampoline_kernelINS0_14default_configENS1_27lower_bound_config_selectorIjlEEZNS1_14transform_implILb0ES3_S5_N6thrust23THRUST_200600_302600_NS6detail15normal_iteratorINS8_7pointerIjNS8_11hip_rocprim5par_tENS8_11use_defaultESE_EEEENSA_INSB_IlSD_SE_SE_EEEEZNS1_13binary_searchIS3_S5_PjSG_SI_NS1_21lower_bound_search_opENS9_16wrapped_functionI11custom_lessbEEEE10hipError_tPvRmT1_T2_T3_mmT4_T5_P12ihipStream_tbEUlRKjE_EESP_ST_SU_mSV_SY_bEUlT_E_NS1_11comp_targetILNS1_3genE4ELNS1_11target_archE910ELNS1_3gpuE8ELNS1_3repE0EEENS1_30default_config_static_selectorELNS0_4arch9wavefront6targetE0EEEvSS_.kd
    .uniform_work_group_size: 1
    .uses_dynamic_stack: false
    .vgpr_count:     0
    .vgpr_spill_count: 0
    .wavefront_size: 32
    .workgroup_processor_mode: 1
  - .args:
      - .offset:         0
        .size:           56
        .value_kind:     by_value
    .group_segment_fixed_size: 0
    .kernarg_segment_align: 8
    .kernarg_segment_size: 56
    .language:       OpenCL C
    .language_version:
      - 2
      - 0
    .max_flat_workgroup_size: 256
    .name:           _ZN7rocprim17ROCPRIM_400000_NS6detail17trampoline_kernelINS0_14default_configENS1_27lower_bound_config_selectorIjlEEZNS1_14transform_implILb0ES3_S5_N6thrust23THRUST_200600_302600_NS6detail15normal_iteratorINS8_7pointerIjNS8_11hip_rocprim5par_tENS8_11use_defaultESE_EEEENSA_INSB_IlSD_SE_SE_EEEEZNS1_13binary_searchIS3_S5_PjSG_SI_NS1_21lower_bound_search_opENS9_16wrapped_functionI11custom_lessbEEEE10hipError_tPvRmT1_T2_T3_mmT4_T5_P12ihipStream_tbEUlRKjE_EESP_ST_SU_mSV_SY_bEUlT_E_NS1_11comp_targetILNS1_3genE3ELNS1_11target_archE908ELNS1_3gpuE7ELNS1_3repE0EEENS1_30default_config_static_selectorELNS0_4arch9wavefront6targetE0EEEvSS_
    .private_segment_fixed_size: 0
    .sgpr_count:     0
    .sgpr_spill_count: 0
    .symbol:         _ZN7rocprim17ROCPRIM_400000_NS6detail17trampoline_kernelINS0_14default_configENS1_27lower_bound_config_selectorIjlEEZNS1_14transform_implILb0ES3_S5_N6thrust23THRUST_200600_302600_NS6detail15normal_iteratorINS8_7pointerIjNS8_11hip_rocprim5par_tENS8_11use_defaultESE_EEEENSA_INSB_IlSD_SE_SE_EEEEZNS1_13binary_searchIS3_S5_PjSG_SI_NS1_21lower_bound_search_opENS9_16wrapped_functionI11custom_lessbEEEE10hipError_tPvRmT1_T2_T3_mmT4_T5_P12ihipStream_tbEUlRKjE_EESP_ST_SU_mSV_SY_bEUlT_E_NS1_11comp_targetILNS1_3genE3ELNS1_11target_archE908ELNS1_3gpuE7ELNS1_3repE0EEENS1_30default_config_static_selectorELNS0_4arch9wavefront6targetE0EEEvSS_.kd
    .uniform_work_group_size: 1
    .uses_dynamic_stack: false
    .vgpr_count:     0
    .vgpr_spill_count: 0
    .wavefront_size: 32
    .workgroup_processor_mode: 1
  - .args:
      - .offset:         0
        .size:           56
        .value_kind:     by_value
    .group_segment_fixed_size: 0
    .kernarg_segment_align: 8
    .kernarg_segment_size: 56
    .language:       OpenCL C
    .language_version:
      - 2
      - 0
    .max_flat_workgroup_size: 256
    .name:           _ZN7rocprim17ROCPRIM_400000_NS6detail17trampoline_kernelINS0_14default_configENS1_27lower_bound_config_selectorIjlEEZNS1_14transform_implILb0ES3_S5_N6thrust23THRUST_200600_302600_NS6detail15normal_iteratorINS8_7pointerIjNS8_11hip_rocprim5par_tENS8_11use_defaultESE_EEEENSA_INSB_IlSD_SE_SE_EEEEZNS1_13binary_searchIS3_S5_PjSG_SI_NS1_21lower_bound_search_opENS9_16wrapped_functionI11custom_lessbEEEE10hipError_tPvRmT1_T2_T3_mmT4_T5_P12ihipStream_tbEUlRKjE_EESP_ST_SU_mSV_SY_bEUlT_E_NS1_11comp_targetILNS1_3genE2ELNS1_11target_archE906ELNS1_3gpuE6ELNS1_3repE0EEENS1_30default_config_static_selectorELNS0_4arch9wavefront6targetE0EEEvSS_
    .private_segment_fixed_size: 0
    .sgpr_count:     0
    .sgpr_spill_count: 0
    .symbol:         _ZN7rocprim17ROCPRIM_400000_NS6detail17trampoline_kernelINS0_14default_configENS1_27lower_bound_config_selectorIjlEEZNS1_14transform_implILb0ES3_S5_N6thrust23THRUST_200600_302600_NS6detail15normal_iteratorINS8_7pointerIjNS8_11hip_rocprim5par_tENS8_11use_defaultESE_EEEENSA_INSB_IlSD_SE_SE_EEEEZNS1_13binary_searchIS3_S5_PjSG_SI_NS1_21lower_bound_search_opENS9_16wrapped_functionI11custom_lessbEEEE10hipError_tPvRmT1_T2_T3_mmT4_T5_P12ihipStream_tbEUlRKjE_EESP_ST_SU_mSV_SY_bEUlT_E_NS1_11comp_targetILNS1_3genE2ELNS1_11target_archE906ELNS1_3gpuE6ELNS1_3repE0EEENS1_30default_config_static_selectorELNS0_4arch9wavefront6targetE0EEEvSS_.kd
    .uniform_work_group_size: 1
    .uses_dynamic_stack: false
    .vgpr_count:     0
    .vgpr_spill_count: 0
    .wavefront_size: 32
    .workgroup_processor_mode: 1
  - .args:
      - .offset:         0
        .size:           56
        .value_kind:     by_value
    .group_segment_fixed_size: 0
    .kernarg_segment_align: 8
    .kernarg_segment_size: 56
    .language:       OpenCL C
    .language_version:
      - 2
      - 0
    .max_flat_workgroup_size: 128
    .name:           _ZN7rocprim17ROCPRIM_400000_NS6detail17trampoline_kernelINS0_14default_configENS1_27lower_bound_config_selectorIjlEEZNS1_14transform_implILb0ES3_S5_N6thrust23THRUST_200600_302600_NS6detail15normal_iteratorINS8_7pointerIjNS8_11hip_rocprim5par_tENS8_11use_defaultESE_EEEENSA_INSB_IlSD_SE_SE_EEEEZNS1_13binary_searchIS3_S5_PjSG_SI_NS1_21lower_bound_search_opENS9_16wrapped_functionI11custom_lessbEEEE10hipError_tPvRmT1_T2_T3_mmT4_T5_P12ihipStream_tbEUlRKjE_EESP_ST_SU_mSV_SY_bEUlT_E_NS1_11comp_targetILNS1_3genE10ELNS1_11target_archE1201ELNS1_3gpuE5ELNS1_3repE0EEENS1_30default_config_static_selectorELNS0_4arch9wavefront6targetE0EEEvSS_
    .private_segment_fixed_size: 0
    .sgpr_count:     0
    .sgpr_spill_count: 0
    .symbol:         _ZN7rocprim17ROCPRIM_400000_NS6detail17trampoline_kernelINS0_14default_configENS1_27lower_bound_config_selectorIjlEEZNS1_14transform_implILb0ES3_S5_N6thrust23THRUST_200600_302600_NS6detail15normal_iteratorINS8_7pointerIjNS8_11hip_rocprim5par_tENS8_11use_defaultESE_EEEENSA_INSB_IlSD_SE_SE_EEEEZNS1_13binary_searchIS3_S5_PjSG_SI_NS1_21lower_bound_search_opENS9_16wrapped_functionI11custom_lessbEEEE10hipError_tPvRmT1_T2_T3_mmT4_T5_P12ihipStream_tbEUlRKjE_EESP_ST_SU_mSV_SY_bEUlT_E_NS1_11comp_targetILNS1_3genE10ELNS1_11target_archE1201ELNS1_3gpuE5ELNS1_3repE0EEENS1_30default_config_static_selectorELNS0_4arch9wavefront6targetE0EEEvSS_.kd
    .uniform_work_group_size: 1
    .uses_dynamic_stack: false
    .vgpr_count:     0
    .vgpr_spill_count: 0
    .wavefront_size: 32
    .workgroup_processor_mode: 1
  - .args:
      - .offset:         0
        .size:           56
        .value_kind:     by_value
    .group_segment_fixed_size: 0
    .kernarg_segment_align: 8
    .kernarg_segment_size: 56
    .language:       OpenCL C
    .language_version:
      - 2
      - 0
    .max_flat_workgroup_size: 128
    .name:           _ZN7rocprim17ROCPRIM_400000_NS6detail17trampoline_kernelINS0_14default_configENS1_27lower_bound_config_selectorIjlEEZNS1_14transform_implILb0ES3_S5_N6thrust23THRUST_200600_302600_NS6detail15normal_iteratorINS8_7pointerIjNS8_11hip_rocprim5par_tENS8_11use_defaultESE_EEEENSA_INSB_IlSD_SE_SE_EEEEZNS1_13binary_searchIS3_S5_PjSG_SI_NS1_21lower_bound_search_opENS9_16wrapped_functionI11custom_lessbEEEE10hipError_tPvRmT1_T2_T3_mmT4_T5_P12ihipStream_tbEUlRKjE_EESP_ST_SU_mSV_SY_bEUlT_E_NS1_11comp_targetILNS1_3genE10ELNS1_11target_archE1200ELNS1_3gpuE4ELNS1_3repE0EEENS1_30default_config_static_selectorELNS0_4arch9wavefront6targetE0EEEvSS_
    .private_segment_fixed_size: 0
    .sgpr_count:     0
    .sgpr_spill_count: 0
    .symbol:         _ZN7rocprim17ROCPRIM_400000_NS6detail17trampoline_kernelINS0_14default_configENS1_27lower_bound_config_selectorIjlEEZNS1_14transform_implILb0ES3_S5_N6thrust23THRUST_200600_302600_NS6detail15normal_iteratorINS8_7pointerIjNS8_11hip_rocprim5par_tENS8_11use_defaultESE_EEEENSA_INSB_IlSD_SE_SE_EEEEZNS1_13binary_searchIS3_S5_PjSG_SI_NS1_21lower_bound_search_opENS9_16wrapped_functionI11custom_lessbEEEE10hipError_tPvRmT1_T2_T3_mmT4_T5_P12ihipStream_tbEUlRKjE_EESP_ST_SU_mSV_SY_bEUlT_E_NS1_11comp_targetILNS1_3genE10ELNS1_11target_archE1200ELNS1_3gpuE4ELNS1_3repE0EEENS1_30default_config_static_selectorELNS0_4arch9wavefront6targetE0EEEvSS_.kd
    .uniform_work_group_size: 1
    .uses_dynamic_stack: false
    .vgpr_count:     0
    .vgpr_spill_count: 0
    .wavefront_size: 32
    .workgroup_processor_mode: 1
  - .args:
      - .offset:         0
        .size:           56
        .value_kind:     by_value
    .group_segment_fixed_size: 0
    .kernarg_segment_align: 8
    .kernarg_segment_size: 56
    .language:       OpenCL C
    .language_version:
      - 2
      - 0
    .max_flat_workgroup_size: 256
    .name:           _ZN7rocprim17ROCPRIM_400000_NS6detail17trampoline_kernelINS0_14default_configENS1_27lower_bound_config_selectorIjlEEZNS1_14transform_implILb0ES3_S5_N6thrust23THRUST_200600_302600_NS6detail15normal_iteratorINS8_7pointerIjNS8_11hip_rocprim5par_tENS8_11use_defaultESE_EEEENSA_INSB_IlSD_SE_SE_EEEEZNS1_13binary_searchIS3_S5_PjSG_SI_NS1_21lower_bound_search_opENS9_16wrapped_functionI11custom_lessbEEEE10hipError_tPvRmT1_T2_T3_mmT4_T5_P12ihipStream_tbEUlRKjE_EESP_ST_SU_mSV_SY_bEUlT_E_NS1_11comp_targetILNS1_3genE9ELNS1_11target_archE1100ELNS1_3gpuE3ELNS1_3repE0EEENS1_30default_config_static_selectorELNS0_4arch9wavefront6targetE0EEEvSS_
    .private_segment_fixed_size: 0
    .sgpr_count:     0
    .sgpr_spill_count: 0
    .symbol:         _ZN7rocprim17ROCPRIM_400000_NS6detail17trampoline_kernelINS0_14default_configENS1_27lower_bound_config_selectorIjlEEZNS1_14transform_implILb0ES3_S5_N6thrust23THRUST_200600_302600_NS6detail15normal_iteratorINS8_7pointerIjNS8_11hip_rocprim5par_tENS8_11use_defaultESE_EEEENSA_INSB_IlSD_SE_SE_EEEEZNS1_13binary_searchIS3_S5_PjSG_SI_NS1_21lower_bound_search_opENS9_16wrapped_functionI11custom_lessbEEEE10hipError_tPvRmT1_T2_T3_mmT4_T5_P12ihipStream_tbEUlRKjE_EESP_ST_SU_mSV_SY_bEUlT_E_NS1_11comp_targetILNS1_3genE9ELNS1_11target_archE1100ELNS1_3gpuE3ELNS1_3repE0EEENS1_30default_config_static_selectorELNS0_4arch9wavefront6targetE0EEEvSS_.kd
    .uniform_work_group_size: 1
    .uses_dynamic_stack: false
    .vgpr_count:     0
    .vgpr_spill_count: 0
    .wavefront_size: 32
    .workgroup_processor_mode: 1
  - .args:
      - .offset:         0
        .size:           56
        .value_kind:     by_value
      - .offset:         56
        .size:           4
        .value_kind:     hidden_block_count_x
      - .offset:         60
        .size:           4
        .value_kind:     hidden_block_count_y
      - .offset:         64
        .size:           4
        .value_kind:     hidden_block_count_z
      - .offset:         68
        .size:           2
        .value_kind:     hidden_group_size_x
      - .offset:         70
        .size:           2
        .value_kind:     hidden_group_size_y
      - .offset:         72
        .size:           2
        .value_kind:     hidden_group_size_z
      - .offset:         74
        .size:           2
        .value_kind:     hidden_remainder_x
      - .offset:         76
        .size:           2
        .value_kind:     hidden_remainder_y
      - .offset:         78
        .size:           2
        .value_kind:     hidden_remainder_z
      - .offset:         96
        .size:           8
        .value_kind:     hidden_global_offset_x
      - .offset:         104
        .size:           8
        .value_kind:     hidden_global_offset_y
      - .offset:         112
        .size:           8
        .value_kind:     hidden_global_offset_z
      - .offset:         120
        .size:           2
        .value_kind:     hidden_grid_dims
    .group_segment_fixed_size: 0
    .kernarg_segment_align: 8
    .kernarg_segment_size: 312
    .language:       OpenCL C
    .language_version:
      - 2
      - 0
    .max_flat_workgroup_size: 256
    .name:           _ZN7rocprim17ROCPRIM_400000_NS6detail17trampoline_kernelINS0_14default_configENS1_27lower_bound_config_selectorIjlEEZNS1_14transform_implILb0ES3_S5_N6thrust23THRUST_200600_302600_NS6detail15normal_iteratorINS8_7pointerIjNS8_11hip_rocprim5par_tENS8_11use_defaultESE_EEEENSA_INSB_IlSD_SE_SE_EEEEZNS1_13binary_searchIS3_S5_PjSG_SI_NS1_21lower_bound_search_opENS9_16wrapped_functionI11custom_lessbEEEE10hipError_tPvRmT1_T2_T3_mmT4_T5_P12ihipStream_tbEUlRKjE_EESP_ST_SU_mSV_SY_bEUlT_E_NS1_11comp_targetILNS1_3genE8ELNS1_11target_archE1030ELNS1_3gpuE2ELNS1_3repE0EEENS1_30default_config_static_selectorELNS0_4arch9wavefront6targetE0EEEvSS_
    .private_segment_fixed_size: 0
    .sgpr_count:     19
    .sgpr_spill_count: 0
    .symbol:         _ZN7rocprim17ROCPRIM_400000_NS6detail17trampoline_kernelINS0_14default_configENS1_27lower_bound_config_selectorIjlEEZNS1_14transform_implILb0ES3_S5_N6thrust23THRUST_200600_302600_NS6detail15normal_iteratorINS8_7pointerIjNS8_11hip_rocprim5par_tENS8_11use_defaultESE_EEEENSA_INSB_IlSD_SE_SE_EEEEZNS1_13binary_searchIS3_S5_PjSG_SI_NS1_21lower_bound_search_opENS9_16wrapped_functionI11custom_lessbEEEE10hipError_tPvRmT1_T2_T3_mmT4_T5_P12ihipStream_tbEUlRKjE_EESP_ST_SU_mSV_SY_bEUlT_E_NS1_11comp_targetILNS1_3genE8ELNS1_11target_archE1030ELNS1_3gpuE2ELNS1_3repE0EEENS1_30default_config_static_selectorELNS0_4arch9wavefront6targetE0EEEvSS_.kd
    .uniform_work_group_size: 1
    .uses_dynamic_stack: false
    .vgpr_count:     11
    .vgpr_spill_count: 0
    .wavefront_size: 32
    .workgroup_processor_mode: 1
  - .args:
      - .offset:         0
        .size:           56
        .value_kind:     by_value
    .group_segment_fixed_size: 0
    .kernarg_segment_align: 8
    .kernarg_segment_size: 56
    .language:       OpenCL C
    .language_version:
      - 2
      - 0
    .max_flat_workgroup_size: 256
    .name:           _ZN7rocprim17ROCPRIM_400000_NS6detail17trampoline_kernelINS0_14default_configENS1_27lower_bound_config_selectorIjlEEZNS1_14transform_implILb0ES3_S5_N6thrust23THRUST_200600_302600_NS6detail15normal_iteratorINS8_7pointerIjNS8_11hip_rocprim5par_tENS8_11use_defaultESE_EEEENSA_INSB_IlSD_SE_SE_EEEEZNS1_13binary_searchIS3_S5_PjSG_SI_NS1_21lower_bound_search_opENS9_16wrapped_functionINS8_6system6detail7generic6detail18binary_search_lessEbEEEE10hipError_tPvRmT1_T2_T3_mmT4_T5_P12ihipStream_tbEUlRKjE_EEST_SX_SY_mSZ_S12_bEUlT_E_NS1_11comp_targetILNS1_3genE0ELNS1_11target_archE4294967295ELNS1_3gpuE0ELNS1_3repE0EEENS1_30default_config_static_selectorELNS0_4arch9wavefront6targetE0EEEvSW_
    .private_segment_fixed_size: 0
    .sgpr_count:     0
    .sgpr_spill_count: 0
    .symbol:         _ZN7rocprim17ROCPRIM_400000_NS6detail17trampoline_kernelINS0_14default_configENS1_27lower_bound_config_selectorIjlEEZNS1_14transform_implILb0ES3_S5_N6thrust23THRUST_200600_302600_NS6detail15normal_iteratorINS8_7pointerIjNS8_11hip_rocprim5par_tENS8_11use_defaultESE_EEEENSA_INSB_IlSD_SE_SE_EEEEZNS1_13binary_searchIS3_S5_PjSG_SI_NS1_21lower_bound_search_opENS9_16wrapped_functionINS8_6system6detail7generic6detail18binary_search_lessEbEEEE10hipError_tPvRmT1_T2_T3_mmT4_T5_P12ihipStream_tbEUlRKjE_EEST_SX_SY_mSZ_S12_bEUlT_E_NS1_11comp_targetILNS1_3genE0ELNS1_11target_archE4294967295ELNS1_3gpuE0ELNS1_3repE0EEENS1_30default_config_static_selectorELNS0_4arch9wavefront6targetE0EEEvSW_.kd
    .uniform_work_group_size: 1
    .uses_dynamic_stack: false
    .vgpr_count:     0
    .vgpr_spill_count: 0
    .wavefront_size: 32
    .workgroup_processor_mode: 1
  - .args:
      - .offset:         0
        .size:           56
        .value_kind:     by_value
    .group_segment_fixed_size: 0
    .kernarg_segment_align: 8
    .kernarg_segment_size: 56
    .language:       OpenCL C
    .language_version:
      - 2
      - 0
    .max_flat_workgroup_size: 256
    .name:           _ZN7rocprim17ROCPRIM_400000_NS6detail17trampoline_kernelINS0_14default_configENS1_27lower_bound_config_selectorIjlEEZNS1_14transform_implILb0ES3_S5_N6thrust23THRUST_200600_302600_NS6detail15normal_iteratorINS8_7pointerIjNS8_11hip_rocprim5par_tENS8_11use_defaultESE_EEEENSA_INSB_IlSD_SE_SE_EEEEZNS1_13binary_searchIS3_S5_PjSG_SI_NS1_21lower_bound_search_opENS9_16wrapped_functionINS8_6system6detail7generic6detail18binary_search_lessEbEEEE10hipError_tPvRmT1_T2_T3_mmT4_T5_P12ihipStream_tbEUlRKjE_EEST_SX_SY_mSZ_S12_bEUlT_E_NS1_11comp_targetILNS1_3genE5ELNS1_11target_archE942ELNS1_3gpuE9ELNS1_3repE0EEENS1_30default_config_static_selectorELNS0_4arch9wavefront6targetE0EEEvSW_
    .private_segment_fixed_size: 0
    .sgpr_count:     0
    .sgpr_spill_count: 0
    .symbol:         _ZN7rocprim17ROCPRIM_400000_NS6detail17trampoline_kernelINS0_14default_configENS1_27lower_bound_config_selectorIjlEEZNS1_14transform_implILb0ES3_S5_N6thrust23THRUST_200600_302600_NS6detail15normal_iteratorINS8_7pointerIjNS8_11hip_rocprim5par_tENS8_11use_defaultESE_EEEENSA_INSB_IlSD_SE_SE_EEEEZNS1_13binary_searchIS3_S5_PjSG_SI_NS1_21lower_bound_search_opENS9_16wrapped_functionINS8_6system6detail7generic6detail18binary_search_lessEbEEEE10hipError_tPvRmT1_T2_T3_mmT4_T5_P12ihipStream_tbEUlRKjE_EEST_SX_SY_mSZ_S12_bEUlT_E_NS1_11comp_targetILNS1_3genE5ELNS1_11target_archE942ELNS1_3gpuE9ELNS1_3repE0EEENS1_30default_config_static_selectorELNS0_4arch9wavefront6targetE0EEEvSW_.kd
    .uniform_work_group_size: 1
    .uses_dynamic_stack: false
    .vgpr_count:     0
    .vgpr_spill_count: 0
    .wavefront_size: 32
    .workgroup_processor_mode: 1
  - .args:
      - .offset:         0
        .size:           56
        .value_kind:     by_value
    .group_segment_fixed_size: 0
    .kernarg_segment_align: 8
    .kernarg_segment_size: 56
    .language:       OpenCL C
    .language_version:
      - 2
      - 0
    .max_flat_workgroup_size: 256
    .name:           _ZN7rocprim17ROCPRIM_400000_NS6detail17trampoline_kernelINS0_14default_configENS1_27lower_bound_config_selectorIjlEEZNS1_14transform_implILb0ES3_S5_N6thrust23THRUST_200600_302600_NS6detail15normal_iteratorINS8_7pointerIjNS8_11hip_rocprim5par_tENS8_11use_defaultESE_EEEENSA_INSB_IlSD_SE_SE_EEEEZNS1_13binary_searchIS3_S5_PjSG_SI_NS1_21lower_bound_search_opENS9_16wrapped_functionINS8_6system6detail7generic6detail18binary_search_lessEbEEEE10hipError_tPvRmT1_T2_T3_mmT4_T5_P12ihipStream_tbEUlRKjE_EEST_SX_SY_mSZ_S12_bEUlT_E_NS1_11comp_targetILNS1_3genE4ELNS1_11target_archE910ELNS1_3gpuE8ELNS1_3repE0EEENS1_30default_config_static_selectorELNS0_4arch9wavefront6targetE0EEEvSW_
    .private_segment_fixed_size: 0
    .sgpr_count:     0
    .sgpr_spill_count: 0
    .symbol:         _ZN7rocprim17ROCPRIM_400000_NS6detail17trampoline_kernelINS0_14default_configENS1_27lower_bound_config_selectorIjlEEZNS1_14transform_implILb0ES3_S5_N6thrust23THRUST_200600_302600_NS6detail15normal_iteratorINS8_7pointerIjNS8_11hip_rocprim5par_tENS8_11use_defaultESE_EEEENSA_INSB_IlSD_SE_SE_EEEEZNS1_13binary_searchIS3_S5_PjSG_SI_NS1_21lower_bound_search_opENS9_16wrapped_functionINS8_6system6detail7generic6detail18binary_search_lessEbEEEE10hipError_tPvRmT1_T2_T3_mmT4_T5_P12ihipStream_tbEUlRKjE_EEST_SX_SY_mSZ_S12_bEUlT_E_NS1_11comp_targetILNS1_3genE4ELNS1_11target_archE910ELNS1_3gpuE8ELNS1_3repE0EEENS1_30default_config_static_selectorELNS0_4arch9wavefront6targetE0EEEvSW_.kd
    .uniform_work_group_size: 1
    .uses_dynamic_stack: false
    .vgpr_count:     0
    .vgpr_spill_count: 0
    .wavefront_size: 32
    .workgroup_processor_mode: 1
  - .args:
      - .offset:         0
        .size:           56
        .value_kind:     by_value
    .group_segment_fixed_size: 0
    .kernarg_segment_align: 8
    .kernarg_segment_size: 56
    .language:       OpenCL C
    .language_version:
      - 2
      - 0
    .max_flat_workgroup_size: 256
    .name:           _ZN7rocprim17ROCPRIM_400000_NS6detail17trampoline_kernelINS0_14default_configENS1_27lower_bound_config_selectorIjlEEZNS1_14transform_implILb0ES3_S5_N6thrust23THRUST_200600_302600_NS6detail15normal_iteratorINS8_7pointerIjNS8_11hip_rocprim5par_tENS8_11use_defaultESE_EEEENSA_INSB_IlSD_SE_SE_EEEEZNS1_13binary_searchIS3_S5_PjSG_SI_NS1_21lower_bound_search_opENS9_16wrapped_functionINS8_6system6detail7generic6detail18binary_search_lessEbEEEE10hipError_tPvRmT1_T2_T3_mmT4_T5_P12ihipStream_tbEUlRKjE_EEST_SX_SY_mSZ_S12_bEUlT_E_NS1_11comp_targetILNS1_3genE3ELNS1_11target_archE908ELNS1_3gpuE7ELNS1_3repE0EEENS1_30default_config_static_selectorELNS0_4arch9wavefront6targetE0EEEvSW_
    .private_segment_fixed_size: 0
    .sgpr_count:     0
    .sgpr_spill_count: 0
    .symbol:         _ZN7rocprim17ROCPRIM_400000_NS6detail17trampoline_kernelINS0_14default_configENS1_27lower_bound_config_selectorIjlEEZNS1_14transform_implILb0ES3_S5_N6thrust23THRUST_200600_302600_NS6detail15normal_iteratorINS8_7pointerIjNS8_11hip_rocprim5par_tENS8_11use_defaultESE_EEEENSA_INSB_IlSD_SE_SE_EEEEZNS1_13binary_searchIS3_S5_PjSG_SI_NS1_21lower_bound_search_opENS9_16wrapped_functionINS8_6system6detail7generic6detail18binary_search_lessEbEEEE10hipError_tPvRmT1_T2_T3_mmT4_T5_P12ihipStream_tbEUlRKjE_EEST_SX_SY_mSZ_S12_bEUlT_E_NS1_11comp_targetILNS1_3genE3ELNS1_11target_archE908ELNS1_3gpuE7ELNS1_3repE0EEENS1_30default_config_static_selectorELNS0_4arch9wavefront6targetE0EEEvSW_.kd
    .uniform_work_group_size: 1
    .uses_dynamic_stack: false
    .vgpr_count:     0
    .vgpr_spill_count: 0
    .wavefront_size: 32
    .workgroup_processor_mode: 1
  - .args:
      - .offset:         0
        .size:           56
        .value_kind:     by_value
    .group_segment_fixed_size: 0
    .kernarg_segment_align: 8
    .kernarg_segment_size: 56
    .language:       OpenCL C
    .language_version:
      - 2
      - 0
    .max_flat_workgroup_size: 256
    .name:           _ZN7rocprim17ROCPRIM_400000_NS6detail17trampoline_kernelINS0_14default_configENS1_27lower_bound_config_selectorIjlEEZNS1_14transform_implILb0ES3_S5_N6thrust23THRUST_200600_302600_NS6detail15normal_iteratorINS8_7pointerIjNS8_11hip_rocprim5par_tENS8_11use_defaultESE_EEEENSA_INSB_IlSD_SE_SE_EEEEZNS1_13binary_searchIS3_S5_PjSG_SI_NS1_21lower_bound_search_opENS9_16wrapped_functionINS8_6system6detail7generic6detail18binary_search_lessEbEEEE10hipError_tPvRmT1_T2_T3_mmT4_T5_P12ihipStream_tbEUlRKjE_EEST_SX_SY_mSZ_S12_bEUlT_E_NS1_11comp_targetILNS1_3genE2ELNS1_11target_archE906ELNS1_3gpuE6ELNS1_3repE0EEENS1_30default_config_static_selectorELNS0_4arch9wavefront6targetE0EEEvSW_
    .private_segment_fixed_size: 0
    .sgpr_count:     0
    .sgpr_spill_count: 0
    .symbol:         _ZN7rocprim17ROCPRIM_400000_NS6detail17trampoline_kernelINS0_14default_configENS1_27lower_bound_config_selectorIjlEEZNS1_14transform_implILb0ES3_S5_N6thrust23THRUST_200600_302600_NS6detail15normal_iteratorINS8_7pointerIjNS8_11hip_rocprim5par_tENS8_11use_defaultESE_EEEENSA_INSB_IlSD_SE_SE_EEEEZNS1_13binary_searchIS3_S5_PjSG_SI_NS1_21lower_bound_search_opENS9_16wrapped_functionINS8_6system6detail7generic6detail18binary_search_lessEbEEEE10hipError_tPvRmT1_T2_T3_mmT4_T5_P12ihipStream_tbEUlRKjE_EEST_SX_SY_mSZ_S12_bEUlT_E_NS1_11comp_targetILNS1_3genE2ELNS1_11target_archE906ELNS1_3gpuE6ELNS1_3repE0EEENS1_30default_config_static_selectorELNS0_4arch9wavefront6targetE0EEEvSW_.kd
    .uniform_work_group_size: 1
    .uses_dynamic_stack: false
    .vgpr_count:     0
    .vgpr_spill_count: 0
    .wavefront_size: 32
    .workgroup_processor_mode: 1
  - .args:
      - .offset:         0
        .size:           56
        .value_kind:     by_value
    .group_segment_fixed_size: 0
    .kernarg_segment_align: 8
    .kernarg_segment_size: 56
    .language:       OpenCL C
    .language_version:
      - 2
      - 0
    .max_flat_workgroup_size: 128
    .name:           _ZN7rocprim17ROCPRIM_400000_NS6detail17trampoline_kernelINS0_14default_configENS1_27lower_bound_config_selectorIjlEEZNS1_14transform_implILb0ES3_S5_N6thrust23THRUST_200600_302600_NS6detail15normal_iteratorINS8_7pointerIjNS8_11hip_rocprim5par_tENS8_11use_defaultESE_EEEENSA_INSB_IlSD_SE_SE_EEEEZNS1_13binary_searchIS3_S5_PjSG_SI_NS1_21lower_bound_search_opENS9_16wrapped_functionINS8_6system6detail7generic6detail18binary_search_lessEbEEEE10hipError_tPvRmT1_T2_T3_mmT4_T5_P12ihipStream_tbEUlRKjE_EEST_SX_SY_mSZ_S12_bEUlT_E_NS1_11comp_targetILNS1_3genE10ELNS1_11target_archE1201ELNS1_3gpuE5ELNS1_3repE0EEENS1_30default_config_static_selectorELNS0_4arch9wavefront6targetE0EEEvSW_
    .private_segment_fixed_size: 0
    .sgpr_count:     0
    .sgpr_spill_count: 0
    .symbol:         _ZN7rocprim17ROCPRIM_400000_NS6detail17trampoline_kernelINS0_14default_configENS1_27lower_bound_config_selectorIjlEEZNS1_14transform_implILb0ES3_S5_N6thrust23THRUST_200600_302600_NS6detail15normal_iteratorINS8_7pointerIjNS8_11hip_rocprim5par_tENS8_11use_defaultESE_EEEENSA_INSB_IlSD_SE_SE_EEEEZNS1_13binary_searchIS3_S5_PjSG_SI_NS1_21lower_bound_search_opENS9_16wrapped_functionINS8_6system6detail7generic6detail18binary_search_lessEbEEEE10hipError_tPvRmT1_T2_T3_mmT4_T5_P12ihipStream_tbEUlRKjE_EEST_SX_SY_mSZ_S12_bEUlT_E_NS1_11comp_targetILNS1_3genE10ELNS1_11target_archE1201ELNS1_3gpuE5ELNS1_3repE0EEENS1_30default_config_static_selectorELNS0_4arch9wavefront6targetE0EEEvSW_.kd
    .uniform_work_group_size: 1
    .uses_dynamic_stack: false
    .vgpr_count:     0
    .vgpr_spill_count: 0
    .wavefront_size: 32
    .workgroup_processor_mode: 1
  - .args:
      - .offset:         0
        .size:           56
        .value_kind:     by_value
    .group_segment_fixed_size: 0
    .kernarg_segment_align: 8
    .kernarg_segment_size: 56
    .language:       OpenCL C
    .language_version:
      - 2
      - 0
    .max_flat_workgroup_size: 128
    .name:           _ZN7rocprim17ROCPRIM_400000_NS6detail17trampoline_kernelINS0_14default_configENS1_27lower_bound_config_selectorIjlEEZNS1_14transform_implILb0ES3_S5_N6thrust23THRUST_200600_302600_NS6detail15normal_iteratorINS8_7pointerIjNS8_11hip_rocprim5par_tENS8_11use_defaultESE_EEEENSA_INSB_IlSD_SE_SE_EEEEZNS1_13binary_searchIS3_S5_PjSG_SI_NS1_21lower_bound_search_opENS9_16wrapped_functionINS8_6system6detail7generic6detail18binary_search_lessEbEEEE10hipError_tPvRmT1_T2_T3_mmT4_T5_P12ihipStream_tbEUlRKjE_EEST_SX_SY_mSZ_S12_bEUlT_E_NS1_11comp_targetILNS1_3genE10ELNS1_11target_archE1200ELNS1_3gpuE4ELNS1_3repE0EEENS1_30default_config_static_selectorELNS0_4arch9wavefront6targetE0EEEvSW_
    .private_segment_fixed_size: 0
    .sgpr_count:     0
    .sgpr_spill_count: 0
    .symbol:         _ZN7rocprim17ROCPRIM_400000_NS6detail17trampoline_kernelINS0_14default_configENS1_27lower_bound_config_selectorIjlEEZNS1_14transform_implILb0ES3_S5_N6thrust23THRUST_200600_302600_NS6detail15normal_iteratorINS8_7pointerIjNS8_11hip_rocprim5par_tENS8_11use_defaultESE_EEEENSA_INSB_IlSD_SE_SE_EEEEZNS1_13binary_searchIS3_S5_PjSG_SI_NS1_21lower_bound_search_opENS9_16wrapped_functionINS8_6system6detail7generic6detail18binary_search_lessEbEEEE10hipError_tPvRmT1_T2_T3_mmT4_T5_P12ihipStream_tbEUlRKjE_EEST_SX_SY_mSZ_S12_bEUlT_E_NS1_11comp_targetILNS1_3genE10ELNS1_11target_archE1200ELNS1_3gpuE4ELNS1_3repE0EEENS1_30default_config_static_selectorELNS0_4arch9wavefront6targetE0EEEvSW_.kd
    .uniform_work_group_size: 1
    .uses_dynamic_stack: false
    .vgpr_count:     0
    .vgpr_spill_count: 0
    .wavefront_size: 32
    .workgroup_processor_mode: 1
  - .args:
      - .offset:         0
        .size:           56
        .value_kind:     by_value
    .group_segment_fixed_size: 0
    .kernarg_segment_align: 8
    .kernarg_segment_size: 56
    .language:       OpenCL C
    .language_version:
      - 2
      - 0
    .max_flat_workgroup_size: 256
    .name:           _ZN7rocprim17ROCPRIM_400000_NS6detail17trampoline_kernelINS0_14default_configENS1_27lower_bound_config_selectorIjlEEZNS1_14transform_implILb0ES3_S5_N6thrust23THRUST_200600_302600_NS6detail15normal_iteratorINS8_7pointerIjNS8_11hip_rocprim5par_tENS8_11use_defaultESE_EEEENSA_INSB_IlSD_SE_SE_EEEEZNS1_13binary_searchIS3_S5_PjSG_SI_NS1_21lower_bound_search_opENS9_16wrapped_functionINS8_6system6detail7generic6detail18binary_search_lessEbEEEE10hipError_tPvRmT1_T2_T3_mmT4_T5_P12ihipStream_tbEUlRKjE_EEST_SX_SY_mSZ_S12_bEUlT_E_NS1_11comp_targetILNS1_3genE9ELNS1_11target_archE1100ELNS1_3gpuE3ELNS1_3repE0EEENS1_30default_config_static_selectorELNS0_4arch9wavefront6targetE0EEEvSW_
    .private_segment_fixed_size: 0
    .sgpr_count:     0
    .sgpr_spill_count: 0
    .symbol:         _ZN7rocprim17ROCPRIM_400000_NS6detail17trampoline_kernelINS0_14default_configENS1_27lower_bound_config_selectorIjlEEZNS1_14transform_implILb0ES3_S5_N6thrust23THRUST_200600_302600_NS6detail15normal_iteratorINS8_7pointerIjNS8_11hip_rocprim5par_tENS8_11use_defaultESE_EEEENSA_INSB_IlSD_SE_SE_EEEEZNS1_13binary_searchIS3_S5_PjSG_SI_NS1_21lower_bound_search_opENS9_16wrapped_functionINS8_6system6detail7generic6detail18binary_search_lessEbEEEE10hipError_tPvRmT1_T2_T3_mmT4_T5_P12ihipStream_tbEUlRKjE_EEST_SX_SY_mSZ_S12_bEUlT_E_NS1_11comp_targetILNS1_3genE9ELNS1_11target_archE1100ELNS1_3gpuE3ELNS1_3repE0EEENS1_30default_config_static_selectorELNS0_4arch9wavefront6targetE0EEEvSW_.kd
    .uniform_work_group_size: 1
    .uses_dynamic_stack: false
    .vgpr_count:     0
    .vgpr_spill_count: 0
    .wavefront_size: 32
    .workgroup_processor_mode: 1
  - .args:
      - .offset:         0
        .size:           56
        .value_kind:     by_value
      - .offset:         56
        .size:           4
        .value_kind:     hidden_block_count_x
      - .offset:         60
        .size:           4
        .value_kind:     hidden_block_count_y
      - .offset:         64
        .size:           4
        .value_kind:     hidden_block_count_z
      - .offset:         68
        .size:           2
        .value_kind:     hidden_group_size_x
      - .offset:         70
        .size:           2
        .value_kind:     hidden_group_size_y
      - .offset:         72
        .size:           2
        .value_kind:     hidden_group_size_z
      - .offset:         74
        .size:           2
        .value_kind:     hidden_remainder_x
      - .offset:         76
        .size:           2
        .value_kind:     hidden_remainder_y
      - .offset:         78
        .size:           2
        .value_kind:     hidden_remainder_z
      - .offset:         96
        .size:           8
        .value_kind:     hidden_global_offset_x
      - .offset:         104
        .size:           8
        .value_kind:     hidden_global_offset_y
      - .offset:         112
        .size:           8
        .value_kind:     hidden_global_offset_z
      - .offset:         120
        .size:           2
        .value_kind:     hidden_grid_dims
    .group_segment_fixed_size: 0
    .kernarg_segment_align: 8
    .kernarg_segment_size: 312
    .language:       OpenCL C
    .language_version:
      - 2
      - 0
    .max_flat_workgroup_size: 256
    .name:           _ZN7rocprim17ROCPRIM_400000_NS6detail17trampoline_kernelINS0_14default_configENS1_27lower_bound_config_selectorIjlEEZNS1_14transform_implILb0ES3_S5_N6thrust23THRUST_200600_302600_NS6detail15normal_iteratorINS8_7pointerIjNS8_11hip_rocprim5par_tENS8_11use_defaultESE_EEEENSA_INSB_IlSD_SE_SE_EEEEZNS1_13binary_searchIS3_S5_PjSG_SI_NS1_21lower_bound_search_opENS9_16wrapped_functionINS8_6system6detail7generic6detail18binary_search_lessEbEEEE10hipError_tPvRmT1_T2_T3_mmT4_T5_P12ihipStream_tbEUlRKjE_EEST_SX_SY_mSZ_S12_bEUlT_E_NS1_11comp_targetILNS1_3genE8ELNS1_11target_archE1030ELNS1_3gpuE2ELNS1_3repE0EEENS1_30default_config_static_selectorELNS0_4arch9wavefront6targetE0EEEvSW_
    .private_segment_fixed_size: 0
    .sgpr_count:     19
    .sgpr_spill_count: 0
    .symbol:         _ZN7rocprim17ROCPRIM_400000_NS6detail17trampoline_kernelINS0_14default_configENS1_27lower_bound_config_selectorIjlEEZNS1_14transform_implILb0ES3_S5_N6thrust23THRUST_200600_302600_NS6detail15normal_iteratorINS8_7pointerIjNS8_11hip_rocprim5par_tENS8_11use_defaultESE_EEEENSA_INSB_IlSD_SE_SE_EEEEZNS1_13binary_searchIS3_S5_PjSG_SI_NS1_21lower_bound_search_opENS9_16wrapped_functionINS8_6system6detail7generic6detail18binary_search_lessEbEEEE10hipError_tPvRmT1_T2_T3_mmT4_T5_P12ihipStream_tbEUlRKjE_EEST_SX_SY_mSZ_S12_bEUlT_E_NS1_11comp_targetILNS1_3genE8ELNS1_11target_archE1030ELNS1_3gpuE2ELNS1_3repE0EEENS1_30default_config_static_selectorELNS0_4arch9wavefront6targetE0EEEvSW_.kd
    .uniform_work_group_size: 1
    .uses_dynamic_stack: false
    .vgpr_count:     11
    .vgpr_spill_count: 0
    .wavefront_size: 32
    .workgroup_processor_mode: 1
  - .args:
      - .offset:         0
        .size:           16
        .value_kind:     by_value
      - .offset:         16
        .size:           8
        .value_kind:     by_value
      - .offset:         24
        .size:           8
        .value_kind:     by_value
    .group_segment_fixed_size: 0
    .kernarg_segment_align: 8
    .kernarg_segment_size: 32
    .language:       OpenCL C
    .language_version:
      - 2
      - 0
    .max_flat_workgroup_size: 256
    .name:           _ZN6thrust23THRUST_200600_302600_NS11hip_rocprim14__parallel_for6kernelILj256ENS1_20__uninitialized_fill7functorINS0_10device_ptrItEEtEEmLj1EEEvT0_T1_SA_
    .private_segment_fixed_size: 0
    .sgpr_count:     14
    .sgpr_spill_count: 0
    .symbol:         _ZN6thrust23THRUST_200600_302600_NS11hip_rocprim14__parallel_for6kernelILj256ENS1_20__uninitialized_fill7functorINS0_10device_ptrItEEtEEmLj1EEEvT0_T1_SA_.kd
    .uniform_work_group_size: 1
    .uses_dynamic_stack: false
    .vgpr_count:     4
    .vgpr_spill_count: 0
    .wavefront_size: 32
    .workgroup_processor_mode: 1
  - .args:
      - .offset:         0
        .size:           8
        .value_kind:     by_value
      - .address_space:  global
        .offset:         8
        .size:           8
        .value_kind:     global_buffer
      - .address_space:  global
        .offset:         16
        .size:           8
        .value_kind:     global_buffer
    .group_segment_fixed_size: 0
    .kernarg_segment_align: 8
    .kernarg_segment_size: 24
    .language:       OpenCL C
    .language_version:
      - 2
      - 0
    .max_flat_workgroup_size: 256
    .name:           _Z18lower_bound_kernelItEvmPT_Pl
    .private_segment_fixed_size: 0
    .sgpr_count:     18
    .sgpr_spill_count: 0
    .symbol:         _Z18lower_bound_kernelItEvmPT_Pl.kd
    .uniform_work_group_size: 1
    .uses_dynamic_stack: false
    .vgpr_count:     4
    .vgpr_spill_count: 0
    .wavefront_size: 32
    .workgroup_processor_mode: 1
  - .args:
      - .offset:         0
        .size:           56
        .value_kind:     by_value
    .group_segment_fixed_size: 0
    .kernarg_segment_align: 8
    .kernarg_segment_size: 56
    .language:       OpenCL C
    .language_version:
      - 2
      - 0
    .max_flat_workgroup_size: 256
    .name:           _ZN7rocprim17ROCPRIM_400000_NS6detail17trampoline_kernelINS0_14default_configENS1_27lower_bound_config_selectorItlEEZNS1_14transform_implILb0ES3_S5_N6thrust23THRUST_200600_302600_NS6detail15normal_iteratorINS8_7pointerItNS8_11hip_rocprim5par_tENS8_11use_defaultESE_EEEENSA_INSB_IlSD_SE_SE_EEEEZNS1_13binary_searchIS3_S5_PtSG_SI_NS1_21lower_bound_search_opENS9_16wrapped_functionI11custom_lessbEEEE10hipError_tPvRmT1_T2_T3_mmT4_T5_P12ihipStream_tbEUlRKtE_EESP_ST_SU_mSV_SY_bEUlT_E_NS1_11comp_targetILNS1_3genE0ELNS1_11target_archE4294967295ELNS1_3gpuE0ELNS1_3repE0EEENS1_30default_config_static_selectorELNS0_4arch9wavefront6targetE0EEEvSS_
    .private_segment_fixed_size: 0
    .sgpr_count:     0
    .sgpr_spill_count: 0
    .symbol:         _ZN7rocprim17ROCPRIM_400000_NS6detail17trampoline_kernelINS0_14default_configENS1_27lower_bound_config_selectorItlEEZNS1_14transform_implILb0ES3_S5_N6thrust23THRUST_200600_302600_NS6detail15normal_iteratorINS8_7pointerItNS8_11hip_rocprim5par_tENS8_11use_defaultESE_EEEENSA_INSB_IlSD_SE_SE_EEEEZNS1_13binary_searchIS3_S5_PtSG_SI_NS1_21lower_bound_search_opENS9_16wrapped_functionI11custom_lessbEEEE10hipError_tPvRmT1_T2_T3_mmT4_T5_P12ihipStream_tbEUlRKtE_EESP_ST_SU_mSV_SY_bEUlT_E_NS1_11comp_targetILNS1_3genE0ELNS1_11target_archE4294967295ELNS1_3gpuE0ELNS1_3repE0EEENS1_30default_config_static_selectorELNS0_4arch9wavefront6targetE0EEEvSS_.kd
    .uniform_work_group_size: 1
    .uses_dynamic_stack: false
    .vgpr_count:     0
    .vgpr_spill_count: 0
    .wavefront_size: 32
    .workgroup_processor_mode: 1
  - .args:
      - .offset:         0
        .size:           56
        .value_kind:     by_value
    .group_segment_fixed_size: 0
    .kernarg_segment_align: 8
    .kernarg_segment_size: 56
    .language:       OpenCL C
    .language_version:
      - 2
      - 0
    .max_flat_workgroup_size: 256
    .name:           _ZN7rocprim17ROCPRIM_400000_NS6detail17trampoline_kernelINS0_14default_configENS1_27lower_bound_config_selectorItlEEZNS1_14transform_implILb0ES3_S5_N6thrust23THRUST_200600_302600_NS6detail15normal_iteratorINS8_7pointerItNS8_11hip_rocprim5par_tENS8_11use_defaultESE_EEEENSA_INSB_IlSD_SE_SE_EEEEZNS1_13binary_searchIS3_S5_PtSG_SI_NS1_21lower_bound_search_opENS9_16wrapped_functionI11custom_lessbEEEE10hipError_tPvRmT1_T2_T3_mmT4_T5_P12ihipStream_tbEUlRKtE_EESP_ST_SU_mSV_SY_bEUlT_E_NS1_11comp_targetILNS1_3genE5ELNS1_11target_archE942ELNS1_3gpuE9ELNS1_3repE0EEENS1_30default_config_static_selectorELNS0_4arch9wavefront6targetE0EEEvSS_
    .private_segment_fixed_size: 0
    .sgpr_count:     0
    .sgpr_spill_count: 0
    .symbol:         _ZN7rocprim17ROCPRIM_400000_NS6detail17trampoline_kernelINS0_14default_configENS1_27lower_bound_config_selectorItlEEZNS1_14transform_implILb0ES3_S5_N6thrust23THRUST_200600_302600_NS6detail15normal_iteratorINS8_7pointerItNS8_11hip_rocprim5par_tENS8_11use_defaultESE_EEEENSA_INSB_IlSD_SE_SE_EEEEZNS1_13binary_searchIS3_S5_PtSG_SI_NS1_21lower_bound_search_opENS9_16wrapped_functionI11custom_lessbEEEE10hipError_tPvRmT1_T2_T3_mmT4_T5_P12ihipStream_tbEUlRKtE_EESP_ST_SU_mSV_SY_bEUlT_E_NS1_11comp_targetILNS1_3genE5ELNS1_11target_archE942ELNS1_3gpuE9ELNS1_3repE0EEENS1_30default_config_static_selectorELNS0_4arch9wavefront6targetE0EEEvSS_.kd
    .uniform_work_group_size: 1
    .uses_dynamic_stack: false
    .vgpr_count:     0
    .vgpr_spill_count: 0
    .wavefront_size: 32
    .workgroup_processor_mode: 1
  - .args:
      - .offset:         0
        .size:           56
        .value_kind:     by_value
    .group_segment_fixed_size: 0
    .kernarg_segment_align: 8
    .kernarg_segment_size: 56
    .language:       OpenCL C
    .language_version:
      - 2
      - 0
    .max_flat_workgroup_size: 256
    .name:           _ZN7rocprim17ROCPRIM_400000_NS6detail17trampoline_kernelINS0_14default_configENS1_27lower_bound_config_selectorItlEEZNS1_14transform_implILb0ES3_S5_N6thrust23THRUST_200600_302600_NS6detail15normal_iteratorINS8_7pointerItNS8_11hip_rocprim5par_tENS8_11use_defaultESE_EEEENSA_INSB_IlSD_SE_SE_EEEEZNS1_13binary_searchIS3_S5_PtSG_SI_NS1_21lower_bound_search_opENS9_16wrapped_functionI11custom_lessbEEEE10hipError_tPvRmT1_T2_T3_mmT4_T5_P12ihipStream_tbEUlRKtE_EESP_ST_SU_mSV_SY_bEUlT_E_NS1_11comp_targetILNS1_3genE4ELNS1_11target_archE910ELNS1_3gpuE8ELNS1_3repE0EEENS1_30default_config_static_selectorELNS0_4arch9wavefront6targetE0EEEvSS_
    .private_segment_fixed_size: 0
    .sgpr_count:     0
    .sgpr_spill_count: 0
    .symbol:         _ZN7rocprim17ROCPRIM_400000_NS6detail17trampoline_kernelINS0_14default_configENS1_27lower_bound_config_selectorItlEEZNS1_14transform_implILb0ES3_S5_N6thrust23THRUST_200600_302600_NS6detail15normal_iteratorINS8_7pointerItNS8_11hip_rocprim5par_tENS8_11use_defaultESE_EEEENSA_INSB_IlSD_SE_SE_EEEEZNS1_13binary_searchIS3_S5_PtSG_SI_NS1_21lower_bound_search_opENS9_16wrapped_functionI11custom_lessbEEEE10hipError_tPvRmT1_T2_T3_mmT4_T5_P12ihipStream_tbEUlRKtE_EESP_ST_SU_mSV_SY_bEUlT_E_NS1_11comp_targetILNS1_3genE4ELNS1_11target_archE910ELNS1_3gpuE8ELNS1_3repE0EEENS1_30default_config_static_selectorELNS0_4arch9wavefront6targetE0EEEvSS_.kd
    .uniform_work_group_size: 1
    .uses_dynamic_stack: false
    .vgpr_count:     0
    .vgpr_spill_count: 0
    .wavefront_size: 32
    .workgroup_processor_mode: 1
  - .args:
      - .offset:         0
        .size:           56
        .value_kind:     by_value
    .group_segment_fixed_size: 0
    .kernarg_segment_align: 8
    .kernarg_segment_size: 56
    .language:       OpenCL C
    .language_version:
      - 2
      - 0
    .max_flat_workgroup_size: 256
    .name:           _ZN7rocprim17ROCPRIM_400000_NS6detail17trampoline_kernelINS0_14default_configENS1_27lower_bound_config_selectorItlEEZNS1_14transform_implILb0ES3_S5_N6thrust23THRUST_200600_302600_NS6detail15normal_iteratorINS8_7pointerItNS8_11hip_rocprim5par_tENS8_11use_defaultESE_EEEENSA_INSB_IlSD_SE_SE_EEEEZNS1_13binary_searchIS3_S5_PtSG_SI_NS1_21lower_bound_search_opENS9_16wrapped_functionI11custom_lessbEEEE10hipError_tPvRmT1_T2_T3_mmT4_T5_P12ihipStream_tbEUlRKtE_EESP_ST_SU_mSV_SY_bEUlT_E_NS1_11comp_targetILNS1_3genE3ELNS1_11target_archE908ELNS1_3gpuE7ELNS1_3repE0EEENS1_30default_config_static_selectorELNS0_4arch9wavefront6targetE0EEEvSS_
    .private_segment_fixed_size: 0
    .sgpr_count:     0
    .sgpr_spill_count: 0
    .symbol:         _ZN7rocprim17ROCPRIM_400000_NS6detail17trampoline_kernelINS0_14default_configENS1_27lower_bound_config_selectorItlEEZNS1_14transform_implILb0ES3_S5_N6thrust23THRUST_200600_302600_NS6detail15normal_iteratorINS8_7pointerItNS8_11hip_rocprim5par_tENS8_11use_defaultESE_EEEENSA_INSB_IlSD_SE_SE_EEEEZNS1_13binary_searchIS3_S5_PtSG_SI_NS1_21lower_bound_search_opENS9_16wrapped_functionI11custom_lessbEEEE10hipError_tPvRmT1_T2_T3_mmT4_T5_P12ihipStream_tbEUlRKtE_EESP_ST_SU_mSV_SY_bEUlT_E_NS1_11comp_targetILNS1_3genE3ELNS1_11target_archE908ELNS1_3gpuE7ELNS1_3repE0EEENS1_30default_config_static_selectorELNS0_4arch9wavefront6targetE0EEEvSS_.kd
    .uniform_work_group_size: 1
    .uses_dynamic_stack: false
    .vgpr_count:     0
    .vgpr_spill_count: 0
    .wavefront_size: 32
    .workgroup_processor_mode: 1
  - .args:
      - .offset:         0
        .size:           56
        .value_kind:     by_value
    .group_segment_fixed_size: 0
    .kernarg_segment_align: 8
    .kernarg_segment_size: 56
    .language:       OpenCL C
    .language_version:
      - 2
      - 0
    .max_flat_workgroup_size: 256
    .name:           _ZN7rocprim17ROCPRIM_400000_NS6detail17trampoline_kernelINS0_14default_configENS1_27lower_bound_config_selectorItlEEZNS1_14transform_implILb0ES3_S5_N6thrust23THRUST_200600_302600_NS6detail15normal_iteratorINS8_7pointerItNS8_11hip_rocprim5par_tENS8_11use_defaultESE_EEEENSA_INSB_IlSD_SE_SE_EEEEZNS1_13binary_searchIS3_S5_PtSG_SI_NS1_21lower_bound_search_opENS9_16wrapped_functionI11custom_lessbEEEE10hipError_tPvRmT1_T2_T3_mmT4_T5_P12ihipStream_tbEUlRKtE_EESP_ST_SU_mSV_SY_bEUlT_E_NS1_11comp_targetILNS1_3genE2ELNS1_11target_archE906ELNS1_3gpuE6ELNS1_3repE0EEENS1_30default_config_static_selectorELNS0_4arch9wavefront6targetE0EEEvSS_
    .private_segment_fixed_size: 0
    .sgpr_count:     0
    .sgpr_spill_count: 0
    .symbol:         _ZN7rocprim17ROCPRIM_400000_NS6detail17trampoline_kernelINS0_14default_configENS1_27lower_bound_config_selectorItlEEZNS1_14transform_implILb0ES3_S5_N6thrust23THRUST_200600_302600_NS6detail15normal_iteratorINS8_7pointerItNS8_11hip_rocprim5par_tENS8_11use_defaultESE_EEEENSA_INSB_IlSD_SE_SE_EEEEZNS1_13binary_searchIS3_S5_PtSG_SI_NS1_21lower_bound_search_opENS9_16wrapped_functionI11custom_lessbEEEE10hipError_tPvRmT1_T2_T3_mmT4_T5_P12ihipStream_tbEUlRKtE_EESP_ST_SU_mSV_SY_bEUlT_E_NS1_11comp_targetILNS1_3genE2ELNS1_11target_archE906ELNS1_3gpuE6ELNS1_3repE0EEENS1_30default_config_static_selectorELNS0_4arch9wavefront6targetE0EEEvSS_.kd
    .uniform_work_group_size: 1
    .uses_dynamic_stack: false
    .vgpr_count:     0
    .vgpr_spill_count: 0
    .wavefront_size: 32
    .workgroup_processor_mode: 1
  - .args:
      - .offset:         0
        .size:           56
        .value_kind:     by_value
    .group_segment_fixed_size: 0
    .kernarg_segment_align: 8
    .kernarg_segment_size: 56
    .language:       OpenCL C
    .language_version:
      - 2
      - 0
    .max_flat_workgroup_size: 256
    .name:           _ZN7rocprim17ROCPRIM_400000_NS6detail17trampoline_kernelINS0_14default_configENS1_27lower_bound_config_selectorItlEEZNS1_14transform_implILb0ES3_S5_N6thrust23THRUST_200600_302600_NS6detail15normal_iteratorINS8_7pointerItNS8_11hip_rocprim5par_tENS8_11use_defaultESE_EEEENSA_INSB_IlSD_SE_SE_EEEEZNS1_13binary_searchIS3_S5_PtSG_SI_NS1_21lower_bound_search_opENS9_16wrapped_functionI11custom_lessbEEEE10hipError_tPvRmT1_T2_T3_mmT4_T5_P12ihipStream_tbEUlRKtE_EESP_ST_SU_mSV_SY_bEUlT_E_NS1_11comp_targetILNS1_3genE10ELNS1_11target_archE1201ELNS1_3gpuE5ELNS1_3repE0EEENS1_30default_config_static_selectorELNS0_4arch9wavefront6targetE0EEEvSS_
    .private_segment_fixed_size: 0
    .sgpr_count:     0
    .sgpr_spill_count: 0
    .symbol:         _ZN7rocprim17ROCPRIM_400000_NS6detail17trampoline_kernelINS0_14default_configENS1_27lower_bound_config_selectorItlEEZNS1_14transform_implILb0ES3_S5_N6thrust23THRUST_200600_302600_NS6detail15normal_iteratorINS8_7pointerItNS8_11hip_rocprim5par_tENS8_11use_defaultESE_EEEENSA_INSB_IlSD_SE_SE_EEEEZNS1_13binary_searchIS3_S5_PtSG_SI_NS1_21lower_bound_search_opENS9_16wrapped_functionI11custom_lessbEEEE10hipError_tPvRmT1_T2_T3_mmT4_T5_P12ihipStream_tbEUlRKtE_EESP_ST_SU_mSV_SY_bEUlT_E_NS1_11comp_targetILNS1_3genE10ELNS1_11target_archE1201ELNS1_3gpuE5ELNS1_3repE0EEENS1_30default_config_static_selectorELNS0_4arch9wavefront6targetE0EEEvSS_.kd
    .uniform_work_group_size: 1
    .uses_dynamic_stack: false
    .vgpr_count:     0
    .vgpr_spill_count: 0
    .wavefront_size: 32
    .workgroup_processor_mode: 1
  - .args:
      - .offset:         0
        .size:           56
        .value_kind:     by_value
    .group_segment_fixed_size: 0
    .kernarg_segment_align: 8
    .kernarg_segment_size: 56
    .language:       OpenCL C
    .language_version:
      - 2
      - 0
    .max_flat_workgroup_size: 256
    .name:           _ZN7rocprim17ROCPRIM_400000_NS6detail17trampoline_kernelINS0_14default_configENS1_27lower_bound_config_selectorItlEEZNS1_14transform_implILb0ES3_S5_N6thrust23THRUST_200600_302600_NS6detail15normal_iteratorINS8_7pointerItNS8_11hip_rocprim5par_tENS8_11use_defaultESE_EEEENSA_INSB_IlSD_SE_SE_EEEEZNS1_13binary_searchIS3_S5_PtSG_SI_NS1_21lower_bound_search_opENS9_16wrapped_functionI11custom_lessbEEEE10hipError_tPvRmT1_T2_T3_mmT4_T5_P12ihipStream_tbEUlRKtE_EESP_ST_SU_mSV_SY_bEUlT_E_NS1_11comp_targetILNS1_3genE10ELNS1_11target_archE1200ELNS1_3gpuE4ELNS1_3repE0EEENS1_30default_config_static_selectorELNS0_4arch9wavefront6targetE0EEEvSS_
    .private_segment_fixed_size: 0
    .sgpr_count:     0
    .sgpr_spill_count: 0
    .symbol:         _ZN7rocprim17ROCPRIM_400000_NS6detail17trampoline_kernelINS0_14default_configENS1_27lower_bound_config_selectorItlEEZNS1_14transform_implILb0ES3_S5_N6thrust23THRUST_200600_302600_NS6detail15normal_iteratorINS8_7pointerItNS8_11hip_rocprim5par_tENS8_11use_defaultESE_EEEENSA_INSB_IlSD_SE_SE_EEEEZNS1_13binary_searchIS3_S5_PtSG_SI_NS1_21lower_bound_search_opENS9_16wrapped_functionI11custom_lessbEEEE10hipError_tPvRmT1_T2_T3_mmT4_T5_P12ihipStream_tbEUlRKtE_EESP_ST_SU_mSV_SY_bEUlT_E_NS1_11comp_targetILNS1_3genE10ELNS1_11target_archE1200ELNS1_3gpuE4ELNS1_3repE0EEENS1_30default_config_static_selectorELNS0_4arch9wavefront6targetE0EEEvSS_.kd
    .uniform_work_group_size: 1
    .uses_dynamic_stack: false
    .vgpr_count:     0
    .vgpr_spill_count: 0
    .wavefront_size: 32
    .workgroup_processor_mode: 1
  - .args:
      - .offset:         0
        .size:           56
        .value_kind:     by_value
    .group_segment_fixed_size: 0
    .kernarg_segment_align: 8
    .kernarg_segment_size: 56
    .language:       OpenCL C
    .language_version:
      - 2
      - 0
    .max_flat_workgroup_size: 64
    .name:           _ZN7rocprim17ROCPRIM_400000_NS6detail17trampoline_kernelINS0_14default_configENS1_27lower_bound_config_selectorItlEEZNS1_14transform_implILb0ES3_S5_N6thrust23THRUST_200600_302600_NS6detail15normal_iteratorINS8_7pointerItNS8_11hip_rocprim5par_tENS8_11use_defaultESE_EEEENSA_INSB_IlSD_SE_SE_EEEEZNS1_13binary_searchIS3_S5_PtSG_SI_NS1_21lower_bound_search_opENS9_16wrapped_functionI11custom_lessbEEEE10hipError_tPvRmT1_T2_T3_mmT4_T5_P12ihipStream_tbEUlRKtE_EESP_ST_SU_mSV_SY_bEUlT_E_NS1_11comp_targetILNS1_3genE9ELNS1_11target_archE1100ELNS1_3gpuE3ELNS1_3repE0EEENS1_30default_config_static_selectorELNS0_4arch9wavefront6targetE0EEEvSS_
    .private_segment_fixed_size: 0
    .sgpr_count:     0
    .sgpr_spill_count: 0
    .symbol:         _ZN7rocprim17ROCPRIM_400000_NS6detail17trampoline_kernelINS0_14default_configENS1_27lower_bound_config_selectorItlEEZNS1_14transform_implILb0ES3_S5_N6thrust23THRUST_200600_302600_NS6detail15normal_iteratorINS8_7pointerItNS8_11hip_rocprim5par_tENS8_11use_defaultESE_EEEENSA_INSB_IlSD_SE_SE_EEEEZNS1_13binary_searchIS3_S5_PtSG_SI_NS1_21lower_bound_search_opENS9_16wrapped_functionI11custom_lessbEEEE10hipError_tPvRmT1_T2_T3_mmT4_T5_P12ihipStream_tbEUlRKtE_EESP_ST_SU_mSV_SY_bEUlT_E_NS1_11comp_targetILNS1_3genE9ELNS1_11target_archE1100ELNS1_3gpuE3ELNS1_3repE0EEENS1_30default_config_static_selectorELNS0_4arch9wavefront6targetE0EEEvSS_.kd
    .uniform_work_group_size: 1
    .uses_dynamic_stack: false
    .vgpr_count:     0
    .vgpr_spill_count: 0
    .wavefront_size: 32
    .workgroup_processor_mode: 1
  - .args:
      - .offset:         0
        .size:           56
        .value_kind:     by_value
      - .offset:         56
        .size:           4
        .value_kind:     hidden_block_count_x
      - .offset:         60
        .size:           4
        .value_kind:     hidden_block_count_y
      - .offset:         64
        .size:           4
        .value_kind:     hidden_block_count_z
      - .offset:         68
        .size:           2
        .value_kind:     hidden_group_size_x
      - .offset:         70
        .size:           2
        .value_kind:     hidden_group_size_y
      - .offset:         72
        .size:           2
        .value_kind:     hidden_group_size_z
      - .offset:         74
        .size:           2
        .value_kind:     hidden_remainder_x
      - .offset:         76
        .size:           2
        .value_kind:     hidden_remainder_y
      - .offset:         78
        .size:           2
        .value_kind:     hidden_remainder_z
      - .offset:         96
        .size:           8
        .value_kind:     hidden_global_offset_x
      - .offset:         104
        .size:           8
        .value_kind:     hidden_global_offset_y
      - .offset:         112
        .size:           8
        .value_kind:     hidden_global_offset_z
      - .offset:         120
        .size:           2
        .value_kind:     hidden_grid_dims
    .group_segment_fixed_size: 0
    .kernarg_segment_align: 8
    .kernarg_segment_size: 312
    .language:       OpenCL C
    .language_version:
      - 2
      - 0
    .max_flat_workgroup_size: 128
    .name:           _ZN7rocprim17ROCPRIM_400000_NS6detail17trampoline_kernelINS0_14default_configENS1_27lower_bound_config_selectorItlEEZNS1_14transform_implILb0ES3_S5_N6thrust23THRUST_200600_302600_NS6detail15normal_iteratorINS8_7pointerItNS8_11hip_rocprim5par_tENS8_11use_defaultESE_EEEENSA_INSB_IlSD_SE_SE_EEEEZNS1_13binary_searchIS3_S5_PtSG_SI_NS1_21lower_bound_search_opENS9_16wrapped_functionI11custom_lessbEEEE10hipError_tPvRmT1_T2_T3_mmT4_T5_P12ihipStream_tbEUlRKtE_EESP_ST_SU_mSV_SY_bEUlT_E_NS1_11comp_targetILNS1_3genE8ELNS1_11target_archE1030ELNS1_3gpuE2ELNS1_3repE0EEENS1_30default_config_static_selectorELNS0_4arch9wavefront6targetE0EEEvSS_
    .private_segment_fixed_size: 0
    .sgpr_count:     22
    .sgpr_spill_count: 0
    .symbol:         _ZN7rocprim17ROCPRIM_400000_NS6detail17trampoline_kernelINS0_14default_configENS1_27lower_bound_config_selectorItlEEZNS1_14transform_implILb0ES3_S5_N6thrust23THRUST_200600_302600_NS6detail15normal_iteratorINS8_7pointerItNS8_11hip_rocprim5par_tENS8_11use_defaultESE_EEEENSA_INSB_IlSD_SE_SE_EEEEZNS1_13binary_searchIS3_S5_PtSG_SI_NS1_21lower_bound_search_opENS9_16wrapped_functionI11custom_lessbEEEE10hipError_tPvRmT1_T2_T3_mmT4_T5_P12ihipStream_tbEUlRKtE_EESP_ST_SU_mSV_SY_bEUlT_E_NS1_11comp_targetILNS1_3genE8ELNS1_11target_archE1030ELNS1_3gpuE2ELNS1_3repE0EEENS1_30default_config_static_selectorELNS0_4arch9wavefront6targetE0EEEvSS_.kd
    .uniform_work_group_size: 1
    .uses_dynamic_stack: false
    .vgpr_count:     17
    .vgpr_spill_count: 0
    .wavefront_size: 32
    .workgroup_processor_mode: 1
  - .args:
      - .offset:         0
        .size:           56
        .value_kind:     by_value
    .group_segment_fixed_size: 0
    .kernarg_segment_align: 8
    .kernarg_segment_size: 56
    .language:       OpenCL C
    .language_version:
      - 2
      - 0
    .max_flat_workgroup_size: 256
    .name:           _ZN7rocprim17ROCPRIM_400000_NS6detail17trampoline_kernelINS0_14default_configENS1_27lower_bound_config_selectorItlEEZNS1_14transform_implILb0ES3_S5_N6thrust23THRUST_200600_302600_NS6detail15normal_iteratorINS8_7pointerItNS8_11hip_rocprim5par_tENS8_11use_defaultESE_EEEENSA_INSB_IlSD_SE_SE_EEEEZNS1_13binary_searchIS3_S5_PtSG_SI_NS1_21lower_bound_search_opENS9_16wrapped_functionINS8_6system6detail7generic6detail18binary_search_lessEbEEEE10hipError_tPvRmT1_T2_T3_mmT4_T5_P12ihipStream_tbEUlRKtE_EEST_SX_SY_mSZ_S12_bEUlT_E_NS1_11comp_targetILNS1_3genE0ELNS1_11target_archE4294967295ELNS1_3gpuE0ELNS1_3repE0EEENS1_30default_config_static_selectorELNS0_4arch9wavefront6targetE0EEEvSW_
    .private_segment_fixed_size: 0
    .sgpr_count:     0
    .sgpr_spill_count: 0
    .symbol:         _ZN7rocprim17ROCPRIM_400000_NS6detail17trampoline_kernelINS0_14default_configENS1_27lower_bound_config_selectorItlEEZNS1_14transform_implILb0ES3_S5_N6thrust23THRUST_200600_302600_NS6detail15normal_iteratorINS8_7pointerItNS8_11hip_rocprim5par_tENS8_11use_defaultESE_EEEENSA_INSB_IlSD_SE_SE_EEEEZNS1_13binary_searchIS3_S5_PtSG_SI_NS1_21lower_bound_search_opENS9_16wrapped_functionINS8_6system6detail7generic6detail18binary_search_lessEbEEEE10hipError_tPvRmT1_T2_T3_mmT4_T5_P12ihipStream_tbEUlRKtE_EEST_SX_SY_mSZ_S12_bEUlT_E_NS1_11comp_targetILNS1_3genE0ELNS1_11target_archE4294967295ELNS1_3gpuE0ELNS1_3repE0EEENS1_30default_config_static_selectorELNS0_4arch9wavefront6targetE0EEEvSW_.kd
    .uniform_work_group_size: 1
    .uses_dynamic_stack: false
    .vgpr_count:     0
    .vgpr_spill_count: 0
    .wavefront_size: 32
    .workgroup_processor_mode: 1
  - .args:
      - .offset:         0
        .size:           56
        .value_kind:     by_value
    .group_segment_fixed_size: 0
    .kernarg_segment_align: 8
    .kernarg_segment_size: 56
    .language:       OpenCL C
    .language_version:
      - 2
      - 0
    .max_flat_workgroup_size: 256
    .name:           _ZN7rocprim17ROCPRIM_400000_NS6detail17trampoline_kernelINS0_14default_configENS1_27lower_bound_config_selectorItlEEZNS1_14transform_implILb0ES3_S5_N6thrust23THRUST_200600_302600_NS6detail15normal_iteratorINS8_7pointerItNS8_11hip_rocprim5par_tENS8_11use_defaultESE_EEEENSA_INSB_IlSD_SE_SE_EEEEZNS1_13binary_searchIS3_S5_PtSG_SI_NS1_21lower_bound_search_opENS9_16wrapped_functionINS8_6system6detail7generic6detail18binary_search_lessEbEEEE10hipError_tPvRmT1_T2_T3_mmT4_T5_P12ihipStream_tbEUlRKtE_EEST_SX_SY_mSZ_S12_bEUlT_E_NS1_11comp_targetILNS1_3genE5ELNS1_11target_archE942ELNS1_3gpuE9ELNS1_3repE0EEENS1_30default_config_static_selectorELNS0_4arch9wavefront6targetE0EEEvSW_
    .private_segment_fixed_size: 0
    .sgpr_count:     0
    .sgpr_spill_count: 0
    .symbol:         _ZN7rocprim17ROCPRIM_400000_NS6detail17trampoline_kernelINS0_14default_configENS1_27lower_bound_config_selectorItlEEZNS1_14transform_implILb0ES3_S5_N6thrust23THRUST_200600_302600_NS6detail15normal_iteratorINS8_7pointerItNS8_11hip_rocprim5par_tENS8_11use_defaultESE_EEEENSA_INSB_IlSD_SE_SE_EEEEZNS1_13binary_searchIS3_S5_PtSG_SI_NS1_21lower_bound_search_opENS9_16wrapped_functionINS8_6system6detail7generic6detail18binary_search_lessEbEEEE10hipError_tPvRmT1_T2_T3_mmT4_T5_P12ihipStream_tbEUlRKtE_EEST_SX_SY_mSZ_S12_bEUlT_E_NS1_11comp_targetILNS1_3genE5ELNS1_11target_archE942ELNS1_3gpuE9ELNS1_3repE0EEENS1_30default_config_static_selectorELNS0_4arch9wavefront6targetE0EEEvSW_.kd
    .uniform_work_group_size: 1
    .uses_dynamic_stack: false
    .vgpr_count:     0
    .vgpr_spill_count: 0
    .wavefront_size: 32
    .workgroup_processor_mode: 1
  - .args:
      - .offset:         0
        .size:           56
        .value_kind:     by_value
    .group_segment_fixed_size: 0
    .kernarg_segment_align: 8
    .kernarg_segment_size: 56
    .language:       OpenCL C
    .language_version:
      - 2
      - 0
    .max_flat_workgroup_size: 256
    .name:           _ZN7rocprim17ROCPRIM_400000_NS6detail17trampoline_kernelINS0_14default_configENS1_27lower_bound_config_selectorItlEEZNS1_14transform_implILb0ES3_S5_N6thrust23THRUST_200600_302600_NS6detail15normal_iteratorINS8_7pointerItNS8_11hip_rocprim5par_tENS8_11use_defaultESE_EEEENSA_INSB_IlSD_SE_SE_EEEEZNS1_13binary_searchIS3_S5_PtSG_SI_NS1_21lower_bound_search_opENS9_16wrapped_functionINS8_6system6detail7generic6detail18binary_search_lessEbEEEE10hipError_tPvRmT1_T2_T3_mmT4_T5_P12ihipStream_tbEUlRKtE_EEST_SX_SY_mSZ_S12_bEUlT_E_NS1_11comp_targetILNS1_3genE4ELNS1_11target_archE910ELNS1_3gpuE8ELNS1_3repE0EEENS1_30default_config_static_selectorELNS0_4arch9wavefront6targetE0EEEvSW_
    .private_segment_fixed_size: 0
    .sgpr_count:     0
    .sgpr_spill_count: 0
    .symbol:         _ZN7rocprim17ROCPRIM_400000_NS6detail17trampoline_kernelINS0_14default_configENS1_27lower_bound_config_selectorItlEEZNS1_14transform_implILb0ES3_S5_N6thrust23THRUST_200600_302600_NS6detail15normal_iteratorINS8_7pointerItNS8_11hip_rocprim5par_tENS8_11use_defaultESE_EEEENSA_INSB_IlSD_SE_SE_EEEEZNS1_13binary_searchIS3_S5_PtSG_SI_NS1_21lower_bound_search_opENS9_16wrapped_functionINS8_6system6detail7generic6detail18binary_search_lessEbEEEE10hipError_tPvRmT1_T2_T3_mmT4_T5_P12ihipStream_tbEUlRKtE_EEST_SX_SY_mSZ_S12_bEUlT_E_NS1_11comp_targetILNS1_3genE4ELNS1_11target_archE910ELNS1_3gpuE8ELNS1_3repE0EEENS1_30default_config_static_selectorELNS0_4arch9wavefront6targetE0EEEvSW_.kd
    .uniform_work_group_size: 1
    .uses_dynamic_stack: false
    .vgpr_count:     0
    .vgpr_spill_count: 0
    .wavefront_size: 32
    .workgroup_processor_mode: 1
  - .args:
      - .offset:         0
        .size:           56
        .value_kind:     by_value
    .group_segment_fixed_size: 0
    .kernarg_segment_align: 8
    .kernarg_segment_size: 56
    .language:       OpenCL C
    .language_version:
      - 2
      - 0
    .max_flat_workgroup_size: 256
    .name:           _ZN7rocprim17ROCPRIM_400000_NS6detail17trampoline_kernelINS0_14default_configENS1_27lower_bound_config_selectorItlEEZNS1_14transform_implILb0ES3_S5_N6thrust23THRUST_200600_302600_NS6detail15normal_iteratorINS8_7pointerItNS8_11hip_rocprim5par_tENS8_11use_defaultESE_EEEENSA_INSB_IlSD_SE_SE_EEEEZNS1_13binary_searchIS3_S5_PtSG_SI_NS1_21lower_bound_search_opENS9_16wrapped_functionINS8_6system6detail7generic6detail18binary_search_lessEbEEEE10hipError_tPvRmT1_T2_T3_mmT4_T5_P12ihipStream_tbEUlRKtE_EEST_SX_SY_mSZ_S12_bEUlT_E_NS1_11comp_targetILNS1_3genE3ELNS1_11target_archE908ELNS1_3gpuE7ELNS1_3repE0EEENS1_30default_config_static_selectorELNS0_4arch9wavefront6targetE0EEEvSW_
    .private_segment_fixed_size: 0
    .sgpr_count:     0
    .sgpr_spill_count: 0
    .symbol:         _ZN7rocprim17ROCPRIM_400000_NS6detail17trampoline_kernelINS0_14default_configENS1_27lower_bound_config_selectorItlEEZNS1_14transform_implILb0ES3_S5_N6thrust23THRUST_200600_302600_NS6detail15normal_iteratorINS8_7pointerItNS8_11hip_rocprim5par_tENS8_11use_defaultESE_EEEENSA_INSB_IlSD_SE_SE_EEEEZNS1_13binary_searchIS3_S5_PtSG_SI_NS1_21lower_bound_search_opENS9_16wrapped_functionINS8_6system6detail7generic6detail18binary_search_lessEbEEEE10hipError_tPvRmT1_T2_T3_mmT4_T5_P12ihipStream_tbEUlRKtE_EEST_SX_SY_mSZ_S12_bEUlT_E_NS1_11comp_targetILNS1_3genE3ELNS1_11target_archE908ELNS1_3gpuE7ELNS1_3repE0EEENS1_30default_config_static_selectorELNS0_4arch9wavefront6targetE0EEEvSW_.kd
    .uniform_work_group_size: 1
    .uses_dynamic_stack: false
    .vgpr_count:     0
    .vgpr_spill_count: 0
    .wavefront_size: 32
    .workgroup_processor_mode: 1
  - .args:
      - .offset:         0
        .size:           56
        .value_kind:     by_value
    .group_segment_fixed_size: 0
    .kernarg_segment_align: 8
    .kernarg_segment_size: 56
    .language:       OpenCL C
    .language_version:
      - 2
      - 0
    .max_flat_workgroup_size: 256
    .name:           _ZN7rocprim17ROCPRIM_400000_NS6detail17trampoline_kernelINS0_14default_configENS1_27lower_bound_config_selectorItlEEZNS1_14transform_implILb0ES3_S5_N6thrust23THRUST_200600_302600_NS6detail15normal_iteratorINS8_7pointerItNS8_11hip_rocprim5par_tENS8_11use_defaultESE_EEEENSA_INSB_IlSD_SE_SE_EEEEZNS1_13binary_searchIS3_S5_PtSG_SI_NS1_21lower_bound_search_opENS9_16wrapped_functionINS8_6system6detail7generic6detail18binary_search_lessEbEEEE10hipError_tPvRmT1_T2_T3_mmT4_T5_P12ihipStream_tbEUlRKtE_EEST_SX_SY_mSZ_S12_bEUlT_E_NS1_11comp_targetILNS1_3genE2ELNS1_11target_archE906ELNS1_3gpuE6ELNS1_3repE0EEENS1_30default_config_static_selectorELNS0_4arch9wavefront6targetE0EEEvSW_
    .private_segment_fixed_size: 0
    .sgpr_count:     0
    .sgpr_spill_count: 0
    .symbol:         _ZN7rocprim17ROCPRIM_400000_NS6detail17trampoline_kernelINS0_14default_configENS1_27lower_bound_config_selectorItlEEZNS1_14transform_implILb0ES3_S5_N6thrust23THRUST_200600_302600_NS6detail15normal_iteratorINS8_7pointerItNS8_11hip_rocprim5par_tENS8_11use_defaultESE_EEEENSA_INSB_IlSD_SE_SE_EEEEZNS1_13binary_searchIS3_S5_PtSG_SI_NS1_21lower_bound_search_opENS9_16wrapped_functionINS8_6system6detail7generic6detail18binary_search_lessEbEEEE10hipError_tPvRmT1_T2_T3_mmT4_T5_P12ihipStream_tbEUlRKtE_EEST_SX_SY_mSZ_S12_bEUlT_E_NS1_11comp_targetILNS1_3genE2ELNS1_11target_archE906ELNS1_3gpuE6ELNS1_3repE0EEENS1_30default_config_static_selectorELNS0_4arch9wavefront6targetE0EEEvSW_.kd
    .uniform_work_group_size: 1
    .uses_dynamic_stack: false
    .vgpr_count:     0
    .vgpr_spill_count: 0
    .wavefront_size: 32
    .workgroup_processor_mode: 1
  - .args:
      - .offset:         0
        .size:           56
        .value_kind:     by_value
    .group_segment_fixed_size: 0
    .kernarg_segment_align: 8
    .kernarg_segment_size: 56
    .language:       OpenCL C
    .language_version:
      - 2
      - 0
    .max_flat_workgroup_size: 256
    .name:           _ZN7rocprim17ROCPRIM_400000_NS6detail17trampoline_kernelINS0_14default_configENS1_27lower_bound_config_selectorItlEEZNS1_14transform_implILb0ES3_S5_N6thrust23THRUST_200600_302600_NS6detail15normal_iteratorINS8_7pointerItNS8_11hip_rocprim5par_tENS8_11use_defaultESE_EEEENSA_INSB_IlSD_SE_SE_EEEEZNS1_13binary_searchIS3_S5_PtSG_SI_NS1_21lower_bound_search_opENS9_16wrapped_functionINS8_6system6detail7generic6detail18binary_search_lessEbEEEE10hipError_tPvRmT1_T2_T3_mmT4_T5_P12ihipStream_tbEUlRKtE_EEST_SX_SY_mSZ_S12_bEUlT_E_NS1_11comp_targetILNS1_3genE10ELNS1_11target_archE1201ELNS1_3gpuE5ELNS1_3repE0EEENS1_30default_config_static_selectorELNS0_4arch9wavefront6targetE0EEEvSW_
    .private_segment_fixed_size: 0
    .sgpr_count:     0
    .sgpr_spill_count: 0
    .symbol:         _ZN7rocprim17ROCPRIM_400000_NS6detail17trampoline_kernelINS0_14default_configENS1_27lower_bound_config_selectorItlEEZNS1_14transform_implILb0ES3_S5_N6thrust23THRUST_200600_302600_NS6detail15normal_iteratorINS8_7pointerItNS8_11hip_rocprim5par_tENS8_11use_defaultESE_EEEENSA_INSB_IlSD_SE_SE_EEEEZNS1_13binary_searchIS3_S5_PtSG_SI_NS1_21lower_bound_search_opENS9_16wrapped_functionINS8_6system6detail7generic6detail18binary_search_lessEbEEEE10hipError_tPvRmT1_T2_T3_mmT4_T5_P12ihipStream_tbEUlRKtE_EEST_SX_SY_mSZ_S12_bEUlT_E_NS1_11comp_targetILNS1_3genE10ELNS1_11target_archE1201ELNS1_3gpuE5ELNS1_3repE0EEENS1_30default_config_static_selectorELNS0_4arch9wavefront6targetE0EEEvSW_.kd
    .uniform_work_group_size: 1
    .uses_dynamic_stack: false
    .vgpr_count:     0
    .vgpr_spill_count: 0
    .wavefront_size: 32
    .workgroup_processor_mode: 1
  - .args:
      - .offset:         0
        .size:           56
        .value_kind:     by_value
    .group_segment_fixed_size: 0
    .kernarg_segment_align: 8
    .kernarg_segment_size: 56
    .language:       OpenCL C
    .language_version:
      - 2
      - 0
    .max_flat_workgroup_size: 256
    .name:           _ZN7rocprim17ROCPRIM_400000_NS6detail17trampoline_kernelINS0_14default_configENS1_27lower_bound_config_selectorItlEEZNS1_14transform_implILb0ES3_S5_N6thrust23THRUST_200600_302600_NS6detail15normal_iteratorINS8_7pointerItNS8_11hip_rocprim5par_tENS8_11use_defaultESE_EEEENSA_INSB_IlSD_SE_SE_EEEEZNS1_13binary_searchIS3_S5_PtSG_SI_NS1_21lower_bound_search_opENS9_16wrapped_functionINS8_6system6detail7generic6detail18binary_search_lessEbEEEE10hipError_tPvRmT1_T2_T3_mmT4_T5_P12ihipStream_tbEUlRKtE_EEST_SX_SY_mSZ_S12_bEUlT_E_NS1_11comp_targetILNS1_3genE10ELNS1_11target_archE1200ELNS1_3gpuE4ELNS1_3repE0EEENS1_30default_config_static_selectorELNS0_4arch9wavefront6targetE0EEEvSW_
    .private_segment_fixed_size: 0
    .sgpr_count:     0
    .sgpr_spill_count: 0
    .symbol:         _ZN7rocprim17ROCPRIM_400000_NS6detail17trampoline_kernelINS0_14default_configENS1_27lower_bound_config_selectorItlEEZNS1_14transform_implILb0ES3_S5_N6thrust23THRUST_200600_302600_NS6detail15normal_iteratorINS8_7pointerItNS8_11hip_rocprim5par_tENS8_11use_defaultESE_EEEENSA_INSB_IlSD_SE_SE_EEEEZNS1_13binary_searchIS3_S5_PtSG_SI_NS1_21lower_bound_search_opENS9_16wrapped_functionINS8_6system6detail7generic6detail18binary_search_lessEbEEEE10hipError_tPvRmT1_T2_T3_mmT4_T5_P12ihipStream_tbEUlRKtE_EEST_SX_SY_mSZ_S12_bEUlT_E_NS1_11comp_targetILNS1_3genE10ELNS1_11target_archE1200ELNS1_3gpuE4ELNS1_3repE0EEENS1_30default_config_static_selectorELNS0_4arch9wavefront6targetE0EEEvSW_.kd
    .uniform_work_group_size: 1
    .uses_dynamic_stack: false
    .vgpr_count:     0
    .vgpr_spill_count: 0
    .wavefront_size: 32
    .workgroup_processor_mode: 1
  - .args:
      - .offset:         0
        .size:           56
        .value_kind:     by_value
    .group_segment_fixed_size: 0
    .kernarg_segment_align: 8
    .kernarg_segment_size: 56
    .language:       OpenCL C
    .language_version:
      - 2
      - 0
    .max_flat_workgroup_size: 64
    .name:           _ZN7rocprim17ROCPRIM_400000_NS6detail17trampoline_kernelINS0_14default_configENS1_27lower_bound_config_selectorItlEEZNS1_14transform_implILb0ES3_S5_N6thrust23THRUST_200600_302600_NS6detail15normal_iteratorINS8_7pointerItNS8_11hip_rocprim5par_tENS8_11use_defaultESE_EEEENSA_INSB_IlSD_SE_SE_EEEEZNS1_13binary_searchIS3_S5_PtSG_SI_NS1_21lower_bound_search_opENS9_16wrapped_functionINS8_6system6detail7generic6detail18binary_search_lessEbEEEE10hipError_tPvRmT1_T2_T3_mmT4_T5_P12ihipStream_tbEUlRKtE_EEST_SX_SY_mSZ_S12_bEUlT_E_NS1_11comp_targetILNS1_3genE9ELNS1_11target_archE1100ELNS1_3gpuE3ELNS1_3repE0EEENS1_30default_config_static_selectorELNS0_4arch9wavefront6targetE0EEEvSW_
    .private_segment_fixed_size: 0
    .sgpr_count:     0
    .sgpr_spill_count: 0
    .symbol:         _ZN7rocprim17ROCPRIM_400000_NS6detail17trampoline_kernelINS0_14default_configENS1_27lower_bound_config_selectorItlEEZNS1_14transform_implILb0ES3_S5_N6thrust23THRUST_200600_302600_NS6detail15normal_iteratorINS8_7pointerItNS8_11hip_rocprim5par_tENS8_11use_defaultESE_EEEENSA_INSB_IlSD_SE_SE_EEEEZNS1_13binary_searchIS3_S5_PtSG_SI_NS1_21lower_bound_search_opENS9_16wrapped_functionINS8_6system6detail7generic6detail18binary_search_lessEbEEEE10hipError_tPvRmT1_T2_T3_mmT4_T5_P12ihipStream_tbEUlRKtE_EEST_SX_SY_mSZ_S12_bEUlT_E_NS1_11comp_targetILNS1_3genE9ELNS1_11target_archE1100ELNS1_3gpuE3ELNS1_3repE0EEENS1_30default_config_static_selectorELNS0_4arch9wavefront6targetE0EEEvSW_.kd
    .uniform_work_group_size: 1
    .uses_dynamic_stack: false
    .vgpr_count:     0
    .vgpr_spill_count: 0
    .wavefront_size: 32
    .workgroup_processor_mode: 1
  - .args:
      - .offset:         0
        .size:           56
        .value_kind:     by_value
      - .offset:         56
        .size:           4
        .value_kind:     hidden_block_count_x
      - .offset:         60
        .size:           4
        .value_kind:     hidden_block_count_y
      - .offset:         64
        .size:           4
        .value_kind:     hidden_block_count_z
      - .offset:         68
        .size:           2
        .value_kind:     hidden_group_size_x
      - .offset:         70
        .size:           2
        .value_kind:     hidden_group_size_y
      - .offset:         72
        .size:           2
        .value_kind:     hidden_group_size_z
      - .offset:         74
        .size:           2
        .value_kind:     hidden_remainder_x
      - .offset:         76
        .size:           2
        .value_kind:     hidden_remainder_y
      - .offset:         78
        .size:           2
        .value_kind:     hidden_remainder_z
      - .offset:         96
        .size:           8
        .value_kind:     hidden_global_offset_x
      - .offset:         104
        .size:           8
        .value_kind:     hidden_global_offset_y
      - .offset:         112
        .size:           8
        .value_kind:     hidden_global_offset_z
      - .offset:         120
        .size:           2
        .value_kind:     hidden_grid_dims
    .group_segment_fixed_size: 0
    .kernarg_segment_align: 8
    .kernarg_segment_size: 312
    .language:       OpenCL C
    .language_version:
      - 2
      - 0
    .max_flat_workgroup_size: 128
    .name:           _ZN7rocprim17ROCPRIM_400000_NS6detail17trampoline_kernelINS0_14default_configENS1_27lower_bound_config_selectorItlEEZNS1_14transform_implILb0ES3_S5_N6thrust23THRUST_200600_302600_NS6detail15normal_iteratorINS8_7pointerItNS8_11hip_rocprim5par_tENS8_11use_defaultESE_EEEENSA_INSB_IlSD_SE_SE_EEEEZNS1_13binary_searchIS3_S5_PtSG_SI_NS1_21lower_bound_search_opENS9_16wrapped_functionINS8_6system6detail7generic6detail18binary_search_lessEbEEEE10hipError_tPvRmT1_T2_T3_mmT4_T5_P12ihipStream_tbEUlRKtE_EEST_SX_SY_mSZ_S12_bEUlT_E_NS1_11comp_targetILNS1_3genE8ELNS1_11target_archE1030ELNS1_3gpuE2ELNS1_3repE0EEENS1_30default_config_static_selectorELNS0_4arch9wavefront6targetE0EEEvSW_
    .private_segment_fixed_size: 0
    .sgpr_count:     22
    .sgpr_spill_count: 0
    .symbol:         _ZN7rocprim17ROCPRIM_400000_NS6detail17trampoline_kernelINS0_14default_configENS1_27lower_bound_config_selectorItlEEZNS1_14transform_implILb0ES3_S5_N6thrust23THRUST_200600_302600_NS6detail15normal_iteratorINS8_7pointerItNS8_11hip_rocprim5par_tENS8_11use_defaultESE_EEEENSA_INSB_IlSD_SE_SE_EEEEZNS1_13binary_searchIS3_S5_PtSG_SI_NS1_21lower_bound_search_opENS9_16wrapped_functionINS8_6system6detail7generic6detail18binary_search_lessEbEEEE10hipError_tPvRmT1_T2_T3_mmT4_T5_P12ihipStream_tbEUlRKtE_EEST_SX_SY_mSZ_S12_bEUlT_E_NS1_11comp_targetILNS1_3genE8ELNS1_11target_archE1030ELNS1_3gpuE2ELNS1_3repE0EEENS1_30default_config_static_selectorELNS0_4arch9wavefront6targetE0EEEvSW_.kd
    .uniform_work_group_size: 1
    .uses_dynamic_stack: false
    .vgpr_count:     17
    .vgpr_spill_count: 0
    .wavefront_size: 32
    .workgroup_processor_mode: 1
  - .args:
      - .offset:         0
        .size:           16
        .value_kind:     by_value
      - .offset:         16
        .size:           8
        .value_kind:     by_value
      - .offset:         24
        .size:           8
        .value_kind:     by_value
    .group_segment_fixed_size: 0
    .kernarg_segment_align: 8
    .kernarg_segment_size: 32
    .language:       OpenCL C
    .language_version:
      - 2
      - 0
    .max_flat_workgroup_size: 256
    .name:           _ZN6thrust23THRUST_200600_302600_NS11hip_rocprim14__parallel_for6kernelILj256ENS1_20__uninitialized_fill7functorINS0_10device_ptrIxEExEEmLj1EEEvT0_T1_SA_
    .private_segment_fixed_size: 0
    .sgpr_count:     18
    .sgpr_spill_count: 0
    .symbol:         _ZN6thrust23THRUST_200600_302600_NS11hip_rocprim14__parallel_for6kernelILj256ENS1_20__uninitialized_fill7functorINS0_10device_ptrIxEExEEmLj1EEEvT0_T1_SA_.kd
    .uniform_work_group_size: 1
    .uses_dynamic_stack: false
    .vgpr_count:     5
    .vgpr_spill_count: 0
    .wavefront_size: 32
    .workgroup_processor_mode: 1
  - .args:
      - .offset:         0
        .size:           8
        .value_kind:     by_value
      - .address_space:  global
        .offset:         8
        .size:           8
        .value_kind:     global_buffer
      - .address_space:  global
        .offset:         16
        .size:           8
        .value_kind:     global_buffer
    .group_segment_fixed_size: 0
    .kernarg_segment_align: 8
    .kernarg_segment_size: 24
    .language:       OpenCL C
    .language_version:
      - 2
      - 0
    .max_flat_workgroup_size: 256
    .name:           _Z18lower_bound_kernelIxEvmPT_Pl
    .private_segment_fixed_size: 0
    .sgpr_count:     18
    .sgpr_spill_count: 0
    .symbol:         _Z18lower_bound_kernelIxEvmPT_Pl.kd
    .uniform_work_group_size: 1
    .uses_dynamic_stack: false
    .vgpr_count:     3
    .vgpr_spill_count: 0
    .wavefront_size: 32
    .workgroup_processor_mode: 1
  - .args:
      - .offset:         0
        .size:           56
        .value_kind:     by_value
    .group_segment_fixed_size: 0
    .kernarg_segment_align: 8
    .kernarg_segment_size: 56
    .language:       OpenCL C
    .language_version:
      - 2
      - 0
    .max_flat_workgroup_size: 128
    .name:           _ZN7rocprim17ROCPRIM_400000_NS6detail17trampoline_kernelINS0_14default_configENS1_27lower_bound_config_selectorIxlEEZNS1_14transform_implILb0ES3_S5_N6thrust23THRUST_200600_302600_NS6detail15normal_iteratorINS8_7pointerIxNS8_11hip_rocprim5par_tENS8_11use_defaultESE_EEEENSA_INSB_IlSD_SE_SE_EEEEZNS1_13binary_searchIS3_S5_PxSG_SI_NS1_21lower_bound_search_opENS9_16wrapped_functionI11custom_lessbEEEE10hipError_tPvRmT1_T2_T3_mmT4_T5_P12ihipStream_tbEUlRKxE_EESP_ST_SU_mSV_SY_bEUlT_E_NS1_11comp_targetILNS1_3genE0ELNS1_11target_archE4294967295ELNS1_3gpuE0ELNS1_3repE0EEENS1_30default_config_static_selectorELNS0_4arch9wavefront6targetE0EEEvSS_
    .private_segment_fixed_size: 0
    .sgpr_count:     0
    .sgpr_spill_count: 0
    .symbol:         _ZN7rocprim17ROCPRIM_400000_NS6detail17trampoline_kernelINS0_14default_configENS1_27lower_bound_config_selectorIxlEEZNS1_14transform_implILb0ES3_S5_N6thrust23THRUST_200600_302600_NS6detail15normal_iteratorINS8_7pointerIxNS8_11hip_rocprim5par_tENS8_11use_defaultESE_EEEENSA_INSB_IlSD_SE_SE_EEEEZNS1_13binary_searchIS3_S5_PxSG_SI_NS1_21lower_bound_search_opENS9_16wrapped_functionI11custom_lessbEEEE10hipError_tPvRmT1_T2_T3_mmT4_T5_P12ihipStream_tbEUlRKxE_EESP_ST_SU_mSV_SY_bEUlT_E_NS1_11comp_targetILNS1_3genE0ELNS1_11target_archE4294967295ELNS1_3gpuE0ELNS1_3repE0EEENS1_30default_config_static_selectorELNS0_4arch9wavefront6targetE0EEEvSS_.kd
    .uniform_work_group_size: 1
    .uses_dynamic_stack: false
    .vgpr_count:     0
    .vgpr_spill_count: 0
    .wavefront_size: 32
    .workgroup_processor_mode: 1
  - .args:
      - .offset:         0
        .size:           56
        .value_kind:     by_value
    .group_segment_fixed_size: 0
    .kernarg_segment_align: 8
    .kernarg_segment_size: 56
    .language:       OpenCL C
    .language_version:
      - 2
      - 0
    .max_flat_workgroup_size: 64
    .name:           _ZN7rocprim17ROCPRIM_400000_NS6detail17trampoline_kernelINS0_14default_configENS1_27lower_bound_config_selectorIxlEEZNS1_14transform_implILb0ES3_S5_N6thrust23THRUST_200600_302600_NS6detail15normal_iteratorINS8_7pointerIxNS8_11hip_rocprim5par_tENS8_11use_defaultESE_EEEENSA_INSB_IlSD_SE_SE_EEEEZNS1_13binary_searchIS3_S5_PxSG_SI_NS1_21lower_bound_search_opENS9_16wrapped_functionI11custom_lessbEEEE10hipError_tPvRmT1_T2_T3_mmT4_T5_P12ihipStream_tbEUlRKxE_EESP_ST_SU_mSV_SY_bEUlT_E_NS1_11comp_targetILNS1_3genE5ELNS1_11target_archE942ELNS1_3gpuE9ELNS1_3repE0EEENS1_30default_config_static_selectorELNS0_4arch9wavefront6targetE0EEEvSS_
    .private_segment_fixed_size: 0
    .sgpr_count:     0
    .sgpr_spill_count: 0
    .symbol:         _ZN7rocprim17ROCPRIM_400000_NS6detail17trampoline_kernelINS0_14default_configENS1_27lower_bound_config_selectorIxlEEZNS1_14transform_implILb0ES3_S5_N6thrust23THRUST_200600_302600_NS6detail15normal_iteratorINS8_7pointerIxNS8_11hip_rocprim5par_tENS8_11use_defaultESE_EEEENSA_INSB_IlSD_SE_SE_EEEEZNS1_13binary_searchIS3_S5_PxSG_SI_NS1_21lower_bound_search_opENS9_16wrapped_functionI11custom_lessbEEEE10hipError_tPvRmT1_T2_T3_mmT4_T5_P12ihipStream_tbEUlRKxE_EESP_ST_SU_mSV_SY_bEUlT_E_NS1_11comp_targetILNS1_3genE5ELNS1_11target_archE942ELNS1_3gpuE9ELNS1_3repE0EEENS1_30default_config_static_selectorELNS0_4arch9wavefront6targetE0EEEvSS_.kd
    .uniform_work_group_size: 1
    .uses_dynamic_stack: false
    .vgpr_count:     0
    .vgpr_spill_count: 0
    .wavefront_size: 32
    .workgroup_processor_mode: 1
  - .args:
      - .offset:         0
        .size:           56
        .value_kind:     by_value
    .group_segment_fixed_size: 0
    .kernarg_segment_align: 8
    .kernarg_segment_size: 56
    .language:       OpenCL C
    .language_version:
      - 2
      - 0
    .max_flat_workgroup_size: 64
    .name:           _ZN7rocprim17ROCPRIM_400000_NS6detail17trampoline_kernelINS0_14default_configENS1_27lower_bound_config_selectorIxlEEZNS1_14transform_implILb0ES3_S5_N6thrust23THRUST_200600_302600_NS6detail15normal_iteratorINS8_7pointerIxNS8_11hip_rocprim5par_tENS8_11use_defaultESE_EEEENSA_INSB_IlSD_SE_SE_EEEEZNS1_13binary_searchIS3_S5_PxSG_SI_NS1_21lower_bound_search_opENS9_16wrapped_functionI11custom_lessbEEEE10hipError_tPvRmT1_T2_T3_mmT4_T5_P12ihipStream_tbEUlRKxE_EESP_ST_SU_mSV_SY_bEUlT_E_NS1_11comp_targetILNS1_3genE4ELNS1_11target_archE910ELNS1_3gpuE8ELNS1_3repE0EEENS1_30default_config_static_selectorELNS0_4arch9wavefront6targetE0EEEvSS_
    .private_segment_fixed_size: 0
    .sgpr_count:     0
    .sgpr_spill_count: 0
    .symbol:         _ZN7rocprim17ROCPRIM_400000_NS6detail17trampoline_kernelINS0_14default_configENS1_27lower_bound_config_selectorIxlEEZNS1_14transform_implILb0ES3_S5_N6thrust23THRUST_200600_302600_NS6detail15normal_iteratorINS8_7pointerIxNS8_11hip_rocprim5par_tENS8_11use_defaultESE_EEEENSA_INSB_IlSD_SE_SE_EEEEZNS1_13binary_searchIS3_S5_PxSG_SI_NS1_21lower_bound_search_opENS9_16wrapped_functionI11custom_lessbEEEE10hipError_tPvRmT1_T2_T3_mmT4_T5_P12ihipStream_tbEUlRKxE_EESP_ST_SU_mSV_SY_bEUlT_E_NS1_11comp_targetILNS1_3genE4ELNS1_11target_archE910ELNS1_3gpuE8ELNS1_3repE0EEENS1_30default_config_static_selectorELNS0_4arch9wavefront6targetE0EEEvSS_.kd
    .uniform_work_group_size: 1
    .uses_dynamic_stack: false
    .vgpr_count:     0
    .vgpr_spill_count: 0
    .wavefront_size: 32
    .workgroup_processor_mode: 1
  - .args:
      - .offset:         0
        .size:           56
        .value_kind:     by_value
    .group_segment_fixed_size: 0
    .kernarg_segment_align: 8
    .kernarg_segment_size: 56
    .language:       OpenCL C
    .language_version:
      - 2
      - 0
    .max_flat_workgroup_size: 128
    .name:           _ZN7rocprim17ROCPRIM_400000_NS6detail17trampoline_kernelINS0_14default_configENS1_27lower_bound_config_selectorIxlEEZNS1_14transform_implILb0ES3_S5_N6thrust23THRUST_200600_302600_NS6detail15normal_iteratorINS8_7pointerIxNS8_11hip_rocprim5par_tENS8_11use_defaultESE_EEEENSA_INSB_IlSD_SE_SE_EEEEZNS1_13binary_searchIS3_S5_PxSG_SI_NS1_21lower_bound_search_opENS9_16wrapped_functionI11custom_lessbEEEE10hipError_tPvRmT1_T2_T3_mmT4_T5_P12ihipStream_tbEUlRKxE_EESP_ST_SU_mSV_SY_bEUlT_E_NS1_11comp_targetILNS1_3genE3ELNS1_11target_archE908ELNS1_3gpuE7ELNS1_3repE0EEENS1_30default_config_static_selectorELNS0_4arch9wavefront6targetE0EEEvSS_
    .private_segment_fixed_size: 0
    .sgpr_count:     0
    .sgpr_spill_count: 0
    .symbol:         _ZN7rocprim17ROCPRIM_400000_NS6detail17trampoline_kernelINS0_14default_configENS1_27lower_bound_config_selectorIxlEEZNS1_14transform_implILb0ES3_S5_N6thrust23THRUST_200600_302600_NS6detail15normal_iteratorINS8_7pointerIxNS8_11hip_rocprim5par_tENS8_11use_defaultESE_EEEENSA_INSB_IlSD_SE_SE_EEEEZNS1_13binary_searchIS3_S5_PxSG_SI_NS1_21lower_bound_search_opENS9_16wrapped_functionI11custom_lessbEEEE10hipError_tPvRmT1_T2_T3_mmT4_T5_P12ihipStream_tbEUlRKxE_EESP_ST_SU_mSV_SY_bEUlT_E_NS1_11comp_targetILNS1_3genE3ELNS1_11target_archE908ELNS1_3gpuE7ELNS1_3repE0EEENS1_30default_config_static_selectorELNS0_4arch9wavefront6targetE0EEEvSS_.kd
    .uniform_work_group_size: 1
    .uses_dynamic_stack: false
    .vgpr_count:     0
    .vgpr_spill_count: 0
    .wavefront_size: 32
    .workgroup_processor_mode: 1
  - .args:
      - .offset:         0
        .size:           56
        .value_kind:     by_value
    .group_segment_fixed_size: 0
    .kernarg_segment_align: 8
    .kernarg_segment_size: 56
    .language:       OpenCL C
    .language_version:
      - 2
      - 0
    .max_flat_workgroup_size: 256
    .name:           _ZN7rocprim17ROCPRIM_400000_NS6detail17trampoline_kernelINS0_14default_configENS1_27lower_bound_config_selectorIxlEEZNS1_14transform_implILb0ES3_S5_N6thrust23THRUST_200600_302600_NS6detail15normal_iteratorINS8_7pointerIxNS8_11hip_rocprim5par_tENS8_11use_defaultESE_EEEENSA_INSB_IlSD_SE_SE_EEEEZNS1_13binary_searchIS3_S5_PxSG_SI_NS1_21lower_bound_search_opENS9_16wrapped_functionI11custom_lessbEEEE10hipError_tPvRmT1_T2_T3_mmT4_T5_P12ihipStream_tbEUlRKxE_EESP_ST_SU_mSV_SY_bEUlT_E_NS1_11comp_targetILNS1_3genE2ELNS1_11target_archE906ELNS1_3gpuE6ELNS1_3repE0EEENS1_30default_config_static_selectorELNS0_4arch9wavefront6targetE0EEEvSS_
    .private_segment_fixed_size: 0
    .sgpr_count:     0
    .sgpr_spill_count: 0
    .symbol:         _ZN7rocprim17ROCPRIM_400000_NS6detail17trampoline_kernelINS0_14default_configENS1_27lower_bound_config_selectorIxlEEZNS1_14transform_implILb0ES3_S5_N6thrust23THRUST_200600_302600_NS6detail15normal_iteratorINS8_7pointerIxNS8_11hip_rocprim5par_tENS8_11use_defaultESE_EEEENSA_INSB_IlSD_SE_SE_EEEEZNS1_13binary_searchIS3_S5_PxSG_SI_NS1_21lower_bound_search_opENS9_16wrapped_functionI11custom_lessbEEEE10hipError_tPvRmT1_T2_T3_mmT4_T5_P12ihipStream_tbEUlRKxE_EESP_ST_SU_mSV_SY_bEUlT_E_NS1_11comp_targetILNS1_3genE2ELNS1_11target_archE906ELNS1_3gpuE6ELNS1_3repE0EEENS1_30default_config_static_selectorELNS0_4arch9wavefront6targetE0EEEvSS_.kd
    .uniform_work_group_size: 1
    .uses_dynamic_stack: false
    .vgpr_count:     0
    .vgpr_spill_count: 0
    .wavefront_size: 32
    .workgroup_processor_mode: 1
  - .args:
      - .offset:         0
        .size:           56
        .value_kind:     by_value
    .group_segment_fixed_size: 0
    .kernarg_segment_align: 8
    .kernarg_segment_size: 56
    .language:       OpenCL C
    .language_version:
      - 2
      - 0
    .max_flat_workgroup_size: 128
    .name:           _ZN7rocprim17ROCPRIM_400000_NS6detail17trampoline_kernelINS0_14default_configENS1_27lower_bound_config_selectorIxlEEZNS1_14transform_implILb0ES3_S5_N6thrust23THRUST_200600_302600_NS6detail15normal_iteratorINS8_7pointerIxNS8_11hip_rocprim5par_tENS8_11use_defaultESE_EEEENSA_INSB_IlSD_SE_SE_EEEEZNS1_13binary_searchIS3_S5_PxSG_SI_NS1_21lower_bound_search_opENS9_16wrapped_functionI11custom_lessbEEEE10hipError_tPvRmT1_T2_T3_mmT4_T5_P12ihipStream_tbEUlRKxE_EESP_ST_SU_mSV_SY_bEUlT_E_NS1_11comp_targetILNS1_3genE10ELNS1_11target_archE1201ELNS1_3gpuE5ELNS1_3repE0EEENS1_30default_config_static_selectorELNS0_4arch9wavefront6targetE0EEEvSS_
    .private_segment_fixed_size: 0
    .sgpr_count:     0
    .sgpr_spill_count: 0
    .symbol:         _ZN7rocprim17ROCPRIM_400000_NS6detail17trampoline_kernelINS0_14default_configENS1_27lower_bound_config_selectorIxlEEZNS1_14transform_implILb0ES3_S5_N6thrust23THRUST_200600_302600_NS6detail15normal_iteratorINS8_7pointerIxNS8_11hip_rocprim5par_tENS8_11use_defaultESE_EEEENSA_INSB_IlSD_SE_SE_EEEEZNS1_13binary_searchIS3_S5_PxSG_SI_NS1_21lower_bound_search_opENS9_16wrapped_functionI11custom_lessbEEEE10hipError_tPvRmT1_T2_T3_mmT4_T5_P12ihipStream_tbEUlRKxE_EESP_ST_SU_mSV_SY_bEUlT_E_NS1_11comp_targetILNS1_3genE10ELNS1_11target_archE1201ELNS1_3gpuE5ELNS1_3repE0EEENS1_30default_config_static_selectorELNS0_4arch9wavefront6targetE0EEEvSS_.kd
    .uniform_work_group_size: 1
    .uses_dynamic_stack: false
    .vgpr_count:     0
    .vgpr_spill_count: 0
    .wavefront_size: 32
    .workgroup_processor_mode: 1
  - .args:
      - .offset:         0
        .size:           56
        .value_kind:     by_value
    .group_segment_fixed_size: 0
    .kernarg_segment_align: 8
    .kernarg_segment_size: 56
    .language:       OpenCL C
    .language_version:
      - 2
      - 0
    .max_flat_workgroup_size: 128
    .name:           _ZN7rocprim17ROCPRIM_400000_NS6detail17trampoline_kernelINS0_14default_configENS1_27lower_bound_config_selectorIxlEEZNS1_14transform_implILb0ES3_S5_N6thrust23THRUST_200600_302600_NS6detail15normal_iteratorINS8_7pointerIxNS8_11hip_rocprim5par_tENS8_11use_defaultESE_EEEENSA_INSB_IlSD_SE_SE_EEEEZNS1_13binary_searchIS3_S5_PxSG_SI_NS1_21lower_bound_search_opENS9_16wrapped_functionI11custom_lessbEEEE10hipError_tPvRmT1_T2_T3_mmT4_T5_P12ihipStream_tbEUlRKxE_EESP_ST_SU_mSV_SY_bEUlT_E_NS1_11comp_targetILNS1_3genE10ELNS1_11target_archE1200ELNS1_3gpuE4ELNS1_3repE0EEENS1_30default_config_static_selectorELNS0_4arch9wavefront6targetE0EEEvSS_
    .private_segment_fixed_size: 0
    .sgpr_count:     0
    .sgpr_spill_count: 0
    .symbol:         _ZN7rocprim17ROCPRIM_400000_NS6detail17trampoline_kernelINS0_14default_configENS1_27lower_bound_config_selectorIxlEEZNS1_14transform_implILb0ES3_S5_N6thrust23THRUST_200600_302600_NS6detail15normal_iteratorINS8_7pointerIxNS8_11hip_rocprim5par_tENS8_11use_defaultESE_EEEENSA_INSB_IlSD_SE_SE_EEEEZNS1_13binary_searchIS3_S5_PxSG_SI_NS1_21lower_bound_search_opENS9_16wrapped_functionI11custom_lessbEEEE10hipError_tPvRmT1_T2_T3_mmT4_T5_P12ihipStream_tbEUlRKxE_EESP_ST_SU_mSV_SY_bEUlT_E_NS1_11comp_targetILNS1_3genE10ELNS1_11target_archE1200ELNS1_3gpuE4ELNS1_3repE0EEENS1_30default_config_static_selectorELNS0_4arch9wavefront6targetE0EEEvSS_.kd
    .uniform_work_group_size: 1
    .uses_dynamic_stack: false
    .vgpr_count:     0
    .vgpr_spill_count: 0
    .wavefront_size: 32
    .workgroup_processor_mode: 1
  - .args:
      - .offset:         0
        .size:           56
        .value_kind:     by_value
    .group_segment_fixed_size: 0
    .kernarg_segment_align: 8
    .kernarg_segment_size: 56
    .language:       OpenCL C
    .language_version:
      - 2
      - 0
    .max_flat_workgroup_size: 256
    .name:           _ZN7rocprim17ROCPRIM_400000_NS6detail17trampoline_kernelINS0_14default_configENS1_27lower_bound_config_selectorIxlEEZNS1_14transform_implILb0ES3_S5_N6thrust23THRUST_200600_302600_NS6detail15normal_iteratorINS8_7pointerIxNS8_11hip_rocprim5par_tENS8_11use_defaultESE_EEEENSA_INSB_IlSD_SE_SE_EEEEZNS1_13binary_searchIS3_S5_PxSG_SI_NS1_21lower_bound_search_opENS9_16wrapped_functionI11custom_lessbEEEE10hipError_tPvRmT1_T2_T3_mmT4_T5_P12ihipStream_tbEUlRKxE_EESP_ST_SU_mSV_SY_bEUlT_E_NS1_11comp_targetILNS1_3genE9ELNS1_11target_archE1100ELNS1_3gpuE3ELNS1_3repE0EEENS1_30default_config_static_selectorELNS0_4arch9wavefront6targetE0EEEvSS_
    .private_segment_fixed_size: 0
    .sgpr_count:     0
    .sgpr_spill_count: 0
    .symbol:         _ZN7rocprim17ROCPRIM_400000_NS6detail17trampoline_kernelINS0_14default_configENS1_27lower_bound_config_selectorIxlEEZNS1_14transform_implILb0ES3_S5_N6thrust23THRUST_200600_302600_NS6detail15normal_iteratorINS8_7pointerIxNS8_11hip_rocprim5par_tENS8_11use_defaultESE_EEEENSA_INSB_IlSD_SE_SE_EEEEZNS1_13binary_searchIS3_S5_PxSG_SI_NS1_21lower_bound_search_opENS9_16wrapped_functionI11custom_lessbEEEE10hipError_tPvRmT1_T2_T3_mmT4_T5_P12ihipStream_tbEUlRKxE_EESP_ST_SU_mSV_SY_bEUlT_E_NS1_11comp_targetILNS1_3genE9ELNS1_11target_archE1100ELNS1_3gpuE3ELNS1_3repE0EEENS1_30default_config_static_selectorELNS0_4arch9wavefront6targetE0EEEvSS_.kd
    .uniform_work_group_size: 1
    .uses_dynamic_stack: false
    .vgpr_count:     0
    .vgpr_spill_count: 0
    .wavefront_size: 32
    .workgroup_processor_mode: 1
  - .args:
      - .offset:         0
        .size:           56
        .value_kind:     by_value
      - .offset:         56
        .size:           4
        .value_kind:     hidden_block_count_x
      - .offset:         60
        .size:           4
        .value_kind:     hidden_block_count_y
      - .offset:         64
        .size:           4
        .value_kind:     hidden_block_count_z
      - .offset:         68
        .size:           2
        .value_kind:     hidden_group_size_x
      - .offset:         70
        .size:           2
        .value_kind:     hidden_group_size_y
      - .offset:         72
        .size:           2
        .value_kind:     hidden_group_size_z
      - .offset:         74
        .size:           2
        .value_kind:     hidden_remainder_x
      - .offset:         76
        .size:           2
        .value_kind:     hidden_remainder_y
      - .offset:         78
        .size:           2
        .value_kind:     hidden_remainder_z
      - .offset:         96
        .size:           8
        .value_kind:     hidden_global_offset_x
      - .offset:         104
        .size:           8
        .value_kind:     hidden_global_offset_y
      - .offset:         112
        .size:           8
        .value_kind:     hidden_global_offset_z
      - .offset:         120
        .size:           2
        .value_kind:     hidden_grid_dims
    .group_segment_fixed_size: 0
    .kernarg_segment_align: 8
    .kernarg_segment_size: 312
    .language:       OpenCL C
    .language_version:
      - 2
      - 0
    .max_flat_workgroup_size: 256
    .name:           _ZN7rocprim17ROCPRIM_400000_NS6detail17trampoline_kernelINS0_14default_configENS1_27lower_bound_config_selectorIxlEEZNS1_14transform_implILb0ES3_S5_N6thrust23THRUST_200600_302600_NS6detail15normal_iteratorINS8_7pointerIxNS8_11hip_rocprim5par_tENS8_11use_defaultESE_EEEENSA_INSB_IlSD_SE_SE_EEEEZNS1_13binary_searchIS3_S5_PxSG_SI_NS1_21lower_bound_search_opENS9_16wrapped_functionI11custom_lessbEEEE10hipError_tPvRmT1_T2_T3_mmT4_T5_P12ihipStream_tbEUlRKxE_EESP_ST_SU_mSV_SY_bEUlT_E_NS1_11comp_targetILNS1_3genE8ELNS1_11target_archE1030ELNS1_3gpuE2ELNS1_3repE0EEENS1_30default_config_static_selectorELNS0_4arch9wavefront6targetE0EEEvSS_
    .private_segment_fixed_size: 0
    .sgpr_count:     22
    .sgpr_spill_count: 0
    .symbol:         _ZN7rocprim17ROCPRIM_400000_NS6detail17trampoline_kernelINS0_14default_configENS1_27lower_bound_config_selectorIxlEEZNS1_14transform_implILb0ES3_S5_N6thrust23THRUST_200600_302600_NS6detail15normal_iteratorINS8_7pointerIxNS8_11hip_rocprim5par_tENS8_11use_defaultESE_EEEENSA_INSB_IlSD_SE_SE_EEEEZNS1_13binary_searchIS3_S5_PxSG_SI_NS1_21lower_bound_search_opENS9_16wrapped_functionI11custom_lessbEEEE10hipError_tPvRmT1_T2_T3_mmT4_T5_P12ihipStream_tbEUlRKxE_EESP_ST_SU_mSV_SY_bEUlT_E_NS1_11comp_targetILNS1_3genE8ELNS1_11target_archE1030ELNS1_3gpuE2ELNS1_3repE0EEENS1_30default_config_static_selectorELNS0_4arch9wavefront6targetE0EEEvSS_.kd
    .uniform_work_group_size: 1
    .uses_dynamic_stack: false
    .vgpr_count:     12
    .vgpr_spill_count: 0
    .wavefront_size: 32
    .workgroup_processor_mode: 1
  - .args:
      - .offset:         0
        .size:           56
        .value_kind:     by_value
    .group_segment_fixed_size: 0
    .kernarg_segment_align: 8
    .kernarg_segment_size: 56
    .language:       OpenCL C
    .language_version:
      - 2
      - 0
    .max_flat_workgroup_size: 128
    .name:           _ZN7rocprim17ROCPRIM_400000_NS6detail17trampoline_kernelINS0_14default_configENS1_27lower_bound_config_selectorIxlEEZNS1_14transform_implILb0ES3_S5_N6thrust23THRUST_200600_302600_NS6detail15normal_iteratorINS8_7pointerIxNS8_11hip_rocprim5par_tENS8_11use_defaultESE_EEEENSA_INSB_IlSD_SE_SE_EEEEZNS1_13binary_searchIS3_S5_PxSG_SI_NS1_21lower_bound_search_opENS9_16wrapped_functionINS8_6system6detail7generic6detail18binary_search_lessEbEEEE10hipError_tPvRmT1_T2_T3_mmT4_T5_P12ihipStream_tbEUlRKxE_EEST_SX_SY_mSZ_S12_bEUlT_E_NS1_11comp_targetILNS1_3genE0ELNS1_11target_archE4294967295ELNS1_3gpuE0ELNS1_3repE0EEENS1_30default_config_static_selectorELNS0_4arch9wavefront6targetE0EEEvSW_
    .private_segment_fixed_size: 0
    .sgpr_count:     0
    .sgpr_spill_count: 0
    .symbol:         _ZN7rocprim17ROCPRIM_400000_NS6detail17trampoline_kernelINS0_14default_configENS1_27lower_bound_config_selectorIxlEEZNS1_14transform_implILb0ES3_S5_N6thrust23THRUST_200600_302600_NS6detail15normal_iteratorINS8_7pointerIxNS8_11hip_rocprim5par_tENS8_11use_defaultESE_EEEENSA_INSB_IlSD_SE_SE_EEEEZNS1_13binary_searchIS3_S5_PxSG_SI_NS1_21lower_bound_search_opENS9_16wrapped_functionINS8_6system6detail7generic6detail18binary_search_lessEbEEEE10hipError_tPvRmT1_T2_T3_mmT4_T5_P12ihipStream_tbEUlRKxE_EEST_SX_SY_mSZ_S12_bEUlT_E_NS1_11comp_targetILNS1_3genE0ELNS1_11target_archE4294967295ELNS1_3gpuE0ELNS1_3repE0EEENS1_30default_config_static_selectorELNS0_4arch9wavefront6targetE0EEEvSW_.kd
    .uniform_work_group_size: 1
    .uses_dynamic_stack: false
    .vgpr_count:     0
    .vgpr_spill_count: 0
    .wavefront_size: 32
    .workgroup_processor_mode: 1
  - .args:
      - .offset:         0
        .size:           56
        .value_kind:     by_value
    .group_segment_fixed_size: 0
    .kernarg_segment_align: 8
    .kernarg_segment_size: 56
    .language:       OpenCL C
    .language_version:
      - 2
      - 0
    .max_flat_workgroup_size: 64
    .name:           _ZN7rocprim17ROCPRIM_400000_NS6detail17trampoline_kernelINS0_14default_configENS1_27lower_bound_config_selectorIxlEEZNS1_14transform_implILb0ES3_S5_N6thrust23THRUST_200600_302600_NS6detail15normal_iteratorINS8_7pointerIxNS8_11hip_rocprim5par_tENS8_11use_defaultESE_EEEENSA_INSB_IlSD_SE_SE_EEEEZNS1_13binary_searchIS3_S5_PxSG_SI_NS1_21lower_bound_search_opENS9_16wrapped_functionINS8_6system6detail7generic6detail18binary_search_lessEbEEEE10hipError_tPvRmT1_T2_T3_mmT4_T5_P12ihipStream_tbEUlRKxE_EEST_SX_SY_mSZ_S12_bEUlT_E_NS1_11comp_targetILNS1_3genE5ELNS1_11target_archE942ELNS1_3gpuE9ELNS1_3repE0EEENS1_30default_config_static_selectorELNS0_4arch9wavefront6targetE0EEEvSW_
    .private_segment_fixed_size: 0
    .sgpr_count:     0
    .sgpr_spill_count: 0
    .symbol:         _ZN7rocprim17ROCPRIM_400000_NS6detail17trampoline_kernelINS0_14default_configENS1_27lower_bound_config_selectorIxlEEZNS1_14transform_implILb0ES3_S5_N6thrust23THRUST_200600_302600_NS6detail15normal_iteratorINS8_7pointerIxNS8_11hip_rocprim5par_tENS8_11use_defaultESE_EEEENSA_INSB_IlSD_SE_SE_EEEEZNS1_13binary_searchIS3_S5_PxSG_SI_NS1_21lower_bound_search_opENS9_16wrapped_functionINS8_6system6detail7generic6detail18binary_search_lessEbEEEE10hipError_tPvRmT1_T2_T3_mmT4_T5_P12ihipStream_tbEUlRKxE_EEST_SX_SY_mSZ_S12_bEUlT_E_NS1_11comp_targetILNS1_3genE5ELNS1_11target_archE942ELNS1_3gpuE9ELNS1_3repE0EEENS1_30default_config_static_selectorELNS0_4arch9wavefront6targetE0EEEvSW_.kd
    .uniform_work_group_size: 1
    .uses_dynamic_stack: false
    .vgpr_count:     0
    .vgpr_spill_count: 0
    .wavefront_size: 32
    .workgroup_processor_mode: 1
  - .args:
      - .offset:         0
        .size:           56
        .value_kind:     by_value
    .group_segment_fixed_size: 0
    .kernarg_segment_align: 8
    .kernarg_segment_size: 56
    .language:       OpenCL C
    .language_version:
      - 2
      - 0
    .max_flat_workgroup_size: 64
    .name:           _ZN7rocprim17ROCPRIM_400000_NS6detail17trampoline_kernelINS0_14default_configENS1_27lower_bound_config_selectorIxlEEZNS1_14transform_implILb0ES3_S5_N6thrust23THRUST_200600_302600_NS6detail15normal_iteratorINS8_7pointerIxNS8_11hip_rocprim5par_tENS8_11use_defaultESE_EEEENSA_INSB_IlSD_SE_SE_EEEEZNS1_13binary_searchIS3_S5_PxSG_SI_NS1_21lower_bound_search_opENS9_16wrapped_functionINS8_6system6detail7generic6detail18binary_search_lessEbEEEE10hipError_tPvRmT1_T2_T3_mmT4_T5_P12ihipStream_tbEUlRKxE_EEST_SX_SY_mSZ_S12_bEUlT_E_NS1_11comp_targetILNS1_3genE4ELNS1_11target_archE910ELNS1_3gpuE8ELNS1_3repE0EEENS1_30default_config_static_selectorELNS0_4arch9wavefront6targetE0EEEvSW_
    .private_segment_fixed_size: 0
    .sgpr_count:     0
    .sgpr_spill_count: 0
    .symbol:         _ZN7rocprim17ROCPRIM_400000_NS6detail17trampoline_kernelINS0_14default_configENS1_27lower_bound_config_selectorIxlEEZNS1_14transform_implILb0ES3_S5_N6thrust23THRUST_200600_302600_NS6detail15normal_iteratorINS8_7pointerIxNS8_11hip_rocprim5par_tENS8_11use_defaultESE_EEEENSA_INSB_IlSD_SE_SE_EEEEZNS1_13binary_searchIS3_S5_PxSG_SI_NS1_21lower_bound_search_opENS9_16wrapped_functionINS8_6system6detail7generic6detail18binary_search_lessEbEEEE10hipError_tPvRmT1_T2_T3_mmT4_T5_P12ihipStream_tbEUlRKxE_EEST_SX_SY_mSZ_S12_bEUlT_E_NS1_11comp_targetILNS1_3genE4ELNS1_11target_archE910ELNS1_3gpuE8ELNS1_3repE0EEENS1_30default_config_static_selectorELNS0_4arch9wavefront6targetE0EEEvSW_.kd
    .uniform_work_group_size: 1
    .uses_dynamic_stack: false
    .vgpr_count:     0
    .vgpr_spill_count: 0
    .wavefront_size: 32
    .workgroup_processor_mode: 1
  - .args:
      - .offset:         0
        .size:           56
        .value_kind:     by_value
    .group_segment_fixed_size: 0
    .kernarg_segment_align: 8
    .kernarg_segment_size: 56
    .language:       OpenCL C
    .language_version:
      - 2
      - 0
    .max_flat_workgroup_size: 128
    .name:           _ZN7rocprim17ROCPRIM_400000_NS6detail17trampoline_kernelINS0_14default_configENS1_27lower_bound_config_selectorIxlEEZNS1_14transform_implILb0ES3_S5_N6thrust23THRUST_200600_302600_NS6detail15normal_iteratorINS8_7pointerIxNS8_11hip_rocprim5par_tENS8_11use_defaultESE_EEEENSA_INSB_IlSD_SE_SE_EEEEZNS1_13binary_searchIS3_S5_PxSG_SI_NS1_21lower_bound_search_opENS9_16wrapped_functionINS8_6system6detail7generic6detail18binary_search_lessEbEEEE10hipError_tPvRmT1_T2_T3_mmT4_T5_P12ihipStream_tbEUlRKxE_EEST_SX_SY_mSZ_S12_bEUlT_E_NS1_11comp_targetILNS1_3genE3ELNS1_11target_archE908ELNS1_3gpuE7ELNS1_3repE0EEENS1_30default_config_static_selectorELNS0_4arch9wavefront6targetE0EEEvSW_
    .private_segment_fixed_size: 0
    .sgpr_count:     0
    .sgpr_spill_count: 0
    .symbol:         _ZN7rocprim17ROCPRIM_400000_NS6detail17trampoline_kernelINS0_14default_configENS1_27lower_bound_config_selectorIxlEEZNS1_14transform_implILb0ES3_S5_N6thrust23THRUST_200600_302600_NS6detail15normal_iteratorINS8_7pointerIxNS8_11hip_rocprim5par_tENS8_11use_defaultESE_EEEENSA_INSB_IlSD_SE_SE_EEEEZNS1_13binary_searchIS3_S5_PxSG_SI_NS1_21lower_bound_search_opENS9_16wrapped_functionINS8_6system6detail7generic6detail18binary_search_lessEbEEEE10hipError_tPvRmT1_T2_T3_mmT4_T5_P12ihipStream_tbEUlRKxE_EEST_SX_SY_mSZ_S12_bEUlT_E_NS1_11comp_targetILNS1_3genE3ELNS1_11target_archE908ELNS1_3gpuE7ELNS1_3repE0EEENS1_30default_config_static_selectorELNS0_4arch9wavefront6targetE0EEEvSW_.kd
    .uniform_work_group_size: 1
    .uses_dynamic_stack: false
    .vgpr_count:     0
    .vgpr_spill_count: 0
    .wavefront_size: 32
    .workgroup_processor_mode: 1
  - .args:
      - .offset:         0
        .size:           56
        .value_kind:     by_value
    .group_segment_fixed_size: 0
    .kernarg_segment_align: 8
    .kernarg_segment_size: 56
    .language:       OpenCL C
    .language_version:
      - 2
      - 0
    .max_flat_workgroup_size: 256
    .name:           _ZN7rocprim17ROCPRIM_400000_NS6detail17trampoline_kernelINS0_14default_configENS1_27lower_bound_config_selectorIxlEEZNS1_14transform_implILb0ES3_S5_N6thrust23THRUST_200600_302600_NS6detail15normal_iteratorINS8_7pointerIxNS8_11hip_rocprim5par_tENS8_11use_defaultESE_EEEENSA_INSB_IlSD_SE_SE_EEEEZNS1_13binary_searchIS3_S5_PxSG_SI_NS1_21lower_bound_search_opENS9_16wrapped_functionINS8_6system6detail7generic6detail18binary_search_lessEbEEEE10hipError_tPvRmT1_T2_T3_mmT4_T5_P12ihipStream_tbEUlRKxE_EEST_SX_SY_mSZ_S12_bEUlT_E_NS1_11comp_targetILNS1_3genE2ELNS1_11target_archE906ELNS1_3gpuE6ELNS1_3repE0EEENS1_30default_config_static_selectorELNS0_4arch9wavefront6targetE0EEEvSW_
    .private_segment_fixed_size: 0
    .sgpr_count:     0
    .sgpr_spill_count: 0
    .symbol:         _ZN7rocprim17ROCPRIM_400000_NS6detail17trampoline_kernelINS0_14default_configENS1_27lower_bound_config_selectorIxlEEZNS1_14transform_implILb0ES3_S5_N6thrust23THRUST_200600_302600_NS6detail15normal_iteratorINS8_7pointerIxNS8_11hip_rocprim5par_tENS8_11use_defaultESE_EEEENSA_INSB_IlSD_SE_SE_EEEEZNS1_13binary_searchIS3_S5_PxSG_SI_NS1_21lower_bound_search_opENS9_16wrapped_functionINS8_6system6detail7generic6detail18binary_search_lessEbEEEE10hipError_tPvRmT1_T2_T3_mmT4_T5_P12ihipStream_tbEUlRKxE_EEST_SX_SY_mSZ_S12_bEUlT_E_NS1_11comp_targetILNS1_3genE2ELNS1_11target_archE906ELNS1_3gpuE6ELNS1_3repE0EEENS1_30default_config_static_selectorELNS0_4arch9wavefront6targetE0EEEvSW_.kd
    .uniform_work_group_size: 1
    .uses_dynamic_stack: false
    .vgpr_count:     0
    .vgpr_spill_count: 0
    .wavefront_size: 32
    .workgroup_processor_mode: 1
  - .args:
      - .offset:         0
        .size:           56
        .value_kind:     by_value
    .group_segment_fixed_size: 0
    .kernarg_segment_align: 8
    .kernarg_segment_size: 56
    .language:       OpenCL C
    .language_version:
      - 2
      - 0
    .max_flat_workgroup_size: 128
    .name:           _ZN7rocprim17ROCPRIM_400000_NS6detail17trampoline_kernelINS0_14default_configENS1_27lower_bound_config_selectorIxlEEZNS1_14transform_implILb0ES3_S5_N6thrust23THRUST_200600_302600_NS6detail15normal_iteratorINS8_7pointerIxNS8_11hip_rocprim5par_tENS8_11use_defaultESE_EEEENSA_INSB_IlSD_SE_SE_EEEEZNS1_13binary_searchIS3_S5_PxSG_SI_NS1_21lower_bound_search_opENS9_16wrapped_functionINS8_6system6detail7generic6detail18binary_search_lessEbEEEE10hipError_tPvRmT1_T2_T3_mmT4_T5_P12ihipStream_tbEUlRKxE_EEST_SX_SY_mSZ_S12_bEUlT_E_NS1_11comp_targetILNS1_3genE10ELNS1_11target_archE1201ELNS1_3gpuE5ELNS1_3repE0EEENS1_30default_config_static_selectorELNS0_4arch9wavefront6targetE0EEEvSW_
    .private_segment_fixed_size: 0
    .sgpr_count:     0
    .sgpr_spill_count: 0
    .symbol:         _ZN7rocprim17ROCPRIM_400000_NS6detail17trampoline_kernelINS0_14default_configENS1_27lower_bound_config_selectorIxlEEZNS1_14transform_implILb0ES3_S5_N6thrust23THRUST_200600_302600_NS6detail15normal_iteratorINS8_7pointerIxNS8_11hip_rocprim5par_tENS8_11use_defaultESE_EEEENSA_INSB_IlSD_SE_SE_EEEEZNS1_13binary_searchIS3_S5_PxSG_SI_NS1_21lower_bound_search_opENS9_16wrapped_functionINS8_6system6detail7generic6detail18binary_search_lessEbEEEE10hipError_tPvRmT1_T2_T3_mmT4_T5_P12ihipStream_tbEUlRKxE_EEST_SX_SY_mSZ_S12_bEUlT_E_NS1_11comp_targetILNS1_3genE10ELNS1_11target_archE1201ELNS1_3gpuE5ELNS1_3repE0EEENS1_30default_config_static_selectorELNS0_4arch9wavefront6targetE0EEEvSW_.kd
    .uniform_work_group_size: 1
    .uses_dynamic_stack: false
    .vgpr_count:     0
    .vgpr_spill_count: 0
    .wavefront_size: 32
    .workgroup_processor_mode: 1
  - .args:
      - .offset:         0
        .size:           56
        .value_kind:     by_value
    .group_segment_fixed_size: 0
    .kernarg_segment_align: 8
    .kernarg_segment_size: 56
    .language:       OpenCL C
    .language_version:
      - 2
      - 0
    .max_flat_workgroup_size: 128
    .name:           _ZN7rocprim17ROCPRIM_400000_NS6detail17trampoline_kernelINS0_14default_configENS1_27lower_bound_config_selectorIxlEEZNS1_14transform_implILb0ES3_S5_N6thrust23THRUST_200600_302600_NS6detail15normal_iteratorINS8_7pointerIxNS8_11hip_rocprim5par_tENS8_11use_defaultESE_EEEENSA_INSB_IlSD_SE_SE_EEEEZNS1_13binary_searchIS3_S5_PxSG_SI_NS1_21lower_bound_search_opENS9_16wrapped_functionINS8_6system6detail7generic6detail18binary_search_lessEbEEEE10hipError_tPvRmT1_T2_T3_mmT4_T5_P12ihipStream_tbEUlRKxE_EEST_SX_SY_mSZ_S12_bEUlT_E_NS1_11comp_targetILNS1_3genE10ELNS1_11target_archE1200ELNS1_3gpuE4ELNS1_3repE0EEENS1_30default_config_static_selectorELNS0_4arch9wavefront6targetE0EEEvSW_
    .private_segment_fixed_size: 0
    .sgpr_count:     0
    .sgpr_spill_count: 0
    .symbol:         _ZN7rocprim17ROCPRIM_400000_NS6detail17trampoline_kernelINS0_14default_configENS1_27lower_bound_config_selectorIxlEEZNS1_14transform_implILb0ES3_S5_N6thrust23THRUST_200600_302600_NS6detail15normal_iteratorINS8_7pointerIxNS8_11hip_rocprim5par_tENS8_11use_defaultESE_EEEENSA_INSB_IlSD_SE_SE_EEEEZNS1_13binary_searchIS3_S5_PxSG_SI_NS1_21lower_bound_search_opENS9_16wrapped_functionINS8_6system6detail7generic6detail18binary_search_lessEbEEEE10hipError_tPvRmT1_T2_T3_mmT4_T5_P12ihipStream_tbEUlRKxE_EEST_SX_SY_mSZ_S12_bEUlT_E_NS1_11comp_targetILNS1_3genE10ELNS1_11target_archE1200ELNS1_3gpuE4ELNS1_3repE0EEENS1_30default_config_static_selectorELNS0_4arch9wavefront6targetE0EEEvSW_.kd
    .uniform_work_group_size: 1
    .uses_dynamic_stack: false
    .vgpr_count:     0
    .vgpr_spill_count: 0
    .wavefront_size: 32
    .workgroup_processor_mode: 1
  - .args:
      - .offset:         0
        .size:           56
        .value_kind:     by_value
    .group_segment_fixed_size: 0
    .kernarg_segment_align: 8
    .kernarg_segment_size: 56
    .language:       OpenCL C
    .language_version:
      - 2
      - 0
    .max_flat_workgroup_size: 256
    .name:           _ZN7rocprim17ROCPRIM_400000_NS6detail17trampoline_kernelINS0_14default_configENS1_27lower_bound_config_selectorIxlEEZNS1_14transform_implILb0ES3_S5_N6thrust23THRUST_200600_302600_NS6detail15normal_iteratorINS8_7pointerIxNS8_11hip_rocprim5par_tENS8_11use_defaultESE_EEEENSA_INSB_IlSD_SE_SE_EEEEZNS1_13binary_searchIS3_S5_PxSG_SI_NS1_21lower_bound_search_opENS9_16wrapped_functionINS8_6system6detail7generic6detail18binary_search_lessEbEEEE10hipError_tPvRmT1_T2_T3_mmT4_T5_P12ihipStream_tbEUlRKxE_EEST_SX_SY_mSZ_S12_bEUlT_E_NS1_11comp_targetILNS1_3genE9ELNS1_11target_archE1100ELNS1_3gpuE3ELNS1_3repE0EEENS1_30default_config_static_selectorELNS0_4arch9wavefront6targetE0EEEvSW_
    .private_segment_fixed_size: 0
    .sgpr_count:     0
    .sgpr_spill_count: 0
    .symbol:         _ZN7rocprim17ROCPRIM_400000_NS6detail17trampoline_kernelINS0_14default_configENS1_27lower_bound_config_selectorIxlEEZNS1_14transform_implILb0ES3_S5_N6thrust23THRUST_200600_302600_NS6detail15normal_iteratorINS8_7pointerIxNS8_11hip_rocprim5par_tENS8_11use_defaultESE_EEEENSA_INSB_IlSD_SE_SE_EEEEZNS1_13binary_searchIS3_S5_PxSG_SI_NS1_21lower_bound_search_opENS9_16wrapped_functionINS8_6system6detail7generic6detail18binary_search_lessEbEEEE10hipError_tPvRmT1_T2_T3_mmT4_T5_P12ihipStream_tbEUlRKxE_EEST_SX_SY_mSZ_S12_bEUlT_E_NS1_11comp_targetILNS1_3genE9ELNS1_11target_archE1100ELNS1_3gpuE3ELNS1_3repE0EEENS1_30default_config_static_selectorELNS0_4arch9wavefront6targetE0EEEvSW_.kd
    .uniform_work_group_size: 1
    .uses_dynamic_stack: false
    .vgpr_count:     0
    .vgpr_spill_count: 0
    .wavefront_size: 32
    .workgroup_processor_mode: 1
  - .args:
      - .offset:         0
        .size:           56
        .value_kind:     by_value
      - .offset:         56
        .size:           4
        .value_kind:     hidden_block_count_x
      - .offset:         60
        .size:           4
        .value_kind:     hidden_block_count_y
      - .offset:         64
        .size:           4
        .value_kind:     hidden_block_count_z
      - .offset:         68
        .size:           2
        .value_kind:     hidden_group_size_x
      - .offset:         70
        .size:           2
        .value_kind:     hidden_group_size_y
      - .offset:         72
        .size:           2
        .value_kind:     hidden_group_size_z
      - .offset:         74
        .size:           2
        .value_kind:     hidden_remainder_x
      - .offset:         76
        .size:           2
        .value_kind:     hidden_remainder_y
      - .offset:         78
        .size:           2
        .value_kind:     hidden_remainder_z
      - .offset:         96
        .size:           8
        .value_kind:     hidden_global_offset_x
      - .offset:         104
        .size:           8
        .value_kind:     hidden_global_offset_y
      - .offset:         112
        .size:           8
        .value_kind:     hidden_global_offset_z
      - .offset:         120
        .size:           2
        .value_kind:     hidden_grid_dims
    .group_segment_fixed_size: 0
    .kernarg_segment_align: 8
    .kernarg_segment_size: 312
    .language:       OpenCL C
    .language_version:
      - 2
      - 0
    .max_flat_workgroup_size: 256
    .name:           _ZN7rocprim17ROCPRIM_400000_NS6detail17trampoline_kernelINS0_14default_configENS1_27lower_bound_config_selectorIxlEEZNS1_14transform_implILb0ES3_S5_N6thrust23THRUST_200600_302600_NS6detail15normal_iteratorINS8_7pointerIxNS8_11hip_rocprim5par_tENS8_11use_defaultESE_EEEENSA_INSB_IlSD_SE_SE_EEEEZNS1_13binary_searchIS3_S5_PxSG_SI_NS1_21lower_bound_search_opENS9_16wrapped_functionINS8_6system6detail7generic6detail18binary_search_lessEbEEEE10hipError_tPvRmT1_T2_T3_mmT4_T5_P12ihipStream_tbEUlRKxE_EEST_SX_SY_mSZ_S12_bEUlT_E_NS1_11comp_targetILNS1_3genE8ELNS1_11target_archE1030ELNS1_3gpuE2ELNS1_3repE0EEENS1_30default_config_static_selectorELNS0_4arch9wavefront6targetE0EEEvSW_
    .private_segment_fixed_size: 0
    .sgpr_count:     22
    .sgpr_spill_count: 0
    .symbol:         _ZN7rocprim17ROCPRIM_400000_NS6detail17trampoline_kernelINS0_14default_configENS1_27lower_bound_config_selectorIxlEEZNS1_14transform_implILb0ES3_S5_N6thrust23THRUST_200600_302600_NS6detail15normal_iteratorINS8_7pointerIxNS8_11hip_rocprim5par_tENS8_11use_defaultESE_EEEENSA_INSB_IlSD_SE_SE_EEEEZNS1_13binary_searchIS3_S5_PxSG_SI_NS1_21lower_bound_search_opENS9_16wrapped_functionINS8_6system6detail7generic6detail18binary_search_lessEbEEEE10hipError_tPvRmT1_T2_T3_mmT4_T5_P12ihipStream_tbEUlRKxE_EEST_SX_SY_mSZ_S12_bEUlT_E_NS1_11comp_targetILNS1_3genE8ELNS1_11target_archE1030ELNS1_3gpuE2ELNS1_3repE0EEENS1_30default_config_static_selectorELNS0_4arch9wavefront6targetE0EEEvSW_.kd
    .uniform_work_group_size: 1
    .uses_dynamic_stack: false
    .vgpr_count:     12
    .vgpr_spill_count: 0
    .wavefront_size: 32
    .workgroup_processor_mode: 1
  - .args:
      - .offset:         0
        .size:           8
        .value_kind:     by_value
      - .address_space:  global
        .offset:         8
        .size:           8
        .value_kind:     global_buffer
      - .address_space:  global
        .offset:         16
        .size:           8
        .value_kind:     global_buffer
    .group_segment_fixed_size: 0
    .kernarg_segment_align: 8
    .kernarg_segment_size: 24
    .language:       OpenCL C
    .language_version:
      - 2
      - 0
    .max_flat_workgroup_size: 256
    .name:           _Z18lower_bound_kernelIiEvmPT_Pl
    .private_segment_fixed_size: 0
    .sgpr_count:     18
    .sgpr_spill_count: 0
    .symbol:         _Z18lower_bound_kernelIiEvmPT_Pl.kd
    .uniform_work_group_size: 1
    .uses_dynamic_stack: false
    .vgpr_count:     3
    .vgpr_spill_count: 0
    .wavefront_size: 32
    .workgroup_processor_mode: 1
  - .args:
      - .offset:         0
        .size:           56
        .value_kind:     by_value
    .group_segment_fixed_size: 0
    .kernarg_segment_align: 8
    .kernarg_segment_size: 56
    .language:       OpenCL C
    .language_version:
      - 2
      - 0
    .max_flat_workgroup_size: 256
    .name:           _ZN7rocprim17ROCPRIM_400000_NS6detail17trampoline_kernelINS0_14default_configENS1_27lower_bound_config_selectorIilEEZNS1_14transform_implILb0ES3_S5_N6thrust23THRUST_200600_302600_NS6detail15normal_iteratorINS8_7pointerIiNS8_11hip_rocprim5par_tENS8_11use_defaultESE_EEEENSA_INSB_IlSD_SE_SE_EEEEZNS1_13binary_searchIS3_S5_PiSG_SI_NS1_21lower_bound_search_opENS9_16wrapped_functionI11custom_lessbEEEE10hipError_tPvRmT1_T2_T3_mmT4_T5_P12ihipStream_tbEUlRKiE_EESP_ST_SU_mSV_SY_bEUlT_E_NS1_11comp_targetILNS1_3genE0ELNS1_11target_archE4294967295ELNS1_3gpuE0ELNS1_3repE0EEENS1_30default_config_static_selectorELNS0_4arch9wavefront6targetE0EEEvSS_
    .private_segment_fixed_size: 0
    .sgpr_count:     0
    .sgpr_spill_count: 0
    .symbol:         _ZN7rocprim17ROCPRIM_400000_NS6detail17trampoline_kernelINS0_14default_configENS1_27lower_bound_config_selectorIilEEZNS1_14transform_implILb0ES3_S5_N6thrust23THRUST_200600_302600_NS6detail15normal_iteratorINS8_7pointerIiNS8_11hip_rocprim5par_tENS8_11use_defaultESE_EEEENSA_INSB_IlSD_SE_SE_EEEEZNS1_13binary_searchIS3_S5_PiSG_SI_NS1_21lower_bound_search_opENS9_16wrapped_functionI11custom_lessbEEEE10hipError_tPvRmT1_T2_T3_mmT4_T5_P12ihipStream_tbEUlRKiE_EESP_ST_SU_mSV_SY_bEUlT_E_NS1_11comp_targetILNS1_3genE0ELNS1_11target_archE4294967295ELNS1_3gpuE0ELNS1_3repE0EEENS1_30default_config_static_selectorELNS0_4arch9wavefront6targetE0EEEvSS_.kd
    .uniform_work_group_size: 1
    .uses_dynamic_stack: false
    .vgpr_count:     0
    .vgpr_spill_count: 0
    .wavefront_size: 32
    .workgroup_processor_mode: 1
  - .args:
      - .offset:         0
        .size:           56
        .value_kind:     by_value
    .group_segment_fixed_size: 0
    .kernarg_segment_align: 8
    .kernarg_segment_size: 56
    .language:       OpenCL C
    .language_version:
      - 2
      - 0
    .max_flat_workgroup_size: 256
    .name:           _ZN7rocprim17ROCPRIM_400000_NS6detail17trampoline_kernelINS0_14default_configENS1_27lower_bound_config_selectorIilEEZNS1_14transform_implILb0ES3_S5_N6thrust23THRUST_200600_302600_NS6detail15normal_iteratorINS8_7pointerIiNS8_11hip_rocprim5par_tENS8_11use_defaultESE_EEEENSA_INSB_IlSD_SE_SE_EEEEZNS1_13binary_searchIS3_S5_PiSG_SI_NS1_21lower_bound_search_opENS9_16wrapped_functionI11custom_lessbEEEE10hipError_tPvRmT1_T2_T3_mmT4_T5_P12ihipStream_tbEUlRKiE_EESP_ST_SU_mSV_SY_bEUlT_E_NS1_11comp_targetILNS1_3genE5ELNS1_11target_archE942ELNS1_3gpuE9ELNS1_3repE0EEENS1_30default_config_static_selectorELNS0_4arch9wavefront6targetE0EEEvSS_
    .private_segment_fixed_size: 0
    .sgpr_count:     0
    .sgpr_spill_count: 0
    .symbol:         _ZN7rocprim17ROCPRIM_400000_NS6detail17trampoline_kernelINS0_14default_configENS1_27lower_bound_config_selectorIilEEZNS1_14transform_implILb0ES3_S5_N6thrust23THRUST_200600_302600_NS6detail15normal_iteratorINS8_7pointerIiNS8_11hip_rocprim5par_tENS8_11use_defaultESE_EEEENSA_INSB_IlSD_SE_SE_EEEEZNS1_13binary_searchIS3_S5_PiSG_SI_NS1_21lower_bound_search_opENS9_16wrapped_functionI11custom_lessbEEEE10hipError_tPvRmT1_T2_T3_mmT4_T5_P12ihipStream_tbEUlRKiE_EESP_ST_SU_mSV_SY_bEUlT_E_NS1_11comp_targetILNS1_3genE5ELNS1_11target_archE942ELNS1_3gpuE9ELNS1_3repE0EEENS1_30default_config_static_selectorELNS0_4arch9wavefront6targetE0EEEvSS_.kd
    .uniform_work_group_size: 1
    .uses_dynamic_stack: false
    .vgpr_count:     0
    .vgpr_spill_count: 0
    .wavefront_size: 32
    .workgroup_processor_mode: 1
  - .args:
      - .offset:         0
        .size:           56
        .value_kind:     by_value
    .group_segment_fixed_size: 0
    .kernarg_segment_align: 8
    .kernarg_segment_size: 56
    .language:       OpenCL C
    .language_version:
      - 2
      - 0
    .max_flat_workgroup_size: 256
    .name:           _ZN7rocprim17ROCPRIM_400000_NS6detail17trampoline_kernelINS0_14default_configENS1_27lower_bound_config_selectorIilEEZNS1_14transform_implILb0ES3_S5_N6thrust23THRUST_200600_302600_NS6detail15normal_iteratorINS8_7pointerIiNS8_11hip_rocprim5par_tENS8_11use_defaultESE_EEEENSA_INSB_IlSD_SE_SE_EEEEZNS1_13binary_searchIS3_S5_PiSG_SI_NS1_21lower_bound_search_opENS9_16wrapped_functionI11custom_lessbEEEE10hipError_tPvRmT1_T2_T3_mmT4_T5_P12ihipStream_tbEUlRKiE_EESP_ST_SU_mSV_SY_bEUlT_E_NS1_11comp_targetILNS1_3genE4ELNS1_11target_archE910ELNS1_3gpuE8ELNS1_3repE0EEENS1_30default_config_static_selectorELNS0_4arch9wavefront6targetE0EEEvSS_
    .private_segment_fixed_size: 0
    .sgpr_count:     0
    .sgpr_spill_count: 0
    .symbol:         _ZN7rocprim17ROCPRIM_400000_NS6detail17trampoline_kernelINS0_14default_configENS1_27lower_bound_config_selectorIilEEZNS1_14transform_implILb0ES3_S5_N6thrust23THRUST_200600_302600_NS6detail15normal_iteratorINS8_7pointerIiNS8_11hip_rocprim5par_tENS8_11use_defaultESE_EEEENSA_INSB_IlSD_SE_SE_EEEEZNS1_13binary_searchIS3_S5_PiSG_SI_NS1_21lower_bound_search_opENS9_16wrapped_functionI11custom_lessbEEEE10hipError_tPvRmT1_T2_T3_mmT4_T5_P12ihipStream_tbEUlRKiE_EESP_ST_SU_mSV_SY_bEUlT_E_NS1_11comp_targetILNS1_3genE4ELNS1_11target_archE910ELNS1_3gpuE8ELNS1_3repE0EEENS1_30default_config_static_selectorELNS0_4arch9wavefront6targetE0EEEvSS_.kd
    .uniform_work_group_size: 1
    .uses_dynamic_stack: false
    .vgpr_count:     0
    .vgpr_spill_count: 0
    .wavefront_size: 32
    .workgroup_processor_mode: 1
  - .args:
      - .offset:         0
        .size:           56
        .value_kind:     by_value
    .group_segment_fixed_size: 0
    .kernarg_segment_align: 8
    .kernarg_segment_size: 56
    .language:       OpenCL C
    .language_version:
      - 2
      - 0
    .max_flat_workgroup_size: 256
    .name:           _ZN7rocprim17ROCPRIM_400000_NS6detail17trampoline_kernelINS0_14default_configENS1_27lower_bound_config_selectorIilEEZNS1_14transform_implILb0ES3_S5_N6thrust23THRUST_200600_302600_NS6detail15normal_iteratorINS8_7pointerIiNS8_11hip_rocprim5par_tENS8_11use_defaultESE_EEEENSA_INSB_IlSD_SE_SE_EEEEZNS1_13binary_searchIS3_S5_PiSG_SI_NS1_21lower_bound_search_opENS9_16wrapped_functionI11custom_lessbEEEE10hipError_tPvRmT1_T2_T3_mmT4_T5_P12ihipStream_tbEUlRKiE_EESP_ST_SU_mSV_SY_bEUlT_E_NS1_11comp_targetILNS1_3genE3ELNS1_11target_archE908ELNS1_3gpuE7ELNS1_3repE0EEENS1_30default_config_static_selectorELNS0_4arch9wavefront6targetE0EEEvSS_
    .private_segment_fixed_size: 0
    .sgpr_count:     0
    .sgpr_spill_count: 0
    .symbol:         _ZN7rocprim17ROCPRIM_400000_NS6detail17trampoline_kernelINS0_14default_configENS1_27lower_bound_config_selectorIilEEZNS1_14transform_implILb0ES3_S5_N6thrust23THRUST_200600_302600_NS6detail15normal_iteratorINS8_7pointerIiNS8_11hip_rocprim5par_tENS8_11use_defaultESE_EEEENSA_INSB_IlSD_SE_SE_EEEEZNS1_13binary_searchIS3_S5_PiSG_SI_NS1_21lower_bound_search_opENS9_16wrapped_functionI11custom_lessbEEEE10hipError_tPvRmT1_T2_T3_mmT4_T5_P12ihipStream_tbEUlRKiE_EESP_ST_SU_mSV_SY_bEUlT_E_NS1_11comp_targetILNS1_3genE3ELNS1_11target_archE908ELNS1_3gpuE7ELNS1_3repE0EEENS1_30default_config_static_selectorELNS0_4arch9wavefront6targetE0EEEvSS_.kd
    .uniform_work_group_size: 1
    .uses_dynamic_stack: false
    .vgpr_count:     0
    .vgpr_spill_count: 0
    .wavefront_size: 32
    .workgroup_processor_mode: 1
  - .args:
      - .offset:         0
        .size:           56
        .value_kind:     by_value
    .group_segment_fixed_size: 0
    .kernarg_segment_align: 8
    .kernarg_segment_size: 56
    .language:       OpenCL C
    .language_version:
      - 2
      - 0
    .max_flat_workgroup_size: 256
    .name:           _ZN7rocprim17ROCPRIM_400000_NS6detail17trampoline_kernelINS0_14default_configENS1_27lower_bound_config_selectorIilEEZNS1_14transform_implILb0ES3_S5_N6thrust23THRUST_200600_302600_NS6detail15normal_iteratorINS8_7pointerIiNS8_11hip_rocprim5par_tENS8_11use_defaultESE_EEEENSA_INSB_IlSD_SE_SE_EEEEZNS1_13binary_searchIS3_S5_PiSG_SI_NS1_21lower_bound_search_opENS9_16wrapped_functionI11custom_lessbEEEE10hipError_tPvRmT1_T2_T3_mmT4_T5_P12ihipStream_tbEUlRKiE_EESP_ST_SU_mSV_SY_bEUlT_E_NS1_11comp_targetILNS1_3genE2ELNS1_11target_archE906ELNS1_3gpuE6ELNS1_3repE0EEENS1_30default_config_static_selectorELNS0_4arch9wavefront6targetE0EEEvSS_
    .private_segment_fixed_size: 0
    .sgpr_count:     0
    .sgpr_spill_count: 0
    .symbol:         _ZN7rocprim17ROCPRIM_400000_NS6detail17trampoline_kernelINS0_14default_configENS1_27lower_bound_config_selectorIilEEZNS1_14transform_implILb0ES3_S5_N6thrust23THRUST_200600_302600_NS6detail15normal_iteratorINS8_7pointerIiNS8_11hip_rocprim5par_tENS8_11use_defaultESE_EEEENSA_INSB_IlSD_SE_SE_EEEEZNS1_13binary_searchIS3_S5_PiSG_SI_NS1_21lower_bound_search_opENS9_16wrapped_functionI11custom_lessbEEEE10hipError_tPvRmT1_T2_T3_mmT4_T5_P12ihipStream_tbEUlRKiE_EESP_ST_SU_mSV_SY_bEUlT_E_NS1_11comp_targetILNS1_3genE2ELNS1_11target_archE906ELNS1_3gpuE6ELNS1_3repE0EEENS1_30default_config_static_selectorELNS0_4arch9wavefront6targetE0EEEvSS_.kd
    .uniform_work_group_size: 1
    .uses_dynamic_stack: false
    .vgpr_count:     0
    .vgpr_spill_count: 0
    .wavefront_size: 32
    .workgroup_processor_mode: 1
  - .args:
      - .offset:         0
        .size:           56
        .value_kind:     by_value
    .group_segment_fixed_size: 0
    .kernarg_segment_align: 8
    .kernarg_segment_size: 56
    .language:       OpenCL C
    .language_version:
      - 2
      - 0
    .max_flat_workgroup_size: 128
    .name:           _ZN7rocprim17ROCPRIM_400000_NS6detail17trampoline_kernelINS0_14default_configENS1_27lower_bound_config_selectorIilEEZNS1_14transform_implILb0ES3_S5_N6thrust23THRUST_200600_302600_NS6detail15normal_iteratorINS8_7pointerIiNS8_11hip_rocprim5par_tENS8_11use_defaultESE_EEEENSA_INSB_IlSD_SE_SE_EEEEZNS1_13binary_searchIS3_S5_PiSG_SI_NS1_21lower_bound_search_opENS9_16wrapped_functionI11custom_lessbEEEE10hipError_tPvRmT1_T2_T3_mmT4_T5_P12ihipStream_tbEUlRKiE_EESP_ST_SU_mSV_SY_bEUlT_E_NS1_11comp_targetILNS1_3genE10ELNS1_11target_archE1201ELNS1_3gpuE5ELNS1_3repE0EEENS1_30default_config_static_selectorELNS0_4arch9wavefront6targetE0EEEvSS_
    .private_segment_fixed_size: 0
    .sgpr_count:     0
    .sgpr_spill_count: 0
    .symbol:         _ZN7rocprim17ROCPRIM_400000_NS6detail17trampoline_kernelINS0_14default_configENS1_27lower_bound_config_selectorIilEEZNS1_14transform_implILb0ES3_S5_N6thrust23THRUST_200600_302600_NS6detail15normal_iteratorINS8_7pointerIiNS8_11hip_rocprim5par_tENS8_11use_defaultESE_EEEENSA_INSB_IlSD_SE_SE_EEEEZNS1_13binary_searchIS3_S5_PiSG_SI_NS1_21lower_bound_search_opENS9_16wrapped_functionI11custom_lessbEEEE10hipError_tPvRmT1_T2_T3_mmT4_T5_P12ihipStream_tbEUlRKiE_EESP_ST_SU_mSV_SY_bEUlT_E_NS1_11comp_targetILNS1_3genE10ELNS1_11target_archE1201ELNS1_3gpuE5ELNS1_3repE0EEENS1_30default_config_static_selectorELNS0_4arch9wavefront6targetE0EEEvSS_.kd
    .uniform_work_group_size: 1
    .uses_dynamic_stack: false
    .vgpr_count:     0
    .vgpr_spill_count: 0
    .wavefront_size: 32
    .workgroup_processor_mode: 1
  - .args:
      - .offset:         0
        .size:           56
        .value_kind:     by_value
    .group_segment_fixed_size: 0
    .kernarg_segment_align: 8
    .kernarg_segment_size: 56
    .language:       OpenCL C
    .language_version:
      - 2
      - 0
    .max_flat_workgroup_size: 128
    .name:           _ZN7rocprim17ROCPRIM_400000_NS6detail17trampoline_kernelINS0_14default_configENS1_27lower_bound_config_selectorIilEEZNS1_14transform_implILb0ES3_S5_N6thrust23THRUST_200600_302600_NS6detail15normal_iteratorINS8_7pointerIiNS8_11hip_rocprim5par_tENS8_11use_defaultESE_EEEENSA_INSB_IlSD_SE_SE_EEEEZNS1_13binary_searchIS3_S5_PiSG_SI_NS1_21lower_bound_search_opENS9_16wrapped_functionI11custom_lessbEEEE10hipError_tPvRmT1_T2_T3_mmT4_T5_P12ihipStream_tbEUlRKiE_EESP_ST_SU_mSV_SY_bEUlT_E_NS1_11comp_targetILNS1_3genE10ELNS1_11target_archE1200ELNS1_3gpuE4ELNS1_3repE0EEENS1_30default_config_static_selectorELNS0_4arch9wavefront6targetE0EEEvSS_
    .private_segment_fixed_size: 0
    .sgpr_count:     0
    .sgpr_spill_count: 0
    .symbol:         _ZN7rocprim17ROCPRIM_400000_NS6detail17trampoline_kernelINS0_14default_configENS1_27lower_bound_config_selectorIilEEZNS1_14transform_implILb0ES3_S5_N6thrust23THRUST_200600_302600_NS6detail15normal_iteratorINS8_7pointerIiNS8_11hip_rocprim5par_tENS8_11use_defaultESE_EEEENSA_INSB_IlSD_SE_SE_EEEEZNS1_13binary_searchIS3_S5_PiSG_SI_NS1_21lower_bound_search_opENS9_16wrapped_functionI11custom_lessbEEEE10hipError_tPvRmT1_T2_T3_mmT4_T5_P12ihipStream_tbEUlRKiE_EESP_ST_SU_mSV_SY_bEUlT_E_NS1_11comp_targetILNS1_3genE10ELNS1_11target_archE1200ELNS1_3gpuE4ELNS1_3repE0EEENS1_30default_config_static_selectorELNS0_4arch9wavefront6targetE0EEEvSS_.kd
    .uniform_work_group_size: 1
    .uses_dynamic_stack: false
    .vgpr_count:     0
    .vgpr_spill_count: 0
    .wavefront_size: 32
    .workgroup_processor_mode: 1
  - .args:
      - .offset:         0
        .size:           56
        .value_kind:     by_value
    .group_segment_fixed_size: 0
    .kernarg_segment_align: 8
    .kernarg_segment_size: 56
    .language:       OpenCL C
    .language_version:
      - 2
      - 0
    .max_flat_workgroup_size: 256
    .name:           _ZN7rocprim17ROCPRIM_400000_NS6detail17trampoline_kernelINS0_14default_configENS1_27lower_bound_config_selectorIilEEZNS1_14transform_implILb0ES3_S5_N6thrust23THRUST_200600_302600_NS6detail15normal_iteratorINS8_7pointerIiNS8_11hip_rocprim5par_tENS8_11use_defaultESE_EEEENSA_INSB_IlSD_SE_SE_EEEEZNS1_13binary_searchIS3_S5_PiSG_SI_NS1_21lower_bound_search_opENS9_16wrapped_functionI11custom_lessbEEEE10hipError_tPvRmT1_T2_T3_mmT4_T5_P12ihipStream_tbEUlRKiE_EESP_ST_SU_mSV_SY_bEUlT_E_NS1_11comp_targetILNS1_3genE9ELNS1_11target_archE1100ELNS1_3gpuE3ELNS1_3repE0EEENS1_30default_config_static_selectorELNS0_4arch9wavefront6targetE0EEEvSS_
    .private_segment_fixed_size: 0
    .sgpr_count:     0
    .sgpr_spill_count: 0
    .symbol:         _ZN7rocprim17ROCPRIM_400000_NS6detail17trampoline_kernelINS0_14default_configENS1_27lower_bound_config_selectorIilEEZNS1_14transform_implILb0ES3_S5_N6thrust23THRUST_200600_302600_NS6detail15normal_iteratorINS8_7pointerIiNS8_11hip_rocprim5par_tENS8_11use_defaultESE_EEEENSA_INSB_IlSD_SE_SE_EEEEZNS1_13binary_searchIS3_S5_PiSG_SI_NS1_21lower_bound_search_opENS9_16wrapped_functionI11custom_lessbEEEE10hipError_tPvRmT1_T2_T3_mmT4_T5_P12ihipStream_tbEUlRKiE_EESP_ST_SU_mSV_SY_bEUlT_E_NS1_11comp_targetILNS1_3genE9ELNS1_11target_archE1100ELNS1_3gpuE3ELNS1_3repE0EEENS1_30default_config_static_selectorELNS0_4arch9wavefront6targetE0EEEvSS_.kd
    .uniform_work_group_size: 1
    .uses_dynamic_stack: false
    .vgpr_count:     0
    .vgpr_spill_count: 0
    .wavefront_size: 32
    .workgroup_processor_mode: 1
  - .args:
      - .offset:         0
        .size:           56
        .value_kind:     by_value
      - .offset:         56
        .size:           4
        .value_kind:     hidden_block_count_x
      - .offset:         60
        .size:           4
        .value_kind:     hidden_block_count_y
      - .offset:         64
        .size:           4
        .value_kind:     hidden_block_count_z
      - .offset:         68
        .size:           2
        .value_kind:     hidden_group_size_x
      - .offset:         70
        .size:           2
        .value_kind:     hidden_group_size_y
      - .offset:         72
        .size:           2
        .value_kind:     hidden_group_size_z
      - .offset:         74
        .size:           2
        .value_kind:     hidden_remainder_x
      - .offset:         76
        .size:           2
        .value_kind:     hidden_remainder_y
      - .offset:         78
        .size:           2
        .value_kind:     hidden_remainder_z
      - .offset:         96
        .size:           8
        .value_kind:     hidden_global_offset_x
      - .offset:         104
        .size:           8
        .value_kind:     hidden_global_offset_y
      - .offset:         112
        .size:           8
        .value_kind:     hidden_global_offset_z
      - .offset:         120
        .size:           2
        .value_kind:     hidden_grid_dims
    .group_segment_fixed_size: 0
    .kernarg_segment_align: 8
    .kernarg_segment_size: 312
    .language:       OpenCL C
    .language_version:
      - 2
      - 0
    .max_flat_workgroup_size: 256
    .name:           _ZN7rocprim17ROCPRIM_400000_NS6detail17trampoline_kernelINS0_14default_configENS1_27lower_bound_config_selectorIilEEZNS1_14transform_implILb0ES3_S5_N6thrust23THRUST_200600_302600_NS6detail15normal_iteratorINS8_7pointerIiNS8_11hip_rocprim5par_tENS8_11use_defaultESE_EEEENSA_INSB_IlSD_SE_SE_EEEEZNS1_13binary_searchIS3_S5_PiSG_SI_NS1_21lower_bound_search_opENS9_16wrapped_functionI11custom_lessbEEEE10hipError_tPvRmT1_T2_T3_mmT4_T5_P12ihipStream_tbEUlRKiE_EESP_ST_SU_mSV_SY_bEUlT_E_NS1_11comp_targetILNS1_3genE8ELNS1_11target_archE1030ELNS1_3gpuE2ELNS1_3repE0EEENS1_30default_config_static_selectorELNS0_4arch9wavefront6targetE0EEEvSS_
    .private_segment_fixed_size: 0
    .sgpr_count:     19
    .sgpr_spill_count: 0
    .symbol:         _ZN7rocprim17ROCPRIM_400000_NS6detail17trampoline_kernelINS0_14default_configENS1_27lower_bound_config_selectorIilEEZNS1_14transform_implILb0ES3_S5_N6thrust23THRUST_200600_302600_NS6detail15normal_iteratorINS8_7pointerIiNS8_11hip_rocprim5par_tENS8_11use_defaultESE_EEEENSA_INSB_IlSD_SE_SE_EEEEZNS1_13binary_searchIS3_S5_PiSG_SI_NS1_21lower_bound_search_opENS9_16wrapped_functionI11custom_lessbEEEE10hipError_tPvRmT1_T2_T3_mmT4_T5_P12ihipStream_tbEUlRKiE_EESP_ST_SU_mSV_SY_bEUlT_E_NS1_11comp_targetILNS1_3genE8ELNS1_11target_archE1030ELNS1_3gpuE2ELNS1_3repE0EEENS1_30default_config_static_selectorELNS0_4arch9wavefront6targetE0EEEvSS_.kd
    .uniform_work_group_size: 1
    .uses_dynamic_stack: false
    .vgpr_count:     11
    .vgpr_spill_count: 0
    .wavefront_size: 32
    .workgroup_processor_mode: 1
  - .args:
      - .offset:         0
        .size:           56
        .value_kind:     by_value
    .group_segment_fixed_size: 0
    .kernarg_segment_align: 8
    .kernarg_segment_size: 56
    .language:       OpenCL C
    .language_version:
      - 2
      - 0
    .max_flat_workgroup_size: 256
    .name:           _ZN7rocprim17ROCPRIM_400000_NS6detail17trampoline_kernelINS0_14default_configENS1_27lower_bound_config_selectorIilEEZNS1_14transform_implILb0ES3_S5_N6thrust23THRUST_200600_302600_NS6detail15normal_iteratorINS8_7pointerIiNS8_11hip_rocprim5par_tENS8_11use_defaultESE_EEEENSA_INSB_IlSD_SE_SE_EEEEZNS1_13binary_searchIS3_S5_PiSG_SI_NS1_21lower_bound_search_opENS9_16wrapped_functionINS8_6system6detail7generic6detail18binary_search_lessEbEEEE10hipError_tPvRmT1_T2_T3_mmT4_T5_P12ihipStream_tbEUlRKiE_EEST_SX_SY_mSZ_S12_bEUlT_E_NS1_11comp_targetILNS1_3genE0ELNS1_11target_archE4294967295ELNS1_3gpuE0ELNS1_3repE0EEENS1_30default_config_static_selectorELNS0_4arch9wavefront6targetE0EEEvSW_
    .private_segment_fixed_size: 0
    .sgpr_count:     0
    .sgpr_spill_count: 0
    .symbol:         _ZN7rocprim17ROCPRIM_400000_NS6detail17trampoline_kernelINS0_14default_configENS1_27lower_bound_config_selectorIilEEZNS1_14transform_implILb0ES3_S5_N6thrust23THRUST_200600_302600_NS6detail15normal_iteratorINS8_7pointerIiNS8_11hip_rocprim5par_tENS8_11use_defaultESE_EEEENSA_INSB_IlSD_SE_SE_EEEEZNS1_13binary_searchIS3_S5_PiSG_SI_NS1_21lower_bound_search_opENS9_16wrapped_functionINS8_6system6detail7generic6detail18binary_search_lessEbEEEE10hipError_tPvRmT1_T2_T3_mmT4_T5_P12ihipStream_tbEUlRKiE_EEST_SX_SY_mSZ_S12_bEUlT_E_NS1_11comp_targetILNS1_3genE0ELNS1_11target_archE4294967295ELNS1_3gpuE0ELNS1_3repE0EEENS1_30default_config_static_selectorELNS0_4arch9wavefront6targetE0EEEvSW_.kd
    .uniform_work_group_size: 1
    .uses_dynamic_stack: false
    .vgpr_count:     0
    .vgpr_spill_count: 0
    .wavefront_size: 32
    .workgroup_processor_mode: 1
  - .args:
      - .offset:         0
        .size:           56
        .value_kind:     by_value
    .group_segment_fixed_size: 0
    .kernarg_segment_align: 8
    .kernarg_segment_size: 56
    .language:       OpenCL C
    .language_version:
      - 2
      - 0
    .max_flat_workgroup_size: 256
    .name:           _ZN7rocprim17ROCPRIM_400000_NS6detail17trampoline_kernelINS0_14default_configENS1_27lower_bound_config_selectorIilEEZNS1_14transform_implILb0ES3_S5_N6thrust23THRUST_200600_302600_NS6detail15normal_iteratorINS8_7pointerIiNS8_11hip_rocprim5par_tENS8_11use_defaultESE_EEEENSA_INSB_IlSD_SE_SE_EEEEZNS1_13binary_searchIS3_S5_PiSG_SI_NS1_21lower_bound_search_opENS9_16wrapped_functionINS8_6system6detail7generic6detail18binary_search_lessEbEEEE10hipError_tPvRmT1_T2_T3_mmT4_T5_P12ihipStream_tbEUlRKiE_EEST_SX_SY_mSZ_S12_bEUlT_E_NS1_11comp_targetILNS1_3genE5ELNS1_11target_archE942ELNS1_3gpuE9ELNS1_3repE0EEENS1_30default_config_static_selectorELNS0_4arch9wavefront6targetE0EEEvSW_
    .private_segment_fixed_size: 0
    .sgpr_count:     0
    .sgpr_spill_count: 0
    .symbol:         _ZN7rocprim17ROCPRIM_400000_NS6detail17trampoline_kernelINS0_14default_configENS1_27lower_bound_config_selectorIilEEZNS1_14transform_implILb0ES3_S5_N6thrust23THRUST_200600_302600_NS6detail15normal_iteratorINS8_7pointerIiNS8_11hip_rocprim5par_tENS8_11use_defaultESE_EEEENSA_INSB_IlSD_SE_SE_EEEEZNS1_13binary_searchIS3_S5_PiSG_SI_NS1_21lower_bound_search_opENS9_16wrapped_functionINS8_6system6detail7generic6detail18binary_search_lessEbEEEE10hipError_tPvRmT1_T2_T3_mmT4_T5_P12ihipStream_tbEUlRKiE_EEST_SX_SY_mSZ_S12_bEUlT_E_NS1_11comp_targetILNS1_3genE5ELNS1_11target_archE942ELNS1_3gpuE9ELNS1_3repE0EEENS1_30default_config_static_selectorELNS0_4arch9wavefront6targetE0EEEvSW_.kd
    .uniform_work_group_size: 1
    .uses_dynamic_stack: false
    .vgpr_count:     0
    .vgpr_spill_count: 0
    .wavefront_size: 32
    .workgroup_processor_mode: 1
  - .args:
      - .offset:         0
        .size:           56
        .value_kind:     by_value
    .group_segment_fixed_size: 0
    .kernarg_segment_align: 8
    .kernarg_segment_size: 56
    .language:       OpenCL C
    .language_version:
      - 2
      - 0
    .max_flat_workgroup_size: 256
    .name:           _ZN7rocprim17ROCPRIM_400000_NS6detail17trampoline_kernelINS0_14default_configENS1_27lower_bound_config_selectorIilEEZNS1_14transform_implILb0ES3_S5_N6thrust23THRUST_200600_302600_NS6detail15normal_iteratorINS8_7pointerIiNS8_11hip_rocprim5par_tENS8_11use_defaultESE_EEEENSA_INSB_IlSD_SE_SE_EEEEZNS1_13binary_searchIS3_S5_PiSG_SI_NS1_21lower_bound_search_opENS9_16wrapped_functionINS8_6system6detail7generic6detail18binary_search_lessEbEEEE10hipError_tPvRmT1_T2_T3_mmT4_T5_P12ihipStream_tbEUlRKiE_EEST_SX_SY_mSZ_S12_bEUlT_E_NS1_11comp_targetILNS1_3genE4ELNS1_11target_archE910ELNS1_3gpuE8ELNS1_3repE0EEENS1_30default_config_static_selectorELNS0_4arch9wavefront6targetE0EEEvSW_
    .private_segment_fixed_size: 0
    .sgpr_count:     0
    .sgpr_spill_count: 0
    .symbol:         _ZN7rocprim17ROCPRIM_400000_NS6detail17trampoline_kernelINS0_14default_configENS1_27lower_bound_config_selectorIilEEZNS1_14transform_implILb0ES3_S5_N6thrust23THRUST_200600_302600_NS6detail15normal_iteratorINS8_7pointerIiNS8_11hip_rocprim5par_tENS8_11use_defaultESE_EEEENSA_INSB_IlSD_SE_SE_EEEEZNS1_13binary_searchIS3_S5_PiSG_SI_NS1_21lower_bound_search_opENS9_16wrapped_functionINS8_6system6detail7generic6detail18binary_search_lessEbEEEE10hipError_tPvRmT1_T2_T3_mmT4_T5_P12ihipStream_tbEUlRKiE_EEST_SX_SY_mSZ_S12_bEUlT_E_NS1_11comp_targetILNS1_3genE4ELNS1_11target_archE910ELNS1_3gpuE8ELNS1_3repE0EEENS1_30default_config_static_selectorELNS0_4arch9wavefront6targetE0EEEvSW_.kd
    .uniform_work_group_size: 1
    .uses_dynamic_stack: false
    .vgpr_count:     0
    .vgpr_spill_count: 0
    .wavefront_size: 32
    .workgroup_processor_mode: 1
  - .args:
      - .offset:         0
        .size:           56
        .value_kind:     by_value
    .group_segment_fixed_size: 0
    .kernarg_segment_align: 8
    .kernarg_segment_size: 56
    .language:       OpenCL C
    .language_version:
      - 2
      - 0
    .max_flat_workgroup_size: 256
    .name:           _ZN7rocprim17ROCPRIM_400000_NS6detail17trampoline_kernelINS0_14default_configENS1_27lower_bound_config_selectorIilEEZNS1_14transform_implILb0ES3_S5_N6thrust23THRUST_200600_302600_NS6detail15normal_iteratorINS8_7pointerIiNS8_11hip_rocprim5par_tENS8_11use_defaultESE_EEEENSA_INSB_IlSD_SE_SE_EEEEZNS1_13binary_searchIS3_S5_PiSG_SI_NS1_21lower_bound_search_opENS9_16wrapped_functionINS8_6system6detail7generic6detail18binary_search_lessEbEEEE10hipError_tPvRmT1_T2_T3_mmT4_T5_P12ihipStream_tbEUlRKiE_EEST_SX_SY_mSZ_S12_bEUlT_E_NS1_11comp_targetILNS1_3genE3ELNS1_11target_archE908ELNS1_3gpuE7ELNS1_3repE0EEENS1_30default_config_static_selectorELNS0_4arch9wavefront6targetE0EEEvSW_
    .private_segment_fixed_size: 0
    .sgpr_count:     0
    .sgpr_spill_count: 0
    .symbol:         _ZN7rocprim17ROCPRIM_400000_NS6detail17trampoline_kernelINS0_14default_configENS1_27lower_bound_config_selectorIilEEZNS1_14transform_implILb0ES3_S5_N6thrust23THRUST_200600_302600_NS6detail15normal_iteratorINS8_7pointerIiNS8_11hip_rocprim5par_tENS8_11use_defaultESE_EEEENSA_INSB_IlSD_SE_SE_EEEEZNS1_13binary_searchIS3_S5_PiSG_SI_NS1_21lower_bound_search_opENS9_16wrapped_functionINS8_6system6detail7generic6detail18binary_search_lessEbEEEE10hipError_tPvRmT1_T2_T3_mmT4_T5_P12ihipStream_tbEUlRKiE_EEST_SX_SY_mSZ_S12_bEUlT_E_NS1_11comp_targetILNS1_3genE3ELNS1_11target_archE908ELNS1_3gpuE7ELNS1_3repE0EEENS1_30default_config_static_selectorELNS0_4arch9wavefront6targetE0EEEvSW_.kd
    .uniform_work_group_size: 1
    .uses_dynamic_stack: false
    .vgpr_count:     0
    .vgpr_spill_count: 0
    .wavefront_size: 32
    .workgroup_processor_mode: 1
  - .args:
      - .offset:         0
        .size:           56
        .value_kind:     by_value
    .group_segment_fixed_size: 0
    .kernarg_segment_align: 8
    .kernarg_segment_size: 56
    .language:       OpenCL C
    .language_version:
      - 2
      - 0
    .max_flat_workgroup_size: 256
    .name:           _ZN7rocprim17ROCPRIM_400000_NS6detail17trampoline_kernelINS0_14default_configENS1_27lower_bound_config_selectorIilEEZNS1_14transform_implILb0ES3_S5_N6thrust23THRUST_200600_302600_NS6detail15normal_iteratorINS8_7pointerIiNS8_11hip_rocprim5par_tENS8_11use_defaultESE_EEEENSA_INSB_IlSD_SE_SE_EEEEZNS1_13binary_searchIS3_S5_PiSG_SI_NS1_21lower_bound_search_opENS9_16wrapped_functionINS8_6system6detail7generic6detail18binary_search_lessEbEEEE10hipError_tPvRmT1_T2_T3_mmT4_T5_P12ihipStream_tbEUlRKiE_EEST_SX_SY_mSZ_S12_bEUlT_E_NS1_11comp_targetILNS1_3genE2ELNS1_11target_archE906ELNS1_3gpuE6ELNS1_3repE0EEENS1_30default_config_static_selectorELNS0_4arch9wavefront6targetE0EEEvSW_
    .private_segment_fixed_size: 0
    .sgpr_count:     0
    .sgpr_spill_count: 0
    .symbol:         _ZN7rocprim17ROCPRIM_400000_NS6detail17trampoline_kernelINS0_14default_configENS1_27lower_bound_config_selectorIilEEZNS1_14transform_implILb0ES3_S5_N6thrust23THRUST_200600_302600_NS6detail15normal_iteratorINS8_7pointerIiNS8_11hip_rocprim5par_tENS8_11use_defaultESE_EEEENSA_INSB_IlSD_SE_SE_EEEEZNS1_13binary_searchIS3_S5_PiSG_SI_NS1_21lower_bound_search_opENS9_16wrapped_functionINS8_6system6detail7generic6detail18binary_search_lessEbEEEE10hipError_tPvRmT1_T2_T3_mmT4_T5_P12ihipStream_tbEUlRKiE_EEST_SX_SY_mSZ_S12_bEUlT_E_NS1_11comp_targetILNS1_3genE2ELNS1_11target_archE906ELNS1_3gpuE6ELNS1_3repE0EEENS1_30default_config_static_selectorELNS0_4arch9wavefront6targetE0EEEvSW_.kd
    .uniform_work_group_size: 1
    .uses_dynamic_stack: false
    .vgpr_count:     0
    .vgpr_spill_count: 0
    .wavefront_size: 32
    .workgroup_processor_mode: 1
  - .args:
      - .offset:         0
        .size:           56
        .value_kind:     by_value
    .group_segment_fixed_size: 0
    .kernarg_segment_align: 8
    .kernarg_segment_size: 56
    .language:       OpenCL C
    .language_version:
      - 2
      - 0
    .max_flat_workgroup_size: 128
    .name:           _ZN7rocprim17ROCPRIM_400000_NS6detail17trampoline_kernelINS0_14default_configENS1_27lower_bound_config_selectorIilEEZNS1_14transform_implILb0ES3_S5_N6thrust23THRUST_200600_302600_NS6detail15normal_iteratorINS8_7pointerIiNS8_11hip_rocprim5par_tENS8_11use_defaultESE_EEEENSA_INSB_IlSD_SE_SE_EEEEZNS1_13binary_searchIS3_S5_PiSG_SI_NS1_21lower_bound_search_opENS9_16wrapped_functionINS8_6system6detail7generic6detail18binary_search_lessEbEEEE10hipError_tPvRmT1_T2_T3_mmT4_T5_P12ihipStream_tbEUlRKiE_EEST_SX_SY_mSZ_S12_bEUlT_E_NS1_11comp_targetILNS1_3genE10ELNS1_11target_archE1201ELNS1_3gpuE5ELNS1_3repE0EEENS1_30default_config_static_selectorELNS0_4arch9wavefront6targetE0EEEvSW_
    .private_segment_fixed_size: 0
    .sgpr_count:     0
    .sgpr_spill_count: 0
    .symbol:         _ZN7rocprim17ROCPRIM_400000_NS6detail17trampoline_kernelINS0_14default_configENS1_27lower_bound_config_selectorIilEEZNS1_14transform_implILb0ES3_S5_N6thrust23THRUST_200600_302600_NS6detail15normal_iteratorINS8_7pointerIiNS8_11hip_rocprim5par_tENS8_11use_defaultESE_EEEENSA_INSB_IlSD_SE_SE_EEEEZNS1_13binary_searchIS3_S5_PiSG_SI_NS1_21lower_bound_search_opENS9_16wrapped_functionINS8_6system6detail7generic6detail18binary_search_lessEbEEEE10hipError_tPvRmT1_T2_T3_mmT4_T5_P12ihipStream_tbEUlRKiE_EEST_SX_SY_mSZ_S12_bEUlT_E_NS1_11comp_targetILNS1_3genE10ELNS1_11target_archE1201ELNS1_3gpuE5ELNS1_3repE0EEENS1_30default_config_static_selectorELNS0_4arch9wavefront6targetE0EEEvSW_.kd
    .uniform_work_group_size: 1
    .uses_dynamic_stack: false
    .vgpr_count:     0
    .vgpr_spill_count: 0
    .wavefront_size: 32
    .workgroup_processor_mode: 1
  - .args:
      - .offset:         0
        .size:           56
        .value_kind:     by_value
    .group_segment_fixed_size: 0
    .kernarg_segment_align: 8
    .kernarg_segment_size: 56
    .language:       OpenCL C
    .language_version:
      - 2
      - 0
    .max_flat_workgroup_size: 128
    .name:           _ZN7rocprim17ROCPRIM_400000_NS6detail17trampoline_kernelINS0_14default_configENS1_27lower_bound_config_selectorIilEEZNS1_14transform_implILb0ES3_S5_N6thrust23THRUST_200600_302600_NS6detail15normal_iteratorINS8_7pointerIiNS8_11hip_rocprim5par_tENS8_11use_defaultESE_EEEENSA_INSB_IlSD_SE_SE_EEEEZNS1_13binary_searchIS3_S5_PiSG_SI_NS1_21lower_bound_search_opENS9_16wrapped_functionINS8_6system6detail7generic6detail18binary_search_lessEbEEEE10hipError_tPvRmT1_T2_T3_mmT4_T5_P12ihipStream_tbEUlRKiE_EEST_SX_SY_mSZ_S12_bEUlT_E_NS1_11comp_targetILNS1_3genE10ELNS1_11target_archE1200ELNS1_3gpuE4ELNS1_3repE0EEENS1_30default_config_static_selectorELNS0_4arch9wavefront6targetE0EEEvSW_
    .private_segment_fixed_size: 0
    .sgpr_count:     0
    .sgpr_spill_count: 0
    .symbol:         _ZN7rocprim17ROCPRIM_400000_NS6detail17trampoline_kernelINS0_14default_configENS1_27lower_bound_config_selectorIilEEZNS1_14transform_implILb0ES3_S5_N6thrust23THRUST_200600_302600_NS6detail15normal_iteratorINS8_7pointerIiNS8_11hip_rocprim5par_tENS8_11use_defaultESE_EEEENSA_INSB_IlSD_SE_SE_EEEEZNS1_13binary_searchIS3_S5_PiSG_SI_NS1_21lower_bound_search_opENS9_16wrapped_functionINS8_6system6detail7generic6detail18binary_search_lessEbEEEE10hipError_tPvRmT1_T2_T3_mmT4_T5_P12ihipStream_tbEUlRKiE_EEST_SX_SY_mSZ_S12_bEUlT_E_NS1_11comp_targetILNS1_3genE10ELNS1_11target_archE1200ELNS1_3gpuE4ELNS1_3repE0EEENS1_30default_config_static_selectorELNS0_4arch9wavefront6targetE0EEEvSW_.kd
    .uniform_work_group_size: 1
    .uses_dynamic_stack: false
    .vgpr_count:     0
    .vgpr_spill_count: 0
    .wavefront_size: 32
    .workgroup_processor_mode: 1
  - .args:
      - .offset:         0
        .size:           56
        .value_kind:     by_value
    .group_segment_fixed_size: 0
    .kernarg_segment_align: 8
    .kernarg_segment_size: 56
    .language:       OpenCL C
    .language_version:
      - 2
      - 0
    .max_flat_workgroup_size: 256
    .name:           _ZN7rocprim17ROCPRIM_400000_NS6detail17trampoline_kernelINS0_14default_configENS1_27lower_bound_config_selectorIilEEZNS1_14transform_implILb0ES3_S5_N6thrust23THRUST_200600_302600_NS6detail15normal_iteratorINS8_7pointerIiNS8_11hip_rocprim5par_tENS8_11use_defaultESE_EEEENSA_INSB_IlSD_SE_SE_EEEEZNS1_13binary_searchIS3_S5_PiSG_SI_NS1_21lower_bound_search_opENS9_16wrapped_functionINS8_6system6detail7generic6detail18binary_search_lessEbEEEE10hipError_tPvRmT1_T2_T3_mmT4_T5_P12ihipStream_tbEUlRKiE_EEST_SX_SY_mSZ_S12_bEUlT_E_NS1_11comp_targetILNS1_3genE9ELNS1_11target_archE1100ELNS1_3gpuE3ELNS1_3repE0EEENS1_30default_config_static_selectorELNS0_4arch9wavefront6targetE0EEEvSW_
    .private_segment_fixed_size: 0
    .sgpr_count:     0
    .sgpr_spill_count: 0
    .symbol:         _ZN7rocprim17ROCPRIM_400000_NS6detail17trampoline_kernelINS0_14default_configENS1_27lower_bound_config_selectorIilEEZNS1_14transform_implILb0ES3_S5_N6thrust23THRUST_200600_302600_NS6detail15normal_iteratorINS8_7pointerIiNS8_11hip_rocprim5par_tENS8_11use_defaultESE_EEEENSA_INSB_IlSD_SE_SE_EEEEZNS1_13binary_searchIS3_S5_PiSG_SI_NS1_21lower_bound_search_opENS9_16wrapped_functionINS8_6system6detail7generic6detail18binary_search_lessEbEEEE10hipError_tPvRmT1_T2_T3_mmT4_T5_P12ihipStream_tbEUlRKiE_EEST_SX_SY_mSZ_S12_bEUlT_E_NS1_11comp_targetILNS1_3genE9ELNS1_11target_archE1100ELNS1_3gpuE3ELNS1_3repE0EEENS1_30default_config_static_selectorELNS0_4arch9wavefront6targetE0EEEvSW_.kd
    .uniform_work_group_size: 1
    .uses_dynamic_stack: false
    .vgpr_count:     0
    .vgpr_spill_count: 0
    .wavefront_size: 32
    .workgroup_processor_mode: 1
  - .args:
      - .offset:         0
        .size:           56
        .value_kind:     by_value
      - .offset:         56
        .size:           4
        .value_kind:     hidden_block_count_x
      - .offset:         60
        .size:           4
        .value_kind:     hidden_block_count_y
      - .offset:         64
        .size:           4
        .value_kind:     hidden_block_count_z
      - .offset:         68
        .size:           2
        .value_kind:     hidden_group_size_x
      - .offset:         70
        .size:           2
        .value_kind:     hidden_group_size_y
      - .offset:         72
        .size:           2
        .value_kind:     hidden_group_size_z
      - .offset:         74
        .size:           2
        .value_kind:     hidden_remainder_x
      - .offset:         76
        .size:           2
        .value_kind:     hidden_remainder_y
      - .offset:         78
        .size:           2
        .value_kind:     hidden_remainder_z
      - .offset:         96
        .size:           8
        .value_kind:     hidden_global_offset_x
      - .offset:         104
        .size:           8
        .value_kind:     hidden_global_offset_y
      - .offset:         112
        .size:           8
        .value_kind:     hidden_global_offset_z
      - .offset:         120
        .size:           2
        .value_kind:     hidden_grid_dims
    .group_segment_fixed_size: 0
    .kernarg_segment_align: 8
    .kernarg_segment_size: 312
    .language:       OpenCL C
    .language_version:
      - 2
      - 0
    .max_flat_workgroup_size: 256
    .name:           _ZN7rocprim17ROCPRIM_400000_NS6detail17trampoline_kernelINS0_14default_configENS1_27lower_bound_config_selectorIilEEZNS1_14transform_implILb0ES3_S5_N6thrust23THRUST_200600_302600_NS6detail15normal_iteratorINS8_7pointerIiNS8_11hip_rocprim5par_tENS8_11use_defaultESE_EEEENSA_INSB_IlSD_SE_SE_EEEEZNS1_13binary_searchIS3_S5_PiSG_SI_NS1_21lower_bound_search_opENS9_16wrapped_functionINS8_6system6detail7generic6detail18binary_search_lessEbEEEE10hipError_tPvRmT1_T2_T3_mmT4_T5_P12ihipStream_tbEUlRKiE_EEST_SX_SY_mSZ_S12_bEUlT_E_NS1_11comp_targetILNS1_3genE8ELNS1_11target_archE1030ELNS1_3gpuE2ELNS1_3repE0EEENS1_30default_config_static_selectorELNS0_4arch9wavefront6targetE0EEEvSW_
    .private_segment_fixed_size: 0
    .sgpr_count:     19
    .sgpr_spill_count: 0
    .symbol:         _ZN7rocprim17ROCPRIM_400000_NS6detail17trampoline_kernelINS0_14default_configENS1_27lower_bound_config_selectorIilEEZNS1_14transform_implILb0ES3_S5_N6thrust23THRUST_200600_302600_NS6detail15normal_iteratorINS8_7pointerIiNS8_11hip_rocprim5par_tENS8_11use_defaultESE_EEEENSA_INSB_IlSD_SE_SE_EEEEZNS1_13binary_searchIS3_S5_PiSG_SI_NS1_21lower_bound_search_opENS9_16wrapped_functionINS8_6system6detail7generic6detail18binary_search_lessEbEEEE10hipError_tPvRmT1_T2_T3_mmT4_T5_P12ihipStream_tbEUlRKiE_EEST_SX_SY_mSZ_S12_bEUlT_E_NS1_11comp_targetILNS1_3genE8ELNS1_11target_archE1030ELNS1_3gpuE2ELNS1_3repE0EEENS1_30default_config_static_selectorELNS0_4arch9wavefront6targetE0EEEvSW_.kd
    .uniform_work_group_size: 1
    .uses_dynamic_stack: false
    .vgpr_count:     11
    .vgpr_spill_count: 0
    .wavefront_size: 32
    .workgroup_processor_mode: 1
  - .args:
      - .offset:         0
        .size:           16
        .value_kind:     by_value
      - .offset:         16
        .size:           8
        .value_kind:     by_value
      - .offset:         24
        .size:           8
        .value_kind:     by_value
    .group_segment_fixed_size: 0
    .kernarg_segment_align: 8
    .kernarg_segment_size: 32
    .language:       OpenCL C
    .language_version:
      - 2
      - 0
    .max_flat_workgroup_size: 256
    .name:           _ZN6thrust23THRUST_200600_302600_NS11hip_rocprim14__parallel_for6kernelILj256ENS1_20__uninitialized_fill7functorINS0_10device_ptrIsEEsEEmLj1EEEvT0_T1_SA_
    .private_segment_fixed_size: 0
    .sgpr_count:     14
    .sgpr_spill_count: 0
    .symbol:         _ZN6thrust23THRUST_200600_302600_NS11hip_rocprim14__parallel_for6kernelILj256ENS1_20__uninitialized_fill7functorINS0_10device_ptrIsEEsEEmLj1EEEvT0_T1_SA_.kd
    .uniform_work_group_size: 1
    .uses_dynamic_stack: false
    .vgpr_count:     4
    .vgpr_spill_count: 0
    .wavefront_size: 32
    .workgroup_processor_mode: 1
  - .args:
      - .offset:         0
        .size:           8
        .value_kind:     by_value
      - .address_space:  global
        .offset:         8
        .size:           8
        .value_kind:     global_buffer
      - .address_space:  global
        .offset:         16
        .size:           8
        .value_kind:     global_buffer
    .group_segment_fixed_size: 0
    .kernarg_segment_align: 8
    .kernarg_segment_size: 24
    .language:       OpenCL C
    .language_version:
      - 2
      - 0
    .max_flat_workgroup_size: 256
    .name:           _Z18lower_bound_kernelIsEvmPT_Pl
    .private_segment_fixed_size: 0
    .sgpr_count:     18
    .sgpr_spill_count: 0
    .symbol:         _Z18lower_bound_kernelIsEvmPT_Pl.kd
    .uniform_work_group_size: 1
    .uses_dynamic_stack: false
    .vgpr_count:     3
    .vgpr_spill_count: 0
    .wavefront_size: 32
    .workgroup_processor_mode: 1
  - .args:
      - .offset:         0
        .size:           56
        .value_kind:     by_value
    .group_segment_fixed_size: 0
    .kernarg_segment_align: 8
    .kernarg_segment_size: 56
    .language:       OpenCL C
    .language_version:
      - 2
      - 0
    .max_flat_workgroup_size: 256
    .name:           _ZN7rocprim17ROCPRIM_400000_NS6detail17trampoline_kernelINS0_14default_configENS1_27lower_bound_config_selectorIslEEZNS1_14transform_implILb0ES3_S5_N6thrust23THRUST_200600_302600_NS6detail15normal_iteratorINS8_7pointerIsNS8_11hip_rocprim5par_tENS8_11use_defaultESE_EEEENSA_INSB_IlSD_SE_SE_EEEEZNS1_13binary_searchIS3_S5_PsSG_SI_NS1_21lower_bound_search_opENS9_16wrapped_functionI11custom_lessbEEEE10hipError_tPvRmT1_T2_T3_mmT4_T5_P12ihipStream_tbEUlRKsE_EESP_ST_SU_mSV_SY_bEUlT_E_NS1_11comp_targetILNS1_3genE0ELNS1_11target_archE4294967295ELNS1_3gpuE0ELNS1_3repE0EEENS1_30default_config_static_selectorELNS0_4arch9wavefront6targetE0EEEvSS_
    .private_segment_fixed_size: 0
    .sgpr_count:     0
    .sgpr_spill_count: 0
    .symbol:         _ZN7rocprim17ROCPRIM_400000_NS6detail17trampoline_kernelINS0_14default_configENS1_27lower_bound_config_selectorIslEEZNS1_14transform_implILb0ES3_S5_N6thrust23THRUST_200600_302600_NS6detail15normal_iteratorINS8_7pointerIsNS8_11hip_rocprim5par_tENS8_11use_defaultESE_EEEENSA_INSB_IlSD_SE_SE_EEEEZNS1_13binary_searchIS3_S5_PsSG_SI_NS1_21lower_bound_search_opENS9_16wrapped_functionI11custom_lessbEEEE10hipError_tPvRmT1_T2_T3_mmT4_T5_P12ihipStream_tbEUlRKsE_EESP_ST_SU_mSV_SY_bEUlT_E_NS1_11comp_targetILNS1_3genE0ELNS1_11target_archE4294967295ELNS1_3gpuE0ELNS1_3repE0EEENS1_30default_config_static_selectorELNS0_4arch9wavefront6targetE0EEEvSS_.kd
    .uniform_work_group_size: 1
    .uses_dynamic_stack: false
    .vgpr_count:     0
    .vgpr_spill_count: 0
    .wavefront_size: 32
    .workgroup_processor_mode: 1
  - .args:
      - .offset:         0
        .size:           56
        .value_kind:     by_value
    .group_segment_fixed_size: 0
    .kernarg_segment_align: 8
    .kernarg_segment_size: 56
    .language:       OpenCL C
    .language_version:
      - 2
      - 0
    .max_flat_workgroup_size: 256
    .name:           _ZN7rocprim17ROCPRIM_400000_NS6detail17trampoline_kernelINS0_14default_configENS1_27lower_bound_config_selectorIslEEZNS1_14transform_implILb0ES3_S5_N6thrust23THRUST_200600_302600_NS6detail15normal_iteratorINS8_7pointerIsNS8_11hip_rocprim5par_tENS8_11use_defaultESE_EEEENSA_INSB_IlSD_SE_SE_EEEEZNS1_13binary_searchIS3_S5_PsSG_SI_NS1_21lower_bound_search_opENS9_16wrapped_functionI11custom_lessbEEEE10hipError_tPvRmT1_T2_T3_mmT4_T5_P12ihipStream_tbEUlRKsE_EESP_ST_SU_mSV_SY_bEUlT_E_NS1_11comp_targetILNS1_3genE5ELNS1_11target_archE942ELNS1_3gpuE9ELNS1_3repE0EEENS1_30default_config_static_selectorELNS0_4arch9wavefront6targetE0EEEvSS_
    .private_segment_fixed_size: 0
    .sgpr_count:     0
    .sgpr_spill_count: 0
    .symbol:         _ZN7rocprim17ROCPRIM_400000_NS6detail17trampoline_kernelINS0_14default_configENS1_27lower_bound_config_selectorIslEEZNS1_14transform_implILb0ES3_S5_N6thrust23THRUST_200600_302600_NS6detail15normal_iteratorINS8_7pointerIsNS8_11hip_rocprim5par_tENS8_11use_defaultESE_EEEENSA_INSB_IlSD_SE_SE_EEEEZNS1_13binary_searchIS3_S5_PsSG_SI_NS1_21lower_bound_search_opENS9_16wrapped_functionI11custom_lessbEEEE10hipError_tPvRmT1_T2_T3_mmT4_T5_P12ihipStream_tbEUlRKsE_EESP_ST_SU_mSV_SY_bEUlT_E_NS1_11comp_targetILNS1_3genE5ELNS1_11target_archE942ELNS1_3gpuE9ELNS1_3repE0EEENS1_30default_config_static_selectorELNS0_4arch9wavefront6targetE0EEEvSS_.kd
    .uniform_work_group_size: 1
    .uses_dynamic_stack: false
    .vgpr_count:     0
    .vgpr_spill_count: 0
    .wavefront_size: 32
    .workgroup_processor_mode: 1
  - .args:
      - .offset:         0
        .size:           56
        .value_kind:     by_value
    .group_segment_fixed_size: 0
    .kernarg_segment_align: 8
    .kernarg_segment_size: 56
    .language:       OpenCL C
    .language_version:
      - 2
      - 0
    .max_flat_workgroup_size: 256
    .name:           _ZN7rocprim17ROCPRIM_400000_NS6detail17trampoline_kernelINS0_14default_configENS1_27lower_bound_config_selectorIslEEZNS1_14transform_implILb0ES3_S5_N6thrust23THRUST_200600_302600_NS6detail15normal_iteratorINS8_7pointerIsNS8_11hip_rocprim5par_tENS8_11use_defaultESE_EEEENSA_INSB_IlSD_SE_SE_EEEEZNS1_13binary_searchIS3_S5_PsSG_SI_NS1_21lower_bound_search_opENS9_16wrapped_functionI11custom_lessbEEEE10hipError_tPvRmT1_T2_T3_mmT4_T5_P12ihipStream_tbEUlRKsE_EESP_ST_SU_mSV_SY_bEUlT_E_NS1_11comp_targetILNS1_3genE4ELNS1_11target_archE910ELNS1_3gpuE8ELNS1_3repE0EEENS1_30default_config_static_selectorELNS0_4arch9wavefront6targetE0EEEvSS_
    .private_segment_fixed_size: 0
    .sgpr_count:     0
    .sgpr_spill_count: 0
    .symbol:         _ZN7rocprim17ROCPRIM_400000_NS6detail17trampoline_kernelINS0_14default_configENS1_27lower_bound_config_selectorIslEEZNS1_14transform_implILb0ES3_S5_N6thrust23THRUST_200600_302600_NS6detail15normal_iteratorINS8_7pointerIsNS8_11hip_rocprim5par_tENS8_11use_defaultESE_EEEENSA_INSB_IlSD_SE_SE_EEEEZNS1_13binary_searchIS3_S5_PsSG_SI_NS1_21lower_bound_search_opENS9_16wrapped_functionI11custom_lessbEEEE10hipError_tPvRmT1_T2_T3_mmT4_T5_P12ihipStream_tbEUlRKsE_EESP_ST_SU_mSV_SY_bEUlT_E_NS1_11comp_targetILNS1_3genE4ELNS1_11target_archE910ELNS1_3gpuE8ELNS1_3repE0EEENS1_30default_config_static_selectorELNS0_4arch9wavefront6targetE0EEEvSS_.kd
    .uniform_work_group_size: 1
    .uses_dynamic_stack: false
    .vgpr_count:     0
    .vgpr_spill_count: 0
    .wavefront_size: 32
    .workgroup_processor_mode: 1
  - .args:
      - .offset:         0
        .size:           56
        .value_kind:     by_value
    .group_segment_fixed_size: 0
    .kernarg_segment_align: 8
    .kernarg_segment_size: 56
    .language:       OpenCL C
    .language_version:
      - 2
      - 0
    .max_flat_workgroup_size: 256
    .name:           _ZN7rocprim17ROCPRIM_400000_NS6detail17trampoline_kernelINS0_14default_configENS1_27lower_bound_config_selectorIslEEZNS1_14transform_implILb0ES3_S5_N6thrust23THRUST_200600_302600_NS6detail15normal_iteratorINS8_7pointerIsNS8_11hip_rocprim5par_tENS8_11use_defaultESE_EEEENSA_INSB_IlSD_SE_SE_EEEEZNS1_13binary_searchIS3_S5_PsSG_SI_NS1_21lower_bound_search_opENS9_16wrapped_functionI11custom_lessbEEEE10hipError_tPvRmT1_T2_T3_mmT4_T5_P12ihipStream_tbEUlRKsE_EESP_ST_SU_mSV_SY_bEUlT_E_NS1_11comp_targetILNS1_3genE3ELNS1_11target_archE908ELNS1_3gpuE7ELNS1_3repE0EEENS1_30default_config_static_selectorELNS0_4arch9wavefront6targetE0EEEvSS_
    .private_segment_fixed_size: 0
    .sgpr_count:     0
    .sgpr_spill_count: 0
    .symbol:         _ZN7rocprim17ROCPRIM_400000_NS6detail17trampoline_kernelINS0_14default_configENS1_27lower_bound_config_selectorIslEEZNS1_14transform_implILb0ES3_S5_N6thrust23THRUST_200600_302600_NS6detail15normal_iteratorINS8_7pointerIsNS8_11hip_rocprim5par_tENS8_11use_defaultESE_EEEENSA_INSB_IlSD_SE_SE_EEEEZNS1_13binary_searchIS3_S5_PsSG_SI_NS1_21lower_bound_search_opENS9_16wrapped_functionI11custom_lessbEEEE10hipError_tPvRmT1_T2_T3_mmT4_T5_P12ihipStream_tbEUlRKsE_EESP_ST_SU_mSV_SY_bEUlT_E_NS1_11comp_targetILNS1_3genE3ELNS1_11target_archE908ELNS1_3gpuE7ELNS1_3repE0EEENS1_30default_config_static_selectorELNS0_4arch9wavefront6targetE0EEEvSS_.kd
    .uniform_work_group_size: 1
    .uses_dynamic_stack: false
    .vgpr_count:     0
    .vgpr_spill_count: 0
    .wavefront_size: 32
    .workgroup_processor_mode: 1
  - .args:
      - .offset:         0
        .size:           56
        .value_kind:     by_value
    .group_segment_fixed_size: 0
    .kernarg_segment_align: 8
    .kernarg_segment_size: 56
    .language:       OpenCL C
    .language_version:
      - 2
      - 0
    .max_flat_workgroup_size: 256
    .name:           _ZN7rocprim17ROCPRIM_400000_NS6detail17trampoline_kernelINS0_14default_configENS1_27lower_bound_config_selectorIslEEZNS1_14transform_implILb0ES3_S5_N6thrust23THRUST_200600_302600_NS6detail15normal_iteratorINS8_7pointerIsNS8_11hip_rocprim5par_tENS8_11use_defaultESE_EEEENSA_INSB_IlSD_SE_SE_EEEEZNS1_13binary_searchIS3_S5_PsSG_SI_NS1_21lower_bound_search_opENS9_16wrapped_functionI11custom_lessbEEEE10hipError_tPvRmT1_T2_T3_mmT4_T5_P12ihipStream_tbEUlRKsE_EESP_ST_SU_mSV_SY_bEUlT_E_NS1_11comp_targetILNS1_3genE2ELNS1_11target_archE906ELNS1_3gpuE6ELNS1_3repE0EEENS1_30default_config_static_selectorELNS0_4arch9wavefront6targetE0EEEvSS_
    .private_segment_fixed_size: 0
    .sgpr_count:     0
    .sgpr_spill_count: 0
    .symbol:         _ZN7rocprim17ROCPRIM_400000_NS6detail17trampoline_kernelINS0_14default_configENS1_27lower_bound_config_selectorIslEEZNS1_14transform_implILb0ES3_S5_N6thrust23THRUST_200600_302600_NS6detail15normal_iteratorINS8_7pointerIsNS8_11hip_rocprim5par_tENS8_11use_defaultESE_EEEENSA_INSB_IlSD_SE_SE_EEEEZNS1_13binary_searchIS3_S5_PsSG_SI_NS1_21lower_bound_search_opENS9_16wrapped_functionI11custom_lessbEEEE10hipError_tPvRmT1_T2_T3_mmT4_T5_P12ihipStream_tbEUlRKsE_EESP_ST_SU_mSV_SY_bEUlT_E_NS1_11comp_targetILNS1_3genE2ELNS1_11target_archE906ELNS1_3gpuE6ELNS1_3repE0EEENS1_30default_config_static_selectorELNS0_4arch9wavefront6targetE0EEEvSS_.kd
    .uniform_work_group_size: 1
    .uses_dynamic_stack: false
    .vgpr_count:     0
    .vgpr_spill_count: 0
    .wavefront_size: 32
    .workgroup_processor_mode: 1
  - .args:
      - .offset:         0
        .size:           56
        .value_kind:     by_value
    .group_segment_fixed_size: 0
    .kernarg_segment_align: 8
    .kernarg_segment_size: 56
    .language:       OpenCL C
    .language_version:
      - 2
      - 0
    .max_flat_workgroup_size: 256
    .name:           _ZN7rocprim17ROCPRIM_400000_NS6detail17trampoline_kernelINS0_14default_configENS1_27lower_bound_config_selectorIslEEZNS1_14transform_implILb0ES3_S5_N6thrust23THRUST_200600_302600_NS6detail15normal_iteratorINS8_7pointerIsNS8_11hip_rocprim5par_tENS8_11use_defaultESE_EEEENSA_INSB_IlSD_SE_SE_EEEEZNS1_13binary_searchIS3_S5_PsSG_SI_NS1_21lower_bound_search_opENS9_16wrapped_functionI11custom_lessbEEEE10hipError_tPvRmT1_T2_T3_mmT4_T5_P12ihipStream_tbEUlRKsE_EESP_ST_SU_mSV_SY_bEUlT_E_NS1_11comp_targetILNS1_3genE10ELNS1_11target_archE1201ELNS1_3gpuE5ELNS1_3repE0EEENS1_30default_config_static_selectorELNS0_4arch9wavefront6targetE0EEEvSS_
    .private_segment_fixed_size: 0
    .sgpr_count:     0
    .sgpr_spill_count: 0
    .symbol:         _ZN7rocprim17ROCPRIM_400000_NS6detail17trampoline_kernelINS0_14default_configENS1_27lower_bound_config_selectorIslEEZNS1_14transform_implILb0ES3_S5_N6thrust23THRUST_200600_302600_NS6detail15normal_iteratorINS8_7pointerIsNS8_11hip_rocprim5par_tENS8_11use_defaultESE_EEEENSA_INSB_IlSD_SE_SE_EEEEZNS1_13binary_searchIS3_S5_PsSG_SI_NS1_21lower_bound_search_opENS9_16wrapped_functionI11custom_lessbEEEE10hipError_tPvRmT1_T2_T3_mmT4_T5_P12ihipStream_tbEUlRKsE_EESP_ST_SU_mSV_SY_bEUlT_E_NS1_11comp_targetILNS1_3genE10ELNS1_11target_archE1201ELNS1_3gpuE5ELNS1_3repE0EEENS1_30default_config_static_selectorELNS0_4arch9wavefront6targetE0EEEvSS_.kd
    .uniform_work_group_size: 1
    .uses_dynamic_stack: false
    .vgpr_count:     0
    .vgpr_spill_count: 0
    .wavefront_size: 32
    .workgroup_processor_mode: 1
  - .args:
      - .offset:         0
        .size:           56
        .value_kind:     by_value
    .group_segment_fixed_size: 0
    .kernarg_segment_align: 8
    .kernarg_segment_size: 56
    .language:       OpenCL C
    .language_version:
      - 2
      - 0
    .max_flat_workgroup_size: 256
    .name:           _ZN7rocprim17ROCPRIM_400000_NS6detail17trampoline_kernelINS0_14default_configENS1_27lower_bound_config_selectorIslEEZNS1_14transform_implILb0ES3_S5_N6thrust23THRUST_200600_302600_NS6detail15normal_iteratorINS8_7pointerIsNS8_11hip_rocprim5par_tENS8_11use_defaultESE_EEEENSA_INSB_IlSD_SE_SE_EEEEZNS1_13binary_searchIS3_S5_PsSG_SI_NS1_21lower_bound_search_opENS9_16wrapped_functionI11custom_lessbEEEE10hipError_tPvRmT1_T2_T3_mmT4_T5_P12ihipStream_tbEUlRKsE_EESP_ST_SU_mSV_SY_bEUlT_E_NS1_11comp_targetILNS1_3genE10ELNS1_11target_archE1200ELNS1_3gpuE4ELNS1_3repE0EEENS1_30default_config_static_selectorELNS0_4arch9wavefront6targetE0EEEvSS_
    .private_segment_fixed_size: 0
    .sgpr_count:     0
    .sgpr_spill_count: 0
    .symbol:         _ZN7rocprim17ROCPRIM_400000_NS6detail17trampoline_kernelINS0_14default_configENS1_27lower_bound_config_selectorIslEEZNS1_14transform_implILb0ES3_S5_N6thrust23THRUST_200600_302600_NS6detail15normal_iteratorINS8_7pointerIsNS8_11hip_rocprim5par_tENS8_11use_defaultESE_EEEENSA_INSB_IlSD_SE_SE_EEEEZNS1_13binary_searchIS3_S5_PsSG_SI_NS1_21lower_bound_search_opENS9_16wrapped_functionI11custom_lessbEEEE10hipError_tPvRmT1_T2_T3_mmT4_T5_P12ihipStream_tbEUlRKsE_EESP_ST_SU_mSV_SY_bEUlT_E_NS1_11comp_targetILNS1_3genE10ELNS1_11target_archE1200ELNS1_3gpuE4ELNS1_3repE0EEENS1_30default_config_static_selectorELNS0_4arch9wavefront6targetE0EEEvSS_.kd
    .uniform_work_group_size: 1
    .uses_dynamic_stack: false
    .vgpr_count:     0
    .vgpr_spill_count: 0
    .wavefront_size: 32
    .workgroup_processor_mode: 1
  - .args:
      - .offset:         0
        .size:           56
        .value_kind:     by_value
    .group_segment_fixed_size: 0
    .kernarg_segment_align: 8
    .kernarg_segment_size: 56
    .language:       OpenCL C
    .language_version:
      - 2
      - 0
    .max_flat_workgroup_size: 64
    .name:           _ZN7rocprim17ROCPRIM_400000_NS6detail17trampoline_kernelINS0_14default_configENS1_27lower_bound_config_selectorIslEEZNS1_14transform_implILb0ES3_S5_N6thrust23THRUST_200600_302600_NS6detail15normal_iteratorINS8_7pointerIsNS8_11hip_rocprim5par_tENS8_11use_defaultESE_EEEENSA_INSB_IlSD_SE_SE_EEEEZNS1_13binary_searchIS3_S5_PsSG_SI_NS1_21lower_bound_search_opENS9_16wrapped_functionI11custom_lessbEEEE10hipError_tPvRmT1_T2_T3_mmT4_T5_P12ihipStream_tbEUlRKsE_EESP_ST_SU_mSV_SY_bEUlT_E_NS1_11comp_targetILNS1_3genE9ELNS1_11target_archE1100ELNS1_3gpuE3ELNS1_3repE0EEENS1_30default_config_static_selectorELNS0_4arch9wavefront6targetE0EEEvSS_
    .private_segment_fixed_size: 0
    .sgpr_count:     0
    .sgpr_spill_count: 0
    .symbol:         _ZN7rocprim17ROCPRIM_400000_NS6detail17trampoline_kernelINS0_14default_configENS1_27lower_bound_config_selectorIslEEZNS1_14transform_implILb0ES3_S5_N6thrust23THRUST_200600_302600_NS6detail15normal_iteratorINS8_7pointerIsNS8_11hip_rocprim5par_tENS8_11use_defaultESE_EEEENSA_INSB_IlSD_SE_SE_EEEEZNS1_13binary_searchIS3_S5_PsSG_SI_NS1_21lower_bound_search_opENS9_16wrapped_functionI11custom_lessbEEEE10hipError_tPvRmT1_T2_T3_mmT4_T5_P12ihipStream_tbEUlRKsE_EESP_ST_SU_mSV_SY_bEUlT_E_NS1_11comp_targetILNS1_3genE9ELNS1_11target_archE1100ELNS1_3gpuE3ELNS1_3repE0EEENS1_30default_config_static_selectorELNS0_4arch9wavefront6targetE0EEEvSS_.kd
    .uniform_work_group_size: 1
    .uses_dynamic_stack: false
    .vgpr_count:     0
    .vgpr_spill_count: 0
    .wavefront_size: 32
    .workgroup_processor_mode: 1
  - .args:
      - .offset:         0
        .size:           56
        .value_kind:     by_value
      - .offset:         56
        .size:           4
        .value_kind:     hidden_block_count_x
      - .offset:         60
        .size:           4
        .value_kind:     hidden_block_count_y
      - .offset:         64
        .size:           4
        .value_kind:     hidden_block_count_z
      - .offset:         68
        .size:           2
        .value_kind:     hidden_group_size_x
      - .offset:         70
        .size:           2
        .value_kind:     hidden_group_size_y
      - .offset:         72
        .size:           2
        .value_kind:     hidden_group_size_z
      - .offset:         74
        .size:           2
        .value_kind:     hidden_remainder_x
      - .offset:         76
        .size:           2
        .value_kind:     hidden_remainder_y
      - .offset:         78
        .size:           2
        .value_kind:     hidden_remainder_z
      - .offset:         96
        .size:           8
        .value_kind:     hidden_global_offset_x
      - .offset:         104
        .size:           8
        .value_kind:     hidden_global_offset_y
      - .offset:         112
        .size:           8
        .value_kind:     hidden_global_offset_z
      - .offset:         120
        .size:           2
        .value_kind:     hidden_grid_dims
    .group_segment_fixed_size: 0
    .kernarg_segment_align: 8
    .kernarg_segment_size: 312
    .language:       OpenCL C
    .language_version:
      - 2
      - 0
    .max_flat_workgroup_size: 128
    .name:           _ZN7rocprim17ROCPRIM_400000_NS6detail17trampoline_kernelINS0_14default_configENS1_27lower_bound_config_selectorIslEEZNS1_14transform_implILb0ES3_S5_N6thrust23THRUST_200600_302600_NS6detail15normal_iteratorINS8_7pointerIsNS8_11hip_rocprim5par_tENS8_11use_defaultESE_EEEENSA_INSB_IlSD_SE_SE_EEEEZNS1_13binary_searchIS3_S5_PsSG_SI_NS1_21lower_bound_search_opENS9_16wrapped_functionI11custom_lessbEEEE10hipError_tPvRmT1_T2_T3_mmT4_T5_P12ihipStream_tbEUlRKsE_EESP_ST_SU_mSV_SY_bEUlT_E_NS1_11comp_targetILNS1_3genE8ELNS1_11target_archE1030ELNS1_3gpuE2ELNS1_3repE0EEENS1_30default_config_static_selectorELNS0_4arch9wavefront6targetE0EEEvSS_
    .private_segment_fixed_size: 0
    .sgpr_count:     22
    .sgpr_spill_count: 0
    .symbol:         _ZN7rocprim17ROCPRIM_400000_NS6detail17trampoline_kernelINS0_14default_configENS1_27lower_bound_config_selectorIslEEZNS1_14transform_implILb0ES3_S5_N6thrust23THRUST_200600_302600_NS6detail15normal_iteratorINS8_7pointerIsNS8_11hip_rocprim5par_tENS8_11use_defaultESE_EEEENSA_INSB_IlSD_SE_SE_EEEEZNS1_13binary_searchIS3_S5_PsSG_SI_NS1_21lower_bound_search_opENS9_16wrapped_functionI11custom_lessbEEEE10hipError_tPvRmT1_T2_T3_mmT4_T5_P12ihipStream_tbEUlRKsE_EESP_ST_SU_mSV_SY_bEUlT_E_NS1_11comp_targetILNS1_3genE8ELNS1_11target_archE1030ELNS1_3gpuE2ELNS1_3repE0EEENS1_30default_config_static_selectorELNS0_4arch9wavefront6targetE0EEEvSS_.kd
    .uniform_work_group_size: 1
    .uses_dynamic_stack: false
    .vgpr_count:     17
    .vgpr_spill_count: 0
    .wavefront_size: 32
    .workgroup_processor_mode: 1
  - .args:
      - .offset:         0
        .size:           56
        .value_kind:     by_value
    .group_segment_fixed_size: 0
    .kernarg_segment_align: 8
    .kernarg_segment_size: 56
    .language:       OpenCL C
    .language_version:
      - 2
      - 0
    .max_flat_workgroup_size: 256
    .name:           _ZN7rocprim17ROCPRIM_400000_NS6detail17trampoline_kernelINS0_14default_configENS1_27lower_bound_config_selectorIslEEZNS1_14transform_implILb0ES3_S5_N6thrust23THRUST_200600_302600_NS6detail15normal_iteratorINS8_7pointerIsNS8_11hip_rocprim5par_tENS8_11use_defaultESE_EEEENSA_INSB_IlSD_SE_SE_EEEEZNS1_13binary_searchIS3_S5_PsSG_SI_NS1_21lower_bound_search_opENS9_16wrapped_functionINS8_6system6detail7generic6detail18binary_search_lessEbEEEE10hipError_tPvRmT1_T2_T3_mmT4_T5_P12ihipStream_tbEUlRKsE_EEST_SX_SY_mSZ_S12_bEUlT_E_NS1_11comp_targetILNS1_3genE0ELNS1_11target_archE4294967295ELNS1_3gpuE0ELNS1_3repE0EEENS1_30default_config_static_selectorELNS0_4arch9wavefront6targetE0EEEvSW_
    .private_segment_fixed_size: 0
    .sgpr_count:     0
    .sgpr_spill_count: 0
    .symbol:         _ZN7rocprim17ROCPRIM_400000_NS6detail17trampoline_kernelINS0_14default_configENS1_27lower_bound_config_selectorIslEEZNS1_14transform_implILb0ES3_S5_N6thrust23THRUST_200600_302600_NS6detail15normal_iteratorINS8_7pointerIsNS8_11hip_rocprim5par_tENS8_11use_defaultESE_EEEENSA_INSB_IlSD_SE_SE_EEEEZNS1_13binary_searchIS3_S5_PsSG_SI_NS1_21lower_bound_search_opENS9_16wrapped_functionINS8_6system6detail7generic6detail18binary_search_lessEbEEEE10hipError_tPvRmT1_T2_T3_mmT4_T5_P12ihipStream_tbEUlRKsE_EEST_SX_SY_mSZ_S12_bEUlT_E_NS1_11comp_targetILNS1_3genE0ELNS1_11target_archE4294967295ELNS1_3gpuE0ELNS1_3repE0EEENS1_30default_config_static_selectorELNS0_4arch9wavefront6targetE0EEEvSW_.kd
    .uniform_work_group_size: 1
    .uses_dynamic_stack: false
    .vgpr_count:     0
    .vgpr_spill_count: 0
    .wavefront_size: 32
    .workgroup_processor_mode: 1
  - .args:
      - .offset:         0
        .size:           56
        .value_kind:     by_value
    .group_segment_fixed_size: 0
    .kernarg_segment_align: 8
    .kernarg_segment_size: 56
    .language:       OpenCL C
    .language_version:
      - 2
      - 0
    .max_flat_workgroup_size: 256
    .name:           _ZN7rocprim17ROCPRIM_400000_NS6detail17trampoline_kernelINS0_14default_configENS1_27lower_bound_config_selectorIslEEZNS1_14transform_implILb0ES3_S5_N6thrust23THRUST_200600_302600_NS6detail15normal_iteratorINS8_7pointerIsNS8_11hip_rocprim5par_tENS8_11use_defaultESE_EEEENSA_INSB_IlSD_SE_SE_EEEEZNS1_13binary_searchIS3_S5_PsSG_SI_NS1_21lower_bound_search_opENS9_16wrapped_functionINS8_6system6detail7generic6detail18binary_search_lessEbEEEE10hipError_tPvRmT1_T2_T3_mmT4_T5_P12ihipStream_tbEUlRKsE_EEST_SX_SY_mSZ_S12_bEUlT_E_NS1_11comp_targetILNS1_3genE5ELNS1_11target_archE942ELNS1_3gpuE9ELNS1_3repE0EEENS1_30default_config_static_selectorELNS0_4arch9wavefront6targetE0EEEvSW_
    .private_segment_fixed_size: 0
    .sgpr_count:     0
    .sgpr_spill_count: 0
    .symbol:         _ZN7rocprim17ROCPRIM_400000_NS6detail17trampoline_kernelINS0_14default_configENS1_27lower_bound_config_selectorIslEEZNS1_14transform_implILb0ES3_S5_N6thrust23THRUST_200600_302600_NS6detail15normal_iteratorINS8_7pointerIsNS8_11hip_rocprim5par_tENS8_11use_defaultESE_EEEENSA_INSB_IlSD_SE_SE_EEEEZNS1_13binary_searchIS3_S5_PsSG_SI_NS1_21lower_bound_search_opENS9_16wrapped_functionINS8_6system6detail7generic6detail18binary_search_lessEbEEEE10hipError_tPvRmT1_T2_T3_mmT4_T5_P12ihipStream_tbEUlRKsE_EEST_SX_SY_mSZ_S12_bEUlT_E_NS1_11comp_targetILNS1_3genE5ELNS1_11target_archE942ELNS1_3gpuE9ELNS1_3repE0EEENS1_30default_config_static_selectorELNS0_4arch9wavefront6targetE0EEEvSW_.kd
    .uniform_work_group_size: 1
    .uses_dynamic_stack: false
    .vgpr_count:     0
    .vgpr_spill_count: 0
    .wavefront_size: 32
    .workgroup_processor_mode: 1
  - .args:
      - .offset:         0
        .size:           56
        .value_kind:     by_value
    .group_segment_fixed_size: 0
    .kernarg_segment_align: 8
    .kernarg_segment_size: 56
    .language:       OpenCL C
    .language_version:
      - 2
      - 0
    .max_flat_workgroup_size: 256
    .name:           _ZN7rocprim17ROCPRIM_400000_NS6detail17trampoline_kernelINS0_14default_configENS1_27lower_bound_config_selectorIslEEZNS1_14transform_implILb0ES3_S5_N6thrust23THRUST_200600_302600_NS6detail15normal_iteratorINS8_7pointerIsNS8_11hip_rocprim5par_tENS8_11use_defaultESE_EEEENSA_INSB_IlSD_SE_SE_EEEEZNS1_13binary_searchIS3_S5_PsSG_SI_NS1_21lower_bound_search_opENS9_16wrapped_functionINS8_6system6detail7generic6detail18binary_search_lessEbEEEE10hipError_tPvRmT1_T2_T3_mmT4_T5_P12ihipStream_tbEUlRKsE_EEST_SX_SY_mSZ_S12_bEUlT_E_NS1_11comp_targetILNS1_3genE4ELNS1_11target_archE910ELNS1_3gpuE8ELNS1_3repE0EEENS1_30default_config_static_selectorELNS0_4arch9wavefront6targetE0EEEvSW_
    .private_segment_fixed_size: 0
    .sgpr_count:     0
    .sgpr_spill_count: 0
    .symbol:         _ZN7rocprim17ROCPRIM_400000_NS6detail17trampoline_kernelINS0_14default_configENS1_27lower_bound_config_selectorIslEEZNS1_14transform_implILb0ES3_S5_N6thrust23THRUST_200600_302600_NS6detail15normal_iteratorINS8_7pointerIsNS8_11hip_rocprim5par_tENS8_11use_defaultESE_EEEENSA_INSB_IlSD_SE_SE_EEEEZNS1_13binary_searchIS3_S5_PsSG_SI_NS1_21lower_bound_search_opENS9_16wrapped_functionINS8_6system6detail7generic6detail18binary_search_lessEbEEEE10hipError_tPvRmT1_T2_T3_mmT4_T5_P12ihipStream_tbEUlRKsE_EEST_SX_SY_mSZ_S12_bEUlT_E_NS1_11comp_targetILNS1_3genE4ELNS1_11target_archE910ELNS1_3gpuE8ELNS1_3repE0EEENS1_30default_config_static_selectorELNS0_4arch9wavefront6targetE0EEEvSW_.kd
    .uniform_work_group_size: 1
    .uses_dynamic_stack: false
    .vgpr_count:     0
    .vgpr_spill_count: 0
    .wavefront_size: 32
    .workgroup_processor_mode: 1
  - .args:
      - .offset:         0
        .size:           56
        .value_kind:     by_value
    .group_segment_fixed_size: 0
    .kernarg_segment_align: 8
    .kernarg_segment_size: 56
    .language:       OpenCL C
    .language_version:
      - 2
      - 0
    .max_flat_workgroup_size: 256
    .name:           _ZN7rocprim17ROCPRIM_400000_NS6detail17trampoline_kernelINS0_14default_configENS1_27lower_bound_config_selectorIslEEZNS1_14transform_implILb0ES3_S5_N6thrust23THRUST_200600_302600_NS6detail15normal_iteratorINS8_7pointerIsNS8_11hip_rocprim5par_tENS8_11use_defaultESE_EEEENSA_INSB_IlSD_SE_SE_EEEEZNS1_13binary_searchIS3_S5_PsSG_SI_NS1_21lower_bound_search_opENS9_16wrapped_functionINS8_6system6detail7generic6detail18binary_search_lessEbEEEE10hipError_tPvRmT1_T2_T3_mmT4_T5_P12ihipStream_tbEUlRKsE_EEST_SX_SY_mSZ_S12_bEUlT_E_NS1_11comp_targetILNS1_3genE3ELNS1_11target_archE908ELNS1_3gpuE7ELNS1_3repE0EEENS1_30default_config_static_selectorELNS0_4arch9wavefront6targetE0EEEvSW_
    .private_segment_fixed_size: 0
    .sgpr_count:     0
    .sgpr_spill_count: 0
    .symbol:         _ZN7rocprim17ROCPRIM_400000_NS6detail17trampoline_kernelINS0_14default_configENS1_27lower_bound_config_selectorIslEEZNS1_14transform_implILb0ES3_S5_N6thrust23THRUST_200600_302600_NS6detail15normal_iteratorINS8_7pointerIsNS8_11hip_rocprim5par_tENS8_11use_defaultESE_EEEENSA_INSB_IlSD_SE_SE_EEEEZNS1_13binary_searchIS3_S5_PsSG_SI_NS1_21lower_bound_search_opENS9_16wrapped_functionINS8_6system6detail7generic6detail18binary_search_lessEbEEEE10hipError_tPvRmT1_T2_T3_mmT4_T5_P12ihipStream_tbEUlRKsE_EEST_SX_SY_mSZ_S12_bEUlT_E_NS1_11comp_targetILNS1_3genE3ELNS1_11target_archE908ELNS1_3gpuE7ELNS1_3repE0EEENS1_30default_config_static_selectorELNS0_4arch9wavefront6targetE0EEEvSW_.kd
    .uniform_work_group_size: 1
    .uses_dynamic_stack: false
    .vgpr_count:     0
    .vgpr_spill_count: 0
    .wavefront_size: 32
    .workgroup_processor_mode: 1
  - .args:
      - .offset:         0
        .size:           56
        .value_kind:     by_value
    .group_segment_fixed_size: 0
    .kernarg_segment_align: 8
    .kernarg_segment_size: 56
    .language:       OpenCL C
    .language_version:
      - 2
      - 0
    .max_flat_workgroup_size: 256
    .name:           _ZN7rocprim17ROCPRIM_400000_NS6detail17trampoline_kernelINS0_14default_configENS1_27lower_bound_config_selectorIslEEZNS1_14transform_implILb0ES3_S5_N6thrust23THRUST_200600_302600_NS6detail15normal_iteratorINS8_7pointerIsNS8_11hip_rocprim5par_tENS8_11use_defaultESE_EEEENSA_INSB_IlSD_SE_SE_EEEEZNS1_13binary_searchIS3_S5_PsSG_SI_NS1_21lower_bound_search_opENS9_16wrapped_functionINS8_6system6detail7generic6detail18binary_search_lessEbEEEE10hipError_tPvRmT1_T2_T3_mmT4_T5_P12ihipStream_tbEUlRKsE_EEST_SX_SY_mSZ_S12_bEUlT_E_NS1_11comp_targetILNS1_3genE2ELNS1_11target_archE906ELNS1_3gpuE6ELNS1_3repE0EEENS1_30default_config_static_selectorELNS0_4arch9wavefront6targetE0EEEvSW_
    .private_segment_fixed_size: 0
    .sgpr_count:     0
    .sgpr_spill_count: 0
    .symbol:         _ZN7rocprim17ROCPRIM_400000_NS6detail17trampoline_kernelINS0_14default_configENS1_27lower_bound_config_selectorIslEEZNS1_14transform_implILb0ES3_S5_N6thrust23THRUST_200600_302600_NS6detail15normal_iteratorINS8_7pointerIsNS8_11hip_rocprim5par_tENS8_11use_defaultESE_EEEENSA_INSB_IlSD_SE_SE_EEEEZNS1_13binary_searchIS3_S5_PsSG_SI_NS1_21lower_bound_search_opENS9_16wrapped_functionINS8_6system6detail7generic6detail18binary_search_lessEbEEEE10hipError_tPvRmT1_T2_T3_mmT4_T5_P12ihipStream_tbEUlRKsE_EEST_SX_SY_mSZ_S12_bEUlT_E_NS1_11comp_targetILNS1_3genE2ELNS1_11target_archE906ELNS1_3gpuE6ELNS1_3repE0EEENS1_30default_config_static_selectorELNS0_4arch9wavefront6targetE0EEEvSW_.kd
    .uniform_work_group_size: 1
    .uses_dynamic_stack: false
    .vgpr_count:     0
    .vgpr_spill_count: 0
    .wavefront_size: 32
    .workgroup_processor_mode: 1
  - .args:
      - .offset:         0
        .size:           56
        .value_kind:     by_value
    .group_segment_fixed_size: 0
    .kernarg_segment_align: 8
    .kernarg_segment_size: 56
    .language:       OpenCL C
    .language_version:
      - 2
      - 0
    .max_flat_workgroup_size: 256
    .name:           _ZN7rocprim17ROCPRIM_400000_NS6detail17trampoline_kernelINS0_14default_configENS1_27lower_bound_config_selectorIslEEZNS1_14transform_implILb0ES3_S5_N6thrust23THRUST_200600_302600_NS6detail15normal_iteratorINS8_7pointerIsNS8_11hip_rocprim5par_tENS8_11use_defaultESE_EEEENSA_INSB_IlSD_SE_SE_EEEEZNS1_13binary_searchIS3_S5_PsSG_SI_NS1_21lower_bound_search_opENS9_16wrapped_functionINS8_6system6detail7generic6detail18binary_search_lessEbEEEE10hipError_tPvRmT1_T2_T3_mmT4_T5_P12ihipStream_tbEUlRKsE_EEST_SX_SY_mSZ_S12_bEUlT_E_NS1_11comp_targetILNS1_3genE10ELNS1_11target_archE1201ELNS1_3gpuE5ELNS1_3repE0EEENS1_30default_config_static_selectorELNS0_4arch9wavefront6targetE0EEEvSW_
    .private_segment_fixed_size: 0
    .sgpr_count:     0
    .sgpr_spill_count: 0
    .symbol:         _ZN7rocprim17ROCPRIM_400000_NS6detail17trampoline_kernelINS0_14default_configENS1_27lower_bound_config_selectorIslEEZNS1_14transform_implILb0ES3_S5_N6thrust23THRUST_200600_302600_NS6detail15normal_iteratorINS8_7pointerIsNS8_11hip_rocprim5par_tENS8_11use_defaultESE_EEEENSA_INSB_IlSD_SE_SE_EEEEZNS1_13binary_searchIS3_S5_PsSG_SI_NS1_21lower_bound_search_opENS9_16wrapped_functionINS8_6system6detail7generic6detail18binary_search_lessEbEEEE10hipError_tPvRmT1_T2_T3_mmT4_T5_P12ihipStream_tbEUlRKsE_EEST_SX_SY_mSZ_S12_bEUlT_E_NS1_11comp_targetILNS1_3genE10ELNS1_11target_archE1201ELNS1_3gpuE5ELNS1_3repE0EEENS1_30default_config_static_selectorELNS0_4arch9wavefront6targetE0EEEvSW_.kd
    .uniform_work_group_size: 1
    .uses_dynamic_stack: false
    .vgpr_count:     0
    .vgpr_spill_count: 0
    .wavefront_size: 32
    .workgroup_processor_mode: 1
  - .args:
      - .offset:         0
        .size:           56
        .value_kind:     by_value
    .group_segment_fixed_size: 0
    .kernarg_segment_align: 8
    .kernarg_segment_size: 56
    .language:       OpenCL C
    .language_version:
      - 2
      - 0
    .max_flat_workgroup_size: 256
    .name:           _ZN7rocprim17ROCPRIM_400000_NS6detail17trampoline_kernelINS0_14default_configENS1_27lower_bound_config_selectorIslEEZNS1_14transform_implILb0ES3_S5_N6thrust23THRUST_200600_302600_NS6detail15normal_iteratorINS8_7pointerIsNS8_11hip_rocprim5par_tENS8_11use_defaultESE_EEEENSA_INSB_IlSD_SE_SE_EEEEZNS1_13binary_searchIS3_S5_PsSG_SI_NS1_21lower_bound_search_opENS9_16wrapped_functionINS8_6system6detail7generic6detail18binary_search_lessEbEEEE10hipError_tPvRmT1_T2_T3_mmT4_T5_P12ihipStream_tbEUlRKsE_EEST_SX_SY_mSZ_S12_bEUlT_E_NS1_11comp_targetILNS1_3genE10ELNS1_11target_archE1200ELNS1_3gpuE4ELNS1_3repE0EEENS1_30default_config_static_selectorELNS0_4arch9wavefront6targetE0EEEvSW_
    .private_segment_fixed_size: 0
    .sgpr_count:     0
    .sgpr_spill_count: 0
    .symbol:         _ZN7rocprim17ROCPRIM_400000_NS6detail17trampoline_kernelINS0_14default_configENS1_27lower_bound_config_selectorIslEEZNS1_14transform_implILb0ES3_S5_N6thrust23THRUST_200600_302600_NS6detail15normal_iteratorINS8_7pointerIsNS8_11hip_rocprim5par_tENS8_11use_defaultESE_EEEENSA_INSB_IlSD_SE_SE_EEEEZNS1_13binary_searchIS3_S5_PsSG_SI_NS1_21lower_bound_search_opENS9_16wrapped_functionINS8_6system6detail7generic6detail18binary_search_lessEbEEEE10hipError_tPvRmT1_T2_T3_mmT4_T5_P12ihipStream_tbEUlRKsE_EEST_SX_SY_mSZ_S12_bEUlT_E_NS1_11comp_targetILNS1_3genE10ELNS1_11target_archE1200ELNS1_3gpuE4ELNS1_3repE0EEENS1_30default_config_static_selectorELNS0_4arch9wavefront6targetE0EEEvSW_.kd
    .uniform_work_group_size: 1
    .uses_dynamic_stack: false
    .vgpr_count:     0
    .vgpr_spill_count: 0
    .wavefront_size: 32
    .workgroup_processor_mode: 1
  - .args:
      - .offset:         0
        .size:           56
        .value_kind:     by_value
    .group_segment_fixed_size: 0
    .kernarg_segment_align: 8
    .kernarg_segment_size: 56
    .language:       OpenCL C
    .language_version:
      - 2
      - 0
    .max_flat_workgroup_size: 64
    .name:           _ZN7rocprim17ROCPRIM_400000_NS6detail17trampoline_kernelINS0_14default_configENS1_27lower_bound_config_selectorIslEEZNS1_14transform_implILb0ES3_S5_N6thrust23THRUST_200600_302600_NS6detail15normal_iteratorINS8_7pointerIsNS8_11hip_rocprim5par_tENS8_11use_defaultESE_EEEENSA_INSB_IlSD_SE_SE_EEEEZNS1_13binary_searchIS3_S5_PsSG_SI_NS1_21lower_bound_search_opENS9_16wrapped_functionINS8_6system6detail7generic6detail18binary_search_lessEbEEEE10hipError_tPvRmT1_T2_T3_mmT4_T5_P12ihipStream_tbEUlRKsE_EEST_SX_SY_mSZ_S12_bEUlT_E_NS1_11comp_targetILNS1_3genE9ELNS1_11target_archE1100ELNS1_3gpuE3ELNS1_3repE0EEENS1_30default_config_static_selectorELNS0_4arch9wavefront6targetE0EEEvSW_
    .private_segment_fixed_size: 0
    .sgpr_count:     0
    .sgpr_spill_count: 0
    .symbol:         _ZN7rocprim17ROCPRIM_400000_NS6detail17trampoline_kernelINS0_14default_configENS1_27lower_bound_config_selectorIslEEZNS1_14transform_implILb0ES3_S5_N6thrust23THRUST_200600_302600_NS6detail15normal_iteratorINS8_7pointerIsNS8_11hip_rocprim5par_tENS8_11use_defaultESE_EEEENSA_INSB_IlSD_SE_SE_EEEEZNS1_13binary_searchIS3_S5_PsSG_SI_NS1_21lower_bound_search_opENS9_16wrapped_functionINS8_6system6detail7generic6detail18binary_search_lessEbEEEE10hipError_tPvRmT1_T2_T3_mmT4_T5_P12ihipStream_tbEUlRKsE_EEST_SX_SY_mSZ_S12_bEUlT_E_NS1_11comp_targetILNS1_3genE9ELNS1_11target_archE1100ELNS1_3gpuE3ELNS1_3repE0EEENS1_30default_config_static_selectorELNS0_4arch9wavefront6targetE0EEEvSW_.kd
    .uniform_work_group_size: 1
    .uses_dynamic_stack: false
    .vgpr_count:     0
    .vgpr_spill_count: 0
    .wavefront_size: 32
    .workgroup_processor_mode: 1
  - .args:
      - .offset:         0
        .size:           56
        .value_kind:     by_value
      - .offset:         56
        .size:           4
        .value_kind:     hidden_block_count_x
      - .offset:         60
        .size:           4
        .value_kind:     hidden_block_count_y
      - .offset:         64
        .size:           4
        .value_kind:     hidden_block_count_z
      - .offset:         68
        .size:           2
        .value_kind:     hidden_group_size_x
      - .offset:         70
        .size:           2
        .value_kind:     hidden_group_size_y
      - .offset:         72
        .size:           2
        .value_kind:     hidden_group_size_z
      - .offset:         74
        .size:           2
        .value_kind:     hidden_remainder_x
      - .offset:         76
        .size:           2
        .value_kind:     hidden_remainder_y
      - .offset:         78
        .size:           2
        .value_kind:     hidden_remainder_z
      - .offset:         96
        .size:           8
        .value_kind:     hidden_global_offset_x
      - .offset:         104
        .size:           8
        .value_kind:     hidden_global_offset_y
      - .offset:         112
        .size:           8
        .value_kind:     hidden_global_offset_z
      - .offset:         120
        .size:           2
        .value_kind:     hidden_grid_dims
    .group_segment_fixed_size: 0
    .kernarg_segment_align: 8
    .kernarg_segment_size: 312
    .language:       OpenCL C
    .language_version:
      - 2
      - 0
    .max_flat_workgroup_size: 128
    .name:           _ZN7rocprim17ROCPRIM_400000_NS6detail17trampoline_kernelINS0_14default_configENS1_27lower_bound_config_selectorIslEEZNS1_14transform_implILb0ES3_S5_N6thrust23THRUST_200600_302600_NS6detail15normal_iteratorINS8_7pointerIsNS8_11hip_rocprim5par_tENS8_11use_defaultESE_EEEENSA_INSB_IlSD_SE_SE_EEEEZNS1_13binary_searchIS3_S5_PsSG_SI_NS1_21lower_bound_search_opENS9_16wrapped_functionINS8_6system6detail7generic6detail18binary_search_lessEbEEEE10hipError_tPvRmT1_T2_T3_mmT4_T5_P12ihipStream_tbEUlRKsE_EEST_SX_SY_mSZ_S12_bEUlT_E_NS1_11comp_targetILNS1_3genE8ELNS1_11target_archE1030ELNS1_3gpuE2ELNS1_3repE0EEENS1_30default_config_static_selectorELNS0_4arch9wavefront6targetE0EEEvSW_
    .private_segment_fixed_size: 0
    .sgpr_count:     22
    .sgpr_spill_count: 0
    .symbol:         _ZN7rocprim17ROCPRIM_400000_NS6detail17trampoline_kernelINS0_14default_configENS1_27lower_bound_config_selectorIslEEZNS1_14transform_implILb0ES3_S5_N6thrust23THRUST_200600_302600_NS6detail15normal_iteratorINS8_7pointerIsNS8_11hip_rocprim5par_tENS8_11use_defaultESE_EEEENSA_INSB_IlSD_SE_SE_EEEEZNS1_13binary_searchIS3_S5_PsSG_SI_NS1_21lower_bound_search_opENS9_16wrapped_functionINS8_6system6detail7generic6detail18binary_search_lessEbEEEE10hipError_tPvRmT1_T2_T3_mmT4_T5_P12ihipStream_tbEUlRKsE_EEST_SX_SY_mSZ_S12_bEUlT_E_NS1_11comp_targetILNS1_3genE8ELNS1_11target_archE1030ELNS1_3gpuE2ELNS1_3repE0EEENS1_30default_config_static_selectorELNS0_4arch9wavefront6targetE0EEEvSW_.kd
    .uniform_work_group_size: 1
    .uses_dynamic_stack: false
    .vgpr_count:     17
    .vgpr_spill_count: 0
    .wavefront_size: 32
    .workgroup_processor_mode: 1
  - .args:
      - .offset:         0
        .size:           8
        .value_kind:     by_value
      - .address_space:  global
        .offset:         8
        .size:           8
        .value_kind:     global_buffer
      - .address_space:  global
        .offset:         16
        .size:           8
        .value_kind:     global_buffer
    .group_segment_fixed_size: 0
    .kernarg_segment_align: 8
    .kernarg_segment_size: 24
    .language:       OpenCL C
    .language_version:
      - 2
      - 0
    .max_flat_workgroup_size: 256
    .name:           _Z18upper_bound_kernelIdEvmPT_Pl
    .private_segment_fixed_size: 0
    .sgpr_count:     18
    .sgpr_spill_count: 0
    .symbol:         _Z18upper_bound_kernelIdEvmPT_Pl.kd
    .uniform_work_group_size: 1
    .uses_dynamic_stack: false
    .vgpr_count:     3
    .vgpr_spill_count: 0
    .wavefront_size: 32
    .workgroup_processor_mode: 1
  - .args:
      - .offset:         0
        .size:           56
        .value_kind:     by_value
    .group_segment_fixed_size: 0
    .kernarg_segment_align: 8
    .kernarg_segment_size: 56
    .language:       OpenCL C
    .language_version:
      - 2
      - 0
    .max_flat_workgroup_size: 256
    .name:           _ZN7rocprim17ROCPRIM_400000_NS6detail17trampoline_kernelINS0_14default_configENS1_27upper_bound_config_selectorIdlEEZNS1_14transform_implILb0ES3_S5_N6thrust23THRUST_200600_302600_NS6detail15normal_iteratorINS8_7pointerIdNS8_11hip_rocprim5par_tENS8_11use_defaultESE_EEEENSA_INSB_IlSD_SE_SE_EEEEZNS1_13binary_searchIS3_S5_PdSG_SI_NS1_21upper_bound_search_opENS9_16wrapped_functionINS8_6system6detail7generic6detail18binary_search_lessEbEEEE10hipError_tPvRmT1_T2_T3_mmT4_T5_P12ihipStream_tbEUlRKdE_EEST_SX_SY_mSZ_S12_bEUlT_E_NS1_11comp_targetILNS1_3genE0ELNS1_11target_archE4294967295ELNS1_3gpuE0ELNS1_3repE0EEENS1_30default_config_static_selectorELNS0_4arch9wavefront6targetE0EEEvSW_
    .private_segment_fixed_size: 0
    .sgpr_count:     0
    .sgpr_spill_count: 0
    .symbol:         _ZN7rocprim17ROCPRIM_400000_NS6detail17trampoline_kernelINS0_14default_configENS1_27upper_bound_config_selectorIdlEEZNS1_14transform_implILb0ES3_S5_N6thrust23THRUST_200600_302600_NS6detail15normal_iteratorINS8_7pointerIdNS8_11hip_rocprim5par_tENS8_11use_defaultESE_EEEENSA_INSB_IlSD_SE_SE_EEEEZNS1_13binary_searchIS3_S5_PdSG_SI_NS1_21upper_bound_search_opENS9_16wrapped_functionINS8_6system6detail7generic6detail18binary_search_lessEbEEEE10hipError_tPvRmT1_T2_T3_mmT4_T5_P12ihipStream_tbEUlRKdE_EEST_SX_SY_mSZ_S12_bEUlT_E_NS1_11comp_targetILNS1_3genE0ELNS1_11target_archE4294967295ELNS1_3gpuE0ELNS1_3repE0EEENS1_30default_config_static_selectorELNS0_4arch9wavefront6targetE0EEEvSW_.kd
    .uniform_work_group_size: 1
    .uses_dynamic_stack: false
    .vgpr_count:     0
    .vgpr_spill_count: 0
    .wavefront_size: 32
    .workgroup_processor_mode: 1
  - .args:
      - .offset:         0
        .size:           56
        .value_kind:     by_value
    .group_segment_fixed_size: 0
    .kernarg_segment_align: 8
    .kernarg_segment_size: 56
    .language:       OpenCL C
    .language_version:
      - 2
      - 0
    .max_flat_workgroup_size: 64
    .name:           _ZN7rocprim17ROCPRIM_400000_NS6detail17trampoline_kernelINS0_14default_configENS1_27upper_bound_config_selectorIdlEEZNS1_14transform_implILb0ES3_S5_N6thrust23THRUST_200600_302600_NS6detail15normal_iteratorINS8_7pointerIdNS8_11hip_rocprim5par_tENS8_11use_defaultESE_EEEENSA_INSB_IlSD_SE_SE_EEEEZNS1_13binary_searchIS3_S5_PdSG_SI_NS1_21upper_bound_search_opENS9_16wrapped_functionINS8_6system6detail7generic6detail18binary_search_lessEbEEEE10hipError_tPvRmT1_T2_T3_mmT4_T5_P12ihipStream_tbEUlRKdE_EEST_SX_SY_mSZ_S12_bEUlT_E_NS1_11comp_targetILNS1_3genE5ELNS1_11target_archE942ELNS1_3gpuE9ELNS1_3repE0EEENS1_30default_config_static_selectorELNS0_4arch9wavefront6targetE0EEEvSW_
    .private_segment_fixed_size: 0
    .sgpr_count:     0
    .sgpr_spill_count: 0
    .symbol:         _ZN7rocprim17ROCPRIM_400000_NS6detail17trampoline_kernelINS0_14default_configENS1_27upper_bound_config_selectorIdlEEZNS1_14transform_implILb0ES3_S5_N6thrust23THRUST_200600_302600_NS6detail15normal_iteratorINS8_7pointerIdNS8_11hip_rocprim5par_tENS8_11use_defaultESE_EEEENSA_INSB_IlSD_SE_SE_EEEEZNS1_13binary_searchIS3_S5_PdSG_SI_NS1_21upper_bound_search_opENS9_16wrapped_functionINS8_6system6detail7generic6detail18binary_search_lessEbEEEE10hipError_tPvRmT1_T2_T3_mmT4_T5_P12ihipStream_tbEUlRKdE_EEST_SX_SY_mSZ_S12_bEUlT_E_NS1_11comp_targetILNS1_3genE5ELNS1_11target_archE942ELNS1_3gpuE9ELNS1_3repE0EEENS1_30default_config_static_selectorELNS0_4arch9wavefront6targetE0EEEvSW_.kd
    .uniform_work_group_size: 1
    .uses_dynamic_stack: false
    .vgpr_count:     0
    .vgpr_spill_count: 0
    .wavefront_size: 32
    .workgroup_processor_mode: 1
  - .args:
      - .offset:         0
        .size:           56
        .value_kind:     by_value
    .group_segment_fixed_size: 0
    .kernarg_segment_align: 8
    .kernarg_segment_size: 56
    .language:       OpenCL C
    .language_version:
      - 2
      - 0
    .max_flat_workgroup_size: 64
    .name:           _ZN7rocprim17ROCPRIM_400000_NS6detail17trampoline_kernelINS0_14default_configENS1_27upper_bound_config_selectorIdlEEZNS1_14transform_implILb0ES3_S5_N6thrust23THRUST_200600_302600_NS6detail15normal_iteratorINS8_7pointerIdNS8_11hip_rocprim5par_tENS8_11use_defaultESE_EEEENSA_INSB_IlSD_SE_SE_EEEEZNS1_13binary_searchIS3_S5_PdSG_SI_NS1_21upper_bound_search_opENS9_16wrapped_functionINS8_6system6detail7generic6detail18binary_search_lessEbEEEE10hipError_tPvRmT1_T2_T3_mmT4_T5_P12ihipStream_tbEUlRKdE_EEST_SX_SY_mSZ_S12_bEUlT_E_NS1_11comp_targetILNS1_3genE4ELNS1_11target_archE910ELNS1_3gpuE8ELNS1_3repE0EEENS1_30default_config_static_selectorELNS0_4arch9wavefront6targetE0EEEvSW_
    .private_segment_fixed_size: 0
    .sgpr_count:     0
    .sgpr_spill_count: 0
    .symbol:         _ZN7rocprim17ROCPRIM_400000_NS6detail17trampoline_kernelINS0_14default_configENS1_27upper_bound_config_selectorIdlEEZNS1_14transform_implILb0ES3_S5_N6thrust23THRUST_200600_302600_NS6detail15normal_iteratorINS8_7pointerIdNS8_11hip_rocprim5par_tENS8_11use_defaultESE_EEEENSA_INSB_IlSD_SE_SE_EEEEZNS1_13binary_searchIS3_S5_PdSG_SI_NS1_21upper_bound_search_opENS9_16wrapped_functionINS8_6system6detail7generic6detail18binary_search_lessEbEEEE10hipError_tPvRmT1_T2_T3_mmT4_T5_P12ihipStream_tbEUlRKdE_EEST_SX_SY_mSZ_S12_bEUlT_E_NS1_11comp_targetILNS1_3genE4ELNS1_11target_archE910ELNS1_3gpuE8ELNS1_3repE0EEENS1_30default_config_static_selectorELNS0_4arch9wavefront6targetE0EEEvSW_.kd
    .uniform_work_group_size: 1
    .uses_dynamic_stack: false
    .vgpr_count:     0
    .vgpr_spill_count: 0
    .wavefront_size: 32
    .workgroup_processor_mode: 1
  - .args:
      - .offset:         0
        .size:           56
        .value_kind:     by_value
    .group_segment_fixed_size: 0
    .kernarg_segment_align: 8
    .kernarg_segment_size: 56
    .language:       OpenCL C
    .language_version:
      - 2
      - 0
    .max_flat_workgroup_size: 256
    .name:           _ZN7rocprim17ROCPRIM_400000_NS6detail17trampoline_kernelINS0_14default_configENS1_27upper_bound_config_selectorIdlEEZNS1_14transform_implILb0ES3_S5_N6thrust23THRUST_200600_302600_NS6detail15normal_iteratorINS8_7pointerIdNS8_11hip_rocprim5par_tENS8_11use_defaultESE_EEEENSA_INSB_IlSD_SE_SE_EEEEZNS1_13binary_searchIS3_S5_PdSG_SI_NS1_21upper_bound_search_opENS9_16wrapped_functionINS8_6system6detail7generic6detail18binary_search_lessEbEEEE10hipError_tPvRmT1_T2_T3_mmT4_T5_P12ihipStream_tbEUlRKdE_EEST_SX_SY_mSZ_S12_bEUlT_E_NS1_11comp_targetILNS1_3genE3ELNS1_11target_archE908ELNS1_3gpuE7ELNS1_3repE0EEENS1_30default_config_static_selectorELNS0_4arch9wavefront6targetE0EEEvSW_
    .private_segment_fixed_size: 0
    .sgpr_count:     0
    .sgpr_spill_count: 0
    .symbol:         _ZN7rocprim17ROCPRIM_400000_NS6detail17trampoline_kernelINS0_14default_configENS1_27upper_bound_config_selectorIdlEEZNS1_14transform_implILb0ES3_S5_N6thrust23THRUST_200600_302600_NS6detail15normal_iteratorINS8_7pointerIdNS8_11hip_rocprim5par_tENS8_11use_defaultESE_EEEENSA_INSB_IlSD_SE_SE_EEEEZNS1_13binary_searchIS3_S5_PdSG_SI_NS1_21upper_bound_search_opENS9_16wrapped_functionINS8_6system6detail7generic6detail18binary_search_lessEbEEEE10hipError_tPvRmT1_T2_T3_mmT4_T5_P12ihipStream_tbEUlRKdE_EEST_SX_SY_mSZ_S12_bEUlT_E_NS1_11comp_targetILNS1_3genE3ELNS1_11target_archE908ELNS1_3gpuE7ELNS1_3repE0EEENS1_30default_config_static_selectorELNS0_4arch9wavefront6targetE0EEEvSW_.kd
    .uniform_work_group_size: 1
    .uses_dynamic_stack: false
    .vgpr_count:     0
    .vgpr_spill_count: 0
    .wavefront_size: 32
    .workgroup_processor_mode: 1
  - .args:
      - .offset:         0
        .size:           56
        .value_kind:     by_value
    .group_segment_fixed_size: 0
    .kernarg_segment_align: 8
    .kernarg_segment_size: 56
    .language:       OpenCL C
    .language_version:
      - 2
      - 0
    .max_flat_workgroup_size: 256
    .name:           _ZN7rocprim17ROCPRIM_400000_NS6detail17trampoline_kernelINS0_14default_configENS1_27upper_bound_config_selectorIdlEEZNS1_14transform_implILb0ES3_S5_N6thrust23THRUST_200600_302600_NS6detail15normal_iteratorINS8_7pointerIdNS8_11hip_rocprim5par_tENS8_11use_defaultESE_EEEENSA_INSB_IlSD_SE_SE_EEEEZNS1_13binary_searchIS3_S5_PdSG_SI_NS1_21upper_bound_search_opENS9_16wrapped_functionINS8_6system6detail7generic6detail18binary_search_lessEbEEEE10hipError_tPvRmT1_T2_T3_mmT4_T5_P12ihipStream_tbEUlRKdE_EEST_SX_SY_mSZ_S12_bEUlT_E_NS1_11comp_targetILNS1_3genE2ELNS1_11target_archE906ELNS1_3gpuE6ELNS1_3repE0EEENS1_30default_config_static_selectorELNS0_4arch9wavefront6targetE0EEEvSW_
    .private_segment_fixed_size: 0
    .sgpr_count:     0
    .sgpr_spill_count: 0
    .symbol:         _ZN7rocprim17ROCPRIM_400000_NS6detail17trampoline_kernelINS0_14default_configENS1_27upper_bound_config_selectorIdlEEZNS1_14transform_implILb0ES3_S5_N6thrust23THRUST_200600_302600_NS6detail15normal_iteratorINS8_7pointerIdNS8_11hip_rocprim5par_tENS8_11use_defaultESE_EEEENSA_INSB_IlSD_SE_SE_EEEEZNS1_13binary_searchIS3_S5_PdSG_SI_NS1_21upper_bound_search_opENS9_16wrapped_functionINS8_6system6detail7generic6detail18binary_search_lessEbEEEE10hipError_tPvRmT1_T2_T3_mmT4_T5_P12ihipStream_tbEUlRKdE_EEST_SX_SY_mSZ_S12_bEUlT_E_NS1_11comp_targetILNS1_3genE2ELNS1_11target_archE906ELNS1_3gpuE6ELNS1_3repE0EEENS1_30default_config_static_selectorELNS0_4arch9wavefront6targetE0EEEvSW_.kd
    .uniform_work_group_size: 1
    .uses_dynamic_stack: false
    .vgpr_count:     0
    .vgpr_spill_count: 0
    .wavefront_size: 32
    .workgroup_processor_mode: 1
  - .args:
      - .offset:         0
        .size:           56
        .value_kind:     by_value
    .group_segment_fixed_size: 0
    .kernarg_segment_align: 8
    .kernarg_segment_size: 56
    .language:       OpenCL C
    .language_version:
      - 2
      - 0
    .max_flat_workgroup_size: 128
    .name:           _ZN7rocprim17ROCPRIM_400000_NS6detail17trampoline_kernelINS0_14default_configENS1_27upper_bound_config_selectorIdlEEZNS1_14transform_implILb0ES3_S5_N6thrust23THRUST_200600_302600_NS6detail15normal_iteratorINS8_7pointerIdNS8_11hip_rocprim5par_tENS8_11use_defaultESE_EEEENSA_INSB_IlSD_SE_SE_EEEEZNS1_13binary_searchIS3_S5_PdSG_SI_NS1_21upper_bound_search_opENS9_16wrapped_functionINS8_6system6detail7generic6detail18binary_search_lessEbEEEE10hipError_tPvRmT1_T2_T3_mmT4_T5_P12ihipStream_tbEUlRKdE_EEST_SX_SY_mSZ_S12_bEUlT_E_NS1_11comp_targetILNS1_3genE10ELNS1_11target_archE1201ELNS1_3gpuE5ELNS1_3repE0EEENS1_30default_config_static_selectorELNS0_4arch9wavefront6targetE0EEEvSW_
    .private_segment_fixed_size: 0
    .sgpr_count:     0
    .sgpr_spill_count: 0
    .symbol:         _ZN7rocprim17ROCPRIM_400000_NS6detail17trampoline_kernelINS0_14default_configENS1_27upper_bound_config_selectorIdlEEZNS1_14transform_implILb0ES3_S5_N6thrust23THRUST_200600_302600_NS6detail15normal_iteratorINS8_7pointerIdNS8_11hip_rocprim5par_tENS8_11use_defaultESE_EEEENSA_INSB_IlSD_SE_SE_EEEEZNS1_13binary_searchIS3_S5_PdSG_SI_NS1_21upper_bound_search_opENS9_16wrapped_functionINS8_6system6detail7generic6detail18binary_search_lessEbEEEE10hipError_tPvRmT1_T2_T3_mmT4_T5_P12ihipStream_tbEUlRKdE_EEST_SX_SY_mSZ_S12_bEUlT_E_NS1_11comp_targetILNS1_3genE10ELNS1_11target_archE1201ELNS1_3gpuE5ELNS1_3repE0EEENS1_30default_config_static_selectorELNS0_4arch9wavefront6targetE0EEEvSW_.kd
    .uniform_work_group_size: 1
    .uses_dynamic_stack: false
    .vgpr_count:     0
    .vgpr_spill_count: 0
    .wavefront_size: 32
    .workgroup_processor_mode: 1
  - .args:
      - .offset:         0
        .size:           56
        .value_kind:     by_value
    .group_segment_fixed_size: 0
    .kernarg_segment_align: 8
    .kernarg_segment_size: 56
    .language:       OpenCL C
    .language_version:
      - 2
      - 0
    .max_flat_workgroup_size: 128
    .name:           _ZN7rocprim17ROCPRIM_400000_NS6detail17trampoline_kernelINS0_14default_configENS1_27upper_bound_config_selectorIdlEEZNS1_14transform_implILb0ES3_S5_N6thrust23THRUST_200600_302600_NS6detail15normal_iteratorINS8_7pointerIdNS8_11hip_rocprim5par_tENS8_11use_defaultESE_EEEENSA_INSB_IlSD_SE_SE_EEEEZNS1_13binary_searchIS3_S5_PdSG_SI_NS1_21upper_bound_search_opENS9_16wrapped_functionINS8_6system6detail7generic6detail18binary_search_lessEbEEEE10hipError_tPvRmT1_T2_T3_mmT4_T5_P12ihipStream_tbEUlRKdE_EEST_SX_SY_mSZ_S12_bEUlT_E_NS1_11comp_targetILNS1_3genE10ELNS1_11target_archE1200ELNS1_3gpuE4ELNS1_3repE0EEENS1_30default_config_static_selectorELNS0_4arch9wavefront6targetE0EEEvSW_
    .private_segment_fixed_size: 0
    .sgpr_count:     0
    .sgpr_spill_count: 0
    .symbol:         _ZN7rocprim17ROCPRIM_400000_NS6detail17trampoline_kernelINS0_14default_configENS1_27upper_bound_config_selectorIdlEEZNS1_14transform_implILb0ES3_S5_N6thrust23THRUST_200600_302600_NS6detail15normal_iteratorINS8_7pointerIdNS8_11hip_rocprim5par_tENS8_11use_defaultESE_EEEENSA_INSB_IlSD_SE_SE_EEEEZNS1_13binary_searchIS3_S5_PdSG_SI_NS1_21upper_bound_search_opENS9_16wrapped_functionINS8_6system6detail7generic6detail18binary_search_lessEbEEEE10hipError_tPvRmT1_T2_T3_mmT4_T5_P12ihipStream_tbEUlRKdE_EEST_SX_SY_mSZ_S12_bEUlT_E_NS1_11comp_targetILNS1_3genE10ELNS1_11target_archE1200ELNS1_3gpuE4ELNS1_3repE0EEENS1_30default_config_static_selectorELNS0_4arch9wavefront6targetE0EEEvSW_.kd
    .uniform_work_group_size: 1
    .uses_dynamic_stack: false
    .vgpr_count:     0
    .vgpr_spill_count: 0
    .wavefront_size: 32
    .workgroup_processor_mode: 1
  - .args:
      - .offset:         0
        .size:           56
        .value_kind:     by_value
    .group_segment_fixed_size: 0
    .kernarg_segment_align: 8
    .kernarg_segment_size: 56
    .language:       OpenCL C
    .language_version:
      - 2
      - 0
    .max_flat_workgroup_size: 256
    .name:           _ZN7rocprim17ROCPRIM_400000_NS6detail17trampoline_kernelINS0_14default_configENS1_27upper_bound_config_selectorIdlEEZNS1_14transform_implILb0ES3_S5_N6thrust23THRUST_200600_302600_NS6detail15normal_iteratorINS8_7pointerIdNS8_11hip_rocprim5par_tENS8_11use_defaultESE_EEEENSA_INSB_IlSD_SE_SE_EEEEZNS1_13binary_searchIS3_S5_PdSG_SI_NS1_21upper_bound_search_opENS9_16wrapped_functionINS8_6system6detail7generic6detail18binary_search_lessEbEEEE10hipError_tPvRmT1_T2_T3_mmT4_T5_P12ihipStream_tbEUlRKdE_EEST_SX_SY_mSZ_S12_bEUlT_E_NS1_11comp_targetILNS1_3genE9ELNS1_11target_archE1100ELNS1_3gpuE3ELNS1_3repE0EEENS1_30default_config_static_selectorELNS0_4arch9wavefront6targetE0EEEvSW_
    .private_segment_fixed_size: 0
    .sgpr_count:     0
    .sgpr_spill_count: 0
    .symbol:         _ZN7rocprim17ROCPRIM_400000_NS6detail17trampoline_kernelINS0_14default_configENS1_27upper_bound_config_selectorIdlEEZNS1_14transform_implILb0ES3_S5_N6thrust23THRUST_200600_302600_NS6detail15normal_iteratorINS8_7pointerIdNS8_11hip_rocprim5par_tENS8_11use_defaultESE_EEEENSA_INSB_IlSD_SE_SE_EEEEZNS1_13binary_searchIS3_S5_PdSG_SI_NS1_21upper_bound_search_opENS9_16wrapped_functionINS8_6system6detail7generic6detail18binary_search_lessEbEEEE10hipError_tPvRmT1_T2_T3_mmT4_T5_P12ihipStream_tbEUlRKdE_EEST_SX_SY_mSZ_S12_bEUlT_E_NS1_11comp_targetILNS1_3genE9ELNS1_11target_archE1100ELNS1_3gpuE3ELNS1_3repE0EEENS1_30default_config_static_selectorELNS0_4arch9wavefront6targetE0EEEvSW_.kd
    .uniform_work_group_size: 1
    .uses_dynamic_stack: false
    .vgpr_count:     0
    .vgpr_spill_count: 0
    .wavefront_size: 32
    .workgroup_processor_mode: 1
  - .args:
      - .offset:         0
        .size:           56
        .value_kind:     by_value
      - .offset:         56
        .size:           4
        .value_kind:     hidden_block_count_x
      - .offset:         60
        .size:           4
        .value_kind:     hidden_block_count_y
      - .offset:         64
        .size:           4
        .value_kind:     hidden_block_count_z
      - .offset:         68
        .size:           2
        .value_kind:     hidden_group_size_x
      - .offset:         70
        .size:           2
        .value_kind:     hidden_group_size_y
      - .offset:         72
        .size:           2
        .value_kind:     hidden_group_size_z
      - .offset:         74
        .size:           2
        .value_kind:     hidden_remainder_x
      - .offset:         76
        .size:           2
        .value_kind:     hidden_remainder_y
      - .offset:         78
        .size:           2
        .value_kind:     hidden_remainder_z
      - .offset:         96
        .size:           8
        .value_kind:     hidden_global_offset_x
      - .offset:         104
        .size:           8
        .value_kind:     hidden_global_offset_y
      - .offset:         112
        .size:           8
        .value_kind:     hidden_global_offset_z
      - .offset:         120
        .size:           2
        .value_kind:     hidden_grid_dims
    .group_segment_fixed_size: 0
    .kernarg_segment_align: 8
    .kernarg_segment_size: 312
    .language:       OpenCL C
    .language_version:
      - 2
      - 0
    .max_flat_workgroup_size: 256
    .name:           _ZN7rocprim17ROCPRIM_400000_NS6detail17trampoline_kernelINS0_14default_configENS1_27upper_bound_config_selectorIdlEEZNS1_14transform_implILb0ES3_S5_N6thrust23THRUST_200600_302600_NS6detail15normal_iteratorINS8_7pointerIdNS8_11hip_rocprim5par_tENS8_11use_defaultESE_EEEENSA_INSB_IlSD_SE_SE_EEEEZNS1_13binary_searchIS3_S5_PdSG_SI_NS1_21upper_bound_search_opENS9_16wrapped_functionINS8_6system6detail7generic6detail18binary_search_lessEbEEEE10hipError_tPvRmT1_T2_T3_mmT4_T5_P12ihipStream_tbEUlRKdE_EEST_SX_SY_mSZ_S12_bEUlT_E_NS1_11comp_targetILNS1_3genE8ELNS1_11target_archE1030ELNS1_3gpuE2ELNS1_3repE0EEENS1_30default_config_static_selectorELNS0_4arch9wavefront6targetE0EEEvSW_
    .private_segment_fixed_size: 0
    .sgpr_count:     22
    .sgpr_spill_count: 0
    .symbol:         _ZN7rocprim17ROCPRIM_400000_NS6detail17trampoline_kernelINS0_14default_configENS1_27upper_bound_config_selectorIdlEEZNS1_14transform_implILb0ES3_S5_N6thrust23THRUST_200600_302600_NS6detail15normal_iteratorINS8_7pointerIdNS8_11hip_rocprim5par_tENS8_11use_defaultESE_EEEENSA_INSB_IlSD_SE_SE_EEEEZNS1_13binary_searchIS3_S5_PdSG_SI_NS1_21upper_bound_search_opENS9_16wrapped_functionINS8_6system6detail7generic6detail18binary_search_lessEbEEEE10hipError_tPvRmT1_T2_T3_mmT4_T5_P12ihipStream_tbEUlRKdE_EEST_SX_SY_mSZ_S12_bEUlT_E_NS1_11comp_targetILNS1_3genE8ELNS1_11target_archE1030ELNS1_3gpuE2ELNS1_3repE0EEENS1_30default_config_static_selectorELNS0_4arch9wavefront6targetE0EEEvSW_.kd
    .uniform_work_group_size: 1
    .uses_dynamic_stack: false
    .vgpr_count:     11
    .vgpr_spill_count: 0
    .wavefront_size: 32
    .workgroup_processor_mode: 1
  - .args:
      - .offset:         0
        .size:           8
        .value_kind:     by_value
      - .address_space:  global
        .offset:         8
        .size:           8
        .value_kind:     global_buffer
      - .address_space:  global
        .offset:         16
        .size:           8
        .value_kind:     global_buffer
    .group_segment_fixed_size: 0
    .kernarg_segment_align: 8
    .kernarg_segment_size: 24
    .language:       OpenCL C
    .language_version:
      - 2
      - 0
    .max_flat_workgroup_size: 256
    .name:           _Z18upper_bound_kernelIfEvmPT_Pl
    .private_segment_fixed_size: 0
    .sgpr_count:     18
    .sgpr_spill_count: 0
    .symbol:         _Z18upper_bound_kernelIfEvmPT_Pl.kd
    .uniform_work_group_size: 1
    .uses_dynamic_stack: false
    .vgpr_count:     3
    .vgpr_spill_count: 0
    .wavefront_size: 32
    .workgroup_processor_mode: 1
  - .args:
      - .offset:         0
        .size:           56
        .value_kind:     by_value
    .group_segment_fixed_size: 0
    .kernarg_segment_align: 8
    .kernarg_segment_size: 56
    .language:       OpenCL C
    .language_version:
      - 2
      - 0
    .max_flat_workgroup_size: 256
    .name:           _ZN7rocprim17ROCPRIM_400000_NS6detail17trampoline_kernelINS0_14default_configENS1_27upper_bound_config_selectorIflEEZNS1_14transform_implILb0ES3_S5_N6thrust23THRUST_200600_302600_NS6detail15normal_iteratorINS8_7pointerIfNS8_11hip_rocprim5par_tENS8_11use_defaultESE_EEEENSA_INSB_IlSD_SE_SE_EEEEZNS1_13binary_searchIS3_S5_PfSG_SI_NS1_21upper_bound_search_opENS9_16wrapped_functionINS8_6system6detail7generic6detail18binary_search_lessEbEEEE10hipError_tPvRmT1_T2_T3_mmT4_T5_P12ihipStream_tbEUlRKfE_EEST_SX_SY_mSZ_S12_bEUlT_E_NS1_11comp_targetILNS1_3genE0ELNS1_11target_archE4294967295ELNS1_3gpuE0ELNS1_3repE0EEENS1_30default_config_static_selectorELNS0_4arch9wavefront6targetE0EEEvSW_
    .private_segment_fixed_size: 0
    .sgpr_count:     0
    .sgpr_spill_count: 0
    .symbol:         _ZN7rocprim17ROCPRIM_400000_NS6detail17trampoline_kernelINS0_14default_configENS1_27upper_bound_config_selectorIflEEZNS1_14transform_implILb0ES3_S5_N6thrust23THRUST_200600_302600_NS6detail15normal_iteratorINS8_7pointerIfNS8_11hip_rocprim5par_tENS8_11use_defaultESE_EEEENSA_INSB_IlSD_SE_SE_EEEEZNS1_13binary_searchIS3_S5_PfSG_SI_NS1_21upper_bound_search_opENS9_16wrapped_functionINS8_6system6detail7generic6detail18binary_search_lessEbEEEE10hipError_tPvRmT1_T2_T3_mmT4_T5_P12ihipStream_tbEUlRKfE_EEST_SX_SY_mSZ_S12_bEUlT_E_NS1_11comp_targetILNS1_3genE0ELNS1_11target_archE4294967295ELNS1_3gpuE0ELNS1_3repE0EEENS1_30default_config_static_selectorELNS0_4arch9wavefront6targetE0EEEvSW_.kd
    .uniform_work_group_size: 1
    .uses_dynamic_stack: false
    .vgpr_count:     0
    .vgpr_spill_count: 0
    .wavefront_size: 32
    .workgroup_processor_mode: 1
  - .args:
      - .offset:         0
        .size:           56
        .value_kind:     by_value
    .group_segment_fixed_size: 0
    .kernarg_segment_align: 8
    .kernarg_segment_size: 56
    .language:       OpenCL C
    .language_version:
      - 2
      - 0
    .max_flat_workgroup_size: 256
    .name:           _ZN7rocprim17ROCPRIM_400000_NS6detail17trampoline_kernelINS0_14default_configENS1_27upper_bound_config_selectorIflEEZNS1_14transform_implILb0ES3_S5_N6thrust23THRUST_200600_302600_NS6detail15normal_iteratorINS8_7pointerIfNS8_11hip_rocprim5par_tENS8_11use_defaultESE_EEEENSA_INSB_IlSD_SE_SE_EEEEZNS1_13binary_searchIS3_S5_PfSG_SI_NS1_21upper_bound_search_opENS9_16wrapped_functionINS8_6system6detail7generic6detail18binary_search_lessEbEEEE10hipError_tPvRmT1_T2_T3_mmT4_T5_P12ihipStream_tbEUlRKfE_EEST_SX_SY_mSZ_S12_bEUlT_E_NS1_11comp_targetILNS1_3genE5ELNS1_11target_archE942ELNS1_3gpuE9ELNS1_3repE0EEENS1_30default_config_static_selectorELNS0_4arch9wavefront6targetE0EEEvSW_
    .private_segment_fixed_size: 0
    .sgpr_count:     0
    .sgpr_spill_count: 0
    .symbol:         _ZN7rocprim17ROCPRIM_400000_NS6detail17trampoline_kernelINS0_14default_configENS1_27upper_bound_config_selectorIflEEZNS1_14transform_implILb0ES3_S5_N6thrust23THRUST_200600_302600_NS6detail15normal_iteratorINS8_7pointerIfNS8_11hip_rocprim5par_tENS8_11use_defaultESE_EEEENSA_INSB_IlSD_SE_SE_EEEEZNS1_13binary_searchIS3_S5_PfSG_SI_NS1_21upper_bound_search_opENS9_16wrapped_functionINS8_6system6detail7generic6detail18binary_search_lessEbEEEE10hipError_tPvRmT1_T2_T3_mmT4_T5_P12ihipStream_tbEUlRKfE_EEST_SX_SY_mSZ_S12_bEUlT_E_NS1_11comp_targetILNS1_3genE5ELNS1_11target_archE942ELNS1_3gpuE9ELNS1_3repE0EEENS1_30default_config_static_selectorELNS0_4arch9wavefront6targetE0EEEvSW_.kd
    .uniform_work_group_size: 1
    .uses_dynamic_stack: false
    .vgpr_count:     0
    .vgpr_spill_count: 0
    .wavefront_size: 32
    .workgroup_processor_mode: 1
  - .args:
      - .offset:         0
        .size:           56
        .value_kind:     by_value
    .group_segment_fixed_size: 0
    .kernarg_segment_align: 8
    .kernarg_segment_size: 56
    .language:       OpenCL C
    .language_version:
      - 2
      - 0
    .max_flat_workgroup_size: 256
    .name:           _ZN7rocprim17ROCPRIM_400000_NS6detail17trampoline_kernelINS0_14default_configENS1_27upper_bound_config_selectorIflEEZNS1_14transform_implILb0ES3_S5_N6thrust23THRUST_200600_302600_NS6detail15normal_iteratorINS8_7pointerIfNS8_11hip_rocprim5par_tENS8_11use_defaultESE_EEEENSA_INSB_IlSD_SE_SE_EEEEZNS1_13binary_searchIS3_S5_PfSG_SI_NS1_21upper_bound_search_opENS9_16wrapped_functionINS8_6system6detail7generic6detail18binary_search_lessEbEEEE10hipError_tPvRmT1_T2_T3_mmT4_T5_P12ihipStream_tbEUlRKfE_EEST_SX_SY_mSZ_S12_bEUlT_E_NS1_11comp_targetILNS1_3genE4ELNS1_11target_archE910ELNS1_3gpuE8ELNS1_3repE0EEENS1_30default_config_static_selectorELNS0_4arch9wavefront6targetE0EEEvSW_
    .private_segment_fixed_size: 0
    .sgpr_count:     0
    .sgpr_spill_count: 0
    .symbol:         _ZN7rocprim17ROCPRIM_400000_NS6detail17trampoline_kernelINS0_14default_configENS1_27upper_bound_config_selectorIflEEZNS1_14transform_implILb0ES3_S5_N6thrust23THRUST_200600_302600_NS6detail15normal_iteratorINS8_7pointerIfNS8_11hip_rocprim5par_tENS8_11use_defaultESE_EEEENSA_INSB_IlSD_SE_SE_EEEEZNS1_13binary_searchIS3_S5_PfSG_SI_NS1_21upper_bound_search_opENS9_16wrapped_functionINS8_6system6detail7generic6detail18binary_search_lessEbEEEE10hipError_tPvRmT1_T2_T3_mmT4_T5_P12ihipStream_tbEUlRKfE_EEST_SX_SY_mSZ_S12_bEUlT_E_NS1_11comp_targetILNS1_3genE4ELNS1_11target_archE910ELNS1_3gpuE8ELNS1_3repE0EEENS1_30default_config_static_selectorELNS0_4arch9wavefront6targetE0EEEvSW_.kd
    .uniform_work_group_size: 1
    .uses_dynamic_stack: false
    .vgpr_count:     0
    .vgpr_spill_count: 0
    .wavefront_size: 32
    .workgroup_processor_mode: 1
  - .args:
      - .offset:         0
        .size:           56
        .value_kind:     by_value
    .group_segment_fixed_size: 0
    .kernarg_segment_align: 8
    .kernarg_segment_size: 56
    .language:       OpenCL C
    .language_version:
      - 2
      - 0
    .max_flat_workgroup_size: 256
    .name:           _ZN7rocprim17ROCPRIM_400000_NS6detail17trampoline_kernelINS0_14default_configENS1_27upper_bound_config_selectorIflEEZNS1_14transform_implILb0ES3_S5_N6thrust23THRUST_200600_302600_NS6detail15normal_iteratorINS8_7pointerIfNS8_11hip_rocprim5par_tENS8_11use_defaultESE_EEEENSA_INSB_IlSD_SE_SE_EEEEZNS1_13binary_searchIS3_S5_PfSG_SI_NS1_21upper_bound_search_opENS9_16wrapped_functionINS8_6system6detail7generic6detail18binary_search_lessEbEEEE10hipError_tPvRmT1_T2_T3_mmT4_T5_P12ihipStream_tbEUlRKfE_EEST_SX_SY_mSZ_S12_bEUlT_E_NS1_11comp_targetILNS1_3genE3ELNS1_11target_archE908ELNS1_3gpuE7ELNS1_3repE0EEENS1_30default_config_static_selectorELNS0_4arch9wavefront6targetE0EEEvSW_
    .private_segment_fixed_size: 0
    .sgpr_count:     0
    .sgpr_spill_count: 0
    .symbol:         _ZN7rocprim17ROCPRIM_400000_NS6detail17trampoline_kernelINS0_14default_configENS1_27upper_bound_config_selectorIflEEZNS1_14transform_implILb0ES3_S5_N6thrust23THRUST_200600_302600_NS6detail15normal_iteratorINS8_7pointerIfNS8_11hip_rocprim5par_tENS8_11use_defaultESE_EEEENSA_INSB_IlSD_SE_SE_EEEEZNS1_13binary_searchIS3_S5_PfSG_SI_NS1_21upper_bound_search_opENS9_16wrapped_functionINS8_6system6detail7generic6detail18binary_search_lessEbEEEE10hipError_tPvRmT1_T2_T3_mmT4_T5_P12ihipStream_tbEUlRKfE_EEST_SX_SY_mSZ_S12_bEUlT_E_NS1_11comp_targetILNS1_3genE3ELNS1_11target_archE908ELNS1_3gpuE7ELNS1_3repE0EEENS1_30default_config_static_selectorELNS0_4arch9wavefront6targetE0EEEvSW_.kd
    .uniform_work_group_size: 1
    .uses_dynamic_stack: false
    .vgpr_count:     0
    .vgpr_spill_count: 0
    .wavefront_size: 32
    .workgroup_processor_mode: 1
  - .args:
      - .offset:         0
        .size:           56
        .value_kind:     by_value
    .group_segment_fixed_size: 0
    .kernarg_segment_align: 8
    .kernarg_segment_size: 56
    .language:       OpenCL C
    .language_version:
      - 2
      - 0
    .max_flat_workgroup_size: 256
    .name:           _ZN7rocprim17ROCPRIM_400000_NS6detail17trampoline_kernelINS0_14default_configENS1_27upper_bound_config_selectorIflEEZNS1_14transform_implILb0ES3_S5_N6thrust23THRUST_200600_302600_NS6detail15normal_iteratorINS8_7pointerIfNS8_11hip_rocprim5par_tENS8_11use_defaultESE_EEEENSA_INSB_IlSD_SE_SE_EEEEZNS1_13binary_searchIS3_S5_PfSG_SI_NS1_21upper_bound_search_opENS9_16wrapped_functionINS8_6system6detail7generic6detail18binary_search_lessEbEEEE10hipError_tPvRmT1_T2_T3_mmT4_T5_P12ihipStream_tbEUlRKfE_EEST_SX_SY_mSZ_S12_bEUlT_E_NS1_11comp_targetILNS1_3genE2ELNS1_11target_archE906ELNS1_3gpuE6ELNS1_3repE0EEENS1_30default_config_static_selectorELNS0_4arch9wavefront6targetE0EEEvSW_
    .private_segment_fixed_size: 0
    .sgpr_count:     0
    .sgpr_spill_count: 0
    .symbol:         _ZN7rocprim17ROCPRIM_400000_NS6detail17trampoline_kernelINS0_14default_configENS1_27upper_bound_config_selectorIflEEZNS1_14transform_implILb0ES3_S5_N6thrust23THRUST_200600_302600_NS6detail15normal_iteratorINS8_7pointerIfNS8_11hip_rocprim5par_tENS8_11use_defaultESE_EEEENSA_INSB_IlSD_SE_SE_EEEEZNS1_13binary_searchIS3_S5_PfSG_SI_NS1_21upper_bound_search_opENS9_16wrapped_functionINS8_6system6detail7generic6detail18binary_search_lessEbEEEE10hipError_tPvRmT1_T2_T3_mmT4_T5_P12ihipStream_tbEUlRKfE_EEST_SX_SY_mSZ_S12_bEUlT_E_NS1_11comp_targetILNS1_3genE2ELNS1_11target_archE906ELNS1_3gpuE6ELNS1_3repE0EEENS1_30default_config_static_selectorELNS0_4arch9wavefront6targetE0EEEvSW_.kd
    .uniform_work_group_size: 1
    .uses_dynamic_stack: false
    .vgpr_count:     0
    .vgpr_spill_count: 0
    .wavefront_size: 32
    .workgroup_processor_mode: 1
  - .args:
      - .offset:         0
        .size:           56
        .value_kind:     by_value
    .group_segment_fixed_size: 0
    .kernarg_segment_align: 8
    .kernarg_segment_size: 56
    .language:       OpenCL C
    .language_version:
      - 2
      - 0
    .max_flat_workgroup_size: 128
    .name:           _ZN7rocprim17ROCPRIM_400000_NS6detail17trampoline_kernelINS0_14default_configENS1_27upper_bound_config_selectorIflEEZNS1_14transform_implILb0ES3_S5_N6thrust23THRUST_200600_302600_NS6detail15normal_iteratorINS8_7pointerIfNS8_11hip_rocprim5par_tENS8_11use_defaultESE_EEEENSA_INSB_IlSD_SE_SE_EEEEZNS1_13binary_searchIS3_S5_PfSG_SI_NS1_21upper_bound_search_opENS9_16wrapped_functionINS8_6system6detail7generic6detail18binary_search_lessEbEEEE10hipError_tPvRmT1_T2_T3_mmT4_T5_P12ihipStream_tbEUlRKfE_EEST_SX_SY_mSZ_S12_bEUlT_E_NS1_11comp_targetILNS1_3genE10ELNS1_11target_archE1201ELNS1_3gpuE5ELNS1_3repE0EEENS1_30default_config_static_selectorELNS0_4arch9wavefront6targetE0EEEvSW_
    .private_segment_fixed_size: 0
    .sgpr_count:     0
    .sgpr_spill_count: 0
    .symbol:         _ZN7rocprim17ROCPRIM_400000_NS6detail17trampoline_kernelINS0_14default_configENS1_27upper_bound_config_selectorIflEEZNS1_14transform_implILb0ES3_S5_N6thrust23THRUST_200600_302600_NS6detail15normal_iteratorINS8_7pointerIfNS8_11hip_rocprim5par_tENS8_11use_defaultESE_EEEENSA_INSB_IlSD_SE_SE_EEEEZNS1_13binary_searchIS3_S5_PfSG_SI_NS1_21upper_bound_search_opENS9_16wrapped_functionINS8_6system6detail7generic6detail18binary_search_lessEbEEEE10hipError_tPvRmT1_T2_T3_mmT4_T5_P12ihipStream_tbEUlRKfE_EEST_SX_SY_mSZ_S12_bEUlT_E_NS1_11comp_targetILNS1_3genE10ELNS1_11target_archE1201ELNS1_3gpuE5ELNS1_3repE0EEENS1_30default_config_static_selectorELNS0_4arch9wavefront6targetE0EEEvSW_.kd
    .uniform_work_group_size: 1
    .uses_dynamic_stack: false
    .vgpr_count:     0
    .vgpr_spill_count: 0
    .wavefront_size: 32
    .workgroup_processor_mode: 1
  - .args:
      - .offset:         0
        .size:           56
        .value_kind:     by_value
    .group_segment_fixed_size: 0
    .kernarg_segment_align: 8
    .kernarg_segment_size: 56
    .language:       OpenCL C
    .language_version:
      - 2
      - 0
    .max_flat_workgroup_size: 128
    .name:           _ZN7rocprim17ROCPRIM_400000_NS6detail17trampoline_kernelINS0_14default_configENS1_27upper_bound_config_selectorIflEEZNS1_14transform_implILb0ES3_S5_N6thrust23THRUST_200600_302600_NS6detail15normal_iteratorINS8_7pointerIfNS8_11hip_rocprim5par_tENS8_11use_defaultESE_EEEENSA_INSB_IlSD_SE_SE_EEEEZNS1_13binary_searchIS3_S5_PfSG_SI_NS1_21upper_bound_search_opENS9_16wrapped_functionINS8_6system6detail7generic6detail18binary_search_lessEbEEEE10hipError_tPvRmT1_T2_T3_mmT4_T5_P12ihipStream_tbEUlRKfE_EEST_SX_SY_mSZ_S12_bEUlT_E_NS1_11comp_targetILNS1_3genE10ELNS1_11target_archE1200ELNS1_3gpuE4ELNS1_3repE0EEENS1_30default_config_static_selectorELNS0_4arch9wavefront6targetE0EEEvSW_
    .private_segment_fixed_size: 0
    .sgpr_count:     0
    .sgpr_spill_count: 0
    .symbol:         _ZN7rocprim17ROCPRIM_400000_NS6detail17trampoline_kernelINS0_14default_configENS1_27upper_bound_config_selectorIflEEZNS1_14transform_implILb0ES3_S5_N6thrust23THRUST_200600_302600_NS6detail15normal_iteratorINS8_7pointerIfNS8_11hip_rocprim5par_tENS8_11use_defaultESE_EEEENSA_INSB_IlSD_SE_SE_EEEEZNS1_13binary_searchIS3_S5_PfSG_SI_NS1_21upper_bound_search_opENS9_16wrapped_functionINS8_6system6detail7generic6detail18binary_search_lessEbEEEE10hipError_tPvRmT1_T2_T3_mmT4_T5_P12ihipStream_tbEUlRKfE_EEST_SX_SY_mSZ_S12_bEUlT_E_NS1_11comp_targetILNS1_3genE10ELNS1_11target_archE1200ELNS1_3gpuE4ELNS1_3repE0EEENS1_30default_config_static_selectorELNS0_4arch9wavefront6targetE0EEEvSW_.kd
    .uniform_work_group_size: 1
    .uses_dynamic_stack: false
    .vgpr_count:     0
    .vgpr_spill_count: 0
    .wavefront_size: 32
    .workgroup_processor_mode: 1
  - .args:
      - .offset:         0
        .size:           56
        .value_kind:     by_value
    .group_segment_fixed_size: 0
    .kernarg_segment_align: 8
    .kernarg_segment_size: 56
    .language:       OpenCL C
    .language_version:
      - 2
      - 0
    .max_flat_workgroup_size: 256
    .name:           _ZN7rocprim17ROCPRIM_400000_NS6detail17trampoline_kernelINS0_14default_configENS1_27upper_bound_config_selectorIflEEZNS1_14transform_implILb0ES3_S5_N6thrust23THRUST_200600_302600_NS6detail15normal_iteratorINS8_7pointerIfNS8_11hip_rocprim5par_tENS8_11use_defaultESE_EEEENSA_INSB_IlSD_SE_SE_EEEEZNS1_13binary_searchIS3_S5_PfSG_SI_NS1_21upper_bound_search_opENS9_16wrapped_functionINS8_6system6detail7generic6detail18binary_search_lessEbEEEE10hipError_tPvRmT1_T2_T3_mmT4_T5_P12ihipStream_tbEUlRKfE_EEST_SX_SY_mSZ_S12_bEUlT_E_NS1_11comp_targetILNS1_3genE9ELNS1_11target_archE1100ELNS1_3gpuE3ELNS1_3repE0EEENS1_30default_config_static_selectorELNS0_4arch9wavefront6targetE0EEEvSW_
    .private_segment_fixed_size: 0
    .sgpr_count:     0
    .sgpr_spill_count: 0
    .symbol:         _ZN7rocprim17ROCPRIM_400000_NS6detail17trampoline_kernelINS0_14default_configENS1_27upper_bound_config_selectorIflEEZNS1_14transform_implILb0ES3_S5_N6thrust23THRUST_200600_302600_NS6detail15normal_iteratorINS8_7pointerIfNS8_11hip_rocprim5par_tENS8_11use_defaultESE_EEEENSA_INSB_IlSD_SE_SE_EEEEZNS1_13binary_searchIS3_S5_PfSG_SI_NS1_21upper_bound_search_opENS9_16wrapped_functionINS8_6system6detail7generic6detail18binary_search_lessEbEEEE10hipError_tPvRmT1_T2_T3_mmT4_T5_P12ihipStream_tbEUlRKfE_EEST_SX_SY_mSZ_S12_bEUlT_E_NS1_11comp_targetILNS1_3genE9ELNS1_11target_archE1100ELNS1_3gpuE3ELNS1_3repE0EEENS1_30default_config_static_selectorELNS0_4arch9wavefront6targetE0EEEvSW_.kd
    .uniform_work_group_size: 1
    .uses_dynamic_stack: false
    .vgpr_count:     0
    .vgpr_spill_count: 0
    .wavefront_size: 32
    .workgroup_processor_mode: 1
  - .args:
      - .offset:         0
        .size:           56
        .value_kind:     by_value
      - .offset:         56
        .size:           4
        .value_kind:     hidden_block_count_x
      - .offset:         60
        .size:           4
        .value_kind:     hidden_block_count_y
      - .offset:         64
        .size:           4
        .value_kind:     hidden_block_count_z
      - .offset:         68
        .size:           2
        .value_kind:     hidden_group_size_x
      - .offset:         70
        .size:           2
        .value_kind:     hidden_group_size_y
      - .offset:         72
        .size:           2
        .value_kind:     hidden_group_size_z
      - .offset:         74
        .size:           2
        .value_kind:     hidden_remainder_x
      - .offset:         76
        .size:           2
        .value_kind:     hidden_remainder_y
      - .offset:         78
        .size:           2
        .value_kind:     hidden_remainder_z
      - .offset:         96
        .size:           8
        .value_kind:     hidden_global_offset_x
      - .offset:         104
        .size:           8
        .value_kind:     hidden_global_offset_y
      - .offset:         112
        .size:           8
        .value_kind:     hidden_global_offset_z
      - .offset:         120
        .size:           2
        .value_kind:     hidden_grid_dims
    .group_segment_fixed_size: 0
    .kernarg_segment_align: 8
    .kernarg_segment_size: 312
    .language:       OpenCL C
    .language_version:
      - 2
      - 0
    .max_flat_workgroup_size: 256
    .name:           _ZN7rocprim17ROCPRIM_400000_NS6detail17trampoline_kernelINS0_14default_configENS1_27upper_bound_config_selectorIflEEZNS1_14transform_implILb0ES3_S5_N6thrust23THRUST_200600_302600_NS6detail15normal_iteratorINS8_7pointerIfNS8_11hip_rocprim5par_tENS8_11use_defaultESE_EEEENSA_INSB_IlSD_SE_SE_EEEEZNS1_13binary_searchIS3_S5_PfSG_SI_NS1_21upper_bound_search_opENS9_16wrapped_functionINS8_6system6detail7generic6detail18binary_search_lessEbEEEE10hipError_tPvRmT1_T2_T3_mmT4_T5_P12ihipStream_tbEUlRKfE_EEST_SX_SY_mSZ_S12_bEUlT_E_NS1_11comp_targetILNS1_3genE8ELNS1_11target_archE1030ELNS1_3gpuE2ELNS1_3repE0EEENS1_30default_config_static_selectorELNS0_4arch9wavefront6targetE0EEEvSW_
    .private_segment_fixed_size: 0
    .sgpr_count:     19
    .sgpr_spill_count: 0
    .symbol:         _ZN7rocprim17ROCPRIM_400000_NS6detail17trampoline_kernelINS0_14default_configENS1_27upper_bound_config_selectorIflEEZNS1_14transform_implILb0ES3_S5_N6thrust23THRUST_200600_302600_NS6detail15normal_iteratorINS8_7pointerIfNS8_11hip_rocprim5par_tENS8_11use_defaultESE_EEEENSA_INSB_IlSD_SE_SE_EEEEZNS1_13binary_searchIS3_S5_PfSG_SI_NS1_21upper_bound_search_opENS9_16wrapped_functionINS8_6system6detail7generic6detail18binary_search_lessEbEEEE10hipError_tPvRmT1_T2_T3_mmT4_T5_P12ihipStream_tbEUlRKfE_EEST_SX_SY_mSZ_S12_bEUlT_E_NS1_11comp_targetILNS1_3genE8ELNS1_11target_archE1030ELNS1_3gpuE2ELNS1_3repE0EEENS1_30default_config_static_selectorELNS0_4arch9wavefront6targetE0EEEvSW_.kd
    .uniform_work_group_size: 1
    .uses_dynamic_stack: false
    .vgpr_count:     11
    .vgpr_spill_count: 0
    .wavefront_size: 32
    .workgroup_processor_mode: 1
  - .args:
      - .offset:         0
        .size:           8
        .value_kind:     by_value
      - .address_space:  global
        .offset:         8
        .size:           8
        .value_kind:     global_buffer
      - .address_space:  global
        .offset:         16
        .size:           8
        .value_kind:     global_buffer
    .group_segment_fixed_size: 0
    .kernarg_segment_align: 8
    .kernarg_segment_size: 24
    .language:       OpenCL C
    .language_version:
      - 2
      - 0
    .max_flat_workgroup_size: 256
    .name:           _Z18upper_bound_kernelIyEvmPT_Pl
    .private_segment_fixed_size: 0
    .sgpr_count:     19
    .sgpr_spill_count: 0
    .symbol:         _Z18upper_bound_kernelIyEvmPT_Pl.kd
    .uniform_work_group_size: 1
    .uses_dynamic_stack: false
    .vgpr_count:     3
    .vgpr_spill_count: 0
    .wavefront_size: 32
    .workgroup_processor_mode: 1
  - .args:
      - .offset:         0
        .size:           56
        .value_kind:     by_value
    .group_segment_fixed_size: 0
    .kernarg_segment_align: 8
    .kernarg_segment_size: 56
    .language:       OpenCL C
    .language_version:
      - 2
      - 0
    .max_flat_workgroup_size: 128
    .name:           _ZN7rocprim17ROCPRIM_400000_NS6detail17trampoline_kernelINS0_14default_configENS1_27upper_bound_config_selectorIylEEZNS1_14transform_implILb0ES3_S5_N6thrust23THRUST_200600_302600_NS6detail15normal_iteratorINS8_7pointerIyNS8_11hip_rocprim5par_tENS8_11use_defaultESE_EEEENSA_INSB_IlSD_SE_SE_EEEEZNS1_13binary_searchIS3_S5_PySG_SI_NS1_21upper_bound_search_opENS9_16wrapped_functionINS8_6system6detail7generic6detail18binary_search_lessEbEEEE10hipError_tPvRmT1_T2_T3_mmT4_T5_P12ihipStream_tbEUlRKyE_EEST_SX_SY_mSZ_S12_bEUlT_E_NS1_11comp_targetILNS1_3genE0ELNS1_11target_archE4294967295ELNS1_3gpuE0ELNS1_3repE0EEENS1_30default_config_static_selectorELNS0_4arch9wavefront6targetE0EEEvSW_
    .private_segment_fixed_size: 0
    .sgpr_count:     0
    .sgpr_spill_count: 0
    .symbol:         _ZN7rocprim17ROCPRIM_400000_NS6detail17trampoline_kernelINS0_14default_configENS1_27upper_bound_config_selectorIylEEZNS1_14transform_implILb0ES3_S5_N6thrust23THRUST_200600_302600_NS6detail15normal_iteratorINS8_7pointerIyNS8_11hip_rocprim5par_tENS8_11use_defaultESE_EEEENSA_INSB_IlSD_SE_SE_EEEEZNS1_13binary_searchIS3_S5_PySG_SI_NS1_21upper_bound_search_opENS9_16wrapped_functionINS8_6system6detail7generic6detail18binary_search_lessEbEEEE10hipError_tPvRmT1_T2_T3_mmT4_T5_P12ihipStream_tbEUlRKyE_EEST_SX_SY_mSZ_S12_bEUlT_E_NS1_11comp_targetILNS1_3genE0ELNS1_11target_archE4294967295ELNS1_3gpuE0ELNS1_3repE0EEENS1_30default_config_static_selectorELNS0_4arch9wavefront6targetE0EEEvSW_.kd
    .uniform_work_group_size: 1
    .uses_dynamic_stack: false
    .vgpr_count:     0
    .vgpr_spill_count: 0
    .wavefront_size: 32
    .workgroup_processor_mode: 1
  - .args:
      - .offset:         0
        .size:           56
        .value_kind:     by_value
    .group_segment_fixed_size: 0
    .kernarg_segment_align: 8
    .kernarg_segment_size: 56
    .language:       OpenCL C
    .language_version:
      - 2
      - 0
    .max_flat_workgroup_size: 64
    .name:           _ZN7rocprim17ROCPRIM_400000_NS6detail17trampoline_kernelINS0_14default_configENS1_27upper_bound_config_selectorIylEEZNS1_14transform_implILb0ES3_S5_N6thrust23THRUST_200600_302600_NS6detail15normal_iteratorINS8_7pointerIyNS8_11hip_rocprim5par_tENS8_11use_defaultESE_EEEENSA_INSB_IlSD_SE_SE_EEEEZNS1_13binary_searchIS3_S5_PySG_SI_NS1_21upper_bound_search_opENS9_16wrapped_functionINS8_6system6detail7generic6detail18binary_search_lessEbEEEE10hipError_tPvRmT1_T2_T3_mmT4_T5_P12ihipStream_tbEUlRKyE_EEST_SX_SY_mSZ_S12_bEUlT_E_NS1_11comp_targetILNS1_3genE5ELNS1_11target_archE942ELNS1_3gpuE9ELNS1_3repE0EEENS1_30default_config_static_selectorELNS0_4arch9wavefront6targetE0EEEvSW_
    .private_segment_fixed_size: 0
    .sgpr_count:     0
    .sgpr_spill_count: 0
    .symbol:         _ZN7rocprim17ROCPRIM_400000_NS6detail17trampoline_kernelINS0_14default_configENS1_27upper_bound_config_selectorIylEEZNS1_14transform_implILb0ES3_S5_N6thrust23THRUST_200600_302600_NS6detail15normal_iteratorINS8_7pointerIyNS8_11hip_rocprim5par_tENS8_11use_defaultESE_EEEENSA_INSB_IlSD_SE_SE_EEEEZNS1_13binary_searchIS3_S5_PySG_SI_NS1_21upper_bound_search_opENS9_16wrapped_functionINS8_6system6detail7generic6detail18binary_search_lessEbEEEE10hipError_tPvRmT1_T2_T3_mmT4_T5_P12ihipStream_tbEUlRKyE_EEST_SX_SY_mSZ_S12_bEUlT_E_NS1_11comp_targetILNS1_3genE5ELNS1_11target_archE942ELNS1_3gpuE9ELNS1_3repE0EEENS1_30default_config_static_selectorELNS0_4arch9wavefront6targetE0EEEvSW_.kd
    .uniform_work_group_size: 1
    .uses_dynamic_stack: false
    .vgpr_count:     0
    .vgpr_spill_count: 0
    .wavefront_size: 32
    .workgroup_processor_mode: 1
  - .args:
      - .offset:         0
        .size:           56
        .value_kind:     by_value
    .group_segment_fixed_size: 0
    .kernarg_segment_align: 8
    .kernarg_segment_size: 56
    .language:       OpenCL C
    .language_version:
      - 2
      - 0
    .max_flat_workgroup_size: 64
    .name:           _ZN7rocprim17ROCPRIM_400000_NS6detail17trampoline_kernelINS0_14default_configENS1_27upper_bound_config_selectorIylEEZNS1_14transform_implILb0ES3_S5_N6thrust23THRUST_200600_302600_NS6detail15normal_iteratorINS8_7pointerIyNS8_11hip_rocprim5par_tENS8_11use_defaultESE_EEEENSA_INSB_IlSD_SE_SE_EEEEZNS1_13binary_searchIS3_S5_PySG_SI_NS1_21upper_bound_search_opENS9_16wrapped_functionINS8_6system6detail7generic6detail18binary_search_lessEbEEEE10hipError_tPvRmT1_T2_T3_mmT4_T5_P12ihipStream_tbEUlRKyE_EEST_SX_SY_mSZ_S12_bEUlT_E_NS1_11comp_targetILNS1_3genE4ELNS1_11target_archE910ELNS1_3gpuE8ELNS1_3repE0EEENS1_30default_config_static_selectorELNS0_4arch9wavefront6targetE0EEEvSW_
    .private_segment_fixed_size: 0
    .sgpr_count:     0
    .sgpr_spill_count: 0
    .symbol:         _ZN7rocprim17ROCPRIM_400000_NS6detail17trampoline_kernelINS0_14default_configENS1_27upper_bound_config_selectorIylEEZNS1_14transform_implILb0ES3_S5_N6thrust23THRUST_200600_302600_NS6detail15normal_iteratorINS8_7pointerIyNS8_11hip_rocprim5par_tENS8_11use_defaultESE_EEEENSA_INSB_IlSD_SE_SE_EEEEZNS1_13binary_searchIS3_S5_PySG_SI_NS1_21upper_bound_search_opENS9_16wrapped_functionINS8_6system6detail7generic6detail18binary_search_lessEbEEEE10hipError_tPvRmT1_T2_T3_mmT4_T5_P12ihipStream_tbEUlRKyE_EEST_SX_SY_mSZ_S12_bEUlT_E_NS1_11comp_targetILNS1_3genE4ELNS1_11target_archE910ELNS1_3gpuE8ELNS1_3repE0EEENS1_30default_config_static_selectorELNS0_4arch9wavefront6targetE0EEEvSW_.kd
    .uniform_work_group_size: 1
    .uses_dynamic_stack: false
    .vgpr_count:     0
    .vgpr_spill_count: 0
    .wavefront_size: 32
    .workgroup_processor_mode: 1
  - .args:
      - .offset:         0
        .size:           56
        .value_kind:     by_value
    .group_segment_fixed_size: 0
    .kernarg_segment_align: 8
    .kernarg_segment_size: 56
    .language:       OpenCL C
    .language_version:
      - 2
      - 0
    .max_flat_workgroup_size: 128
    .name:           _ZN7rocprim17ROCPRIM_400000_NS6detail17trampoline_kernelINS0_14default_configENS1_27upper_bound_config_selectorIylEEZNS1_14transform_implILb0ES3_S5_N6thrust23THRUST_200600_302600_NS6detail15normal_iteratorINS8_7pointerIyNS8_11hip_rocprim5par_tENS8_11use_defaultESE_EEEENSA_INSB_IlSD_SE_SE_EEEEZNS1_13binary_searchIS3_S5_PySG_SI_NS1_21upper_bound_search_opENS9_16wrapped_functionINS8_6system6detail7generic6detail18binary_search_lessEbEEEE10hipError_tPvRmT1_T2_T3_mmT4_T5_P12ihipStream_tbEUlRKyE_EEST_SX_SY_mSZ_S12_bEUlT_E_NS1_11comp_targetILNS1_3genE3ELNS1_11target_archE908ELNS1_3gpuE7ELNS1_3repE0EEENS1_30default_config_static_selectorELNS0_4arch9wavefront6targetE0EEEvSW_
    .private_segment_fixed_size: 0
    .sgpr_count:     0
    .sgpr_spill_count: 0
    .symbol:         _ZN7rocprim17ROCPRIM_400000_NS6detail17trampoline_kernelINS0_14default_configENS1_27upper_bound_config_selectorIylEEZNS1_14transform_implILb0ES3_S5_N6thrust23THRUST_200600_302600_NS6detail15normal_iteratorINS8_7pointerIyNS8_11hip_rocprim5par_tENS8_11use_defaultESE_EEEENSA_INSB_IlSD_SE_SE_EEEEZNS1_13binary_searchIS3_S5_PySG_SI_NS1_21upper_bound_search_opENS9_16wrapped_functionINS8_6system6detail7generic6detail18binary_search_lessEbEEEE10hipError_tPvRmT1_T2_T3_mmT4_T5_P12ihipStream_tbEUlRKyE_EEST_SX_SY_mSZ_S12_bEUlT_E_NS1_11comp_targetILNS1_3genE3ELNS1_11target_archE908ELNS1_3gpuE7ELNS1_3repE0EEENS1_30default_config_static_selectorELNS0_4arch9wavefront6targetE0EEEvSW_.kd
    .uniform_work_group_size: 1
    .uses_dynamic_stack: false
    .vgpr_count:     0
    .vgpr_spill_count: 0
    .wavefront_size: 32
    .workgroup_processor_mode: 1
  - .args:
      - .offset:         0
        .size:           56
        .value_kind:     by_value
    .group_segment_fixed_size: 0
    .kernarg_segment_align: 8
    .kernarg_segment_size: 56
    .language:       OpenCL C
    .language_version:
      - 2
      - 0
    .max_flat_workgroup_size: 256
    .name:           _ZN7rocprim17ROCPRIM_400000_NS6detail17trampoline_kernelINS0_14default_configENS1_27upper_bound_config_selectorIylEEZNS1_14transform_implILb0ES3_S5_N6thrust23THRUST_200600_302600_NS6detail15normal_iteratorINS8_7pointerIyNS8_11hip_rocprim5par_tENS8_11use_defaultESE_EEEENSA_INSB_IlSD_SE_SE_EEEEZNS1_13binary_searchIS3_S5_PySG_SI_NS1_21upper_bound_search_opENS9_16wrapped_functionINS8_6system6detail7generic6detail18binary_search_lessEbEEEE10hipError_tPvRmT1_T2_T3_mmT4_T5_P12ihipStream_tbEUlRKyE_EEST_SX_SY_mSZ_S12_bEUlT_E_NS1_11comp_targetILNS1_3genE2ELNS1_11target_archE906ELNS1_3gpuE6ELNS1_3repE0EEENS1_30default_config_static_selectorELNS0_4arch9wavefront6targetE0EEEvSW_
    .private_segment_fixed_size: 0
    .sgpr_count:     0
    .sgpr_spill_count: 0
    .symbol:         _ZN7rocprim17ROCPRIM_400000_NS6detail17trampoline_kernelINS0_14default_configENS1_27upper_bound_config_selectorIylEEZNS1_14transform_implILb0ES3_S5_N6thrust23THRUST_200600_302600_NS6detail15normal_iteratorINS8_7pointerIyNS8_11hip_rocprim5par_tENS8_11use_defaultESE_EEEENSA_INSB_IlSD_SE_SE_EEEEZNS1_13binary_searchIS3_S5_PySG_SI_NS1_21upper_bound_search_opENS9_16wrapped_functionINS8_6system6detail7generic6detail18binary_search_lessEbEEEE10hipError_tPvRmT1_T2_T3_mmT4_T5_P12ihipStream_tbEUlRKyE_EEST_SX_SY_mSZ_S12_bEUlT_E_NS1_11comp_targetILNS1_3genE2ELNS1_11target_archE906ELNS1_3gpuE6ELNS1_3repE0EEENS1_30default_config_static_selectorELNS0_4arch9wavefront6targetE0EEEvSW_.kd
    .uniform_work_group_size: 1
    .uses_dynamic_stack: false
    .vgpr_count:     0
    .vgpr_spill_count: 0
    .wavefront_size: 32
    .workgroup_processor_mode: 1
  - .args:
      - .offset:         0
        .size:           56
        .value_kind:     by_value
    .group_segment_fixed_size: 0
    .kernarg_segment_align: 8
    .kernarg_segment_size: 56
    .language:       OpenCL C
    .language_version:
      - 2
      - 0
    .max_flat_workgroup_size: 128
    .name:           _ZN7rocprim17ROCPRIM_400000_NS6detail17trampoline_kernelINS0_14default_configENS1_27upper_bound_config_selectorIylEEZNS1_14transform_implILb0ES3_S5_N6thrust23THRUST_200600_302600_NS6detail15normal_iteratorINS8_7pointerIyNS8_11hip_rocprim5par_tENS8_11use_defaultESE_EEEENSA_INSB_IlSD_SE_SE_EEEEZNS1_13binary_searchIS3_S5_PySG_SI_NS1_21upper_bound_search_opENS9_16wrapped_functionINS8_6system6detail7generic6detail18binary_search_lessEbEEEE10hipError_tPvRmT1_T2_T3_mmT4_T5_P12ihipStream_tbEUlRKyE_EEST_SX_SY_mSZ_S12_bEUlT_E_NS1_11comp_targetILNS1_3genE10ELNS1_11target_archE1201ELNS1_3gpuE5ELNS1_3repE0EEENS1_30default_config_static_selectorELNS0_4arch9wavefront6targetE0EEEvSW_
    .private_segment_fixed_size: 0
    .sgpr_count:     0
    .sgpr_spill_count: 0
    .symbol:         _ZN7rocprim17ROCPRIM_400000_NS6detail17trampoline_kernelINS0_14default_configENS1_27upper_bound_config_selectorIylEEZNS1_14transform_implILb0ES3_S5_N6thrust23THRUST_200600_302600_NS6detail15normal_iteratorINS8_7pointerIyNS8_11hip_rocprim5par_tENS8_11use_defaultESE_EEEENSA_INSB_IlSD_SE_SE_EEEEZNS1_13binary_searchIS3_S5_PySG_SI_NS1_21upper_bound_search_opENS9_16wrapped_functionINS8_6system6detail7generic6detail18binary_search_lessEbEEEE10hipError_tPvRmT1_T2_T3_mmT4_T5_P12ihipStream_tbEUlRKyE_EEST_SX_SY_mSZ_S12_bEUlT_E_NS1_11comp_targetILNS1_3genE10ELNS1_11target_archE1201ELNS1_3gpuE5ELNS1_3repE0EEENS1_30default_config_static_selectorELNS0_4arch9wavefront6targetE0EEEvSW_.kd
    .uniform_work_group_size: 1
    .uses_dynamic_stack: false
    .vgpr_count:     0
    .vgpr_spill_count: 0
    .wavefront_size: 32
    .workgroup_processor_mode: 1
  - .args:
      - .offset:         0
        .size:           56
        .value_kind:     by_value
    .group_segment_fixed_size: 0
    .kernarg_segment_align: 8
    .kernarg_segment_size: 56
    .language:       OpenCL C
    .language_version:
      - 2
      - 0
    .max_flat_workgroup_size: 128
    .name:           _ZN7rocprim17ROCPRIM_400000_NS6detail17trampoline_kernelINS0_14default_configENS1_27upper_bound_config_selectorIylEEZNS1_14transform_implILb0ES3_S5_N6thrust23THRUST_200600_302600_NS6detail15normal_iteratorINS8_7pointerIyNS8_11hip_rocprim5par_tENS8_11use_defaultESE_EEEENSA_INSB_IlSD_SE_SE_EEEEZNS1_13binary_searchIS3_S5_PySG_SI_NS1_21upper_bound_search_opENS9_16wrapped_functionINS8_6system6detail7generic6detail18binary_search_lessEbEEEE10hipError_tPvRmT1_T2_T3_mmT4_T5_P12ihipStream_tbEUlRKyE_EEST_SX_SY_mSZ_S12_bEUlT_E_NS1_11comp_targetILNS1_3genE10ELNS1_11target_archE1200ELNS1_3gpuE4ELNS1_3repE0EEENS1_30default_config_static_selectorELNS0_4arch9wavefront6targetE0EEEvSW_
    .private_segment_fixed_size: 0
    .sgpr_count:     0
    .sgpr_spill_count: 0
    .symbol:         _ZN7rocprim17ROCPRIM_400000_NS6detail17trampoline_kernelINS0_14default_configENS1_27upper_bound_config_selectorIylEEZNS1_14transform_implILb0ES3_S5_N6thrust23THRUST_200600_302600_NS6detail15normal_iteratorINS8_7pointerIyNS8_11hip_rocprim5par_tENS8_11use_defaultESE_EEEENSA_INSB_IlSD_SE_SE_EEEEZNS1_13binary_searchIS3_S5_PySG_SI_NS1_21upper_bound_search_opENS9_16wrapped_functionINS8_6system6detail7generic6detail18binary_search_lessEbEEEE10hipError_tPvRmT1_T2_T3_mmT4_T5_P12ihipStream_tbEUlRKyE_EEST_SX_SY_mSZ_S12_bEUlT_E_NS1_11comp_targetILNS1_3genE10ELNS1_11target_archE1200ELNS1_3gpuE4ELNS1_3repE0EEENS1_30default_config_static_selectorELNS0_4arch9wavefront6targetE0EEEvSW_.kd
    .uniform_work_group_size: 1
    .uses_dynamic_stack: false
    .vgpr_count:     0
    .vgpr_spill_count: 0
    .wavefront_size: 32
    .workgroup_processor_mode: 1
  - .args:
      - .offset:         0
        .size:           56
        .value_kind:     by_value
    .group_segment_fixed_size: 0
    .kernarg_segment_align: 8
    .kernarg_segment_size: 56
    .language:       OpenCL C
    .language_version:
      - 2
      - 0
    .max_flat_workgroup_size: 256
    .name:           _ZN7rocprim17ROCPRIM_400000_NS6detail17trampoline_kernelINS0_14default_configENS1_27upper_bound_config_selectorIylEEZNS1_14transform_implILb0ES3_S5_N6thrust23THRUST_200600_302600_NS6detail15normal_iteratorINS8_7pointerIyNS8_11hip_rocprim5par_tENS8_11use_defaultESE_EEEENSA_INSB_IlSD_SE_SE_EEEEZNS1_13binary_searchIS3_S5_PySG_SI_NS1_21upper_bound_search_opENS9_16wrapped_functionINS8_6system6detail7generic6detail18binary_search_lessEbEEEE10hipError_tPvRmT1_T2_T3_mmT4_T5_P12ihipStream_tbEUlRKyE_EEST_SX_SY_mSZ_S12_bEUlT_E_NS1_11comp_targetILNS1_3genE9ELNS1_11target_archE1100ELNS1_3gpuE3ELNS1_3repE0EEENS1_30default_config_static_selectorELNS0_4arch9wavefront6targetE0EEEvSW_
    .private_segment_fixed_size: 0
    .sgpr_count:     0
    .sgpr_spill_count: 0
    .symbol:         _ZN7rocprim17ROCPRIM_400000_NS6detail17trampoline_kernelINS0_14default_configENS1_27upper_bound_config_selectorIylEEZNS1_14transform_implILb0ES3_S5_N6thrust23THRUST_200600_302600_NS6detail15normal_iteratorINS8_7pointerIyNS8_11hip_rocprim5par_tENS8_11use_defaultESE_EEEENSA_INSB_IlSD_SE_SE_EEEEZNS1_13binary_searchIS3_S5_PySG_SI_NS1_21upper_bound_search_opENS9_16wrapped_functionINS8_6system6detail7generic6detail18binary_search_lessEbEEEE10hipError_tPvRmT1_T2_T3_mmT4_T5_P12ihipStream_tbEUlRKyE_EEST_SX_SY_mSZ_S12_bEUlT_E_NS1_11comp_targetILNS1_3genE9ELNS1_11target_archE1100ELNS1_3gpuE3ELNS1_3repE0EEENS1_30default_config_static_selectorELNS0_4arch9wavefront6targetE0EEEvSW_.kd
    .uniform_work_group_size: 1
    .uses_dynamic_stack: false
    .vgpr_count:     0
    .vgpr_spill_count: 0
    .wavefront_size: 32
    .workgroup_processor_mode: 1
  - .args:
      - .offset:         0
        .size:           56
        .value_kind:     by_value
      - .offset:         56
        .size:           4
        .value_kind:     hidden_block_count_x
      - .offset:         60
        .size:           4
        .value_kind:     hidden_block_count_y
      - .offset:         64
        .size:           4
        .value_kind:     hidden_block_count_z
      - .offset:         68
        .size:           2
        .value_kind:     hidden_group_size_x
      - .offset:         70
        .size:           2
        .value_kind:     hidden_group_size_y
      - .offset:         72
        .size:           2
        .value_kind:     hidden_group_size_z
      - .offset:         74
        .size:           2
        .value_kind:     hidden_remainder_x
      - .offset:         76
        .size:           2
        .value_kind:     hidden_remainder_y
      - .offset:         78
        .size:           2
        .value_kind:     hidden_remainder_z
      - .offset:         96
        .size:           8
        .value_kind:     hidden_global_offset_x
      - .offset:         104
        .size:           8
        .value_kind:     hidden_global_offset_y
      - .offset:         112
        .size:           8
        .value_kind:     hidden_global_offset_z
      - .offset:         120
        .size:           2
        .value_kind:     hidden_grid_dims
    .group_segment_fixed_size: 0
    .kernarg_segment_align: 8
    .kernarg_segment_size: 312
    .language:       OpenCL C
    .language_version:
      - 2
      - 0
    .max_flat_workgroup_size: 256
    .name:           _ZN7rocprim17ROCPRIM_400000_NS6detail17trampoline_kernelINS0_14default_configENS1_27upper_bound_config_selectorIylEEZNS1_14transform_implILb0ES3_S5_N6thrust23THRUST_200600_302600_NS6detail15normal_iteratorINS8_7pointerIyNS8_11hip_rocprim5par_tENS8_11use_defaultESE_EEEENSA_INSB_IlSD_SE_SE_EEEEZNS1_13binary_searchIS3_S5_PySG_SI_NS1_21upper_bound_search_opENS9_16wrapped_functionINS8_6system6detail7generic6detail18binary_search_lessEbEEEE10hipError_tPvRmT1_T2_T3_mmT4_T5_P12ihipStream_tbEUlRKyE_EEST_SX_SY_mSZ_S12_bEUlT_E_NS1_11comp_targetILNS1_3genE8ELNS1_11target_archE1030ELNS1_3gpuE2ELNS1_3repE0EEENS1_30default_config_static_selectorELNS0_4arch9wavefront6targetE0EEEvSW_
    .private_segment_fixed_size: 0
    .sgpr_count:     22
    .sgpr_spill_count: 0
    .symbol:         _ZN7rocprim17ROCPRIM_400000_NS6detail17trampoline_kernelINS0_14default_configENS1_27upper_bound_config_selectorIylEEZNS1_14transform_implILb0ES3_S5_N6thrust23THRUST_200600_302600_NS6detail15normal_iteratorINS8_7pointerIyNS8_11hip_rocprim5par_tENS8_11use_defaultESE_EEEENSA_INSB_IlSD_SE_SE_EEEEZNS1_13binary_searchIS3_S5_PySG_SI_NS1_21upper_bound_search_opENS9_16wrapped_functionINS8_6system6detail7generic6detail18binary_search_lessEbEEEE10hipError_tPvRmT1_T2_T3_mmT4_T5_P12ihipStream_tbEUlRKyE_EEST_SX_SY_mSZ_S12_bEUlT_E_NS1_11comp_targetILNS1_3genE8ELNS1_11target_archE1030ELNS1_3gpuE2ELNS1_3repE0EEENS1_30default_config_static_selectorELNS0_4arch9wavefront6targetE0EEEvSW_.kd
    .uniform_work_group_size: 1
    .uses_dynamic_stack: false
    .vgpr_count:     12
    .vgpr_spill_count: 0
    .wavefront_size: 32
    .workgroup_processor_mode: 1
  - .args:
      - .offset:         0
        .size:           8
        .value_kind:     by_value
      - .address_space:  global
        .offset:         8
        .size:           8
        .value_kind:     global_buffer
      - .address_space:  global
        .offset:         16
        .size:           8
        .value_kind:     global_buffer
    .group_segment_fixed_size: 0
    .kernarg_segment_align: 8
    .kernarg_segment_size: 24
    .language:       OpenCL C
    .language_version:
      - 2
      - 0
    .max_flat_workgroup_size: 256
    .name:           _Z18upper_bound_kernelIjEvmPT_Pl
    .private_segment_fixed_size: 0
    .sgpr_count:     18
    .sgpr_spill_count: 0
    .symbol:         _Z18upper_bound_kernelIjEvmPT_Pl.kd
    .uniform_work_group_size: 1
    .uses_dynamic_stack: false
    .vgpr_count:     3
    .vgpr_spill_count: 0
    .wavefront_size: 32
    .workgroup_processor_mode: 1
  - .args:
      - .offset:         0
        .size:           56
        .value_kind:     by_value
    .group_segment_fixed_size: 0
    .kernarg_segment_align: 8
    .kernarg_segment_size: 56
    .language:       OpenCL C
    .language_version:
      - 2
      - 0
    .max_flat_workgroup_size: 256
    .name:           _ZN7rocprim17ROCPRIM_400000_NS6detail17trampoline_kernelINS0_14default_configENS1_27upper_bound_config_selectorIjlEEZNS1_14transform_implILb0ES3_S5_N6thrust23THRUST_200600_302600_NS6detail15normal_iteratorINS8_7pointerIjNS8_11hip_rocprim5par_tENS8_11use_defaultESE_EEEENSA_INSB_IlSD_SE_SE_EEEEZNS1_13binary_searchIS3_S5_PjSG_SI_NS1_21upper_bound_search_opENS9_16wrapped_functionINS8_6system6detail7generic6detail18binary_search_lessEbEEEE10hipError_tPvRmT1_T2_T3_mmT4_T5_P12ihipStream_tbEUlRKjE_EEST_SX_SY_mSZ_S12_bEUlT_E_NS1_11comp_targetILNS1_3genE0ELNS1_11target_archE4294967295ELNS1_3gpuE0ELNS1_3repE0EEENS1_30default_config_static_selectorELNS0_4arch9wavefront6targetE0EEEvSW_
    .private_segment_fixed_size: 0
    .sgpr_count:     0
    .sgpr_spill_count: 0
    .symbol:         _ZN7rocprim17ROCPRIM_400000_NS6detail17trampoline_kernelINS0_14default_configENS1_27upper_bound_config_selectorIjlEEZNS1_14transform_implILb0ES3_S5_N6thrust23THRUST_200600_302600_NS6detail15normal_iteratorINS8_7pointerIjNS8_11hip_rocprim5par_tENS8_11use_defaultESE_EEEENSA_INSB_IlSD_SE_SE_EEEEZNS1_13binary_searchIS3_S5_PjSG_SI_NS1_21upper_bound_search_opENS9_16wrapped_functionINS8_6system6detail7generic6detail18binary_search_lessEbEEEE10hipError_tPvRmT1_T2_T3_mmT4_T5_P12ihipStream_tbEUlRKjE_EEST_SX_SY_mSZ_S12_bEUlT_E_NS1_11comp_targetILNS1_3genE0ELNS1_11target_archE4294967295ELNS1_3gpuE0ELNS1_3repE0EEENS1_30default_config_static_selectorELNS0_4arch9wavefront6targetE0EEEvSW_.kd
    .uniform_work_group_size: 1
    .uses_dynamic_stack: false
    .vgpr_count:     0
    .vgpr_spill_count: 0
    .wavefront_size: 32
    .workgroup_processor_mode: 1
  - .args:
      - .offset:         0
        .size:           56
        .value_kind:     by_value
    .group_segment_fixed_size: 0
    .kernarg_segment_align: 8
    .kernarg_segment_size: 56
    .language:       OpenCL C
    .language_version:
      - 2
      - 0
    .max_flat_workgroup_size: 256
    .name:           _ZN7rocprim17ROCPRIM_400000_NS6detail17trampoline_kernelINS0_14default_configENS1_27upper_bound_config_selectorIjlEEZNS1_14transform_implILb0ES3_S5_N6thrust23THRUST_200600_302600_NS6detail15normal_iteratorINS8_7pointerIjNS8_11hip_rocprim5par_tENS8_11use_defaultESE_EEEENSA_INSB_IlSD_SE_SE_EEEEZNS1_13binary_searchIS3_S5_PjSG_SI_NS1_21upper_bound_search_opENS9_16wrapped_functionINS8_6system6detail7generic6detail18binary_search_lessEbEEEE10hipError_tPvRmT1_T2_T3_mmT4_T5_P12ihipStream_tbEUlRKjE_EEST_SX_SY_mSZ_S12_bEUlT_E_NS1_11comp_targetILNS1_3genE5ELNS1_11target_archE942ELNS1_3gpuE9ELNS1_3repE0EEENS1_30default_config_static_selectorELNS0_4arch9wavefront6targetE0EEEvSW_
    .private_segment_fixed_size: 0
    .sgpr_count:     0
    .sgpr_spill_count: 0
    .symbol:         _ZN7rocprim17ROCPRIM_400000_NS6detail17trampoline_kernelINS0_14default_configENS1_27upper_bound_config_selectorIjlEEZNS1_14transform_implILb0ES3_S5_N6thrust23THRUST_200600_302600_NS6detail15normal_iteratorINS8_7pointerIjNS8_11hip_rocprim5par_tENS8_11use_defaultESE_EEEENSA_INSB_IlSD_SE_SE_EEEEZNS1_13binary_searchIS3_S5_PjSG_SI_NS1_21upper_bound_search_opENS9_16wrapped_functionINS8_6system6detail7generic6detail18binary_search_lessEbEEEE10hipError_tPvRmT1_T2_T3_mmT4_T5_P12ihipStream_tbEUlRKjE_EEST_SX_SY_mSZ_S12_bEUlT_E_NS1_11comp_targetILNS1_3genE5ELNS1_11target_archE942ELNS1_3gpuE9ELNS1_3repE0EEENS1_30default_config_static_selectorELNS0_4arch9wavefront6targetE0EEEvSW_.kd
    .uniform_work_group_size: 1
    .uses_dynamic_stack: false
    .vgpr_count:     0
    .vgpr_spill_count: 0
    .wavefront_size: 32
    .workgroup_processor_mode: 1
  - .args:
      - .offset:         0
        .size:           56
        .value_kind:     by_value
    .group_segment_fixed_size: 0
    .kernarg_segment_align: 8
    .kernarg_segment_size: 56
    .language:       OpenCL C
    .language_version:
      - 2
      - 0
    .max_flat_workgroup_size: 256
    .name:           _ZN7rocprim17ROCPRIM_400000_NS6detail17trampoline_kernelINS0_14default_configENS1_27upper_bound_config_selectorIjlEEZNS1_14transform_implILb0ES3_S5_N6thrust23THRUST_200600_302600_NS6detail15normal_iteratorINS8_7pointerIjNS8_11hip_rocprim5par_tENS8_11use_defaultESE_EEEENSA_INSB_IlSD_SE_SE_EEEEZNS1_13binary_searchIS3_S5_PjSG_SI_NS1_21upper_bound_search_opENS9_16wrapped_functionINS8_6system6detail7generic6detail18binary_search_lessEbEEEE10hipError_tPvRmT1_T2_T3_mmT4_T5_P12ihipStream_tbEUlRKjE_EEST_SX_SY_mSZ_S12_bEUlT_E_NS1_11comp_targetILNS1_3genE4ELNS1_11target_archE910ELNS1_3gpuE8ELNS1_3repE0EEENS1_30default_config_static_selectorELNS0_4arch9wavefront6targetE0EEEvSW_
    .private_segment_fixed_size: 0
    .sgpr_count:     0
    .sgpr_spill_count: 0
    .symbol:         _ZN7rocprim17ROCPRIM_400000_NS6detail17trampoline_kernelINS0_14default_configENS1_27upper_bound_config_selectorIjlEEZNS1_14transform_implILb0ES3_S5_N6thrust23THRUST_200600_302600_NS6detail15normal_iteratorINS8_7pointerIjNS8_11hip_rocprim5par_tENS8_11use_defaultESE_EEEENSA_INSB_IlSD_SE_SE_EEEEZNS1_13binary_searchIS3_S5_PjSG_SI_NS1_21upper_bound_search_opENS9_16wrapped_functionINS8_6system6detail7generic6detail18binary_search_lessEbEEEE10hipError_tPvRmT1_T2_T3_mmT4_T5_P12ihipStream_tbEUlRKjE_EEST_SX_SY_mSZ_S12_bEUlT_E_NS1_11comp_targetILNS1_3genE4ELNS1_11target_archE910ELNS1_3gpuE8ELNS1_3repE0EEENS1_30default_config_static_selectorELNS0_4arch9wavefront6targetE0EEEvSW_.kd
    .uniform_work_group_size: 1
    .uses_dynamic_stack: false
    .vgpr_count:     0
    .vgpr_spill_count: 0
    .wavefront_size: 32
    .workgroup_processor_mode: 1
  - .args:
      - .offset:         0
        .size:           56
        .value_kind:     by_value
    .group_segment_fixed_size: 0
    .kernarg_segment_align: 8
    .kernarg_segment_size: 56
    .language:       OpenCL C
    .language_version:
      - 2
      - 0
    .max_flat_workgroup_size: 256
    .name:           _ZN7rocprim17ROCPRIM_400000_NS6detail17trampoline_kernelINS0_14default_configENS1_27upper_bound_config_selectorIjlEEZNS1_14transform_implILb0ES3_S5_N6thrust23THRUST_200600_302600_NS6detail15normal_iteratorINS8_7pointerIjNS8_11hip_rocprim5par_tENS8_11use_defaultESE_EEEENSA_INSB_IlSD_SE_SE_EEEEZNS1_13binary_searchIS3_S5_PjSG_SI_NS1_21upper_bound_search_opENS9_16wrapped_functionINS8_6system6detail7generic6detail18binary_search_lessEbEEEE10hipError_tPvRmT1_T2_T3_mmT4_T5_P12ihipStream_tbEUlRKjE_EEST_SX_SY_mSZ_S12_bEUlT_E_NS1_11comp_targetILNS1_3genE3ELNS1_11target_archE908ELNS1_3gpuE7ELNS1_3repE0EEENS1_30default_config_static_selectorELNS0_4arch9wavefront6targetE0EEEvSW_
    .private_segment_fixed_size: 0
    .sgpr_count:     0
    .sgpr_spill_count: 0
    .symbol:         _ZN7rocprim17ROCPRIM_400000_NS6detail17trampoline_kernelINS0_14default_configENS1_27upper_bound_config_selectorIjlEEZNS1_14transform_implILb0ES3_S5_N6thrust23THRUST_200600_302600_NS6detail15normal_iteratorINS8_7pointerIjNS8_11hip_rocprim5par_tENS8_11use_defaultESE_EEEENSA_INSB_IlSD_SE_SE_EEEEZNS1_13binary_searchIS3_S5_PjSG_SI_NS1_21upper_bound_search_opENS9_16wrapped_functionINS8_6system6detail7generic6detail18binary_search_lessEbEEEE10hipError_tPvRmT1_T2_T3_mmT4_T5_P12ihipStream_tbEUlRKjE_EEST_SX_SY_mSZ_S12_bEUlT_E_NS1_11comp_targetILNS1_3genE3ELNS1_11target_archE908ELNS1_3gpuE7ELNS1_3repE0EEENS1_30default_config_static_selectorELNS0_4arch9wavefront6targetE0EEEvSW_.kd
    .uniform_work_group_size: 1
    .uses_dynamic_stack: false
    .vgpr_count:     0
    .vgpr_spill_count: 0
    .wavefront_size: 32
    .workgroup_processor_mode: 1
  - .args:
      - .offset:         0
        .size:           56
        .value_kind:     by_value
    .group_segment_fixed_size: 0
    .kernarg_segment_align: 8
    .kernarg_segment_size: 56
    .language:       OpenCL C
    .language_version:
      - 2
      - 0
    .max_flat_workgroup_size: 256
    .name:           _ZN7rocprim17ROCPRIM_400000_NS6detail17trampoline_kernelINS0_14default_configENS1_27upper_bound_config_selectorIjlEEZNS1_14transform_implILb0ES3_S5_N6thrust23THRUST_200600_302600_NS6detail15normal_iteratorINS8_7pointerIjNS8_11hip_rocprim5par_tENS8_11use_defaultESE_EEEENSA_INSB_IlSD_SE_SE_EEEEZNS1_13binary_searchIS3_S5_PjSG_SI_NS1_21upper_bound_search_opENS9_16wrapped_functionINS8_6system6detail7generic6detail18binary_search_lessEbEEEE10hipError_tPvRmT1_T2_T3_mmT4_T5_P12ihipStream_tbEUlRKjE_EEST_SX_SY_mSZ_S12_bEUlT_E_NS1_11comp_targetILNS1_3genE2ELNS1_11target_archE906ELNS1_3gpuE6ELNS1_3repE0EEENS1_30default_config_static_selectorELNS0_4arch9wavefront6targetE0EEEvSW_
    .private_segment_fixed_size: 0
    .sgpr_count:     0
    .sgpr_spill_count: 0
    .symbol:         _ZN7rocprim17ROCPRIM_400000_NS6detail17trampoline_kernelINS0_14default_configENS1_27upper_bound_config_selectorIjlEEZNS1_14transform_implILb0ES3_S5_N6thrust23THRUST_200600_302600_NS6detail15normal_iteratorINS8_7pointerIjNS8_11hip_rocprim5par_tENS8_11use_defaultESE_EEEENSA_INSB_IlSD_SE_SE_EEEEZNS1_13binary_searchIS3_S5_PjSG_SI_NS1_21upper_bound_search_opENS9_16wrapped_functionINS8_6system6detail7generic6detail18binary_search_lessEbEEEE10hipError_tPvRmT1_T2_T3_mmT4_T5_P12ihipStream_tbEUlRKjE_EEST_SX_SY_mSZ_S12_bEUlT_E_NS1_11comp_targetILNS1_3genE2ELNS1_11target_archE906ELNS1_3gpuE6ELNS1_3repE0EEENS1_30default_config_static_selectorELNS0_4arch9wavefront6targetE0EEEvSW_.kd
    .uniform_work_group_size: 1
    .uses_dynamic_stack: false
    .vgpr_count:     0
    .vgpr_spill_count: 0
    .wavefront_size: 32
    .workgroup_processor_mode: 1
  - .args:
      - .offset:         0
        .size:           56
        .value_kind:     by_value
    .group_segment_fixed_size: 0
    .kernarg_segment_align: 8
    .kernarg_segment_size: 56
    .language:       OpenCL C
    .language_version:
      - 2
      - 0
    .max_flat_workgroup_size: 128
    .name:           _ZN7rocprim17ROCPRIM_400000_NS6detail17trampoline_kernelINS0_14default_configENS1_27upper_bound_config_selectorIjlEEZNS1_14transform_implILb0ES3_S5_N6thrust23THRUST_200600_302600_NS6detail15normal_iteratorINS8_7pointerIjNS8_11hip_rocprim5par_tENS8_11use_defaultESE_EEEENSA_INSB_IlSD_SE_SE_EEEEZNS1_13binary_searchIS3_S5_PjSG_SI_NS1_21upper_bound_search_opENS9_16wrapped_functionINS8_6system6detail7generic6detail18binary_search_lessEbEEEE10hipError_tPvRmT1_T2_T3_mmT4_T5_P12ihipStream_tbEUlRKjE_EEST_SX_SY_mSZ_S12_bEUlT_E_NS1_11comp_targetILNS1_3genE10ELNS1_11target_archE1201ELNS1_3gpuE5ELNS1_3repE0EEENS1_30default_config_static_selectorELNS0_4arch9wavefront6targetE0EEEvSW_
    .private_segment_fixed_size: 0
    .sgpr_count:     0
    .sgpr_spill_count: 0
    .symbol:         _ZN7rocprim17ROCPRIM_400000_NS6detail17trampoline_kernelINS0_14default_configENS1_27upper_bound_config_selectorIjlEEZNS1_14transform_implILb0ES3_S5_N6thrust23THRUST_200600_302600_NS6detail15normal_iteratorINS8_7pointerIjNS8_11hip_rocprim5par_tENS8_11use_defaultESE_EEEENSA_INSB_IlSD_SE_SE_EEEEZNS1_13binary_searchIS3_S5_PjSG_SI_NS1_21upper_bound_search_opENS9_16wrapped_functionINS8_6system6detail7generic6detail18binary_search_lessEbEEEE10hipError_tPvRmT1_T2_T3_mmT4_T5_P12ihipStream_tbEUlRKjE_EEST_SX_SY_mSZ_S12_bEUlT_E_NS1_11comp_targetILNS1_3genE10ELNS1_11target_archE1201ELNS1_3gpuE5ELNS1_3repE0EEENS1_30default_config_static_selectorELNS0_4arch9wavefront6targetE0EEEvSW_.kd
    .uniform_work_group_size: 1
    .uses_dynamic_stack: false
    .vgpr_count:     0
    .vgpr_spill_count: 0
    .wavefront_size: 32
    .workgroup_processor_mode: 1
  - .args:
      - .offset:         0
        .size:           56
        .value_kind:     by_value
    .group_segment_fixed_size: 0
    .kernarg_segment_align: 8
    .kernarg_segment_size: 56
    .language:       OpenCL C
    .language_version:
      - 2
      - 0
    .max_flat_workgroup_size: 128
    .name:           _ZN7rocprim17ROCPRIM_400000_NS6detail17trampoline_kernelINS0_14default_configENS1_27upper_bound_config_selectorIjlEEZNS1_14transform_implILb0ES3_S5_N6thrust23THRUST_200600_302600_NS6detail15normal_iteratorINS8_7pointerIjNS8_11hip_rocprim5par_tENS8_11use_defaultESE_EEEENSA_INSB_IlSD_SE_SE_EEEEZNS1_13binary_searchIS3_S5_PjSG_SI_NS1_21upper_bound_search_opENS9_16wrapped_functionINS8_6system6detail7generic6detail18binary_search_lessEbEEEE10hipError_tPvRmT1_T2_T3_mmT4_T5_P12ihipStream_tbEUlRKjE_EEST_SX_SY_mSZ_S12_bEUlT_E_NS1_11comp_targetILNS1_3genE10ELNS1_11target_archE1200ELNS1_3gpuE4ELNS1_3repE0EEENS1_30default_config_static_selectorELNS0_4arch9wavefront6targetE0EEEvSW_
    .private_segment_fixed_size: 0
    .sgpr_count:     0
    .sgpr_spill_count: 0
    .symbol:         _ZN7rocprim17ROCPRIM_400000_NS6detail17trampoline_kernelINS0_14default_configENS1_27upper_bound_config_selectorIjlEEZNS1_14transform_implILb0ES3_S5_N6thrust23THRUST_200600_302600_NS6detail15normal_iteratorINS8_7pointerIjNS8_11hip_rocprim5par_tENS8_11use_defaultESE_EEEENSA_INSB_IlSD_SE_SE_EEEEZNS1_13binary_searchIS3_S5_PjSG_SI_NS1_21upper_bound_search_opENS9_16wrapped_functionINS8_6system6detail7generic6detail18binary_search_lessEbEEEE10hipError_tPvRmT1_T2_T3_mmT4_T5_P12ihipStream_tbEUlRKjE_EEST_SX_SY_mSZ_S12_bEUlT_E_NS1_11comp_targetILNS1_3genE10ELNS1_11target_archE1200ELNS1_3gpuE4ELNS1_3repE0EEENS1_30default_config_static_selectorELNS0_4arch9wavefront6targetE0EEEvSW_.kd
    .uniform_work_group_size: 1
    .uses_dynamic_stack: false
    .vgpr_count:     0
    .vgpr_spill_count: 0
    .wavefront_size: 32
    .workgroup_processor_mode: 1
  - .args:
      - .offset:         0
        .size:           56
        .value_kind:     by_value
    .group_segment_fixed_size: 0
    .kernarg_segment_align: 8
    .kernarg_segment_size: 56
    .language:       OpenCL C
    .language_version:
      - 2
      - 0
    .max_flat_workgroup_size: 256
    .name:           _ZN7rocprim17ROCPRIM_400000_NS6detail17trampoline_kernelINS0_14default_configENS1_27upper_bound_config_selectorIjlEEZNS1_14transform_implILb0ES3_S5_N6thrust23THRUST_200600_302600_NS6detail15normal_iteratorINS8_7pointerIjNS8_11hip_rocprim5par_tENS8_11use_defaultESE_EEEENSA_INSB_IlSD_SE_SE_EEEEZNS1_13binary_searchIS3_S5_PjSG_SI_NS1_21upper_bound_search_opENS9_16wrapped_functionINS8_6system6detail7generic6detail18binary_search_lessEbEEEE10hipError_tPvRmT1_T2_T3_mmT4_T5_P12ihipStream_tbEUlRKjE_EEST_SX_SY_mSZ_S12_bEUlT_E_NS1_11comp_targetILNS1_3genE9ELNS1_11target_archE1100ELNS1_3gpuE3ELNS1_3repE0EEENS1_30default_config_static_selectorELNS0_4arch9wavefront6targetE0EEEvSW_
    .private_segment_fixed_size: 0
    .sgpr_count:     0
    .sgpr_spill_count: 0
    .symbol:         _ZN7rocprim17ROCPRIM_400000_NS6detail17trampoline_kernelINS0_14default_configENS1_27upper_bound_config_selectorIjlEEZNS1_14transform_implILb0ES3_S5_N6thrust23THRUST_200600_302600_NS6detail15normal_iteratorINS8_7pointerIjNS8_11hip_rocprim5par_tENS8_11use_defaultESE_EEEENSA_INSB_IlSD_SE_SE_EEEEZNS1_13binary_searchIS3_S5_PjSG_SI_NS1_21upper_bound_search_opENS9_16wrapped_functionINS8_6system6detail7generic6detail18binary_search_lessEbEEEE10hipError_tPvRmT1_T2_T3_mmT4_T5_P12ihipStream_tbEUlRKjE_EEST_SX_SY_mSZ_S12_bEUlT_E_NS1_11comp_targetILNS1_3genE9ELNS1_11target_archE1100ELNS1_3gpuE3ELNS1_3repE0EEENS1_30default_config_static_selectorELNS0_4arch9wavefront6targetE0EEEvSW_.kd
    .uniform_work_group_size: 1
    .uses_dynamic_stack: false
    .vgpr_count:     0
    .vgpr_spill_count: 0
    .wavefront_size: 32
    .workgroup_processor_mode: 1
  - .args:
      - .offset:         0
        .size:           56
        .value_kind:     by_value
      - .offset:         56
        .size:           4
        .value_kind:     hidden_block_count_x
      - .offset:         60
        .size:           4
        .value_kind:     hidden_block_count_y
      - .offset:         64
        .size:           4
        .value_kind:     hidden_block_count_z
      - .offset:         68
        .size:           2
        .value_kind:     hidden_group_size_x
      - .offset:         70
        .size:           2
        .value_kind:     hidden_group_size_y
      - .offset:         72
        .size:           2
        .value_kind:     hidden_group_size_z
      - .offset:         74
        .size:           2
        .value_kind:     hidden_remainder_x
      - .offset:         76
        .size:           2
        .value_kind:     hidden_remainder_y
      - .offset:         78
        .size:           2
        .value_kind:     hidden_remainder_z
      - .offset:         96
        .size:           8
        .value_kind:     hidden_global_offset_x
      - .offset:         104
        .size:           8
        .value_kind:     hidden_global_offset_y
      - .offset:         112
        .size:           8
        .value_kind:     hidden_global_offset_z
      - .offset:         120
        .size:           2
        .value_kind:     hidden_grid_dims
    .group_segment_fixed_size: 0
    .kernarg_segment_align: 8
    .kernarg_segment_size: 312
    .language:       OpenCL C
    .language_version:
      - 2
      - 0
    .max_flat_workgroup_size: 256
    .name:           _ZN7rocprim17ROCPRIM_400000_NS6detail17trampoline_kernelINS0_14default_configENS1_27upper_bound_config_selectorIjlEEZNS1_14transform_implILb0ES3_S5_N6thrust23THRUST_200600_302600_NS6detail15normal_iteratorINS8_7pointerIjNS8_11hip_rocprim5par_tENS8_11use_defaultESE_EEEENSA_INSB_IlSD_SE_SE_EEEEZNS1_13binary_searchIS3_S5_PjSG_SI_NS1_21upper_bound_search_opENS9_16wrapped_functionINS8_6system6detail7generic6detail18binary_search_lessEbEEEE10hipError_tPvRmT1_T2_T3_mmT4_T5_P12ihipStream_tbEUlRKjE_EEST_SX_SY_mSZ_S12_bEUlT_E_NS1_11comp_targetILNS1_3genE8ELNS1_11target_archE1030ELNS1_3gpuE2ELNS1_3repE0EEENS1_30default_config_static_selectorELNS0_4arch9wavefront6targetE0EEEvSW_
    .private_segment_fixed_size: 0
    .sgpr_count:     19
    .sgpr_spill_count: 0
    .symbol:         _ZN7rocprim17ROCPRIM_400000_NS6detail17trampoline_kernelINS0_14default_configENS1_27upper_bound_config_selectorIjlEEZNS1_14transform_implILb0ES3_S5_N6thrust23THRUST_200600_302600_NS6detail15normal_iteratorINS8_7pointerIjNS8_11hip_rocprim5par_tENS8_11use_defaultESE_EEEENSA_INSB_IlSD_SE_SE_EEEEZNS1_13binary_searchIS3_S5_PjSG_SI_NS1_21upper_bound_search_opENS9_16wrapped_functionINS8_6system6detail7generic6detail18binary_search_lessEbEEEE10hipError_tPvRmT1_T2_T3_mmT4_T5_P12ihipStream_tbEUlRKjE_EEST_SX_SY_mSZ_S12_bEUlT_E_NS1_11comp_targetILNS1_3genE8ELNS1_11target_archE1030ELNS1_3gpuE2ELNS1_3repE0EEENS1_30default_config_static_selectorELNS0_4arch9wavefront6targetE0EEEvSW_.kd
    .uniform_work_group_size: 1
    .uses_dynamic_stack: false
    .vgpr_count:     11
    .vgpr_spill_count: 0
    .wavefront_size: 32
    .workgroup_processor_mode: 1
  - .args:
      - .offset:         0
        .size:           8
        .value_kind:     by_value
      - .address_space:  global
        .offset:         8
        .size:           8
        .value_kind:     global_buffer
      - .address_space:  global
        .offset:         16
        .size:           8
        .value_kind:     global_buffer
    .group_segment_fixed_size: 0
    .kernarg_segment_align: 8
    .kernarg_segment_size: 24
    .language:       OpenCL C
    .language_version:
      - 2
      - 0
    .max_flat_workgroup_size: 256
    .name:           _Z18upper_bound_kernelItEvmPT_Pl
    .private_segment_fixed_size: 0
    .sgpr_count:     18
    .sgpr_spill_count: 0
    .symbol:         _Z18upper_bound_kernelItEvmPT_Pl.kd
    .uniform_work_group_size: 1
    .uses_dynamic_stack: false
    .vgpr_count:     3
    .vgpr_spill_count: 0
    .wavefront_size: 32
    .workgroup_processor_mode: 1
  - .args:
      - .offset:         0
        .size:           56
        .value_kind:     by_value
    .group_segment_fixed_size: 0
    .kernarg_segment_align: 8
    .kernarg_segment_size: 56
    .language:       OpenCL C
    .language_version:
      - 2
      - 0
    .max_flat_workgroup_size: 128
    .name:           _ZN7rocprim17ROCPRIM_400000_NS6detail17trampoline_kernelINS0_14default_configENS1_27upper_bound_config_selectorItlEEZNS1_14transform_implILb0ES3_S5_N6thrust23THRUST_200600_302600_NS6detail15normal_iteratorINS8_7pointerItNS8_11hip_rocprim5par_tENS8_11use_defaultESE_EEEENSA_INSB_IlSD_SE_SE_EEEEZNS1_13binary_searchIS3_S5_PtSG_SI_NS1_21upper_bound_search_opENS9_16wrapped_functionINS8_6system6detail7generic6detail18binary_search_lessEbEEEE10hipError_tPvRmT1_T2_T3_mmT4_T5_P12ihipStream_tbEUlRKtE_EEST_SX_SY_mSZ_S12_bEUlT_E_NS1_11comp_targetILNS1_3genE0ELNS1_11target_archE4294967295ELNS1_3gpuE0ELNS1_3repE0EEENS1_30default_config_static_selectorELNS0_4arch9wavefront6targetE0EEEvSW_
    .private_segment_fixed_size: 0
    .sgpr_count:     0
    .sgpr_spill_count: 0
    .symbol:         _ZN7rocprim17ROCPRIM_400000_NS6detail17trampoline_kernelINS0_14default_configENS1_27upper_bound_config_selectorItlEEZNS1_14transform_implILb0ES3_S5_N6thrust23THRUST_200600_302600_NS6detail15normal_iteratorINS8_7pointerItNS8_11hip_rocprim5par_tENS8_11use_defaultESE_EEEENSA_INSB_IlSD_SE_SE_EEEEZNS1_13binary_searchIS3_S5_PtSG_SI_NS1_21upper_bound_search_opENS9_16wrapped_functionINS8_6system6detail7generic6detail18binary_search_lessEbEEEE10hipError_tPvRmT1_T2_T3_mmT4_T5_P12ihipStream_tbEUlRKtE_EEST_SX_SY_mSZ_S12_bEUlT_E_NS1_11comp_targetILNS1_3genE0ELNS1_11target_archE4294967295ELNS1_3gpuE0ELNS1_3repE0EEENS1_30default_config_static_selectorELNS0_4arch9wavefront6targetE0EEEvSW_.kd
    .uniform_work_group_size: 1
    .uses_dynamic_stack: false
    .vgpr_count:     0
    .vgpr_spill_count: 0
    .wavefront_size: 32
    .workgroup_processor_mode: 1
  - .args:
      - .offset:         0
        .size:           56
        .value_kind:     by_value
    .group_segment_fixed_size: 0
    .kernarg_segment_align: 8
    .kernarg_segment_size: 56
    .language:       OpenCL C
    .language_version:
      - 2
      - 0
    .max_flat_workgroup_size: 256
    .name:           _ZN7rocprim17ROCPRIM_400000_NS6detail17trampoline_kernelINS0_14default_configENS1_27upper_bound_config_selectorItlEEZNS1_14transform_implILb0ES3_S5_N6thrust23THRUST_200600_302600_NS6detail15normal_iteratorINS8_7pointerItNS8_11hip_rocprim5par_tENS8_11use_defaultESE_EEEENSA_INSB_IlSD_SE_SE_EEEEZNS1_13binary_searchIS3_S5_PtSG_SI_NS1_21upper_bound_search_opENS9_16wrapped_functionINS8_6system6detail7generic6detail18binary_search_lessEbEEEE10hipError_tPvRmT1_T2_T3_mmT4_T5_P12ihipStream_tbEUlRKtE_EEST_SX_SY_mSZ_S12_bEUlT_E_NS1_11comp_targetILNS1_3genE5ELNS1_11target_archE942ELNS1_3gpuE9ELNS1_3repE0EEENS1_30default_config_static_selectorELNS0_4arch9wavefront6targetE0EEEvSW_
    .private_segment_fixed_size: 0
    .sgpr_count:     0
    .sgpr_spill_count: 0
    .symbol:         _ZN7rocprim17ROCPRIM_400000_NS6detail17trampoline_kernelINS0_14default_configENS1_27upper_bound_config_selectorItlEEZNS1_14transform_implILb0ES3_S5_N6thrust23THRUST_200600_302600_NS6detail15normal_iteratorINS8_7pointerItNS8_11hip_rocprim5par_tENS8_11use_defaultESE_EEEENSA_INSB_IlSD_SE_SE_EEEEZNS1_13binary_searchIS3_S5_PtSG_SI_NS1_21upper_bound_search_opENS9_16wrapped_functionINS8_6system6detail7generic6detail18binary_search_lessEbEEEE10hipError_tPvRmT1_T2_T3_mmT4_T5_P12ihipStream_tbEUlRKtE_EEST_SX_SY_mSZ_S12_bEUlT_E_NS1_11comp_targetILNS1_3genE5ELNS1_11target_archE942ELNS1_3gpuE9ELNS1_3repE0EEENS1_30default_config_static_selectorELNS0_4arch9wavefront6targetE0EEEvSW_.kd
    .uniform_work_group_size: 1
    .uses_dynamic_stack: false
    .vgpr_count:     0
    .vgpr_spill_count: 0
    .wavefront_size: 32
    .workgroup_processor_mode: 1
  - .args:
      - .offset:         0
        .size:           56
        .value_kind:     by_value
    .group_segment_fixed_size: 0
    .kernarg_segment_align: 8
    .kernarg_segment_size: 56
    .language:       OpenCL C
    .language_version:
      - 2
      - 0
    .max_flat_workgroup_size: 256
    .name:           _ZN7rocprim17ROCPRIM_400000_NS6detail17trampoline_kernelINS0_14default_configENS1_27upper_bound_config_selectorItlEEZNS1_14transform_implILb0ES3_S5_N6thrust23THRUST_200600_302600_NS6detail15normal_iteratorINS8_7pointerItNS8_11hip_rocprim5par_tENS8_11use_defaultESE_EEEENSA_INSB_IlSD_SE_SE_EEEEZNS1_13binary_searchIS3_S5_PtSG_SI_NS1_21upper_bound_search_opENS9_16wrapped_functionINS8_6system6detail7generic6detail18binary_search_lessEbEEEE10hipError_tPvRmT1_T2_T3_mmT4_T5_P12ihipStream_tbEUlRKtE_EEST_SX_SY_mSZ_S12_bEUlT_E_NS1_11comp_targetILNS1_3genE4ELNS1_11target_archE910ELNS1_3gpuE8ELNS1_3repE0EEENS1_30default_config_static_selectorELNS0_4arch9wavefront6targetE0EEEvSW_
    .private_segment_fixed_size: 0
    .sgpr_count:     0
    .sgpr_spill_count: 0
    .symbol:         _ZN7rocprim17ROCPRIM_400000_NS6detail17trampoline_kernelINS0_14default_configENS1_27upper_bound_config_selectorItlEEZNS1_14transform_implILb0ES3_S5_N6thrust23THRUST_200600_302600_NS6detail15normal_iteratorINS8_7pointerItNS8_11hip_rocprim5par_tENS8_11use_defaultESE_EEEENSA_INSB_IlSD_SE_SE_EEEEZNS1_13binary_searchIS3_S5_PtSG_SI_NS1_21upper_bound_search_opENS9_16wrapped_functionINS8_6system6detail7generic6detail18binary_search_lessEbEEEE10hipError_tPvRmT1_T2_T3_mmT4_T5_P12ihipStream_tbEUlRKtE_EEST_SX_SY_mSZ_S12_bEUlT_E_NS1_11comp_targetILNS1_3genE4ELNS1_11target_archE910ELNS1_3gpuE8ELNS1_3repE0EEENS1_30default_config_static_selectorELNS0_4arch9wavefront6targetE0EEEvSW_.kd
    .uniform_work_group_size: 1
    .uses_dynamic_stack: false
    .vgpr_count:     0
    .vgpr_spill_count: 0
    .wavefront_size: 32
    .workgroup_processor_mode: 1
  - .args:
      - .offset:         0
        .size:           56
        .value_kind:     by_value
    .group_segment_fixed_size: 0
    .kernarg_segment_align: 8
    .kernarg_segment_size: 56
    .language:       OpenCL C
    .language_version:
      - 2
      - 0
    .max_flat_workgroup_size: 128
    .name:           _ZN7rocprim17ROCPRIM_400000_NS6detail17trampoline_kernelINS0_14default_configENS1_27upper_bound_config_selectorItlEEZNS1_14transform_implILb0ES3_S5_N6thrust23THRUST_200600_302600_NS6detail15normal_iteratorINS8_7pointerItNS8_11hip_rocprim5par_tENS8_11use_defaultESE_EEEENSA_INSB_IlSD_SE_SE_EEEEZNS1_13binary_searchIS3_S5_PtSG_SI_NS1_21upper_bound_search_opENS9_16wrapped_functionINS8_6system6detail7generic6detail18binary_search_lessEbEEEE10hipError_tPvRmT1_T2_T3_mmT4_T5_P12ihipStream_tbEUlRKtE_EEST_SX_SY_mSZ_S12_bEUlT_E_NS1_11comp_targetILNS1_3genE3ELNS1_11target_archE908ELNS1_3gpuE7ELNS1_3repE0EEENS1_30default_config_static_selectorELNS0_4arch9wavefront6targetE0EEEvSW_
    .private_segment_fixed_size: 0
    .sgpr_count:     0
    .sgpr_spill_count: 0
    .symbol:         _ZN7rocprim17ROCPRIM_400000_NS6detail17trampoline_kernelINS0_14default_configENS1_27upper_bound_config_selectorItlEEZNS1_14transform_implILb0ES3_S5_N6thrust23THRUST_200600_302600_NS6detail15normal_iteratorINS8_7pointerItNS8_11hip_rocprim5par_tENS8_11use_defaultESE_EEEENSA_INSB_IlSD_SE_SE_EEEEZNS1_13binary_searchIS3_S5_PtSG_SI_NS1_21upper_bound_search_opENS9_16wrapped_functionINS8_6system6detail7generic6detail18binary_search_lessEbEEEE10hipError_tPvRmT1_T2_T3_mmT4_T5_P12ihipStream_tbEUlRKtE_EEST_SX_SY_mSZ_S12_bEUlT_E_NS1_11comp_targetILNS1_3genE3ELNS1_11target_archE908ELNS1_3gpuE7ELNS1_3repE0EEENS1_30default_config_static_selectorELNS0_4arch9wavefront6targetE0EEEvSW_.kd
    .uniform_work_group_size: 1
    .uses_dynamic_stack: false
    .vgpr_count:     0
    .vgpr_spill_count: 0
    .wavefront_size: 32
    .workgroup_processor_mode: 1
  - .args:
      - .offset:         0
        .size:           56
        .value_kind:     by_value
    .group_segment_fixed_size: 0
    .kernarg_segment_align: 8
    .kernarg_segment_size: 56
    .language:       OpenCL C
    .language_version:
      - 2
      - 0
    .max_flat_workgroup_size: 256
    .name:           _ZN7rocprim17ROCPRIM_400000_NS6detail17trampoline_kernelINS0_14default_configENS1_27upper_bound_config_selectorItlEEZNS1_14transform_implILb0ES3_S5_N6thrust23THRUST_200600_302600_NS6detail15normal_iteratorINS8_7pointerItNS8_11hip_rocprim5par_tENS8_11use_defaultESE_EEEENSA_INSB_IlSD_SE_SE_EEEEZNS1_13binary_searchIS3_S5_PtSG_SI_NS1_21upper_bound_search_opENS9_16wrapped_functionINS8_6system6detail7generic6detail18binary_search_lessEbEEEE10hipError_tPvRmT1_T2_T3_mmT4_T5_P12ihipStream_tbEUlRKtE_EEST_SX_SY_mSZ_S12_bEUlT_E_NS1_11comp_targetILNS1_3genE2ELNS1_11target_archE906ELNS1_3gpuE6ELNS1_3repE0EEENS1_30default_config_static_selectorELNS0_4arch9wavefront6targetE0EEEvSW_
    .private_segment_fixed_size: 0
    .sgpr_count:     0
    .sgpr_spill_count: 0
    .symbol:         _ZN7rocprim17ROCPRIM_400000_NS6detail17trampoline_kernelINS0_14default_configENS1_27upper_bound_config_selectorItlEEZNS1_14transform_implILb0ES3_S5_N6thrust23THRUST_200600_302600_NS6detail15normal_iteratorINS8_7pointerItNS8_11hip_rocprim5par_tENS8_11use_defaultESE_EEEENSA_INSB_IlSD_SE_SE_EEEEZNS1_13binary_searchIS3_S5_PtSG_SI_NS1_21upper_bound_search_opENS9_16wrapped_functionINS8_6system6detail7generic6detail18binary_search_lessEbEEEE10hipError_tPvRmT1_T2_T3_mmT4_T5_P12ihipStream_tbEUlRKtE_EEST_SX_SY_mSZ_S12_bEUlT_E_NS1_11comp_targetILNS1_3genE2ELNS1_11target_archE906ELNS1_3gpuE6ELNS1_3repE0EEENS1_30default_config_static_selectorELNS0_4arch9wavefront6targetE0EEEvSW_.kd
    .uniform_work_group_size: 1
    .uses_dynamic_stack: false
    .vgpr_count:     0
    .vgpr_spill_count: 0
    .wavefront_size: 32
    .workgroup_processor_mode: 1
  - .args:
      - .offset:         0
        .size:           56
        .value_kind:     by_value
    .group_segment_fixed_size: 0
    .kernarg_segment_align: 8
    .kernarg_segment_size: 56
    .language:       OpenCL C
    .language_version:
      - 2
      - 0
    .max_flat_workgroup_size: 256
    .name:           _ZN7rocprim17ROCPRIM_400000_NS6detail17trampoline_kernelINS0_14default_configENS1_27upper_bound_config_selectorItlEEZNS1_14transform_implILb0ES3_S5_N6thrust23THRUST_200600_302600_NS6detail15normal_iteratorINS8_7pointerItNS8_11hip_rocprim5par_tENS8_11use_defaultESE_EEEENSA_INSB_IlSD_SE_SE_EEEEZNS1_13binary_searchIS3_S5_PtSG_SI_NS1_21upper_bound_search_opENS9_16wrapped_functionINS8_6system6detail7generic6detail18binary_search_lessEbEEEE10hipError_tPvRmT1_T2_T3_mmT4_T5_P12ihipStream_tbEUlRKtE_EEST_SX_SY_mSZ_S12_bEUlT_E_NS1_11comp_targetILNS1_3genE10ELNS1_11target_archE1201ELNS1_3gpuE5ELNS1_3repE0EEENS1_30default_config_static_selectorELNS0_4arch9wavefront6targetE0EEEvSW_
    .private_segment_fixed_size: 0
    .sgpr_count:     0
    .sgpr_spill_count: 0
    .symbol:         _ZN7rocprim17ROCPRIM_400000_NS6detail17trampoline_kernelINS0_14default_configENS1_27upper_bound_config_selectorItlEEZNS1_14transform_implILb0ES3_S5_N6thrust23THRUST_200600_302600_NS6detail15normal_iteratorINS8_7pointerItNS8_11hip_rocprim5par_tENS8_11use_defaultESE_EEEENSA_INSB_IlSD_SE_SE_EEEEZNS1_13binary_searchIS3_S5_PtSG_SI_NS1_21upper_bound_search_opENS9_16wrapped_functionINS8_6system6detail7generic6detail18binary_search_lessEbEEEE10hipError_tPvRmT1_T2_T3_mmT4_T5_P12ihipStream_tbEUlRKtE_EEST_SX_SY_mSZ_S12_bEUlT_E_NS1_11comp_targetILNS1_3genE10ELNS1_11target_archE1201ELNS1_3gpuE5ELNS1_3repE0EEENS1_30default_config_static_selectorELNS0_4arch9wavefront6targetE0EEEvSW_.kd
    .uniform_work_group_size: 1
    .uses_dynamic_stack: false
    .vgpr_count:     0
    .vgpr_spill_count: 0
    .wavefront_size: 32
    .workgroup_processor_mode: 1
  - .args:
      - .offset:         0
        .size:           56
        .value_kind:     by_value
    .group_segment_fixed_size: 0
    .kernarg_segment_align: 8
    .kernarg_segment_size: 56
    .language:       OpenCL C
    .language_version:
      - 2
      - 0
    .max_flat_workgroup_size: 256
    .name:           _ZN7rocprim17ROCPRIM_400000_NS6detail17trampoline_kernelINS0_14default_configENS1_27upper_bound_config_selectorItlEEZNS1_14transform_implILb0ES3_S5_N6thrust23THRUST_200600_302600_NS6detail15normal_iteratorINS8_7pointerItNS8_11hip_rocprim5par_tENS8_11use_defaultESE_EEEENSA_INSB_IlSD_SE_SE_EEEEZNS1_13binary_searchIS3_S5_PtSG_SI_NS1_21upper_bound_search_opENS9_16wrapped_functionINS8_6system6detail7generic6detail18binary_search_lessEbEEEE10hipError_tPvRmT1_T2_T3_mmT4_T5_P12ihipStream_tbEUlRKtE_EEST_SX_SY_mSZ_S12_bEUlT_E_NS1_11comp_targetILNS1_3genE10ELNS1_11target_archE1200ELNS1_3gpuE4ELNS1_3repE0EEENS1_30default_config_static_selectorELNS0_4arch9wavefront6targetE0EEEvSW_
    .private_segment_fixed_size: 0
    .sgpr_count:     0
    .sgpr_spill_count: 0
    .symbol:         _ZN7rocprim17ROCPRIM_400000_NS6detail17trampoline_kernelINS0_14default_configENS1_27upper_bound_config_selectorItlEEZNS1_14transform_implILb0ES3_S5_N6thrust23THRUST_200600_302600_NS6detail15normal_iteratorINS8_7pointerItNS8_11hip_rocprim5par_tENS8_11use_defaultESE_EEEENSA_INSB_IlSD_SE_SE_EEEEZNS1_13binary_searchIS3_S5_PtSG_SI_NS1_21upper_bound_search_opENS9_16wrapped_functionINS8_6system6detail7generic6detail18binary_search_lessEbEEEE10hipError_tPvRmT1_T2_T3_mmT4_T5_P12ihipStream_tbEUlRKtE_EEST_SX_SY_mSZ_S12_bEUlT_E_NS1_11comp_targetILNS1_3genE10ELNS1_11target_archE1200ELNS1_3gpuE4ELNS1_3repE0EEENS1_30default_config_static_selectorELNS0_4arch9wavefront6targetE0EEEvSW_.kd
    .uniform_work_group_size: 1
    .uses_dynamic_stack: false
    .vgpr_count:     0
    .vgpr_spill_count: 0
    .wavefront_size: 32
    .workgroup_processor_mode: 1
  - .args:
      - .offset:         0
        .size:           56
        .value_kind:     by_value
    .group_segment_fixed_size: 0
    .kernarg_segment_align: 8
    .kernarg_segment_size: 56
    .language:       OpenCL C
    .language_version:
      - 2
      - 0
    .max_flat_workgroup_size: 64
    .name:           _ZN7rocprim17ROCPRIM_400000_NS6detail17trampoline_kernelINS0_14default_configENS1_27upper_bound_config_selectorItlEEZNS1_14transform_implILb0ES3_S5_N6thrust23THRUST_200600_302600_NS6detail15normal_iteratorINS8_7pointerItNS8_11hip_rocprim5par_tENS8_11use_defaultESE_EEEENSA_INSB_IlSD_SE_SE_EEEEZNS1_13binary_searchIS3_S5_PtSG_SI_NS1_21upper_bound_search_opENS9_16wrapped_functionINS8_6system6detail7generic6detail18binary_search_lessEbEEEE10hipError_tPvRmT1_T2_T3_mmT4_T5_P12ihipStream_tbEUlRKtE_EEST_SX_SY_mSZ_S12_bEUlT_E_NS1_11comp_targetILNS1_3genE9ELNS1_11target_archE1100ELNS1_3gpuE3ELNS1_3repE0EEENS1_30default_config_static_selectorELNS0_4arch9wavefront6targetE0EEEvSW_
    .private_segment_fixed_size: 0
    .sgpr_count:     0
    .sgpr_spill_count: 0
    .symbol:         _ZN7rocprim17ROCPRIM_400000_NS6detail17trampoline_kernelINS0_14default_configENS1_27upper_bound_config_selectorItlEEZNS1_14transform_implILb0ES3_S5_N6thrust23THRUST_200600_302600_NS6detail15normal_iteratorINS8_7pointerItNS8_11hip_rocprim5par_tENS8_11use_defaultESE_EEEENSA_INSB_IlSD_SE_SE_EEEEZNS1_13binary_searchIS3_S5_PtSG_SI_NS1_21upper_bound_search_opENS9_16wrapped_functionINS8_6system6detail7generic6detail18binary_search_lessEbEEEE10hipError_tPvRmT1_T2_T3_mmT4_T5_P12ihipStream_tbEUlRKtE_EEST_SX_SY_mSZ_S12_bEUlT_E_NS1_11comp_targetILNS1_3genE9ELNS1_11target_archE1100ELNS1_3gpuE3ELNS1_3repE0EEENS1_30default_config_static_selectorELNS0_4arch9wavefront6targetE0EEEvSW_.kd
    .uniform_work_group_size: 1
    .uses_dynamic_stack: false
    .vgpr_count:     0
    .vgpr_spill_count: 0
    .wavefront_size: 32
    .workgroup_processor_mode: 1
  - .args:
      - .offset:         0
        .size:           56
        .value_kind:     by_value
      - .offset:         56
        .size:           4
        .value_kind:     hidden_block_count_x
      - .offset:         60
        .size:           4
        .value_kind:     hidden_block_count_y
      - .offset:         64
        .size:           4
        .value_kind:     hidden_block_count_z
      - .offset:         68
        .size:           2
        .value_kind:     hidden_group_size_x
      - .offset:         70
        .size:           2
        .value_kind:     hidden_group_size_y
      - .offset:         72
        .size:           2
        .value_kind:     hidden_group_size_z
      - .offset:         74
        .size:           2
        .value_kind:     hidden_remainder_x
      - .offset:         76
        .size:           2
        .value_kind:     hidden_remainder_y
      - .offset:         78
        .size:           2
        .value_kind:     hidden_remainder_z
      - .offset:         96
        .size:           8
        .value_kind:     hidden_global_offset_x
      - .offset:         104
        .size:           8
        .value_kind:     hidden_global_offset_y
      - .offset:         112
        .size:           8
        .value_kind:     hidden_global_offset_z
      - .offset:         120
        .size:           2
        .value_kind:     hidden_grid_dims
    .group_segment_fixed_size: 0
    .kernarg_segment_align: 8
    .kernarg_segment_size: 312
    .language:       OpenCL C
    .language_version:
      - 2
      - 0
    .max_flat_workgroup_size: 128
    .name:           _ZN7rocprim17ROCPRIM_400000_NS6detail17trampoline_kernelINS0_14default_configENS1_27upper_bound_config_selectorItlEEZNS1_14transform_implILb0ES3_S5_N6thrust23THRUST_200600_302600_NS6detail15normal_iteratorINS8_7pointerItNS8_11hip_rocprim5par_tENS8_11use_defaultESE_EEEENSA_INSB_IlSD_SE_SE_EEEEZNS1_13binary_searchIS3_S5_PtSG_SI_NS1_21upper_bound_search_opENS9_16wrapped_functionINS8_6system6detail7generic6detail18binary_search_lessEbEEEE10hipError_tPvRmT1_T2_T3_mmT4_T5_P12ihipStream_tbEUlRKtE_EEST_SX_SY_mSZ_S12_bEUlT_E_NS1_11comp_targetILNS1_3genE8ELNS1_11target_archE1030ELNS1_3gpuE2ELNS1_3repE0EEENS1_30default_config_static_selectorELNS0_4arch9wavefront6targetE0EEEvSW_
    .private_segment_fixed_size: 0
    .sgpr_count:     22
    .sgpr_spill_count: 0
    .symbol:         _ZN7rocprim17ROCPRIM_400000_NS6detail17trampoline_kernelINS0_14default_configENS1_27upper_bound_config_selectorItlEEZNS1_14transform_implILb0ES3_S5_N6thrust23THRUST_200600_302600_NS6detail15normal_iteratorINS8_7pointerItNS8_11hip_rocprim5par_tENS8_11use_defaultESE_EEEENSA_INSB_IlSD_SE_SE_EEEEZNS1_13binary_searchIS3_S5_PtSG_SI_NS1_21upper_bound_search_opENS9_16wrapped_functionINS8_6system6detail7generic6detail18binary_search_lessEbEEEE10hipError_tPvRmT1_T2_T3_mmT4_T5_P12ihipStream_tbEUlRKtE_EEST_SX_SY_mSZ_S12_bEUlT_E_NS1_11comp_targetILNS1_3genE8ELNS1_11target_archE1030ELNS1_3gpuE2ELNS1_3repE0EEENS1_30default_config_static_selectorELNS0_4arch9wavefront6targetE0EEEvSW_.kd
    .uniform_work_group_size: 1
    .uses_dynamic_stack: false
    .vgpr_count:     17
    .vgpr_spill_count: 0
    .wavefront_size: 32
    .workgroup_processor_mode: 1
  - .args:
      - .offset:         0
        .size:           8
        .value_kind:     by_value
      - .address_space:  global
        .offset:         8
        .size:           8
        .value_kind:     global_buffer
      - .address_space:  global
        .offset:         16
        .size:           8
        .value_kind:     global_buffer
    .group_segment_fixed_size: 0
    .kernarg_segment_align: 8
    .kernarg_segment_size: 24
    .language:       OpenCL C
    .language_version:
      - 2
      - 0
    .max_flat_workgroup_size: 256
    .name:           _Z18upper_bound_kernelIxEvmPT_Pl
    .private_segment_fixed_size: 0
    .sgpr_count:     18
    .sgpr_spill_count: 0
    .symbol:         _Z18upper_bound_kernelIxEvmPT_Pl.kd
    .uniform_work_group_size: 1
    .uses_dynamic_stack: false
    .vgpr_count:     3
    .vgpr_spill_count: 0
    .wavefront_size: 32
    .workgroup_processor_mode: 1
  - .args:
      - .offset:         0
        .size:           56
        .value_kind:     by_value
    .group_segment_fixed_size: 0
    .kernarg_segment_align: 8
    .kernarg_segment_size: 56
    .language:       OpenCL C
    .language_version:
      - 2
      - 0
    .max_flat_workgroup_size: 128
    .name:           _ZN7rocprim17ROCPRIM_400000_NS6detail17trampoline_kernelINS0_14default_configENS1_27upper_bound_config_selectorIxlEEZNS1_14transform_implILb0ES3_S5_N6thrust23THRUST_200600_302600_NS6detail15normal_iteratorINS8_7pointerIxNS8_11hip_rocprim5par_tENS8_11use_defaultESE_EEEENSA_INSB_IlSD_SE_SE_EEEEZNS1_13binary_searchIS3_S5_PxSG_SI_NS1_21upper_bound_search_opENS9_16wrapped_functionINS8_6system6detail7generic6detail18binary_search_lessEbEEEE10hipError_tPvRmT1_T2_T3_mmT4_T5_P12ihipStream_tbEUlRKxE_EEST_SX_SY_mSZ_S12_bEUlT_E_NS1_11comp_targetILNS1_3genE0ELNS1_11target_archE4294967295ELNS1_3gpuE0ELNS1_3repE0EEENS1_30default_config_static_selectorELNS0_4arch9wavefront6targetE0EEEvSW_
    .private_segment_fixed_size: 0
    .sgpr_count:     0
    .sgpr_spill_count: 0
    .symbol:         _ZN7rocprim17ROCPRIM_400000_NS6detail17trampoline_kernelINS0_14default_configENS1_27upper_bound_config_selectorIxlEEZNS1_14transform_implILb0ES3_S5_N6thrust23THRUST_200600_302600_NS6detail15normal_iteratorINS8_7pointerIxNS8_11hip_rocprim5par_tENS8_11use_defaultESE_EEEENSA_INSB_IlSD_SE_SE_EEEEZNS1_13binary_searchIS3_S5_PxSG_SI_NS1_21upper_bound_search_opENS9_16wrapped_functionINS8_6system6detail7generic6detail18binary_search_lessEbEEEE10hipError_tPvRmT1_T2_T3_mmT4_T5_P12ihipStream_tbEUlRKxE_EEST_SX_SY_mSZ_S12_bEUlT_E_NS1_11comp_targetILNS1_3genE0ELNS1_11target_archE4294967295ELNS1_3gpuE0ELNS1_3repE0EEENS1_30default_config_static_selectorELNS0_4arch9wavefront6targetE0EEEvSW_.kd
    .uniform_work_group_size: 1
    .uses_dynamic_stack: false
    .vgpr_count:     0
    .vgpr_spill_count: 0
    .wavefront_size: 32
    .workgroup_processor_mode: 1
  - .args:
      - .offset:         0
        .size:           56
        .value_kind:     by_value
    .group_segment_fixed_size: 0
    .kernarg_segment_align: 8
    .kernarg_segment_size: 56
    .language:       OpenCL C
    .language_version:
      - 2
      - 0
    .max_flat_workgroup_size: 64
    .name:           _ZN7rocprim17ROCPRIM_400000_NS6detail17trampoline_kernelINS0_14default_configENS1_27upper_bound_config_selectorIxlEEZNS1_14transform_implILb0ES3_S5_N6thrust23THRUST_200600_302600_NS6detail15normal_iteratorINS8_7pointerIxNS8_11hip_rocprim5par_tENS8_11use_defaultESE_EEEENSA_INSB_IlSD_SE_SE_EEEEZNS1_13binary_searchIS3_S5_PxSG_SI_NS1_21upper_bound_search_opENS9_16wrapped_functionINS8_6system6detail7generic6detail18binary_search_lessEbEEEE10hipError_tPvRmT1_T2_T3_mmT4_T5_P12ihipStream_tbEUlRKxE_EEST_SX_SY_mSZ_S12_bEUlT_E_NS1_11comp_targetILNS1_3genE5ELNS1_11target_archE942ELNS1_3gpuE9ELNS1_3repE0EEENS1_30default_config_static_selectorELNS0_4arch9wavefront6targetE0EEEvSW_
    .private_segment_fixed_size: 0
    .sgpr_count:     0
    .sgpr_spill_count: 0
    .symbol:         _ZN7rocprim17ROCPRIM_400000_NS6detail17trampoline_kernelINS0_14default_configENS1_27upper_bound_config_selectorIxlEEZNS1_14transform_implILb0ES3_S5_N6thrust23THRUST_200600_302600_NS6detail15normal_iteratorINS8_7pointerIxNS8_11hip_rocprim5par_tENS8_11use_defaultESE_EEEENSA_INSB_IlSD_SE_SE_EEEEZNS1_13binary_searchIS3_S5_PxSG_SI_NS1_21upper_bound_search_opENS9_16wrapped_functionINS8_6system6detail7generic6detail18binary_search_lessEbEEEE10hipError_tPvRmT1_T2_T3_mmT4_T5_P12ihipStream_tbEUlRKxE_EEST_SX_SY_mSZ_S12_bEUlT_E_NS1_11comp_targetILNS1_3genE5ELNS1_11target_archE942ELNS1_3gpuE9ELNS1_3repE0EEENS1_30default_config_static_selectorELNS0_4arch9wavefront6targetE0EEEvSW_.kd
    .uniform_work_group_size: 1
    .uses_dynamic_stack: false
    .vgpr_count:     0
    .vgpr_spill_count: 0
    .wavefront_size: 32
    .workgroup_processor_mode: 1
  - .args:
      - .offset:         0
        .size:           56
        .value_kind:     by_value
    .group_segment_fixed_size: 0
    .kernarg_segment_align: 8
    .kernarg_segment_size: 56
    .language:       OpenCL C
    .language_version:
      - 2
      - 0
    .max_flat_workgroup_size: 64
    .name:           _ZN7rocprim17ROCPRIM_400000_NS6detail17trampoline_kernelINS0_14default_configENS1_27upper_bound_config_selectorIxlEEZNS1_14transform_implILb0ES3_S5_N6thrust23THRUST_200600_302600_NS6detail15normal_iteratorINS8_7pointerIxNS8_11hip_rocprim5par_tENS8_11use_defaultESE_EEEENSA_INSB_IlSD_SE_SE_EEEEZNS1_13binary_searchIS3_S5_PxSG_SI_NS1_21upper_bound_search_opENS9_16wrapped_functionINS8_6system6detail7generic6detail18binary_search_lessEbEEEE10hipError_tPvRmT1_T2_T3_mmT4_T5_P12ihipStream_tbEUlRKxE_EEST_SX_SY_mSZ_S12_bEUlT_E_NS1_11comp_targetILNS1_3genE4ELNS1_11target_archE910ELNS1_3gpuE8ELNS1_3repE0EEENS1_30default_config_static_selectorELNS0_4arch9wavefront6targetE0EEEvSW_
    .private_segment_fixed_size: 0
    .sgpr_count:     0
    .sgpr_spill_count: 0
    .symbol:         _ZN7rocprim17ROCPRIM_400000_NS6detail17trampoline_kernelINS0_14default_configENS1_27upper_bound_config_selectorIxlEEZNS1_14transform_implILb0ES3_S5_N6thrust23THRUST_200600_302600_NS6detail15normal_iteratorINS8_7pointerIxNS8_11hip_rocprim5par_tENS8_11use_defaultESE_EEEENSA_INSB_IlSD_SE_SE_EEEEZNS1_13binary_searchIS3_S5_PxSG_SI_NS1_21upper_bound_search_opENS9_16wrapped_functionINS8_6system6detail7generic6detail18binary_search_lessEbEEEE10hipError_tPvRmT1_T2_T3_mmT4_T5_P12ihipStream_tbEUlRKxE_EEST_SX_SY_mSZ_S12_bEUlT_E_NS1_11comp_targetILNS1_3genE4ELNS1_11target_archE910ELNS1_3gpuE8ELNS1_3repE0EEENS1_30default_config_static_selectorELNS0_4arch9wavefront6targetE0EEEvSW_.kd
    .uniform_work_group_size: 1
    .uses_dynamic_stack: false
    .vgpr_count:     0
    .vgpr_spill_count: 0
    .wavefront_size: 32
    .workgroup_processor_mode: 1
  - .args:
      - .offset:         0
        .size:           56
        .value_kind:     by_value
    .group_segment_fixed_size: 0
    .kernarg_segment_align: 8
    .kernarg_segment_size: 56
    .language:       OpenCL C
    .language_version:
      - 2
      - 0
    .max_flat_workgroup_size: 128
    .name:           _ZN7rocprim17ROCPRIM_400000_NS6detail17trampoline_kernelINS0_14default_configENS1_27upper_bound_config_selectorIxlEEZNS1_14transform_implILb0ES3_S5_N6thrust23THRUST_200600_302600_NS6detail15normal_iteratorINS8_7pointerIxNS8_11hip_rocprim5par_tENS8_11use_defaultESE_EEEENSA_INSB_IlSD_SE_SE_EEEEZNS1_13binary_searchIS3_S5_PxSG_SI_NS1_21upper_bound_search_opENS9_16wrapped_functionINS8_6system6detail7generic6detail18binary_search_lessEbEEEE10hipError_tPvRmT1_T2_T3_mmT4_T5_P12ihipStream_tbEUlRKxE_EEST_SX_SY_mSZ_S12_bEUlT_E_NS1_11comp_targetILNS1_3genE3ELNS1_11target_archE908ELNS1_3gpuE7ELNS1_3repE0EEENS1_30default_config_static_selectorELNS0_4arch9wavefront6targetE0EEEvSW_
    .private_segment_fixed_size: 0
    .sgpr_count:     0
    .sgpr_spill_count: 0
    .symbol:         _ZN7rocprim17ROCPRIM_400000_NS6detail17trampoline_kernelINS0_14default_configENS1_27upper_bound_config_selectorIxlEEZNS1_14transform_implILb0ES3_S5_N6thrust23THRUST_200600_302600_NS6detail15normal_iteratorINS8_7pointerIxNS8_11hip_rocprim5par_tENS8_11use_defaultESE_EEEENSA_INSB_IlSD_SE_SE_EEEEZNS1_13binary_searchIS3_S5_PxSG_SI_NS1_21upper_bound_search_opENS9_16wrapped_functionINS8_6system6detail7generic6detail18binary_search_lessEbEEEE10hipError_tPvRmT1_T2_T3_mmT4_T5_P12ihipStream_tbEUlRKxE_EEST_SX_SY_mSZ_S12_bEUlT_E_NS1_11comp_targetILNS1_3genE3ELNS1_11target_archE908ELNS1_3gpuE7ELNS1_3repE0EEENS1_30default_config_static_selectorELNS0_4arch9wavefront6targetE0EEEvSW_.kd
    .uniform_work_group_size: 1
    .uses_dynamic_stack: false
    .vgpr_count:     0
    .vgpr_spill_count: 0
    .wavefront_size: 32
    .workgroup_processor_mode: 1
  - .args:
      - .offset:         0
        .size:           56
        .value_kind:     by_value
    .group_segment_fixed_size: 0
    .kernarg_segment_align: 8
    .kernarg_segment_size: 56
    .language:       OpenCL C
    .language_version:
      - 2
      - 0
    .max_flat_workgroup_size: 256
    .name:           _ZN7rocprim17ROCPRIM_400000_NS6detail17trampoline_kernelINS0_14default_configENS1_27upper_bound_config_selectorIxlEEZNS1_14transform_implILb0ES3_S5_N6thrust23THRUST_200600_302600_NS6detail15normal_iteratorINS8_7pointerIxNS8_11hip_rocprim5par_tENS8_11use_defaultESE_EEEENSA_INSB_IlSD_SE_SE_EEEEZNS1_13binary_searchIS3_S5_PxSG_SI_NS1_21upper_bound_search_opENS9_16wrapped_functionINS8_6system6detail7generic6detail18binary_search_lessEbEEEE10hipError_tPvRmT1_T2_T3_mmT4_T5_P12ihipStream_tbEUlRKxE_EEST_SX_SY_mSZ_S12_bEUlT_E_NS1_11comp_targetILNS1_3genE2ELNS1_11target_archE906ELNS1_3gpuE6ELNS1_3repE0EEENS1_30default_config_static_selectorELNS0_4arch9wavefront6targetE0EEEvSW_
    .private_segment_fixed_size: 0
    .sgpr_count:     0
    .sgpr_spill_count: 0
    .symbol:         _ZN7rocprim17ROCPRIM_400000_NS6detail17trampoline_kernelINS0_14default_configENS1_27upper_bound_config_selectorIxlEEZNS1_14transform_implILb0ES3_S5_N6thrust23THRUST_200600_302600_NS6detail15normal_iteratorINS8_7pointerIxNS8_11hip_rocprim5par_tENS8_11use_defaultESE_EEEENSA_INSB_IlSD_SE_SE_EEEEZNS1_13binary_searchIS3_S5_PxSG_SI_NS1_21upper_bound_search_opENS9_16wrapped_functionINS8_6system6detail7generic6detail18binary_search_lessEbEEEE10hipError_tPvRmT1_T2_T3_mmT4_T5_P12ihipStream_tbEUlRKxE_EEST_SX_SY_mSZ_S12_bEUlT_E_NS1_11comp_targetILNS1_3genE2ELNS1_11target_archE906ELNS1_3gpuE6ELNS1_3repE0EEENS1_30default_config_static_selectorELNS0_4arch9wavefront6targetE0EEEvSW_.kd
    .uniform_work_group_size: 1
    .uses_dynamic_stack: false
    .vgpr_count:     0
    .vgpr_spill_count: 0
    .wavefront_size: 32
    .workgroup_processor_mode: 1
  - .args:
      - .offset:         0
        .size:           56
        .value_kind:     by_value
    .group_segment_fixed_size: 0
    .kernarg_segment_align: 8
    .kernarg_segment_size: 56
    .language:       OpenCL C
    .language_version:
      - 2
      - 0
    .max_flat_workgroup_size: 128
    .name:           _ZN7rocprim17ROCPRIM_400000_NS6detail17trampoline_kernelINS0_14default_configENS1_27upper_bound_config_selectorIxlEEZNS1_14transform_implILb0ES3_S5_N6thrust23THRUST_200600_302600_NS6detail15normal_iteratorINS8_7pointerIxNS8_11hip_rocprim5par_tENS8_11use_defaultESE_EEEENSA_INSB_IlSD_SE_SE_EEEEZNS1_13binary_searchIS3_S5_PxSG_SI_NS1_21upper_bound_search_opENS9_16wrapped_functionINS8_6system6detail7generic6detail18binary_search_lessEbEEEE10hipError_tPvRmT1_T2_T3_mmT4_T5_P12ihipStream_tbEUlRKxE_EEST_SX_SY_mSZ_S12_bEUlT_E_NS1_11comp_targetILNS1_3genE10ELNS1_11target_archE1201ELNS1_3gpuE5ELNS1_3repE0EEENS1_30default_config_static_selectorELNS0_4arch9wavefront6targetE0EEEvSW_
    .private_segment_fixed_size: 0
    .sgpr_count:     0
    .sgpr_spill_count: 0
    .symbol:         _ZN7rocprim17ROCPRIM_400000_NS6detail17trampoline_kernelINS0_14default_configENS1_27upper_bound_config_selectorIxlEEZNS1_14transform_implILb0ES3_S5_N6thrust23THRUST_200600_302600_NS6detail15normal_iteratorINS8_7pointerIxNS8_11hip_rocprim5par_tENS8_11use_defaultESE_EEEENSA_INSB_IlSD_SE_SE_EEEEZNS1_13binary_searchIS3_S5_PxSG_SI_NS1_21upper_bound_search_opENS9_16wrapped_functionINS8_6system6detail7generic6detail18binary_search_lessEbEEEE10hipError_tPvRmT1_T2_T3_mmT4_T5_P12ihipStream_tbEUlRKxE_EEST_SX_SY_mSZ_S12_bEUlT_E_NS1_11comp_targetILNS1_3genE10ELNS1_11target_archE1201ELNS1_3gpuE5ELNS1_3repE0EEENS1_30default_config_static_selectorELNS0_4arch9wavefront6targetE0EEEvSW_.kd
    .uniform_work_group_size: 1
    .uses_dynamic_stack: false
    .vgpr_count:     0
    .vgpr_spill_count: 0
    .wavefront_size: 32
    .workgroup_processor_mode: 1
  - .args:
      - .offset:         0
        .size:           56
        .value_kind:     by_value
    .group_segment_fixed_size: 0
    .kernarg_segment_align: 8
    .kernarg_segment_size: 56
    .language:       OpenCL C
    .language_version:
      - 2
      - 0
    .max_flat_workgroup_size: 128
    .name:           _ZN7rocprim17ROCPRIM_400000_NS6detail17trampoline_kernelINS0_14default_configENS1_27upper_bound_config_selectorIxlEEZNS1_14transform_implILb0ES3_S5_N6thrust23THRUST_200600_302600_NS6detail15normal_iteratorINS8_7pointerIxNS8_11hip_rocprim5par_tENS8_11use_defaultESE_EEEENSA_INSB_IlSD_SE_SE_EEEEZNS1_13binary_searchIS3_S5_PxSG_SI_NS1_21upper_bound_search_opENS9_16wrapped_functionINS8_6system6detail7generic6detail18binary_search_lessEbEEEE10hipError_tPvRmT1_T2_T3_mmT4_T5_P12ihipStream_tbEUlRKxE_EEST_SX_SY_mSZ_S12_bEUlT_E_NS1_11comp_targetILNS1_3genE10ELNS1_11target_archE1200ELNS1_3gpuE4ELNS1_3repE0EEENS1_30default_config_static_selectorELNS0_4arch9wavefront6targetE0EEEvSW_
    .private_segment_fixed_size: 0
    .sgpr_count:     0
    .sgpr_spill_count: 0
    .symbol:         _ZN7rocprim17ROCPRIM_400000_NS6detail17trampoline_kernelINS0_14default_configENS1_27upper_bound_config_selectorIxlEEZNS1_14transform_implILb0ES3_S5_N6thrust23THRUST_200600_302600_NS6detail15normal_iteratorINS8_7pointerIxNS8_11hip_rocprim5par_tENS8_11use_defaultESE_EEEENSA_INSB_IlSD_SE_SE_EEEEZNS1_13binary_searchIS3_S5_PxSG_SI_NS1_21upper_bound_search_opENS9_16wrapped_functionINS8_6system6detail7generic6detail18binary_search_lessEbEEEE10hipError_tPvRmT1_T2_T3_mmT4_T5_P12ihipStream_tbEUlRKxE_EEST_SX_SY_mSZ_S12_bEUlT_E_NS1_11comp_targetILNS1_3genE10ELNS1_11target_archE1200ELNS1_3gpuE4ELNS1_3repE0EEENS1_30default_config_static_selectorELNS0_4arch9wavefront6targetE0EEEvSW_.kd
    .uniform_work_group_size: 1
    .uses_dynamic_stack: false
    .vgpr_count:     0
    .vgpr_spill_count: 0
    .wavefront_size: 32
    .workgroup_processor_mode: 1
  - .args:
      - .offset:         0
        .size:           56
        .value_kind:     by_value
    .group_segment_fixed_size: 0
    .kernarg_segment_align: 8
    .kernarg_segment_size: 56
    .language:       OpenCL C
    .language_version:
      - 2
      - 0
    .max_flat_workgroup_size: 256
    .name:           _ZN7rocprim17ROCPRIM_400000_NS6detail17trampoline_kernelINS0_14default_configENS1_27upper_bound_config_selectorIxlEEZNS1_14transform_implILb0ES3_S5_N6thrust23THRUST_200600_302600_NS6detail15normal_iteratorINS8_7pointerIxNS8_11hip_rocprim5par_tENS8_11use_defaultESE_EEEENSA_INSB_IlSD_SE_SE_EEEEZNS1_13binary_searchIS3_S5_PxSG_SI_NS1_21upper_bound_search_opENS9_16wrapped_functionINS8_6system6detail7generic6detail18binary_search_lessEbEEEE10hipError_tPvRmT1_T2_T3_mmT4_T5_P12ihipStream_tbEUlRKxE_EEST_SX_SY_mSZ_S12_bEUlT_E_NS1_11comp_targetILNS1_3genE9ELNS1_11target_archE1100ELNS1_3gpuE3ELNS1_3repE0EEENS1_30default_config_static_selectorELNS0_4arch9wavefront6targetE0EEEvSW_
    .private_segment_fixed_size: 0
    .sgpr_count:     0
    .sgpr_spill_count: 0
    .symbol:         _ZN7rocprim17ROCPRIM_400000_NS6detail17trampoline_kernelINS0_14default_configENS1_27upper_bound_config_selectorIxlEEZNS1_14transform_implILb0ES3_S5_N6thrust23THRUST_200600_302600_NS6detail15normal_iteratorINS8_7pointerIxNS8_11hip_rocprim5par_tENS8_11use_defaultESE_EEEENSA_INSB_IlSD_SE_SE_EEEEZNS1_13binary_searchIS3_S5_PxSG_SI_NS1_21upper_bound_search_opENS9_16wrapped_functionINS8_6system6detail7generic6detail18binary_search_lessEbEEEE10hipError_tPvRmT1_T2_T3_mmT4_T5_P12ihipStream_tbEUlRKxE_EEST_SX_SY_mSZ_S12_bEUlT_E_NS1_11comp_targetILNS1_3genE9ELNS1_11target_archE1100ELNS1_3gpuE3ELNS1_3repE0EEENS1_30default_config_static_selectorELNS0_4arch9wavefront6targetE0EEEvSW_.kd
    .uniform_work_group_size: 1
    .uses_dynamic_stack: false
    .vgpr_count:     0
    .vgpr_spill_count: 0
    .wavefront_size: 32
    .workgroup_processor_mode: 1
  - .args:
      - .offset:         0
        .size:           56
        .value_kind:     by_value
      - .offset:         56
        .size:           4
        .value_kind:     hidden_block_count_x
      - .offset:         60
        .size:           4
        .value_kind:     hidden_block_count_y
      - .offset:         64
        .size:           4
        .value_kind:     hidden_block_count_z
      - .offset:         68
        .size:           2
        .value_kind:     hidden_group_size_x
      - .offset:         70
        .size:           2
        .value_kind:     hidden_group_size_y
      - .offset:         72
        .size:           2
        .value_kind:     hidden_group_size_z
      - .offset:         74
        .size:           2
        .value_kind:     hidden_remainder_x
      - .offset:         76
        .size:           2
        .value_kind:     hidden_remainder_y
      - .offset:         78
        .size:           2
        .value_kind:     hidden_remainder_z
      - .offset:         96
        .size:           8
        .value_kind:     hidden_global_offset_x
      - .offset:         104
        .size:           8
        .value_kind:     hidden_global_offset_y
      - .offset:         112
        .size:           8
        .value_kind:     hidden_global_offset_z
      - .offset:         120
        .size:           2
        .value_kind:     hidden_grid_dims
    .group_segment_fixed_size: 0
    .kernarg_segment_align: 8
    .kernarg_segment_size: 312
    .language:       OpenCL C
    .language_version:
      - 2
      - 0
    .max_flat_workgroup_size: 256
    .name:           _ZN7rocprim17ROCPRIM_400000_NS6detail17trampoline_kernelINS0_14default_configENS1_27upper_bound_config_selectorIxlEEZNS1_14transform_implILb0ES3_S5_N6thrust23THRUST_200600_302600_NS6detail15normal_iteratorINS8_7pointerIxNS8_11hip_rocprim5par_tENS8_11use_defaultESE_EEEENSA_INSB_IlSD_SE_SE_EEEEZNS1_13binary_searchIS3_S5_PxSG_SI_NS1_21upper_bound_search_opENS9_16wrapped_functionINS8_6system6detail7generic6detail18binary_search_lessEbEEEE10hipError_tPvRmT1_T2_T3_mmT4_T5_P12ihipStream_tbEUlRKxE_EEST_SX_SY_mSZ_S12_bEUlT_E_NS1_11comp_targetILNS1_3genE8ELNS1_11target_archE1030ELNS1_3gpuE2ELNS1_3repE0EEENS1_30default_config_static_selectorELNS0_4arch9wavefront6targetE0EEEvSW_
    .private_segment_fixed_size: 0
    .sgpr_count:     22
    .sgpr_spill_count: 0
    .symbol:         _ZN7rocprim17ROCPRIM_400000_NS6detail17trampoline_kernelINS0_14default_configENS1_27upper_bound_config_selectorIxlEEZNS1_14transform_implILb0ES3_S5_N6thrust23THRUST_200600_302600_NS6detail15normal_iteratorINS8_7pointerIxNS8_11hip_rocprim5par_tENS8_11use_defaultESE_EEEENSA_INSB_IlSD_SE_SE_EEEEZNS1_13binary_searchIS3_S5_PxSG_SI_NS1_21upper_bound_search_opENS9_16wrapped_functionINS8_6system6detail7generic6detail18binary_search_lessEbEEEE10hipError_tPvRmT1_T2_T3_mmT4_T5_P12ihipStream_tbEUlRKxE_EEST_SX_SY_mSZ_S12_bEUlT_E_NS1_11comp_targetILNS1_3genE8ELNS1_11target_archE1030ELNS1_3gpuE2ELNS1_3repE0EEENS1_30default_config_static_selectorELNS0_4arch9wavefront6targetE0EEEvSW_.kd
    .uniform_work_group_size: 1
    .uses_dynamic_stack: false
    .vgpr_count:     12
    .vgpr_spill_count: 0
    .wavefront_size: 32
    .workgroup_processor_mode: 1
  - .args:
      - .offset:         0
        .size:           8
        .value_kind:     by_value
      - .address_space:  global
        .offset:         8
        .size:           8
        .value_kind:     global_buffer
      - .address_space:  global
        .offset:         16
        .size:           8
        .value_kind:     global_buffer
    .group_segment_fixed_size: 0
    .kernarg_segment_align: 8
    .kernarg_segment_size: 24
    .language:       OpenCL C
    .language_version:
      - 2
      - 0
    .max_flat_workgroup_size: 256
    .name:           _Z18upper_bound_kernelIiEvmPT_Pl
    .private_segment_fixed_size: 0
    .sgpr_count:     18
    .sgpr_spill_count: 0
    .symbol:         _Z18upper_bound_kernelIiEvmPT_Pl.kd
    .uniform_work_group_size: 1
    .uses_dynamic_stack: false
    .vgpr_count:     3
    .vgpr_spill_count: 0
    .wavefront_size: 32
    .workgroup_processor_mode: 1
  - .args:
      - .offset:         0
        .size:           56
        .value_kind:     by_value
    .group_segment_fixed_size: 0
    .kernarg_segment_align: 8
    .kernarg_segment_size: 56
    .language:       OpenCL C
    .language_version:
      - 2
      - 0
    .max_flat_workgroup_size: 256
    .name:           _ZN7rocprim17ROCPRIM_400000_NS6detail17trampoline_kernelINS0_14default_configENS1_27upper_bound_config_selectorIilEEZNS1_14transform_implILb0ES3_S5_N6thrust23THRUST_200600_302600_NS6detail15normal_iteratorINS8_7pointerIiNS8_11hip_rocprim5par_tENS8_11use_defaultESE_EEEENSA_INSB_IlSD_SE_SE_EEEEZNS1_13binary_searchIS3_S5_PiSG_SI_NS1_21upper_bound_search_opENS9_16wrapped_functionINS8_6system6detail7generic6detail18binary_search_lessEbEEEE10hipError_tPvRmT1_T2_T3_mmT4_T5_P12ihipStream_tbEUlRKiE_EEST_SX_SY_mSZ_S12_bEUlT_E_NS1_11comp_targetILNS1_3genE0ELNS1_11target_archE4294967295ELNS1_3gpuE0ELNS1_3repE0EEENS1_30default_config_static_selectorELNS0_4arch9wavefront6targetE0EEEvSW_
    .private_segment_fixed_size: 0
    .sgpr_count:     0
    .sgpr_spill_count: 0
    .symbol:         _ZN7rocprim17ROCPRIM_400000_NS6detail17trampoline_kernelINS0_14default_configENS1_27upper_bound_config_selectorIilEEZNS1_14transform_implILb0ES3_S5_N6thrust23THRUST_200600_302600_NS6detail15normal_iteratorINS8_7pointerIiNS8_11hip_rocprim5par_tENS8_11use_defaultESE_EEEENSA_INSB_IlSD_SE_SE_EEEEZNS1_13binary_searchIS3_S5_PiSG_SI_NS1_21upper_bound_search_opENS9_16wrapped_functionINS8_6system6detail7generic6detail18binary_search_lessEbEEEE10hipError_tPvRmT1_T2_T3_mmT4_T5_P12ihipStream_tbEUlRKiE_EEST_SX_SY_mSZ_S12_bEUlT_E_NS1_11comp_targetILNS1_3genE0ELNS1_11target_archE4294967295ELNS1_3gpuE0ELNS1_3repE0EEENS1_30default_config_static_selectorELNS0_4arch9wavefront6targetE0EEEvSW_.kd
    .uniform_work_group_size: 1
    .uses_dynamic_stack: false
    .vgpr_count:     0
    .vgpr_spill_count: 0
    .wavefront_size: 32
    .workgroup_processor_mode: 1
  - .args:
      - .offset:         0
        .size:           56
        .value_kind:     by_value
    .group_segment_fixed_size: 0
    .kernarg_segment_align: 8
    .kernarg_segment_size: 56
    .language:       OpenCL C
    .language_version:
      - 2
      - 0
    .max_flat_workgroup_size: 256
    .name:           _ZN7rocprim17ROCPRIM_400000_NS6detail17trampoline_kernelINS0_14default_configENS1_27upper_bound_config_selectorIilEEZNS1_14transform_implILb0ES3_S5_N6thrust23THRUST_200600_302600_NS6detail15normal_iteratorINS8_7pointerIiNS8_11hip_rocprim5par_tENS8_11use_defaultESE_EEEENSA_INSB_IlSD_SE_SE_EEEEZNS1_13binary_searchIS3_S5_PiSG_SI_NS1_21upper_bound_search_opENS9_16wrapped_functionINS8_6system6detail7generic6detail18binary_search_lessEbEEEE10hipError_tPvRmT1_T2_T3_mmT4_T5_P12ihipStream_tbEUlRKiE_EEST_SX_SY_mSZ_S12_bEUlT_E_NS1_11comp_targetILNS1_3genE5ELNS1_11target_archE942ELNS1_3gpuE9ELNS1_3repE0EEENS1_30default_config_static_selectorELNS0_4arch9wavefront6targetE0EEEvSW_
    .private_segment_fixed_size: 0
    .sgpr_count:     0
    .sgpr_spill_count: 0
    .symbol:         _ZN7rocprim17ROCPRIM_400000_NS6detail17trampoline_kernelINS0_14default_configENS1_27upper_bound_config_selectorIilEEZNS1_14transform_implILb0ES3_S5_N6thrust23THRUST_200600_302600_NS6detail15normal_iteratorINS8_7pointerIiNS8_11hip_rocprim5par_tENS8_11use_defaultESE_EEEENSA_INSB_IlSD_SE_SE_EEEEZNS1_13binary_searchIS3_S5_PiSG_SI_NS1_21upper_bound_search_opENS9_16wrapped_functionINS8_6system6detail7generic6detail18binary_search_lessEbEEEE10hipError_tPvRmT1_T2_T3_mmT4_T5_P12ihipStream_tbEUlRKiE_EEST_SX_SY_mSZ_S12_bEUlT_E_NS1_11comp_targetILNS1_3genE5ELNS1_11target_archE942ELNS1_3gpuE9ELNS1_3repE0EEENS1_30default_config_static_selectorELNS0_4arch9wavefront6targetE0EEEvSW_.kd
    .uniform_work_group_size: 1
    .uses_dynamic_stack: false
    .vgpr_count:     0
    .vgpr_spill_count: 0
    .wavefront_size: 32
    .workgroup_processor_mode: 1
  - .args:
      - .offset:         0
        .size:           56
        .value_kind:     by_value
    .group_segment_fixed_size: 0
    .kernarg_segment_align: 8
    .kernarg_segment_size: 56
    .language:       OpenCL C
    .language_version:
      - 2
      - 0
    .max_flat_workgroup_size: 256
    .name:           _ZN7rocprim17ROCPRIM_400000_NS6detail17trampoline_kernelINS0_14default_configENS1_27upper_bound_config_selectorIilEEZNS1_14transform_implILb0ES3_S5_N6thrust23THRUST_200600_302600_NS6detail15normal_iteratorINS8_7pointerIiNS8_11hip_rocprim5par_tENS8_11use_defaultESE_EEEENSA_INSB_IlSD_SE_SE_EEEEZNS1_13binary_searchIS3_S5_PiSG_SI_NS1_21upper_bound_search_opENS9_16wrapped_functionINS8_6system6detail7generic6detail18binary_search_lessEbEEEE10hipError_tPvRmT1_T2_T3_mmT4_T5_P12ihipStream_tbEUlRKiE_EEST_SX_SY_mSZ_S12_bEUlT_E_NS1_11comp_targetILNS1_3genE4ELNS1_11target_archE910ELNS1_3gpuE8ELNS1_3repE0EEENS1_30default_config_static_selectorELNS0_4arch9wavefront6targetE0EEEvSW_
    .private_segment_fixed_size: 0
    .sgpr_count:     0
    .sgpr_spill_count: 0
    .symbol:         _ZN7rocprim17ROCPRIM_400000_NS6detail17trampoline_kernelINS0_14default_configENS1_27upper_bound_config_selectorIilEEZNS1_14transform_implILb0ES3_S5_N6thrust23THRUST_200600_302600_NS6detail15normal_iteratorINS8_7pointerIiNS8_11hip_rocprim5par_tENS8_11use_defaultESE_EEEENSA_INSB_IlSD_SE_SE_EEEEZNS1_13binary_searchIS3_S5_PiSG_SI_NS1_21upper_bound_search_opENS9_16wrapped_functionINS8_6system6detail7generic6detail18binary_search_lessEbEEEE10hipError_tPvRmT1_T2_T3_mmT4_T5_P12ihipStream_tbEUlRKiE_EEST_SX_SY_mSZ_S12_bEUlT_E_NS1_11comp_targetILNS1_3genE4ELNS1_11target_archE910ELNS1_3gpuE8ELNS1_3repE0EEENS1_30default_config_static_selectorELNS0_4arch9wavefront6targetE0EEEvSW_.kd
    .uniform_work_group_size: 1
    .uses_dynamic_stack: false
    .vgpr_count:     0
    .vgpr_spill_count: 0
    .wavefront_size: 32
    .workgroup_processor_mode: 1
  - .args:
      - .offset:         0
        .size:           56
        .value_kind:     by_value
    .group_segment_fixed_size: 0
    .kernarg_segment_align: 8
    .kernarg_segment_size: 56
    .language:       OpenCL C
    .language_version:
      - 2
      - 0
    .max_flat_workgroup_size: 256
    .name:           _ZN7rocprim17ROCPRIM_400000_NS6detail17trampoline_kernelINS0_14default_configENS1_27upper_bound_config_selectorIilEEZNS1_14transform_implILb0ES3_S5_N6thrust23THRUST_200600_302600_NS6detail15normal_iteratorINS8_7pointerIiNS8_11hip_rocprim5par_tENS8_11use_defaultESE_EEEENSA_INSB_IlSD_SE_SE_EEEEZNS1_13binary_searchIS3_S5_PiSG_SI_NS1_21upper_bound_search_opENS9_16wrapped_functionINS8_6system6detail7generic6detail18binary_search_lessEbEEEE10hipError_tPvRmT1_T2_T3_mmT4_T5_P12ihipStream_tbEUlRKiE_EEST_SX_SY_mSZ_S12_bEUlT_E_NS1_11comp_targetILNS1_3genE3ELNS1_11target_archE908ELNS1_3gpuE7ELNS1_3repE0EEENS1_30default_config_static_selectorELNS0_4arch9wavefront6targetE0EEEvSW_
    .private_segment_fixed_size: 0
    .sgpr_count:     0
    .sgpr_spill_count: 0
    .symbol:         _ZN7rocprim17ROCPRIM_400000_NS6detail17trampoline_kernelINS0_14default_configENS1_27upper_bound_config_selectorIilEEZNS1_14transform_implILb0ES3_S5_N6thrust23THRUST_200600_302600_NS6detail15normal_iteratorINS8_7pointerIiNS8_11hip_rocprim5par_tENS8_11use_defaultESE_EEEENSA_INSB_IlSD_SE_SE_EEEEZNS1_13binary_searchIS3_S5_PiSG_SI_NS1_21upper_bound_search_opENS9_16wrapped_functionINS8_6system6detail7generic6detail18binary_search_lessEbEEEE10hipError_tPvRmT1_T2_T3_mmT4_T5_P12ihipStream_tbEUlRKiE_EEST_SX_SY_mSZ_S12_bEUlT_E_NS1_11comp_targetILNS1_3genE3ELNS1_11target_archE908ELNS1_3gpuE7ELNS1_3repE0EEENS1_30default_config_static_selectorELNS0_4arch9wavefront6targetE0EEEvSW_.kd
    .uniform_work_group_size: 1
    .uses_dynamic_stack: false
    .vgpr_count:     0
    .vgpr_spill_count: 0
    .wavefront_size: 32
    .workgroup_processor_mode: 1
  - .args:
      - .offset:         0
        .size:           56
        .value_kind:     by_value
    .group_segment_fixed_size: 0
    .kernarg_segment_align: 8
    .kernarg_segment_size: 56
    .language:       OpenCL C
    .language_version:
      - 2
      - 0
    .max_flat_workgroup_size: 256
    .name:           _ZN7rocprim17ROCPRIM_400000_NS6detail17trampoline_kernelINS0_14default_configENS1_27upper_bound_config_selectorIilEEZNS1_14transform_implILb0ES3_S5_N6thrust23THRUST_200600_302600_NS6detail15normal_iteratorINS8_7pointerIiNS8_11hip_rocprim5par_tENS8_11use_defaultESE_EEEENSA_INSB_IlSD_SE_SE_EEEEZNS1_13binary_searchIS3_S5_PiSG_SI_NS1_21upper_bound_search_opENS9_16wrapped_functionINS8_6system6detail7generic6detail18binary_search_lessEbEEEE10hipError_tPvRmT1_T2_T3_mmT4_T5_P12ihipStream_tbEUlRKiE_EEST_SX_SY_mSZ_S12_bEUlT_E_NS1_11comp_targetILNS1_3genE2ELNS1_11target_archE906ELNS1_3gpuE6ELNS1_3repE0EEENS1_30default_config_static_selectorELNS0_4arch9wavefront6targetE0EEEvSW_
    .private_segment_fixed_size: 0
    .sgpr_count:     0
    .sgpr_spill_count: 0
    .symbol:         _ZN7rocprim17ROCPRIM_400000_NS6detail17trampoline_kernelINS0_14default_configENS1_27upper_bound_config_selectorIilEEZNS1_14transform_implILb0ES3_S5_N6thrust23THRUST_200600_302600_NS6detail15normal_iteratorINS8_7pointerIiNS8_11hip_rocprim5par_tENS8_11use_defaultESE_EEEENSA_INSB_IlSD_SE_SE_EEEEZNS1_13binary_searchIS3_S5_PiSG_SI_NS1_21upper_bound_search_opENS9_16wrapped_functionINS8_6system6detail7generic6detail18binary_search_lessEbEEEE10hipError_tPvRmT1_T2_T3_mmT4_T5_P12ihipStream_tbEUlRKiE_EEST_SX_SY_mSZ_S12_bEUlT_E_NS1_11comp_targetILNS1_3genE2ELNS1_11target_archE906ELNS1_3gpuE6ELNS1_3repE0EEENS1_30default_config_static_selectorELNS0_4arch9wavefront6targetE0EEEvSW_.kd
    .uniform_work_group_size: 1
    .uses_dynamic_stack: false
    .vgpr_count:     0
    .vgpr_spill_count: 0
    .wavefront_size: 32
    .workgroup_processor_mode: 1
  - .args:
      - .offset:         0
        .size:           56
        .value_kind:     by_value
    .group_segment_fixed_size: 0
    .kernarg_segment_align: 8
    .kernarg_segment_size: 56
    .language:       OpenCL C
    .language_version:
      - 2
      - 0
    .max_flat_workgroup_size: 128
    .name:           _ZN7rocprim17ROCPRIM_400000_NS6detail17trampoline_kernelINS0_14default_configENS1_27upper_bound_config_selectorIilEEZNS1_14transform_implILb0ES3_S5_N6thrust23THRUST_200600_302600_NS6detail15normal_iteratorINS8_7pointerIiNS8_11hip_rocprim5par_tENS8_11use_defaultESE_EEEENSA_INSB_IlSD_SE_SE_EEEEZNS1_13binary_searchIS3_S5_PiSG_SI_NS1_21upper_bound_search_opENS9_16wrapped_functionINS8_6system6detail7generic6detail18binary_search_lessEbEEEE10hipError_tPvRmT1_T2_T3_mmT4_T5_P12ihipStream_tbEUlRKiE_EEST_SX_SY_mSZ_S12_bEUlT_E_NS1_11comp_targetILNS1_3genE10ELNS1_11target_archE1201ELNS1_3gpuE5ELNS1_3repE0EEENS1_30default_config_static_selectorELNS0_4arch9wavefront6targetE0EEEvSW_
    .private_segment_fixed_size: 0
    .sgpr_count:     0
    .sgpr_spill_count: 0
    .symbol:         _ZN7rocprim17ROCPRIM_400000_NS6detail17trampoline_kernelINS0_14default_configENS1_27upper_bound_config_selectorIilEEZNS1_14transform_implILb0ES3_S5_N6thrust23THRUST_200600_302600_NS6detail15normal_iteratorINS8_7pointerIiNS8_11hip_rocprim5par_tENS8_11use_defaultESE_EEEENSA_INSB_IlSD_SE_SE_EEEEZNS1_13binary_searchIS3_S5_PiSG_SI_NS1_21upper_bound_search_opENS9_16wrapped_functionINS8_6system6detail7generic6detail18binary_search_lessEbEEEE10hipError_tPvRmT1_T2_T3_mmT4_T5_P12ihipStream_tbEUlRKiE_EEST_SX_SY_mSZ_S12_bEUlT_E_NS1_11comp_targetILNS1_3genE10ELNS1_11target_archE1201ELNS1_3gpuE5ELNS1_3repE0EEENS1_30default_config_static_selectorELNS0_4arch9wavefront6targetE0EEEvSW_.kd
    .uniform_work_group_size: 1
    .uses_dynamic_stack: false
    .vgpr_count:     0
    .vgpr_spill_count: 0
    .wavefront_size: 32
    .workgroup_processor_mode: 1
  - .args:
      - .offset:         0
        .size:           56
        .value_kind:     by_value
    .group_segment_fixed_size: 0
    .kernarg_segment_align: 8
    .kernarg_segment_size: 56
    .language:       OpenCL C
    .language_version:
      - 2
      - 0
    .max_flat_workgroup_size: 128
    .name:           _ZN7rocprim17ROCPRIM_400000_NS6detail17trampoline_kernelINS0_14default_configENS1_27upper_bound_config_selectorIilEEZNS1_14transform_implILb0ES3_S5_N6thrust23THRUST_200600_302600_NS6detail15normal_iteratorINS8_7pointerIiNS8_11hip_rocprim5par_tENS8_11use_defaultESE_EEEENSA_INSB_IlSD_SE_SE_EEEEZNS1_13binary_searchIS3_S5_PiSG_SI_NS1_21upper_bound_search_opENS9_16wrapped_functionINS8_6system6detail7generic6detail18binary_search_lessEbEEEE10hipError_tPvRmT1_T2_T3_mmT4_T5_P12ihipStream_tbEUlRKiE_EEST_SX_SY_mSZ_S12_bEUlT_E_NS1_11comp_targetILNS1_3genE10ELNS1_11target_archE1200ELNS1_3gpuE4ELNS1_3repE0EEENS1_30default_config_static_selectorELNS0_4arch9wavefront6targetE0EEEvSW_
    .private_segment_fixed_size: 0
    .sgpr_count:     0
    .sgpr_spill_count: 0
    .symbol:         _ZN7rocprim17ROCPRIM_400000_NS6detail17trampoline_kernelINS0_14default_configENS1_27upper_bound_config_selectorIilEEZNS1_14transform_implILb0ES3_S5_N6thrust23THRUST_200600_302600_NS6detail15normal_iteratorINS8_7pointerIiNS8_11hip_rocprim5par_tENS8_11use_defaultESE_EEEENSA_INSB_IlSD_SE_SE_EEEEZNS1_13binary_searchIS3_S5_PiSG_SI_NS1_21upper_bound_search_opENS9_16wrapped_functionINS8_6system6detail7generic6detail18binary_search_lessEbEEEE10hipError_tPvRmT1_T2_T3_mmT4_T5_P12ihipStream_tbEUlRKiE_EEST_SX_SY_mSZ_S12_bEUlT_E_NS1_11comp_targetILNS1_3genE10ELNS1_11target_archE1200ELNS1_3gpuE4ELNS1_3repE0EEENS1_30default_config_static_selectorELNS0_4arch9wavefront6targetE0EEEvSW_.kd
    .uniform_work_group_size: 1
    .uses_dynamic_stack: false
    .vgpr_count:     0
    .vgpr_spill_count: 0
    .wavefront_size: 32
    .workgroup_processor_mode: 1
  - .args:
      - .offset:         0
        .size:           56
        .value_kind:     by_value
    .group_segment_fixed_size: 0
    .kernarg_segment_align: 8
    .kernarg_segment_size: 56
    .language:       OpenCL C
    .language_version:
      - 2
      - 0
    .max_flat_workgroup_size: 256
    .name:           _ZN7rocprim17ROCPRIM_400000_NS6detail17trampoline_kernelINS0_14default_configENS1_27upper_bound_config_selectorIilEEZNS1_14transform_implILb0ES3_S5_N6thrust23THRUST_200600_302600_NS6detail15normal_iteratorINS8_7pointerIiNS8_11hip_rocprim5par_tENS8_11use_defaultESE_EEEENSA_INSB_IlSD_SE_SE_EEEEZNS1_13binary_searchIS3_S5_PiSG_SI_NS1_21upper_bound_search_opENS9_16wrapped_functionINS8_6system6detail7generic6detail18binary_search_lessEbEEEE10hipError_tPvRmT1_T2_T3_mmT4_T5_P12ihipStream_tbEUlRKiE_EEST_SX_SY_mSZ_S12_bEUlT_E_NS1_11comp_targetILNS1_3genE9ELNS1_11target_archE1100ELNS1_3gpuE3ELNS1_3repE0EEENS1_30default_config_static_selectorELNS0_4arch9wavefront6targetE0EEEvSW_
    .private_segment_fixed_size: 0
    .sgpr_count:     0
    .sgpr_spill_count: 0
    .symbol:         _ZN7rocprim17ROCPRIM_400000_NS6detail17trampoline_kernelINS0_14default_configENS1_27upper_bound_config_selectorIilEEZNS1_14transform_implILb0ES3_S5_N6thrust23THRUST_200600_302600_NS6detail15normal_iteratorINS8_7pointerIiNS8_11hip_rocprim5par_tENS8_11use_defaultESE_EEEENSA_INSB_IlSD_SE_SE_EEEEZNS1_13binary_searchIS3_S5_PiSG_SI_NS1_21upper_bound_search_opENS9_16wrapped_functionINS8_6system6detail7generic6detail18binary_search_lessEbEEEE10hipError_tPvRmT1_T2_T3_mmT4_T5_P12ihipStream_tbEUlRKiE_EEST_SX_SY_mSZ_S12_bEUlT_E_NS1_11comp_targetILNS1_3genE9ELNS1_11target_archE1100ELNS1_3gpuE3ELNS1_3repE0EEENS1_30default_config_static_selectorELNS0_4arch9wavefront6targetE0EEEvSW_.kd
    .uniform_work_group_size: 1
    .uses_dynamic_stack: false
    .vgpr_count:     0
    .vgpr_spill_count: 0
    .wavefront_size: 32
    .workgroup_processor_mode: 1
  - .args:
      - .offset:         0
        .size:           56
        .value_kind:     by_value
      - .offset:         56
        .size:           4
        .value_kind:     hidden_block_count_x
      - .offset:         60
        .size:           4
        .value_kind:     hidden_block_count_y
      - .offset:         64
        .size:           4
        .value_kind:     hidden_block_count_z
      - .offset:         68
        .size:           2
        .value_kind:     hidden_group_size_x
      - .offset:         70
        .size:           2
        .value_kind:     hidden_group_size_y
      - .offset:         72
        .size:           2
        .value_kind:     hidden_group_size_z
      - .offset:         74
        .size:           2
        .value_kind:     hidden_remainder_x
      - .offset:         76
        .size:           2
        .value_kind:     hidden_remainder_y
      - .offset:         78
        .size:           2
        .value_kind:     hidden_remainder_z
      - .offset:         96
        .size:           8
        .value_kind:     hidden_global_offset_x
      - .offset:         104
        .size:           8
        .value_kind:     hidden_global_offset_y
      - .offset:         112
        .size:           8
        .value_kind:     hidden_global_offset_z
      - .offset:         120
        .size:           2
        .value_kind:     hidden_grid_dims
    .group_segment_fixed_size: 0
    .kernarg_segment_align: 8
    .kernarg_segment_size: 312
    .language:       OpenCL C
    .language_version:
      - 2
      - 0
    .max_flat_workgroup_size: 256
    .name:           _ZN7rocprim17ROCPRIM_400000_NS6detail17trampoline_kernelINS0_14default_configENS1_27upper_bound_config_selectorIilEEZNS1_14transform_implILb0ES3_S5_N6thrust23THRUST_200600_302600_NS6detail15normal_iteratorINS8_7pointerIiNS8_11hip_rocprim5par_tENS8_11use_defaultESE_EEEENSA_INSB_IlSD_SE_SE_EEEEZNS1_13binary_searchIS3_S5_PiSG_SI_NS1_21upper_bound_search_opENS9_16wrapped_functionINS8_6system6detail7generic6detail18binary_search_lessEbEEEE10hipError_tPvRmT1_T2_T3_mmT4_T5_P12ihipStream_tbEUlRKiE_EEST_SX_SY_mSZ_S12_bEUlT_E_NS1_11comp_targetILNS1_3genE8ELNS1_11target_archE1030ELNS1_3gpuE2ELNS1_3repE0EEENS1_30default_config_static_selectorELNS0_4arch9wavefront6targetE0EEEvSW_
    .private_segment_fixed_size: 0
    .sgpr_count:     19
    .sgpr_spill_count: 0
    .symbol:         _ZN7rocprim17ROCPRIM_400000_NS6detail17trampoline_kernelINS0_14default_configENS1_27upper_bound_config_selectorIilEEZNS1_14transform_implILb0ES3_S5_N6thrust23THRUST_200600_302600_NS6detail15normal_iteratorINS8_7pointerIiNS8_11hip_rocprim5par_tENS8_11use_defaultESE_EEEENSA_INSB_IlSD_SE_SE_EEEEZNS1_13binary_searchIS3_S5_PiSG_SI_NS1_21upper_bound_search_opENS9_16wrapped_functionINS8_6system6detail7generic6detail18binary_search_lessEbEEEE10hipError_tPvRmT1_T2_T3_mmT4_T5_P12ihipStream_tbEUlRKiE_EEST_SX_SY_mSZ_S12_bEUlT_E_NS1_11comp_targetILNS1_3genE8ELNS1_11target_archE1030ELNS1_3gpuE2ELNS1_3repE0EEENS1_30default_config_static_selectorELNS0_4arch9wavefront6targetE0EEEvSW_.kd
    .uniform_work_group_size: 1
    .uses_dynamic_stack: false
    .vgpr_count:     11
    .vgpr_spill_count: 0
    .wavefront_size: 32
    .workgroup_processor_mode: 1
  - .args:
      - .offset:         0
        .size:           8
        .value_kind:     by_value
      - .address_space:  global
        .offset:         8
        .size:           8
        .value_kind:     global_buffer
      - .address_space:  global
        .offset:         16
        .size:           8
        .value_kind:     global_buffer
    .group_segment_fixed_size: 0
    .kernarg_segment_align: 8
    .kernarg_segment_size: 24
    .language:       OpenCL C
    .language_version:
      - 2
      - 0
    .max_flat_workgroup_size: 256
    .name:           _Z18upper_bound_kernelIsEvmPT_Pl
    .private_segment_fixed_size: 0
    .sgpr_count:     18
    .sgpr_spill_count: 0
    .symbol:         _Z18upper_bound_kernelIsEvmPT_Pl.kd
    .uniform_work_group_size: 1
    .uses_dynamic_stack: false
    .vgpr_count:     3
    .vgpr_spill_count: 0
    .wavefront_size: 32
    .workgroup_processor_mode: 1
  - .args:
      - .offset:         0
        .size:           56
        .value_kind:     by_value
    .group_segment_fixed_size: 0
    .kernarg_segment_align: 8
    .kernarg_segment_size: 56
    .language:       OpenCL C
    .language_version:
      - 2
      - 0
    .max_flat_workgroup_size: 128
    .name:           _ZN7rocprim17ROCPRIM_400000_NS6detail17trampoline_kernelINS0_14default_configENS1_27upper_bound_config_selectorIslEEZNS1_14transform_implILb0ES3_S5_N6thrust23THRUST_200600_302600_NS6detail15normal_iteratorINS8_7pointerIsNS8_11hip_rocprim5par_tENS8_11use_defaultESE_EEEENSA_INSB_IlSD_SE_SE_EEEEZNS1_13binary_searchIS3_S5_PsSG_SI_NS1_21upper_bound_search_opENS9_16wrapped_functionINS8_6system6detail7generic6detail18binary_search_lessEbEEEE10hipError_tPvRmT1_T2_T3_mmT4_T5_P12ihipStream_tbEUlRKsE_EEST_SX_SY_mSZ_S12_bEUlT_E_NS1_11comp_targetILNS1_3genE0ELNS1_11target_archE4294967295ELNS1_3gpuE0ELNS1_3repE0EEENS1_30default_config_static_selectorELNS0_4arch9wavefront6targetE0EEEvSW_
    .private_segment_fixed_size: 0
    .sgpr_count:     0
    .sgpr_spill_count: 0
    .symbol:         _ZN7rocprim17ROCPRIM_400000_NS6detail17trampoline_kernelINS0_14default_configENS1_27upper_bound_config_selectorIslEEZNS1_14transform_implILb0ES3_S5_N6thrust23THRUST_200600_302600_NS6detail15normal_iteratorINS8_7pointerIsNS8_11hip_rocprim5par_tENS8_11use_defaultESE_EEEENSA_INSB_IlSD_SE_SE_EEEEZNS1_13binary_searchIS3_S5_PsSG_SI_NS1_21upper_bound_search_opENS9_16wrapped_functionINS8_6system6detail7generic6detail18binary_search_lessEbEEEE10hipError_tPvRmT1_T2_T3_mmT4_T5_P12ihipStream_tbEUlRKsE_EEST_SX_SY_mSZ_S12_bEUlT_E_NS1_11comp_targetILNS1_3genE0ELNS1_11target_archE4294967295ELNS1_3gpuE0ELNS1_3repE0EEENS1_30default_config_static_selectorELNS0_4arch9wavefront6targetE0EEEvSW_.kd
    .uniform_work_group_size: 1
    .uses_dynamic_stack: false
    .vgpr_count:     0
    .vgpr_spill_count: 0
    .wavefront_size: 32
    .workgroup_processor_mode: 1
  - .args:
      - .offset:         0
        .size:           56
        .value_kind:     by_value
    .group_segment_fixed_size: 0
    .kernarg_segment_align: 8
    .kernarg_segment_size: 56
    .language:       OpenCL C
    .language_version:
      - 2
      - 0
    .max_flat_workgroup_size: 256
    .name:           _ZN7rocprim17ROCPRIM_400000_NS6detail17trampoline_kernelINS0_14default_configENS1_27upper_bound_config_selectorIslEEZNS1_14transform_implILb0ES3_S5_N6thrust23THRUST_200600_302600_NS6detail15normal_iteratorINS8_7pointerIsNS8_11hip_rocprim5par_tENS8_11use_defaultESE_EEEENSA_INSB_IlSD_SE_SE_EEEEZNS1_13binary_searchIS3_S5_PsSG_SI_NS1_21upper_bound_search_opENS9_16wrapped_functionINS8_6system6detail7generic6detail18binary_search_lessEbEEEE10hipError_tPvRmT1_T2_T3_mmT4_T5_P12ihipStream_tbEUlRKsE_EEST_SX_SY_mSZ_S12_bEUlT_E_NS1_11comp_targetILNS1_3genE5ELNS1_11target_archE942ELNS1_3gpuE9ELNS1_3repE0EEENS1_30default_config_static_selectorELNS0_4arch9wavefront6targetE0EEEvSW_
    .private_segment_fixed_size: 0
    .sgpr_count:     0
    .sgpr_spill_count: 0
    .symbol:         _ZN7rocprim17ROCPRIM_400000_NS6detail17trampoline_kernelINS0_14default_configENS1_27upper_bound_config_selectorIslEEZNS1_14transform_implILb0ES3_S5_N6thrust23THRUST_200600_302600_NS6detail15normal_iteratorINS8_7pointerIsNS8_11hip_rocprim5par_tENS8_11use_defaultESE_EEEENSA_INSB_IlSD_SE_SE_EEEEZNS1_13binary_searchIS3_S5_PsSG_SI_NS1_21upper_bound_search_opENS9_16wrapped_functionINS8_6system6detail7generic6detail18binary_search_lessEbEEEE10hipError_tPvRmT1_T2_T3_mmT4_T5_P12ihipStream_tbEUlRKsE_EEST_SX_SY_mSZ_S12_bEUlT_E_NS1_11comp_targetILNS1_3genE5ELNS1_11target_archE942ELNS1_3gpuE9ELNS1_3repE0EEENS1_30default_config_static_selectorELNS0_4arch9wavefront6targetE0EEEvSW_.kd
    .uniform_work_group_size: 1
    .uses_dynamic_stack: false
    .vgpr_count:     0
    .vgpr_spill_count: 0
    .wavefront_size: 32
    .workgroup_processor_mode: 1
  - .args:
      - .offset:         0
        .size:           56
        .value_kind:     by_value
    .group_segment_fixed_size: 0
    .kernarg_segment_align: 8
    .kernarg_segment_size: 56
    .language:       OpenCL C
    .language_version:
      - 2
      - 0
    .max_flat_workgroup_size: 256
    .name:           _ZN7rocprim17ROCPRIM_400000_NS6detail17trampoline_kernelINS0_14default_configENS1_27upper_bound_config_selectorIslEEZNS1_14transform_implILb0ES3_S5_N6thrust23THRUST_200600_302600_NS6detail15normal_iteratorINS8_7pointerIsNS8_11hip_rocprim5par_tENS8_11use_defaultESE_EEEENSA_INSB_IlSD_SE_SE_EEEEZNS1_13binary_searchIS3_S5_PsSG_SI_NS1_21upper_bound_search_opENS9_16wrapped_functionINS8_6system6detail7generic6detail18binary_search_lessEbEEEE10hipError_tPvRmT1_T2_T3_mmT4_T5_P12ihipStream_tbEUlRKsE_EEST_SX_SY_mSZ_S12_bEUlT_E_NS1_11comp_targetILNS1_3genE4ELNS1_11target_archE910ELNS1_3gpuE8ELNS1_3repE0EEENS1_30default_config_static_selectorELNS0_4arch9wavefront6targetE0EEEvSW_
    .private_segment_fixed_size: 0
    .sgpr_count:     0
    .sgpr_spill_count: 0
    .symbol:         _ZN7rocprim17ROCPRIM_400000_NS6detail17trampoline_kernelINS0_14default_configENS1_27upper_bound_config_selectorIslEEZNS1_14transform_implILb0ES3_S5_N6thrust23THRUST_200600_302600_NS6detail15normal_iteratorINS8_7pointerIsNS8_11hip_rocprim5par_tENS8_11use_defaultESE_EEEENSA_INSB_IlSD_SE_SE_EEEEZNS1_13binary_searchIS3_S5_PsSG_SI_NS1_21upper_bound_search_opENS9_16wrapped_functionINS8_6system6detail7generic6detail18binary_search_lessEbEEEE10hipError_tPvRmT1_T2_T3_mmT4_T5_P12ihipStream_tbEUlRKsE_EEST_SX_SY_mSZ_S12_bEUlT_E_NS1_11comp_targetILNS1_3genE4ELNS1_11target_archE910ELNS1_3gpuE8ELNS1_3repE0EEENS1_30default_config_static_selectorELNS0_4arch9wavefront6targetE0EEEvSW_.kd
    .uniform_work_group_size: 1
    .uses_dynamic_stack: false
    .vgpr_count:     0
    .vgpr_spill_count: 0
    .wavefront_size: 32
    .workgroup_processor_mode: 1
  - .args:
      - .offset:         0
        .size:           56
        .value_kind:     by_value
    .group_segment_fixed_size: 0
    .kernarg_segment_align: 8
    .kernarg_segment_size: 56
    .language:       OpenCL C
    .language_version:
      - 2
      - 0
    .max_flat_workgroup_size: 128
    .name:           _ZN7rocprim17ROCPRIM_400000_NS6detail17trampoline_kernelINS0_14default_configENS1_27upper_bound_config_selectorIslEEZNS1_14transform_implILb0ES3_S5_N6thrust23THRUST_200600_302600_NS6detail15normal_iteratorINS8_7pointerIsNS8_11hip_rocprim5par_tENS8_11use_defaultESE_EEEENSA_INSB_IlSD_SE_SE_EEEEZNS1_13binary_searchIS3_S5_PsSG_SI_NS1_21upper_bound_search_opENS9_16wrapped_functionINS8_6system6detail7generic6detail18binary_search_lessEbEEEE10hipError_tPvRmT1_T2_T3_mmT4_T5_P12ihipStream_tbEUlRKsE_EEST_SX_SY_mSZ_S12_bEUlT_E_NS1_11comp_targetILNS1_3genE3ELNS1_11target_archE908ELNS1_3gpuE7ELNS1_3repE0EEENS1_30default_config_static_selectorELNS0_4arch9wavefront6targetE0EEEvSW_
    .private_segment_fixed_size: 0
    .sgpr_count:     0
    .sgpr_spill_count: 0
    .symbol:         _ZN7rocprim17ROCPRIM_400000_NS6detail17trampoline_kernelINS0_14default_configENS1_27upper_bound_config_selectorIslEEZNS1_14transform_implILb0ES3_S5_N6thrust23THRUST_200600_302600_NS6detail15normal_iteratorINS8_7pointerIsNS8_11hip_rocprim5par_tENS8_11use_defaultESE_EEEENSA_INSB_IlSD_SE_SE_EEEEZNS1_13binary_searchIS3_S5_PsSG_SI_NS1_21upper_bound_search_opENS9_16wrapped_functionINS8_6system6detail7generic6detail18binary_search_lessEbEEEE10hipError_tPvRmT1_T2_T3_mmT4_T5_P12ihipStream_tbEUlRKsE_EEST_SX_SY_mSZ_S12_bEUlT_E_NS1_11comp_targetILNS1_3genE3ELNS1_11target_archE908ELNS1_3gpuE7ELNS1_3repE0EEENS1_30default_config_static_selectorELNS0_4arch9wavefront6targetE0EEEvSW_.kd
    .uniform_work_group_size: 1
    .uses_dynamic_stack: false
    .vgpr_count:     0
    .vgpr_spill_count: 0
    .wavefront_size: 32
    .workgroup_processor_mode: 1
  - .args:
      - .offset:         0
        .size:           56
        .value_kind:     by_value
    .group_segment_fixed_size: 0
    .kernarg_segment_align: 8
    .kernarg_segment_size: 56
    .language:       OpenCL C
    .language_version:
      - 2
      - 0
    .max_flat_workgroup_size: 256
    .name:           _ZN7rocprim17ROCPRIM_400000_NS6detail17trampoline_kernelINS0_14default_configENS1_27upper_bound_config_selectorIslEEZNS1_14transform_implILb0ES3_S5_N6thrust23THRUST_200600_302600_NS6detail15normal_iteratorINS8_7pointerIsNS8_11hip_rocprim5par_tENS8_11use_defaultESE_EEEENSA_INSB_IlSD_SE_SE_EEEEZNS1_13binary_searchIS3_S5_PsSG_SI_NS1_21upper_bound_search_opENS9_16wrapped_functionINS8_6system6detail7generic6detail18binary_search_lessEbEEEE10hipError_tPvRmT1_T2_T3_mmT4_T5_P12ihipStream_tbEUlRKsE_EEST_SX_SY_mSZ_S12_bEUlT_E_NS1_11comp_targetILNS1_3genE2ELNS1_11target_archE906ELNS1_3gpuE6ELNS1_3repE0EEENS1_30default_config_static_selectorELNS0_4arch9wavefront6targetE0EEEvSW_
    .private_segment_fixed_size: 0
    .sgpr_count:     0
    .sgpr_spill_count: 0
    .symbol:         _ZN7rocprim17ROCPRIM_400000_NS6detail17trampoline_kernelINS0_14default_configENS1_27upper_bound_config_selectorIslEEZNS1_14transform_implILb0ES3_S5_N6thrust23THRUST_200600_302600_NS6detail15normal_iteratorINS8_7pointerIsNS8_11hip_rocprim5par_tENS8_11use_defaultESE_EEEENSA_INSB_IlSD_SE_SE_EEEEZNS1_13binary_searchIS3_S5_PsSG_SI_NS1_21upper_bound_search_opENS9_16wrapped_functionINS8_6system6detail7generic6detail18binary_search_lessEbEEEE10hipError_tPvRmT1_T2_T3_mmT4_T5_P12ihipStream_tbEUlRKsE_EEST_SX_SY_mSZ_S12_bEUlT_E_NS1_11comp_targetILNS1_3genE2ELNS1_11target_archE906ELNS1_3gpuE6ELNS1_3repE0EEENS1_30default_config_static_selectorELNS0_4arch9wavefront6targetE0EEEvSW_.kd
    .uniform_work_group_size: 1
    .uses_dynamic_stack: false
    .vgpr_count:     0
    .vgpr_spill_count: 0
    .wavefront_size: 32
    .workgroup_processor_mode: 1
  - .args:
      - .offset:         0
        .size:           56
        .value_kind:     by_value
    .group_segment_fixed_size: 0
    .kernarg_segment_align: 8
    .kernarg_segment_size: 56
    .language:       OpenCL C
    .language_version:
      - 2
      - 0
    .max_flat_workgroup_size: 256
    .name:           _ZN7rocprim17ROCPRIM_400000_NS6detail17trampoline_kernelINS0_14default_configENS1_27upper_bound_config_selectorIslEEZNS1_14transform_implILb0ES3_S5_N6thrust23THRUST_200600_302600_NS6detail15normal_iteratorINS8_7pointerIsNS8_11hip_rocprim5par_tENS8_11use_defaultESE_EEEENSA_INSB_IlSD_SE_SE_EEEEZNS1_13binary_searchIS3_S5_PsSG_SI_NS1_21upper_bound_search_opENS9_16wrapped_functionINS8_6system6detail7generic6detail18binary_search_lessEbEEEE10hipError_tPvRmT1_T2_T3_mmT4_T5_P12ihipStream_tbEUlRKsE_EEST_SX_SY_mSZ_S12_bEUlT_E_NS1_11comp_targetILNS1_3genE10ELNS1_11target_archE1201ELNS1_3gpuE5ELNS1_3repE0EEENS1_30default_config_static_selectorELNS0_4arch9wavefront6targetE0EEEvSW_
    .private_segment_fixed_size: 0
    .sgpr_count:     0
    .sgpr_spill_count: 0
    .symbol:         _ZN7rocprim17ROCPRIM_400000_NS6detail17trampoline_kernelINS0_14default_configENS1_27upper_bound_config_selectorIslEEZNS1_14transform_implILb0ES3_S5_N6thrust23THRUST_200600_302600_NS6detail15normal_iteratorINS8_7pointerIsNS8_11hip_rocprim5par_tENS8_11use_defaultESE_EEEENSA_INSB_IlSD_SE_SE_EEEEZNS1_13binary_searchIS3_S5_PsSG_SI_NS1_21upper_bound_search_opENS9_16wrapped_functionINS8_6system6detail7generic6detail18binary_search_lessEbEEEE10hipError_tPvRmT1_T2_T3_mmT4_T5_P12ihipStream_tbEUlRKsE_EEST_SX_SY_mSZ_S12_bEUlT_E_NS1_11comp_targetILNS1_3genE10ELNS1_11target_archE1201ELNS1_3gpuE5ELNS1_3repE0EEENS1_30default_config_static_selectorELNS0_4arch9wavefront6targetE0EEEvSW_.kd
    .uniform_work_group_size: 1
    .uses_dynamic_stack: false
    .vgpr_count:     0
    .vgpr_spill_count: 0
    .wavefront_size: 32
    .workgroup_processor_mode: 1
  - .args:
      - .offset:         0
        .size:           56
        .value_kind:     by_value
    .group_segment_fixed_size: 0
    .kernarg_segment_align: 8
    .kernarg_segment_size: 56
    .language:       OpenCL C
    .language_version:
      - 2
      - 0
    .max_flat_workgroup_size: 256
    .name:           _ZN7rocprim17ROCPRIM_400000_NS6detail17trampoline_kernelINS0_14default_configENS1_27upper_bound_config_selectorIslEEZNS1_14transform_implILb0ES3_S5_N6thrust23THRUST_200600_302600_NS6detail15normal_iteratorINS8_7pointerIsNS8_11hip_rocprim5par_tENS8_11use_defaultESE_EEEENSA_INSB_IlSD_SE_SE_EEEEZNS1_13binary_searchIS3_S5_PsSG_SI_NS1_21upper_bound_search_opENS9_16wrapped_functionINS8_6system6detail7generic6detail18binary_search_lessEbEEEE10hipError_tPvRmT1_T2_T3_mmT4_T5_P12ihipStream_tbEUlRKsE_EEST_SX_SY_mSZ_S12_bEUlT_E_NS1_11comp_targetILNS1_3genE10ELNS1_11target_archE1200ELNS1_3gpuE4ELNS1_3repE0EEENS1_30default_config_static_selectorELNS0_4arch9wavefront6targetE0EEEvSW_
    .private_segment_fixed_size: 0
    .sgpr_count:     0
    .sgpr_spill_count: 0
    .symbol:         _ZN7rocprim17ROCPRIM_400000_NS6detail17trampoline_kernelINS0_14default_configENS1_27upper_bound_config_selectorIslEEZNS1_14transform_implILb0ES3_S5_N6thrust23THRUST_200600_302600_NS6detail15normal_iteratorINS8_7pointerIsNS8_11hip_rocprim5par_tENS8_11use_defaultESE_EEEENSA_INSB_IlSD_SE_SE_EEEEZNS1_13binary_searchIS3_S5_PsSG_SI_NS1_21upper_bound_search_opENS9_16wrapped_functionINS8_6system6detail7generic6detail18binary_search_lessEbEEEE10hipError_tPvRmT1_T2_T3_mmT4_T5_P12ihipStream_tbEUlRKsE_EEST_SX_SY_mSZ_S12_bEUlT_E_NS1_11comp_targetILNS1_3genE10ELNS1_11target_archE1200ELNS1_3gpuE4ELNS1_3repE0EEENS1_30default_config_static_selectorELNS0_4arch9wavefront6targetE0EEEvSW_.kd
    .uniform_work_group_size: 1
    .uses_dynamic_stack: false
    .vgpr_count:     0
    .vgpr_spill_count: 0
    .wavefront_size: 32
    .workgroup_processor_mode: 1
  - .args:
      - .offset:         0
        .size:           56
        .value_kind:     by_value
    .group_segment_fixed_size: 0
    .kernarg_segment_align: 8
    .kernarg_segment_size: 56
    .language:       OpenCL C
    .language_version:
      - 2
      - 0
    .max_flat_workgroup_size: 64
    .name:           _ZN7rocprim17ROCPRIM_400000_NS6detail17trampoline_kernelINS0_14default_configENS1_27upper_bound_config_selectorIslEEZNS1_14transform_implILb0ES3_S5_N6thrust23THRUST_200600_302600_NS6detail15normal_iteratorINS8_7pointerIsNS8_11hip_rocprim5par_tENS8_11use_defaultESE_EEEENSA_INSB_IlSD_SE_SE_EEEEZNS1_13binary_searchIS3_S5_PsSG_SI_NS1_21upper_bound_search_opENS9_16wrapped_functionINS8_6system6detail7generic6detail18binary_search_lessEbEEEE10hipError_tPvRmT1_T2_T3_mmT4_T5_P12ihipStream_tbEUlRKsE_EEST_SX_SY_mSZ_S12_bEUlT_E_NS1_11comp_targetILNS1_3genE9ELNS1_11target_archE1100ELNS1_3gpuE3ELNS1_3repE0EEENS1_30default_config_static_selectorELNS0_4arch9wavefront6targetE0EEEvSW_
    .private_segment_fixed_size: 0
    .sgpr_count:     0
    .sgpr_spill_count: 0
    .symbol:         _ZN7rocprim17ROCPRIM_400000_NS6detail17trampoline_kernelINS0_14default_configENS1_27upper_bound_config_selectorIslEEZNS1_14transform_implILb0ES3_S5_N6thrust23THRUST_200600_302600_NS6detail15normal_iteratorINS8_7pointerIsNS8_11hip_rocprim5par_tENS8_11use_defaultESE_EEEENSA_INSB_IlSD_SE_SE_EEEEZNS1_13binary_searchIS3_S5_PsSG_SI_NS1_21upper_bound_search_opENS9_16wrapped_functionINS8_6system6detail7generic6detail18binary_search_lessEbEEEE10hipError_tPvRmT1_T2_T3_mmT4_T5_P12ihipStream_tbEUlRKsE_EEST_SX_SY_mSZ_S12_bEUlT_E_NS1_11comp_targetILNS1_3genE9ELNS1_11target_archE1100ELNS1_3gpuE3ELNS1_3repE0EEENS1_30default_config_static_selectorELNS0_4arch9wavefront6targetE0EEEvSW_.kd
    .uniform_work_group_size: 1
    .uses_dynamic_stack: false
    .vgpr_count:     0
    .vgpr_spill_count: 0
    .wavefront_size: 32
    .workgroup_processor_mode: 1
  - .args:
      - .offset:         0
        .size:           56
        .value_kind:     by_value
      - .offset:         56
        .size:           4
        .value_kind:     hidden_block_count_x
      - .offset:         60
        .size:           4
        .value_kind:     hidden_block_count_y
      - .offset:         64
        .size:           4
        .value_kind:     hidden_block_count_z
      - .offset:         68
        .size:           2
        .value_kind:     hidden_group_size_x
      - .offset:         70
        .size:           2
        .value_kind:     hidden_group_size_y
      - .offset:         72
        .size:           2
        .value_kind:     hidden_group_size_z
      - .offset:         74
        .size:           2
        .value_kind:     hidden_remainder_x
      - .offset:         76
        .size:           2
        .value_kind:     hidden_remainder_y
      - .offset:         78
        .size:           2
        .value_kind:     hidden_remainder_z
      - .offset:         96
        .size:           8
        .value_kind:     hidden_global_offset_x
      - .offset:         104
        .size:           8
        .value_kind:     hidden_global_offset_y
      - .offset:         112
        .size:           8
        .value_kind:     hidden_global_offset_z
      - .offset:         120
        .size:           2
        .value_kind:     hidden_grid_dims
    .group_segment_fixed_size: 0
    .kernarg_segment_align: 8
    .kernarg_segment_size: 312
    .language:       OpenCL C
    .language_version:
      - 2
      - 0
    .max_flat_workgroup_size: 128
    .name:           _ZN7rocprim17ROCPRIM_400000_NS6detail17trampoline_kernelINS0_14default_configENS1_27upper_bound_config_selectorIslEEZNS1_14transform_implILb0ES3_S5_N6thrust23THRUST_200600_302600_NS6detail15normal_iteratorINS8_7pointerIsNS8_11hip_rocprim5par_tENS8_11use_defaultESE_EEEENSA_INSB_IlSD_SE_SE_EEEEZNS1_13binary_searchIS3_S5_PsSG_SI_NS1_21upper_bound_search_opENS9_16wrapped_functionINS8_6system6detail7generic6detail18binary_search_lessEbEEEE10hipError_tPvRmT1_T2_T3_mmT4_T5_P12ihipStream_tbEUlRKsE_EEST_SX_SY_mSZ_S12_bEUlT_E_NS1_11comp_targetILNS1_3genE8ELNS1_11target_archE1030ELNS1_3gpuE2ELNS1_3repE0EEENS1_30default_config_static_selectorELNS0_4arch9wavefront6targetE0EEEvSW_
    .private_segment_fixed_size: 0
    .sgpr_count:     22
    .sgpr_spill_count: 0
    .symbol:         _ZN7rocprim17ROCPRIM_400000_NS6detail17trampoline_kernelINS0_14default_configENS1_27upper_bound_config_selectorIslEEZNS1_14transform_implILb0ES3_S5_N6thrust23THRUST_200600_302600_NS6detail15normal_iteratorINS8_7pointerIsNS8_11hip_rocprim5par_tENS8_11use_defaultESE_EEEENSA_INSB_IlSD_SE_SE_EEEEZNS1_13binary_searchIS3_S5_PsSG_SI_NS1_21upper_bound_search_opENS9_16wrapped_functionINS8_6system6detail7generic6detail18binary_search_lessEbEEEE10hipError_tPvRmT1_T2_T3_mmT4_T5_P12ihipStream_tbEUlRKsE_EEST_SX_SY_mSZ_S12_bEUlT_E_NS1_11comp_targetILNS1_3genE8ELNS1_11target_archE1030ELNS1_3gpuE2ELNS1_3repE0EEENS1_30default_config_static_selectorELNS0_4arch9wavefront6targetE0EEEvSW_.kd
    .uniform_work_group_size: 1
    .uses_dynamic_stack: false
    .vgpr_count:     17
    .vgpr_spill_count: 0
    .wavefront_size: 32
    .workgroup_processor_mode: 1
  - .args:
      - .offset:         0
        .size:           16
        .value_kind:     by_value
      - .offset:         16
        .size:           8
        .value_kind:     by_value
      - .offset:         24
        .size:           8
        .value_kind:     by_value
    .group_segment_fixed_size: 0
    .kernarg_segment_align: 8
    .kernarg_segment_size: 32
    .language:       OpenCL C
    .language_version:
      - 2
      - 0
    .max_flat_workgroup_size: 256
    .name:           _ZN6thrust23THRUST_200600_302600_NS11hip_rocprim14__parallel_for6kernelILj256ENS1_20__uninitialized_fill7functorINS0_10device_ptrIbEEbEEmLj1EEEvT0_T1_SA_
    .private_segment_fixed_size: 0
    .sgpr_count:     14
    .sgpr_spill_count: 0
    .symbol:         _ZN6thrust23THRUST_200600_302600_NS11hip_rocprim14__parallel_for6kernelILj256ENS1_20__uninitialized_fill7functorINS0_10device_ptrIbEEbEEmLj1EEEvT0_T1_SA_.kd
    .uniform_work_group_size: 1
    .uses_dynamic_stack: false
    .vgpr_count:     4
    .vgpr_spill_count: 0
    .wavefront_size: 32
    .workgroup_processor_mode: 1
  - .args:
      - .offset:         0
        .size:           8
        .value_kind:     by_value
      - .address_space:  global
        .offset:         8
        .size:           8
        .value_kind:     global_buffer
      - .address_space:  global
        .offset:         16
        .size:           8
        .value_kind:     global_buffer
    .group_segment_fixed_size: 0
    .kernarg_segment_align: 8
    .kernarg_segment_size: 24
    .language:       OpenCL C
    .language_version:
      - 2
      - 0
    .max_flat_workgroup_size: 256
    .name:           _Z20binary_search_kernelIdEvmPT_Pb
    .private_segment_fixed_size: 0
    .sgpr_count:     20
    .sgpr_spill_count: 0
    .symbol:         _Z20binary_search_kernelIdEvmPT_Pb.kd
    .uniform_work_group_size: 1
    .uses_dynamic_stack: false
    .vgpr_count:     2
    .vgpr_spill_count: 0
    .wavefront_size: 32
    .workgroup_processor_mode: 1
  - .args:
      - .offset:         0
        .size:           56
        .value_kind:     by_value
    .group_segment_fixed_size: 0
    .kernarg_segment_align: 8
    .kernarg_segment_size: 56
    .language:       OpenCL C
    .language_version:
      - 2
      - 0
    .max_flat_workgroup_size: 256
    .name:           _ZN7rocprim17ROCPRIM_400000_NS6detail17trampoline_kernelINS0_14default_configENS1_29binary_search_config_selectorIdiEEZNS1_14transform_implILb0ES3_S5_N6thrust23THRUST_200600_302600_NS6detail15normal_iteratorINS8_7pointerIdNS8_11hip_rocprim5par_tENS8_11use_defaultESE_EEEENSA_INSB_IiSD_SE_SE_EEEEZNS1_13binary_searchIS3_S5_PdSG_SI_NS1_16binary_search_opENS9_16wrapped_functionINS8_6system6detail7generic6detail18binary_search_lessEbEEEE10hipError_tPvRmT1_T2_T3_mmT4_T5_P12ihipStream_tbEUlRKdE_EEST_SX_SY_mSZ_S12_bEUlT_E_NS1_11comp_targetILNS1_3genE0ELNS1_11target_archE4294967295ELNS1_3gpuE0ELNS1_3repE0EEENS1_30default_config_static_selectorELNS0_4arch9wavefront6targetE0EEEvSW_
    .private_segment_fixed_size: 0
    .sgpr_count:     0
    .sgpr_spill_count: 0
    .symbol:         _ZN7rocprim17ROCPRIM_400000_NS6detail17trampoline_kernelINS0_14default_configENS1_29binary_search_config_selectorIdiEEZNS1_14transform_implILb0ES3_S5_N6thrust23THRUST_200600_302600_NS6detail15normal_iteratorINS8_7pointerIdNS8_11hip_rocprim5par_tENS8_11use_defaultESE_EEEENSA_INSB_IiSD_SE_SE_EEEEZNS1_13binary_searchIS3_S5_PdSG_SI_NS1_16binary_search_opENS9_16wrapped_functionINS8_6system6detail7generic6detail18binary_search_lessEbEEEE10hipError_tPvRmT1_T2_T3_mmT4_T5_P12ihipStream_tbEUlRKdE_EEST_SX_SY_mSZ_S12_bEUlT_E_NS1_11comp_targetILNS1_3genE0ELNS1_11target_archE4294967295ELNS1_3gpuE0ELNS1_3repE0EEENS1_30default_config_static_selectorELNS0_4arch9wavefront6targetE0EEEvSW_.kd
    .uniform_work_group_size: 1
    .uses_dynamic_stack: false
    .vgpr_count:     0
    .vgpr_spill_count: 0
    .wavefront_size: 32
    .workgroup_processor_mode: 1
  - .args:
      - .offset:         0
        .size:           56
        .value_kind:     by_value
    .group_segment_fixed_size: 0
    .kernarg_segment_align: 8
    .kernarg_segment_size: 56
    .language:       OpenCL C
    .language_version:
      - 2
      - 0
    .max_flat_workgroup_size: 128
    .name:           _ZN7rocprim17ROCPRIM_400000_NS6detail17trampoline_kernelINS0_14default_configENS1_29binary_search_config_selectorIdiEEZNS1_14transform_implILb0ES3_S5_N6thrust23THRUST_200600_302600_NS6detail15normal_iteratorINS8_7pointerIdNS8_11hip_rocprim5par_tENS8_11use_defaultESE_EEEENSA_INSB_IiSD_SE_SE_EEEEZNS1_13binary_searchIS3_S5_PdSG_SI_NS1_16binary_search_opENS9_16wrapped_functionINS8_6system6detail7generic6detail18binary_search_lessEbEEEE10hipError_tPvRmT1_T2_T3_mmT4_T5_P12ihipStream_tbEUlRKdE_EEST_SX_SY_mSZ_S12_bEUlT_E_NS1_11comp_targetILNS1_3genE5ELNS1_11target_archE942ELNS1_3gpuE9ELNS1_3repE0EEENS1_30default_config_static_selectorELNS0_4arch9wavefront6targetE0EEEvSW_
    .private_segment_fixed_size: 0
    .sgpr_count:     0
    .sgpr_spill_count: 0
    .symbol:         _ZN7rocprim17ROCPRIM_400000_NS6detail17trampoline_kernelINS0_14default_configENS1_29binary_search_config_selectorIdiEEZNS1_14transform_implILb0ES3_S5_N6thrust23THRUST_200600_302600_NS6detail15normal_iteratorINS8_7pointerIdNS8_11hip_rocprim5par_tENS8_11use_defaultESE_EEEENSA_INSB_IiSD_SE_SE_EEEEZNS1_13binary_searchIS3_S5_PdSG_SI_NS1_16binary_search_opENS9_16wrapped_functionINS8_6system6detail7generic6detail18binary_search_lessEbEEEE10hipError_tPvRmT1_T2_T3_mmT4_T5_P12ihipStream_tbEUlRKdE_EEST_SX_SY_mSZ_S12_bEUlT_E_NS1_11comp_targetILNS1_3genE5ELNS1_11target_archE942ELNS1_3gpuE9ELNS1_3repE0EEENS1_30default_config_static_selectorELNS0_4arch9wavefront6targetE0EEEvSW_.kd
    .uniform_work_group_size: 1
    .uses_dynamic_stack: false
    .vgpr_count:     0
    .vgpr_spill_count: 0
    .wavefront_size: 32
    .workgroup_processor_mode: 1
  - .args:
      - .offset:         0
        .size:           56
        .value_kind:     by_value
    .group_segment_fixed_size: 0
    .kernarg_segment_align: 8
    .kernarg_segment_size: 56
    .language:       OpenCL C
    .language_version:
      - 2
      - 0
    .max_flat_workgroup_size: 64
    .name:           _ZN7rocprim17ROCPRIM_400000_NS6detail17trampoline_kernelINS0_14default_configENS1_29binary_search_config_selectorIdiEEZNS1_14transform_implILb0ES3_S5_N6thrust23THRUST_200600_302600_NS6detail15normal_iteratorINS8_7pointerIdNS8_11hip_rocprim5par_tENS8_11use_defaultESE_EEEENSA_INSB_IiSD_SE_SE_EEEEZNS1_13binary_searchIS3_S5_PdSG_SI_NS1_16binary_search_opENS9_16wrapped_functionINS8_6system6detail7generic6detail18binary_search_lessEbEEEE10hipError_tPvRmT1_T2_T3_mmT4_T5_P12ihipStream_tbEUlRKdE_EEST_SX_SY_mSZ_S12_bEUlT_E_NS1_11comp_targetILNS1_3genE4ELNS1_11target_archE910ELNS1_3gpuE8ELNS1_3repE0EEENS1_30default_config_static_selectorELNS0_4arch9wavefront6targetE0EEEvSW_
    .private_segment_fixed_size: 0
    .sgpr_count:     0
    .sgpr_spill_count: 0
    .symbol:         _ZN7rocprim17ROCPRIM_400000_NS6detail17trampoline_kernelINS0_14default_configENS1_29binary_search_config_selectorIdiEEZNS1_14transform_implILb0ES3_S5_N6thrust23THRUST_200600_302600_NS6detail15normal_iteratorINS8_7pointerIdNS8_11hip_rocprim5par_tENS8_11use_defaultESE_EEEENSA_INSB_IiSD_SE_SE_EEEEZNS1_13binary_searchIS3_S5_PdSG_SI_NS1_16binary_search_opENS9_16wrapped_functionINS8_6system6detail7generic6detail18binary_search_lessEbEEEE10hipError_tPvRmT1_T2_T3_mmT4_T5_P12ihipStream_tbEUlRKdE_EEST_SX_SY_mSZ_S12_bEUlT_E_NS1_11comp_targetILNS1_3genE4ELNS1_11target_archE910ELNS1_3gpuE8ELNS1_3repE0EEENS1_30default_config_static_selectorELNS0_4arch9wavefront6targetE0EEEvSW_.kd
    .uniform_work_group_size: 1
    .uses_dynamic_stack: false
    .vgpr_count:     0
    .vgpr_spill_count: 0
    .wavefront_size: 32
    .workgroup_processor_mode: 1
  - .args:
      - .offset:         0
        .size:           56
        .value_kind:     by_value
    .group_segment_fixed_size: 0
    .kernarg_segment_align: 8
    .kernarg_segment_size: 56
    .language:       OpenCL C
    .language_version:
      - 2
      - 0
    .max_flat_workgroup_size: 256
    .name:           _ZN7rocprim17ROCPRIM_400000_NS6detail17trampoline_kernelINS0_14default_configENS1_29binary_search_config_selectorIdiEEZNS1_14transform_implILb0ES3_S5_N6thrust23THRUST_200600_302600_NS6detail15normal_iteratorINS8_7pointerIdNS8_11hip_rocprim5par_tENS8_11use_defaultESE_EEEENSA_INSB_IiSD_SE_SE_EEEEZNS1_13binary_searchIS3_S5_PdSG_SI_NS1_16binary_search_opENS9_16wrapped_functionINS8_6system6detail7generic6detail18binary_search_lessEbEEEE10hipError_tPvRmT1_T2_T3_mmT4_T5_P12ihipStream_tbEUlRKdE_EEST_SX_SY_mSZ_S12_bEUlT_E_NS1_11comp_targetILNS1_3genE3ELNS1_11target_archE908ELNS1_3gpuE7ELNS1_3repE0EEENS1_30default_config_static_selectorELNS0_4arch9wavefront6targetE0EEEvSW_
    .private_segment_fixed_size: 0
    .sgpr_count:     0
    .sgpr_spill_count: 0
    .symbol:         _ZN7rocprim17ROCPRIM_400000_NS6detail17trampoline_kernelINS0_14default_configENS1_29binary_search_config_selectorIdiEEZNS1_14transform_implILb0ES3_S5_N6thrust23THRUST_200600_302600_NS6detail15normal_iteratorINS8_7pointerIdNS8_11hip_rocprim5par_tENS8_11use_defaultESE_EEEENSA_INSB_IiSD_SE_SE_EEEEZNS1_13binary_searchIS3_S5_PdSG_SI_NS1_16binary_search_opENS9_16wrapped_functionINS8_6system6detail7generic6detail18binary_search_lessEbEEEE10hipError_tPvRmT1_T2_T3_mmT4_T5_P12ihipStream_tbEUlRKdE_EEST_SX_SY_mSZ_S12_bEUlT_E_NS1_11comp_targetILNS1_3genE3ELNS1_11target_archE908ELNS1_3gpuE7ELNS1_3repE0EEENS1_30default_config_static_selectorELNS0_4arch9wavefront6targetE0EEEvSW_.kd
    .uniform_work_group_size: 1
    .uses_dynamic_stack: false
    .vgpr_count:     0
    .vgpr_spill_count: 0
    .wavefront_size: 32
    .workgroup_processor_mode: 1
  - .args:
      - .offset:         0
        .size:           56
        .value_kind:     by_value
    .group_segment_fixed_size: 0
    .kernarg_segment_align: 8
    .kernarg_segment_size: 56
    .language:       OpenCL C
    .language_version:
      - 2
      - 0
    .max_flat_workgroup_size: 256
    .name:           _ZN7rocprim17ROCPRIM_400000_NS6detail17trampoline_kernelINS0_14default_configENS1_29binary_search_config_selectorIdiEEZNS1_14transform_implILb0ES3_S5_N6thrust23THRUST_200600_302600_NS6detail15normal_iteratorINS8_7pointerIdNS8_11hip_rocprim5par_tENS8_11use_defaultESE_EEEENSA_INSB_IiSD_SE_SE_EEEEZNS1_13binary_searchIS3_S5_PdSG_SI_NS1_16binary_search_opENS9_16wrapped_functionINS8_6system6detail7generic6detail18binary_search_lessEbEEEE10hipError_tPvRmT1_T2_T3_mmT4_T5_P12ihipStream_tbEUlRKdE_EEST_SX_SY_mSZ_S12_bEUlT_E_NS1_11comp_targetILNS1_3genE2ELNS1_11target_archE906ELNS1_3gpuE6ELNS1_3repE0EEENS1_30default_config_static_selectorELNS0_4arch9wavefront6targetE0EEEvSW_
    .private_segment_fixed_size: 0
    .sgpr_count:     0
    .sgpr_spill_count: 0
    .symbol:         _ZN7rocprim17ROCPRIM_400000_NS6detail17trampoline_kernelINS0_14default_configENS1_29binary_search_config_selectorIdiEEZNS1_14transform_implILb0ES3_S5_N6thrust23THRUST_200600_302600_NS6detail15normal_iteratorINS8_7pointerIdNS8_11hip_rocprim5par_tENS8_11use_defaultESE_EEEENSA_INSB_IiSD_SE_SE_EEEEZNS1_13binary_searchIS3_S5_PdSG_SI_NS1_16binary_search_opENS9_16wrapped_functionINS8_6system6detail7generic6detail18binary_search_lessEbEEEE10hipError_tPvRmT1_T2_T3_mmT4_T5_P12ihipStream_tbEUlRKdE_EEST_SX_SY_mSZ_S12_bEUlT_E_NS1_11comp_targetILNS1_3genE2ELNS1_11target_archE906ELNS1_3gpuE6ELNS1_3repE0EEENS1_30default_config_static_selectorELNS0_4arch9wavefront6targetE0EEEvSW_.kd
    .uniform_work_group_size: 1
    .uses_dynamic_stack: false
    .vgpr_count:     0
    .vgpr_spill_count: 0
    .wavefront_size: 32
    .workgroup_processor_mode: 1
  - .args:
      - .offset:         0
        .size:           56
        .value_kind:     by_value
    .group_segment_fixed_size: 0
    .kernarg_segment_align: 8
    .kernarg_segment_size: 56
    .language:       OpenCL C
    .language_version:
      - 2
      - 0
    .max_flat_workgroup_size: 128
    .name:           _ZN7rocprim17ROCPRIM_400000_NS6detail17trampoline_kernelINS0_14default_configENS1_29binary_search_config_selectorIdiEEZNS1_14transform_implILb0ES3_S5_N6thrust23THRUST_200600_302600_NS6detail15normal_iteratorINS8_7pointerIdNS8_11hip_rocprim5par_tENS8_11use_defaultESE_EEEENSA_INSB_IiSD_SE_SE_EEEEZNS1_13binary_searchIS3_S5_PdSG_SI_NS1_16binary_search_opENS9_16wrapped_functionINS8_6system6detail7generic6detail18binary_search_lessEbEEEE10hipError_tPvRmT1_T2_T3_mmT4_T5_P12ihipStream_tbEUlRKdE_EEST_SX_SY_mSZ_S12_bEUlT_E_NS1_11comp_targetILNS1_3genE10ELNS1_11target_archE1201ELNS1_3gpuE5ELNS1_3repE0EEENS1_30default_config_static_selectorELNS0_4arch9wavefront6targetE0EEEvSW_
    .private_segment_fixed_size: 0
    .sgpr_count:     0
    .sgpr_spill_count: 0
    .symbol:         _ZN7rocprim17ROCPRIM_400000_NS6detail17trampoline_kernelINS0_14default_configENS1_29binary_search_config_selectorIdiEEZNS1_14transform_implILb0ES3_S5_N6thrust23THRUST_200600_302600_NS6detail15normal_iteratorINS8_7pointerIdNS8_11hip_rocprim5par_tENS8_11use_defaultESE_EEEENSA_INSB_IiSD_SE_SE_EEEEZNS1_13binary_searchIS3_S5_PdSG_SI_NS1_16binary_search_opENS9_16wrapped_functionINS8_6system6detail7generic6detail18binary_search_lessEbEEEE10hipError_tPvRmT1_T2_T3_mmT4_T5_P12ihipStream_tbEUlRKdE_EEST_SX_SY_mSZ_S12_bEUlT_E_NS1_11comp_targetILNS1_3genE10ELNS1_11target_archE1201ELNS1_3gpuE5ELNS1_3repE0EEENS1_30default_config_static_selectorELNS0_4arch9wavefront6targetE0EEEvSW_.kd
    .uniform_work_group_size: 1
    .uses_dynamic_stack: false
    .vgpr_count:     0
    .vgpr_spill_count: 0
    .wavefront_size: 32
    .workgroup_processor_mode: 1
  - .args:
      - .offset:         0
        .size:           56
        .value_kind:     by_value
    .group_segment_fixed_size: 0
    .kernarg_segment_align: 8
    .kernarg_segment_size: 56
    .language:       OpenCL C
    .language_version:
      - 2
      - 0
    .max_flat_workgroup_size: 128
    .name:           _ZN7rocprim17ROCPRIM_400000_NS6detail17trampoline_kernelINS0_14default_configENS1_29binary_search_config_selectorIdiEEZNS1_14transform_implILb0ES3_S5_N6thrust23THRUST_200600_302600_NS6detail15normal_iteratorINS8_7pointerIdNS8_11hip_rocprim5par_tENS8_11use_defaultESE_EEEENSA_INSB_IiSD_SE_SE_EEEEZNS1_13binary_searchIS3_S5_PdSG_SI_NS1_16binary_search_opENS9_16wrapped_functionINS8_6system6detail7generic6detail18binary_search_lessEbEEEE10hipError_tPvRmT1_T2_T3_mmT4_T5_P12ihipStream_tbEUlRKdE_EEST_SX_SY_mSZ_S12_bEUlT_E_NS1_11comp_targetILNS1_3genE10ELNS1_11target_archE1200ELNS1_3gpuE4ELNS1_3repE0EEENS1_30default_config_static_selectorELNS0_4arch9wavefront6targetE0EEEvSW_
    .private_segment_fixed_size: 0
    .sgpr_count:     0
    .sgpr_spill_count: 0
    .symbol:         _ZN7rocprim17ROCPRIM_400000_NS6detail17trampoline_kernelINS0_14default_configENS1_29binary_search_config_selectorIdiEEZNS1_14transform_implILb0ES3_S5_N6thrust23THRUST_200600_302600_NS6detail15normal_iteratorINS8_7pointerIdNS8_11hip_rocprim5par_tENS8_11use_defaultESE_EEEENSA_INSB_IiSD_SE_SE_EEEEZNS1_13binary_searchIS3_S5_PdSG_SI_NS1_16binary_search_opENS9_16wrapped_functionINS8_6system6detail7generic6detail18binary_search_lessEbEEEE10hipError_tPvRmT1_T2_T3_mmT4_T5_P12ihipStream_tbEUlRKdE_EEST_SX_SY_mSZ_S12_bEUlT_E_NS1_11comp_targetILNS1_3genE10ELNS1_11target_archE1200ELNS1_3gpuE4ELNS1_3repE0EEENS1_30default_config_static_selectorELNS0_4arch9wavefront6targetE0EEEvSW_.kd
    .uniform_work_group_size: 1
    .uses_dynamic_stack: false
    .vgpr_count:     0
    .vgpr_spill_count: 0
    .wavefront_size: 32
    .workgroup_processor_mode: 1
  - .args:
      - .offset:         0
        .size:           56
        .value_kind:     by_value
    .group_segment_fixed_size: 0
    .kernarg_segment_align: 8
    .kernarg_segment_size: 56
    .language:       OpenCL C
    .language_version:
      - 2
      - 0
    .max_flat_workgroup_size: 256
    .name:           _ZN7rocprim17ROCPRIM_400000_NS6detail17trampoline_kernelINS0_14default_configENS1_29binary_search_config_selectorIdiEEZNS1_14transform_implILb0ES3_S5_N6thrust23THRUST_200600_302600_NS6detail15normal_iteratorINS8_7pointerIdNS8_11hip_rocprim5par_tENS8_11use_defaultESE_EEEENSA_INSB_IiSD_SE_SE_EEEEZNS1_13binary_searchIS3_S5_PdSG_SI_NS1_16binary_search_opENS9_16wrapped_functionINS8_6system6detail7generic6detail18binary_search_lessEbEEEE10hipError_tPvRmT1_T2_T3_mmT4_T5_P12ihipStream_tbEUlRKdE_EEST_SX_SY_mSZ_S12_bEUlT_E_NS1_11comp_targetILNS1_3genE9ELNS1_11target_archE1100ELNS1_3gpuE3ELNS1_3repE0EEENS1_30default_config_static_selectorELNS0_4arch9wavefront6targetE0EEEvSW_
    .private_segment_fixed_size: 0
    .sgpr_count:     0
    .sgpr_spill_count: 0
    .symbol:         _ZN7rocprim17ROCPRIM_400000_NS6detail17trampoline_kernelINS0_14default_configENS1_29binary_search_config_selectorIdiEEZNS1_14transform_implILb0ES3_S5_N6thrust23THRUST_200600_302600_NS6detail15normal_iteratorINS8_7pointerIdNS8_11hip_rocprim5par_tENS8_11use_defaultESE_EEEENSA_INSB_IiSD_SE_SE_EEEEZNS1_13binary_searchIS3_S5_PdSG_SI_NS1_16binary_search_opENS9_16wrapped_functionINS8_6system6detail7generic6detail18binary_search_lessEbEEEE10hipError_tPvRmT1_T2_T3_mmT4_T5_P12ihipStream_tbEUlRKdE_EEST_SX_SY_mSZ_S12_bEUlT_E_NS1_11comp_targetILNS1_3genE9ELNS1_11target_archE1100ELNS1_3gpuE3ELNS1_3repE0EEENS1_30default_config_static_selectorELNS0_4arch9wavefront6targetE0EEEvSW_.kd
    .uniform_work_group_size: 1
    .uses_dynamic_stack: false
    .vgpr_count:     0
    .vgpr_spill_count: 0
    .wavefront_size: 32
    .workgroup_processor_mode: 1
  - .args:
      - .offset:         0
        .size:           56
        .value_kind:     by_value
      - .offset:         56
        .size:           4
        .value_kind:     hidden_block_count_x
      - .offset:         60
        .size:           4
        .value_kind:     hidden_block_count_y
      - .offset:         64
        .size:           4
        .value_kind:     hidden_block_count_z
      - .offset:         68
        .size:           2
        .value_kind:     hidden_group_size_x
      - .offset:         70
        .size:           2
        .value_kind:     hidden_group_size_y
      - .offset:         72
        .size:           2
        .value_kind:     hidden_group_size_z
      - .offset:         74
        .size:           2
        .value_kind:     hidden_remainder_x
      - .offset:         76
        .size:           2
        .value_kind:     hidden_remainder_y
      - .offset:         78
        .size:           2
        .value_kind:     hidden_remainder_z
      - .offset:         96
        .size:           8
        .value_kind:     hidden_global_offset_x
      - .offset:         104
        .size:           8
        .value_kind:     hidden_global_offset_y
      - .offset:         112
        .size:           8
        .value_kind:     hidden_global_offset_z
      - .offset:         120
        .size:           2
        .value_kind:     hidden_grid_dims
    .group_segment_fixed_size: 0
    .kernarg_segment_align: 8
    .kernarg_segment_size: 312
    .language:       OpenCL C
    .language_version:
      - 2
      - 0
    .max_flat_workgroup_size: 256
    .name:           _ZN7rocprim17ROCPRIM_400000_NS6detail17trampoline_kernelINS0_14default_configENS1_29binary_search_config_selectorIdiEEZNS1_14transform_implILb0ES3_S5_N6thrust23THRUST_200600_302600_NS6detail15normal_iteratorINS8_7pointerIdNS8_11hip_rocprim5par_tENS8_11use_defaultESE_EEEENSA_INSB_IiSD_SE_SE_EEEEZNS1_13binary_searchIS3_S5_PdSG_SI_NS1_16binary_search_opENS9_16wrapped_functionINS8_6system6detail7generic6detail18binary_search_lessEbEEEE10hipError_tPvRmT1_T2_T3_mmT4_T5_P12ihipStream_tbEUlRKdE_EEST_SX_SY_mSZ_S12_bEUlT_E_NS1_11comp_targetILNS1_3genE8ELNS1_11target_archE1030ELNS1_3gpuE2ELNS1_3repE0EEENS1_30default_config_static_selectorELNS0_4arch9wavefront6targetE0EEEvSW_
    .private_segment_fixed_size: 0
    .sgpr_count:     22
    .sgpr_spill_count: 0
    .symbol:         _ZN7rocprim17ROCPRIM_400000_NS6detail17trampoline_kernelINS0_14default_configENS1_29binary_search_config_selectorIdiEEZNS1_14transform_implILb0ES3_S5_N6thrust23THRUST_200600_302600_NS6detail15normal_iteratorINS8_7pointerIdNS8_11hip_rocprim5par_tENS8_11use_defaultESE_EEEENSA_INSB_IiSD_SE_SE_EEEEZNS1_13binary_searchIS3_S5_PdSG_SI_NS1_16binary_search_opENS9_16wrapped_functionINS8_6system6detail7generic6detail18binary_search_lessEbEEEE10hipError_tPvRmT1_T2_T3_mmT4_T5_P12ihipStream_tbEUlRKdE_EEST_SX_SY_mSZ_S12_bEUlT_E_NS1_11comp_targetILNS1_3genE8ELNS1_11target_archE1030ELNS1_3gpuE2ELNS1_3repE0EEENS1_30default_config_static_selectorELNS0_4arch9wavefront6targetE0EEEvSW_.kd
    .uniform_work_group_size: 1
    .uses_dynamic_stack: false
    .vgpr_count:     12
    .vgpr_spill_count: 0
    .wavefront_size: 32
    .workgroup_processor_mode: 1
  - .args:
      - .offset:         0
        .size:           8
        .value_kind:     by_value
      - .address_space:  global
        .offset:         8
        .size:           8
        .value_kind:     global_buffer
      - .address_space:  global
        .offset:         16
        .size:           8
        .value_kind:     global_buffer
    .group_segment_fixed_size: 0
    .kernarg_segment_align: 8
    .kernarg_segment_size: 24
    .language:       OpenCL C
    .language_version:
      - 2
      - 0
    .max_flat_workgroup_size: 256
    .name:           _Z20binary_search_kernelIfEvmPT_Pb
    .private_segment_fixed_size: 0
    .sgpr_count:     20
    .sgpr_spill_count: 0
    .symbol:         _Z20binary_search_kernelIfEvmPT_Pb.kd
    .uniform_work_group_size: 1
    .uses_dynamic_stack: false
    .vgpr_count:     2
    .vgpr_spill_count: 0
    .wavefront_size: 32
    .workgroup_processor_mode: 1
  - .args:
      - .offset:         0
        .size:           56
        .value_kind:     by_value
    .group_segment_fixed_size: 0
    .kernarg_segment_align: 8
    .kernarg_segment_size: 56
    .language:       OpenCL C
    .language_version:
      - 2
      - 0
    .max_flat_workgroup_size: 256
    .name:           _ZN7rocprim17ROCPRIM_400000_NS6detail17trampoline_kernelINS0_14default_configENS1_29binary_search_config_selectorIfiEEZNS1_14transform_implILb0ES3_S5_N6thrust23THRUST_200600_302600_NS6detail15normal_iteratorINS8_7pointerIfNS8_11hip_rocprim5par_tENS8_11use_defaultESE_EEEENSA_INSB_IiSD_SE_SE_EEEEZNS1_13binary_searchIS3_S5_PfSG_SI_NS1_16binary_search_opENS9_16wrapped_functionINS8_6system6detail7generic6detail18binary_search_lessEbEEEE10hipError_tPvRmT1_T2_T3_mmT4_T5_P12ihipStream_tbEUlRKfE_EEST_SX_SY_mSZ_S12_bEUlT_E_NS1_11comp_targetILNS1_3genE0ELNS1_11target_archE4294967295ELNS1_3gpuE0ELNS1_3repE0EEENS1_30default_config_static_selectorELNS0_4arch9wavefront6targetE0EEEvSW_
    .private_segment_fixed_size: 0
    .sgpr_count:     0
    .sgpr_spill_count: 0
    .symbol:         _ZN7rocprim17ROCPRIM_400000_NS6detail17trampoline_kernelINS0_14default_configENS1_29binary_search_config_selectorIfiEEZNS1_14transform_implILb0ES3_S5_N6thrust23THRUST_200600_302600_NS6detail15normal_iteratorINS8_7pointerIfNS8_11hip_rocprim5par_tENS8_11use_defaultESE_EEEENSA_INSB_IiSD_SE_SE_EEEEZNS1_13binary_searchIS3_S5_PfSG_SI_NS1_16binary_search_opENS9_16wrapped_functionINS8_6system6detail7generic6detail18binary_search_lessEbEEEE10hipError_tPvRmT1_T2_T3_mmT4_T5_P12ihipStream_tbEUlRKfE_EEST_SX_SY_mSZ_S12_bEUlT_E_NS1_11comp_targetILNS1_3genE0ELNS1_11target_archE4294967295ELNS1_3gpuE0ELNS1_3repE0EEENS1_30default_config_static_selectorELNS0_4arch9wavefront6targetE0EEEvSW_.kd
    .uniform_work_group_size: 1
    .uses_dynamic_stack: false
    .vgpr_count:     0
    .vgpr_spill_count: 0
    .wavefront_size: 32
    .workgroup_processor_mode: 1
  - .args:
      - .offset:         0
        .size:           56
        .value_kind:     by_value
    .group_segment_fixed_size: 0
    .kernarg_segment_align: 8
    .kernarg_segment_size: 56
    .language:       OpenCL C
    .language_version:
      - 2
      - 0
    .max_flat_workgroup_size: 256
    .name:           _ZN7rocprim17ROCPRIM_400000_NS6detail17trampoline_kernelINS0_14default_configENS1_29binary_search_config_selectorIfiEEZNS1_14transform_implILb0ES3_S5_N6thrust23THRUST_200600_302600_NS6detail15normal_iteratorINS8_7pointerIfNS8_11hip_rocprim5par_tENS8_11use_defaultESE_EEEENSA_INSB_IiSD_SE_SE_EEEEZNS1_13binary_searchIS3_S5_PfSG_SI_NS1_16binary_search_opENS9_16wrapped_functionINS8_6system6detail7generic6detail18binary_search_lessEbEEEE10hipError_tPvRmT1_T2_T3_mmT4_T5_P12ihipStream_tbEUlRKfE_EEST_SX_SY_mSZ_S12_bEUlT_E_NS1_11comp_targetILNS1_3genE5ELNS1_11target_archE942ELNS1_3gpuE9ELNS1_3repE0EEENS1_30default_config_static_selectorELNS0_4arch9wavefront6targetE0EEEvSW_
    .private_segment_fixed_size: 0
    .sgpr_count:     0
    .sgpr_spill_count: 0
    .symbol:         _ZN7rocprim17ROCPRIM_400000_NS6detail17trampoline_kernelINS0_14default_configENS1_29binary_search_config_selectorIfiEEZNS1_14transform_implILb0ES3_S5_N6thrust23THRUST_200600_302600_NS6detail15normal_iteratorINS8_7pointerIfNS8_11hip_rocprim5par_tENS8_11use_defaultESE_EEEENSA_INSB_IiSD_SE_SE_EEEEZNS1_13binary_searchIS3_S5_PfSG_SI_NS1_16binary_search_opENS9_16wrapped_functionINS8_6system6detail7generic6detail18binary_search_lessEbEEEE10hipError_tPvRmT1_T2_T3_mmT4_T5_P12ihipStream_tbEUlRKfE_EEST_SX_SY_mSZ_S12_bEUlT_E_NS1_11comp_targetILNS1_3genE5ELNS1_11target_archE942ELNS1_3gpuE9ELNS1_3repE0EEENS1_30default_config_static_selectorELNS0_4arch9wavefront6targetE0EEEvSW_.kd
    .uniform_work_group_size: 1
    .uses_dynamic_stack: false
    .vgpr_count:     0
    .vgpr_spill_count: 0
    .wavefront_size: 32
    .workgroup_processor_mode: 1
  - .args:
      - .offset:         0
        .size:           56
        .value_kind:     by_value
    .group_segment_fixed_size: 0
    .kernarg_segment_align: 8
    .kernarg_segment_size: 56
    .language:       OpenCL C
    .language_version:
      - 2
      - 0
    .max_flat_workgroup_size: 256
    .name:           _ZN7rocprim17ROCPRIM_400000_NS6detail17trampoline_kernelINS0_14default_configENS1_29binary_search_config_selectorIfiEEZNS1_14transform_implILb0ES3_S5_N6thrust23THRUST_200600_302600_NS6detail15normal_iteratorINS8_7pointerIfNS8_11hip_rocprim5par_tENS8_11use_defaultESE_EEEENSA_INSB_IiSD_SE_SE_EEEEZNS1_13binary_searchIS3_S5_PfSG_SI_NS1_16binary_search_opENS9_16wrapped_functionINS8_6system6detail7generic6detail18binary_search_lessEbEEEE10hipError_tPvRmT1_T2_T3_mmT4_T5_P12ihipStream_tbEUlRKfE_EEST_SX_SY_mSZ_S12_bEUlT_E_NS1_11comp_targetILNS1_3genE4ELNS1_11target_archE910ELNS1_3gpuE8ELNS1_3repE0EEENS1_30default_config_static_selectorELNS0_4arch9wavefront6targetE0EEEvSW_
    .private_segment_fixed_size: 0
    .sgpr_count:     0
    .sgpr_spill_count: 0
    .symbol:         _ZN7rocprim17ROCPRIM_400000_NS6detail17trampoline_kernelINS0_14default_configENS1_29binary_search_config_selectorIfiEEZNS1_14transform_implILb0ES3_S5_N6thrust23THRUST_200600_302600_NS6detail15normal_iteratorINS8_7pointerIfNS8_11hip_rocprim5par_tENS8_11use_defaultESE_EEEENSA_INSB_IiSD_SE_SE_EEEEZNS1_13binary_searchIS3_S5_PfSG_SI_NS1_16binary_search_opENS9_16wrapped_functionINS8_6system6detail7generic6detail18binary_search_lessEbEEEE10hipError_tPvRmT1_T2_T3_mmT4_T5_P12ihipStream_tbEUlRKfE_EEST_SX_SY_mSZ_S12_bEUlT_E_NS1_11comp_targetILNS1_3genE4ELNS1_11target_archE910ELNS1_3gpuE8ELNS1_3repE0EEENS1_30default_config_static_selectorELNS0_4arch9wavefront6targetE0EEEvSW_.kd
    .uniform_work_group_size: 1
    .uses_dynamic_stack: false
    .vgpr_count:     0
    .vgpr_spill_count: 0
    .wavefront_size: 32
    .workgroup_processor_mode: 1
  - .args:
      - .offset:         0
        .size:           56
        .value_kind:     by_value
    .group_segment_fixed_size: 0
    .kernarg_segment_align: 8
    .kernarg_segment_size: 56
    .language:       OpenCL C
    .language_version:
      - 2
      - 0
    .max_flat_workgroup_size: 256
    .name:           _ZN7rocprim17ROCPRIM_400000_NS6detail17trampoline_kernelINS0_14default_configENS1_29binary_search_config_selectorIfiEEZNS1_14transform_implILb0ES3_S5_N6thrust23THRUST_200600_302600_NS6detail15normal_iteratorINS8_7pointerIfNS8_11hip_rocprim5par_tENS8_11use_defaultESE_EEEENSA_INSB_IiSD_SE_SE_EEEEZNS1_13binary_searchIS3_S5_PfSG_SI_NS1_16binary_search_opENS9_16wrapped_functionINS8_6system6detail7generic6detail18binary_search_lessEbEEEE10hipError_tPvRmT1_T2_T3_mmT4_T5_P12ihipStream_tbEUlRKfE_EEST_SX_SY_mSZ_S12_bEUlT_E_NS1_11comp_targetILNS1_3genE3ELNS1_11target_archE908ELNS1_3gpuE7ELNS1_3repE0EEENS1_30default_config_static_selectorELNS0_4arch9wavefront6targetE0EEEvSW_
    .private_segment_fixed_size: 0
    .sgpr_count:     0
    .sgpr_spill_count: 0
    .symbol:         _ZN7rocprim17ROCPRIM_400000_NS6detail17trampoline_kernelINS0_14default_configENS1_29binary_search_config_selectorIfiEEZNS1_14transform_implILb0ES3_S5_N6thrust23THRUST_200600_302600_NS6detail15normal_iteratorINS8_7pointerIfNS8_11hip_rocprim5par_tENS8_11use_defaultESE_EEEENSA_INSB_IiSD_SE_SE_EEEEZNS1_13binary_searchIS3_S5_PfSG_SI_NS1_16binary_search_opENS9_16wrapped_functionINS8_6system6detail7generic6detail18binary_search_lessEbEEEE10hipError_tPvRmT1_T2_T3_mmT4_T5_P12ihipStream_tbEUlRKfE_EEST_SX_SY_mSZ_S12_bEUlT_E_NS1_11comp_targetILNS1_3genE3ELNS1_11target_archE908ELNS1_3gpuE7ELNS1_3repE0EEENS1_30default_config_static_selectorELNS0_4arch9wavefront6targetE0EEEvSW_.kd
    .uniform_work_group_size: 1
    .uses_dynamic_stack: false
    .vgpr_count:     0
    .vgpr_spill_count: 0
    .wavefront_size: 32
    .workgroup_processor_mode: 1
  - .args:
      - .offset:         0
        .size:           56
        .value_kind:     by_value
    .group_segment_fixed_size: 0
    .kernarg_segment_align: 8
    .kernarg_segment_size: 56
    .language:       OpenCL C
    .language_version:
      - 2
      - 0
    .max_flat_workgroup_size: 256
    .name:           _ZN7rocprim17ROCPRIM_400000_NS6detail17trampoline_kernelINS0_14default_configENS1_29binary_search_config_selectorIfiEEZNS1_14transform_implILb0ES3_S5_N6thrust23THRUST_200600_302600_NS6detail15normal_iteratorINS8_7pointerIfNS8_11hip_rocprim5par_tENS8_11use_defaultESE_EEEENSA_INSB_IiSD_SE_SE_EEEEZNS1_13binary_searchIS3_S5_PfSG_SI_NS1_16binary_search_opENS9_16wrapped_functionINS8_6system6detail7generic6detail18binary_search_lessEbEEEE10hipError_tPvRmT1_T2_T3_mmT4_T5_P12ihipStream_tbEUlRKfE_EEST_SX_SY_mSZ_S12_bEUlT_E_NS1_11comp_targetILNS1_3genE2ELNS1_11target_archE906ELNS1_3gpuE6ELNS1_3repE0EEENS1_30default_config_static_selectorELNS0_4arch9wavefront6targetE0EEEvSW_
    .private_segment_fixed_size: 0
    .sgpr_count:     0
    .sgpr_spill_count: 0
    .symbol:         _ZN7rocprim17ROCPRIM_400000_NS6detail17trampoline_kernelINS0_14default_configENS1_29binary_search_config_selectorIfiEEZNS1_14transform_implILb0ES3_S5_N6thrust23THRUST_200600_302600_NS6detail15normal_iteratorINS8_7pointerIfNS8_11hip_rocprim5par_tENS8_11use_defaultESE_EEEENSA_INSB_IiSD_SE_SE_EEEEZNS1_13binary_searchIS3_S5_PfSG_SI_NS1_16binary_search_opENS9_16wrapped_functionINS8_6system6detail7generic6detail18binary_search_lessEbEEEE10hipError_tPvRmT1_T2_T3_mmT4_T5_P12ihipStream_tbEUlRKfE_EEST_SX_SY_mSZ_S12_bEUlT_E_NS1_11comp_targetILNS1_3genE2ELNS1_11target_archE906ELNS1_3gpuE6ELNS1_3repE0EEENS1_30default_config_static_selectorELNS0_4arch9wavefront6targetE0EEEvSW_.kd
    .uniform_work_group_size: 1
    .uses_dynamic_stack: false
    .vgpr_count:     0
    .vgpr_spill_count: 0
    .wavefront_size: 32
    .workgroup_processor_mode: 1
  - .args:
      - .offset:         0
        .size:           56
        .value_kind:     by_value
    .group_segment_fixed_size: 0
    .kernarg_segment_align: 8
    .kernarg_segment_size: 56
    .language:       OpenCL C
    .language_version:
      - 2
      - 0
    .max_flat_workgroup_size: 128
    .name:           _ZN7rocprim17ROCPRIM_400000_NS6detail17trampoline_kernelINS0_14default_configENS1_29binary_search_config_selectorIfiEEZNS1_14transform_implILb0ES3_S5_N6thrust23THRUST_200600_302600_NS6detail15normal_iteratorINS8_7pointerIfNS8_11hip_rocprim5par_tENS8_11use_defaultESE_EEEENSA_INSB_IiSD_SE_SE_EEEEZNS1_13binary_searchIS3_S5_PfSG_SI_NS1_16binary_search_opENS9_16wrapped_functionINS8_6system6detail7generic6detail18binary_search_lessEbEEEE10hipError_tPvRmT1_T2_T3_mmT4_T5_P12ihipStream_tbEUlRKfE_EEST_SX_SY_mSZ_S12_bEUlT_E_NS1_11comp_targetILNS1_3genE10ELNS1_11target_archE1201ELNS1_3gpuE5ELNS1_3repE0EEENS1_30default_config_static_selectorELNS0_4arch9wavefront6targetE0EEEvSW_
    .private_segment_fixed_size: 0
    .sgpr_count:     0
    .sgpr_spill_count: 0
    .symbol:         _ZN7rocprim17ROCPRIM_400000_NS6detail17trampoline_kernelINS0_14default_configENS1_29binary_search_config_selectorIfiEEZNS1_14transform_implILb0ES3_S5_N6thrust23THRUST_200600_302600_NS6detail15normal_iteratorINS8_7pointerIfNS8_11hip_rocprim5par_tENS8_11use_defaultESE_EEEENSA_INSB_IiSD_SE_SE_EEEEZNS1_13binary_searchIS3_S5_PfSG_SI_NS1_16binary_search_opENS9_16wrapped_functionINS8_6system6detail7generic6detail18binary_search_lessEbEEEE10hipError_tPvRmT1_T2_T3_mmT4_T5_P12ihipStream_tbEUlRKfE_EEST_SX_SY_mSZ_S12_bEUlT_E_NS1_11comp_targetILNS1_3genE10ELNS1_11target_archE1201ELNS1_3gpuE5ELNS1_3repE0EEENS1_30default_config_static_selectorELNS0_4arch9wavefront6targetE0EEEvSW_.kd
    .uniform_work_group_size: 1
    .uses_dynamic_stack: false
    .vgpr_count:     0
    .vgpr_spill_count: 0
    .wavefront_size: 32
    .workgroup_processor_mode: 1
  - .args:
      - .offset:         0
        .size:           56
        .value_kind:     by_value
    .group_segment_fixed_size: 0
    .kernarg_segment_align: 8
    .kernarg_segment_size: 56
    .language:       OpenCL C
    .language_version:
      - 2
      - 0
    .max_flat_workgroup_size: 128
    .name:           _ZN7rocprim17ROCPRIM_400000_NS6detail17trampoline_kernelINS0_14default_configENS1_29binary_search_config_selectorIfiEEZNS1_14transform_implILb0ES3_S5_N6thrust23THRUST_200600_302600_NS6detail15normal_iteratorINS8_7pointerIfNS8_11hip_rocprim5par_tENS8_11use_defaultESE_EEEENSA_INSB_IiSD_SE_SE_EEEEZNS1_13binary_searchIS3_S5_PfSG_SI_NS1_16binary_search_opENS9_16wrapped_functionINS8_6system6detail7generic6detail18binary_search_lessEbEEEE10hipError_tPvRmT1_T2_T3_mmT4_T5_P12ihipStream_tbEUlRKfE_EEST_SX_SY_mSZ_S12_bEUlT_E_NS1_11comp_targetILNS1_3genE10ELNS1_11target_archE1200ELNS1_3gpuE4ELNS1_3repE0EEENS1_30default_config_static_selectorELNS0_4arch9wavefront6targetE0EEEvSW_
    .private_segment_fixed_size: 0
    .sgpr_count:     0
    .sgpr_spill_count: 0
    .symbol:         _ZN7rocprim17ROCPRIM_400000_NS6detail17trampoline_kernelINS0_14default_configENS1_29binary_search_config_selectorIfiEEZNS1_14transform_implILb0ES3_S5_N6thrust23THRUST_200600_302600_NS6detail15normal_iteratorINS8_7pointerIfNS8_11hip_rocprim5par_tENS8_11use_defaultESE_EEEENSA_INSB_IiSD_SE_SE_EEEEZNS1_13binary_searchIS3_S5_PfSG_SI_NS1_16binary_search_opENS9_16wrapped_functionINS8_6system6detail7generic6detail18binary_search_lessEbEEEE10hipError_tPvRmT1_T2_T3_mmT4_T5_P12ihipStream_tbEUlRKfE_EEST_SX_SY_mSZ_S12_bEUlT_E_NS1_11comp_targetILNS1_3genE10ELNS1_11target_archE1200ELNS1_3gpuE4ELNS1_3repE0EEENS1_30default_config_static_selectorELNS0_4arch9wavefront6targetE0EEEvSW_.kd
    .uniform_work_group_size: 1
    .uses_dynamic_stack: false
    .vgpr_count:     0
    .vgpr_spill_count: 0
    .wavefront_size: 32
    .workgroup_processor_mode: 1
  - .args:
      - .offset:         0
        .size:           56
        .value_kind:     by_value
    .group_segment_fixed_size: 0
    .kernarg_segment_align: 8
    .kernarg_segment_size: 56
    .language:       OpenCL C
    .language_version:
      - 2
      - 0
    .max_flat_workgroup_size: 256
    .name:           _ZN7rocprim17ROCPRIM_400000_NS6detail17trampoline_kernelINS0_14default_configENS1_29binary_search_config_selectorIfiEEZNS1_14transform_implILb0ES3_S5_N6thrust23THRUST_200600_302600_NS6detail15normal_iteratorINS8_7pointerIfNS8_11hip_rocprim5par_tENS8_11use_defaultESE_EEEENSA_INSB_IiSD_SE_SE_EEEEZNS1_13binary_searchIS3_S5_PfSG_SI_NS1_16binary_search_opENS9_16wrapped_functionINS8_6system6detail7generic6detail18binary_search_lessEbEEEE10hipError_tPvRmT1_T2_T3_mmT4_T5_P12ihipStream_tbEUlRKfE_EEST_SX_SY_mSZ_S12_bEUlT_E_NS1_11comp_targetILNS1_3genE9ELNS1_11target_archE1100ELNS1_3gpuE3ELNS1_3repE0EEENS1_30default_config_static_selectorELNS0_4arch9wavefront6targetE0EEEvSW_
    .private_segment_fixed_size: 0
    .sgpr_count:     0
    .sgpr_spill_count: 0
    .symbol:         _ZN7rocprim17ROCPRIM_400000_NS6detail17trampoline_kernelINS0_14default_configENS1_29binary_search_config_selectorIfiEEZNS1_14transform_implILb0ES3_S5_N6thrust23THRUST_200600_302600_NS6detail15normal_iteratorINS8_7pointerIfNS8_11hip_rocprim5par_tENS8_11use_defaultESE_EEEENSA_INSB_IiSD_SE_SE_EEEEZNS1_13binary_searchIS3_S5_PfSG_SI_NS1_16binary_search_opENS9_16wrapped_functionINS8_6system6detail7generic6detail18binary_search_lessEbEEEE10hipError_tPvRmT1_T2_T3_mmT4_T5_P12ihipStream_tbEUlRKfE_EEST_SX_SY_mSZ_S12_bEUlT_E_NS1_11comp_targetILNS1_3genE9ELNS1_11target_archE1100ELNS1_3gpuE3ELNS1_3repE0EEENS1_30default_config_static_selectorELNS0_4arch9wavefront6targetE0EEEvSW_.kd
    .uniform_work_group_size: 1
    .uses_dynamic_stack: false
    .vgpr_count:     0
    .vgpr_spill_count: 0
    .wavefront_size: 32
    .workgroup_processor_mode: 1
  - .args:
      - .offset:         0
        .size:           56
        .value_kind:     by_value
      - .offset:         56
        .size:           4
        .value_kind:     hidden_block_count_x
      - .offset:         60
        .size:           4
        .value_kind:     hidden_block_count_y
      - .offset:         64
        .size:           4
        .value_kind:     hidden_block_count_z
      - .offset:         68
        .size:           2
        .value_kind:     hidden_group_size_x
      - .offset:         70
        .size:           2
        .value_kind:     hidden_group_size_y
      - .offset:         72
        .size:           2
        .value_kind:     hidden_group_size_z
      - .offset:         74
        .size:           2
        .value_kind:     hidden_remainder_x
      - .offset:         76
        .size:           2
        .value_kind:     hidden_remainder_y
      - .offset:         78
        .size:           2
        .value_kind:     hidden_remainder_z
      - .offset:         96
        .size:           8
        .value_kind:     hidden_global_offset_x
      - .offset:         104
        .size:           8
        .value_kind:     hidden_global_offset_y
      - .offset:         112
        .size:           8
        .value_kind:     hidden_global_offset_z
      - .offset:         120
        .size:           2
        .value_kind:     hidden_grid_dims
    .group_segment_fixed_size: 0
    .kernarg_segment_align: 8
    .kernarg_segment_size: 312
    .language:       OpenCL C
    .language_version:
      - 2
      - 0
    .max_flat_workgroup_size: 256
    .name:           _ZN7rocprim17ROCPRIM_400000_NS6detail17trampoline_kernelINS0_14default_configENS1_29binary_search_config_selectorIfiEEZNS1_14transform_implILb0ES3_S5_N6thrust23THRUST_200600_302600_NS6detail15normal_iteratorINS8_7pointerIfNS8_11hip_rocprim5par_tENS8_11use_defaultESE_EEEENSA_INSB_IiSD_SE_SE_EEEEZNS1_13binary_searchIS3_S5_PfSG_SI_NS1_16binary_search_opENS9_16wrapped_functionINS8_6system6detail7generic6detail18binary_search_lessEbEEEE10hipError_tPvRmT1_T2_T3_mmT4_T5_P12ihipStream_tbEUlRKfE_EEST_SX_SY_mSZ_S12_bEUlT_E_NS1_11comp_targetILNS1_3genE8ELNS1_11target_archE1030ELNS1_3gpuE2ELNS1_3repE0EEENS1_30default_config_static_selectorELNS0_4arch9wavefront6targetE0EEEvSW_
    .private_segment_fixed_size: 0
    .sgpr_count:     22
    .sgpr_spill_count: 0
    .symbol:         _ZN7rocprim17ROCPRIM_400000_NS6detail17trampoline_kernelINS0_14default_configENS1_29binary_search_config_selectorIfiEEZNS1_14transform_implILb0ES3_S5_N6thrust23THRUST_200600_302600_NS6detail15normal_iteratorINS8_7pointerIfNS8_11hip_rocprim5par_tENS8_11use_defaultESE_EEEENSA_INSB_IiSD_SE_SE_EEEEZNS1_13binary_searchIS3_S5_PfSG_SI_NS1_16binary_search_opENS9_16wrapped_functionINS8_6system6detail7generic6detail18binary_search_lessEbEEEE10hipError_tPvRmT1_T2_T3_mmT4_T5_P12ihipStream_tbEUlRKfE_EEST_SX_SY_mSZ_S12_bEUlT_E_NS1_11comp_targetILNS1_3genE8ELNS1_11target_archE1030ELNS1_3gpuE2ELNS1_3repE0EEENS1_30default_config_static_selectorELNS0_4arch9wavefront6targetE0EEEvSW_.kd
    .uniform_work_group_size: 1
    .uses_dynamic_stack: false
    .vgpr_count:     12
    .vgpr_spill_count: 0
    .wavefront_size: 32
    .workgroup_processor_mode: 1
  - .args:
      - .offset:         0
        .size:           8
        .value_kind:     by_value
      - .address_space:  global
        .offset:         8
        .size:           8
        .value_kind:     global_buffer
      - .address_space:  global
        .offset:         16
        .size:           8
        .value_kind:     global_buffer
    .group_segment_fixed_size: 0
    .kernarg_segment_align: 8
    .kernarg_segment_size: 24
    .language:       OpenCL C
    .language_version:
      - 2
      - 0
    .max_flat_workgroup_size: 256
    .name:           _Z20binary_search_kernelIyEvmPT_Pb
    .private_segment_fixed_size: 0
    .sgpr_count:     20
    .sgpr_spill_count: 0
    .symbol:         _Z20binary_search_kernelIyEvmPT_Pb.kd
    .uniform_work_group_size: 1
    .uses_dynamic_stack: false
    .vgpr_count:     2
    .vgpr_spill_count: 0
    .wavefront_size: 32
    .workgroup_processor_mode: 1
  - .args:
      - .offset:         0
        .size:           56
        .value_kind:     by_value
    .group_segment_fixed_size: 0
    .kernarg_segment_align: 8
    .kernarg_segment_size: 56
    .language:       OpenCL C
    .language_version:
      - 2
      - 0
    .max_flat_workgroup_size: 256
    .name:           _ZN7rocprim17ROCPRIM_400000_NS6detail17trampoline_kernelINS0_14default_configENS1_29binary_search_config_selectorIyiEEZNS1_14transform_implILb0ES3_S5_N6thrust23THRUST_200600_302600_NS6detail15normal_iteratorINS8_7pointerIyNS8_11hip_rocprim5par_tENS8_11use_defaultESE_EEEENSA_INSB_IiSD_SE_SE_EEEEZNS1_13binary_searchIS3_S5_PySG_SI_NS1_16binary_search_opENS9_16wrapped_functionINS8_6system6detail7generic6detail18binary_search_lessEbEEEE10hipError_tPvRmT1_T2_T3_mmT4_T5_P12ihipStream_tbEUlRKyE_EEST_SX_SY_mSZ_S12_bEUlT_E_NS1_11comp_targetILNS1_3genE0ELNS1_11target_archE4294967295ELNS1_3gpuE0ELNS1_3repE0EEENS1_30default_config_static_selectorELNS0_4arch9wavefront6targetE0EEEvSW_
    .private_segment_fixed_size: 0
    .sgpr_count:     0
    .sgpr_spill_count: 0
    .symbol:         _ZN7rocprim17ROCPRIM_400000_NS6detail17trampoline_kernelINS0_14default_configENS1_29binary_search_config_selectorIyiEEZNS1_14transform_implILb0ES3_S5_N6thrust23THRUST_200600_302600_NS6detail15normal_iteratorINS8_7pointerIyNS8_11hip_rocprim5par_tENS8_11use_defaultESE_EEEENSA_INSB_IiSD_SE_SE_EEEEZNS1_13binary_searchIS3_S5_PySG_SI_NS1_16binary_search_opENS9_16wrapped_functionINS8_6system6detail7generic6detail18binary_search_lessEbEEEE10hipError_tPvRmT1_T2_T3_mmT4_T5_P12ihipStream_tbEUlRKyE_EEST_SX_SY_mSZ_S12_bEUlT_E_NS1_11comp_targetILNS1_3genE0ELNS1_11target_archE4294967295ELNS1_3gpuE0ELNS1_3repE0EEENS1_30default_config_static_selectorELNS0_4arch9wavefront6targetE0EEEvSW_.kd
    .uniform_work_group_size: 1
    .uses_dynamic_stack: false
    .vgpr_count:     0
    .vgpr_spill_count: 0
    .wavefront_size: 32
    .workgroup_processor_mode: 1
  - .args:
      - .offset:         0
        .size:           56
        .value_kind:     by_value
    .group_segment_fixed_size: 0
    .kernarg_segment_align: 8
    .kernarg_segment_size: 56
    .language:       OpenCL C
    .language_version:
      - 2
      - 0
    .max_flat_workgroup_size: 64
    .name:           _ZN7rocprim17ROCPRIM_400000_NS6detail17trampoline_kernelINS0_14default_configENS1_29binary_search_config_selectorIyiEEZNS1_14transform_implILb0ES3_S5_N6thrust23THRUST_200600_302600_NS6detail15normal_iteratorINS8_7pointerIyNS8_11hip_rocprim5par_tENS8_11use_defaultESE_EEEENSA_INSB_IiSD_SE_SE_EEEEZNS1_13binary_searchIS3_S5_PySG_SI_NS1_16binary_search_opENS9_16wrapped_functionINS8_6system6detail7generic6detail18binary_search_lessEbEEEE10hipError_tPvRmT1_T2_T3_mmT4_T5_P12ihipStream_tbEUlRKyE_EEST_SX_SY_mSZ_S12_bEUlT_E_NS1_11comp_targetILNS1_3genE5ELNS1_11target_archE942ELNS1_3gpuE9ELNS1_3repE0EEENS1_30default_config_static_selectorELNS0_4arch9wavefront6targetE0EEEvSW_
    .private_segment_fixed_size: 0
    .sgpr_count:     0
    .sgpr_spill_count: 0
    .symbol:         _ZN7rocprim17ROCPRIM_400000_NS6detail17trampoline_kernelINS0_14default_configENS1_29binary_search_config_selectorIyiEEZNS1_14transform_implILb0ES3_S5_N6thrust23THRUST_200600_302600_NS6detail15normal_iteratorINS8_7pointerIyNS8_11hip_rocprim5par_tENS8_11use_defaultESE_EEEENSA_INSB_IiSD_SE_SE_EEEEZNS1_13binary_searchIS3_S5_PySG_SI_NS1_16binary_search_opENS9_16wrapped_functionINS8_6system6detail7generic6detail18binary_search_lessEbEEEE10hipError_tPvRmT1_T2_T3_mmT4_T5_P12ihipStream_tbEUlRKyE_EEST_SX_SY_mSZ_S12_bEUlT_E_NS1_11comp_targetILNS1_3genE5ELNS1_11target_archE942ELNS1_3gpuE9ELNS1_3repE0EEENS1_30default_config_static_selectorELNS0_4arch9wavefront6targetE0EEEvSW_.kd
    .uniform_work_group_size: 1
    .uses_dynamic_stack: false
    .vgpr_count:     0
    .vgpr_spill_count: 0
    .wavefront_size: 32
    .workgroup_processor_mode: 1
  - .args:
      - .offset:         0
        .size:           56
        .value_kind:     by_value
    .group_segment_fixed_size: 0
    .kernarg_segment_align: 8
    .kernarg_segment_size: 56
    .language:       OpenCL C
    .language_version:
      - 2
      - 0
    .max_flat_workgroup_size: 64
    .name:           _ZN7rocprim17ROCPRIM_400000_NS6detail17trampoline_kernelINS0_14default_configENS1_29binary_search_config_selectorIyiEEZNS1_14transform_implILb0ES3_S5_N6thrust23THRUST_200600_302600_NS6detail15normal_iteratorINS8_7pointerIyNS8_11hip_rocprim5par_tENS8_11use_defaultESE_EEEENSA_INSB_IiSD_SE_SE_EEEEZNS1_13binary_searchIS3_S5_PySG_SI_NS1_16binary_search_opENS9_16wrapped_functionINS8_6system6detail7generic6detail18binary_search_lessEbEEEE10hipError_tPvRmT1_T2_T3_mmT4_T5_P12ihipStream_tbEUlRKyE_EEST_SX_SY_mSZ_S12_bEUlT_E_NS1_11comp_targetILNS1_3genE4ELNS1_11target_archE910ELNS1_3gpuE8ELNS1_3repE0EEENS1_30default_config_static_selectorELNS0_4arch9wavefront6targetE0EEEvSW_
    .private_segment_fixed_size: 0
    .sgpr_count:     0
    .sgpr_spill_count: 0
    .symbol:         _ZN7rocprim17ROCPRIM_400000_NS6detail17trampoline_kernelINS0_14default_configENS1_29binary_search_config_selectorIyiEEZNS1_14transform_implILb0ES3_S5_N6thrust23THRUST_200600_302600_NS6detail15normal_iteratorINS8_7pointerIyNS8_11hip_rocprim5par_tENS8_11use_defaultESE_EEEENSA_INSB_IiSD_SE_SE_EEEEZNS1_13binary_searchIS3_S5_PySG_SI_NS1_16binary_search_opENS9_16wrapped_functionINS8_6system6detail7generic6detail18binary_search_lessEbEEEE10hipError_tPvRmT1_T2_T3_mmT4_T5_P12ihipStream_tbEUlRKyE_EEST_SX_SY_mSZ_S12_bEUlT_E_NS1_11comp_targetILNS1_3genE4ELNS1_11target_archE910ELNS1_3gpuE8ELNS1_3repE0EEENS1_30default_config_static_selectorELNS0_4arch9wavefront6targetE0EEEvSW_.kd
    .uniform_work_group_size: 1
    .uses_dynamic_stack: false
    .vgpr_count:     0
    .vgpr_spill_count: 0
    .wavefront_size: 32
    .workgroup_processor_mode: 1
  - .args:
      - .offset:         0
        .size:           56
        .value_kind:     by_value
    .group_segment_fixed_size: 0
    .kernarg_segment_align: 8
    .kernarg_segment_size: 56
    .language:       OpenCL C
    .language_version:
      - 2
      - 0
    .max_flat_workgroup_size: 256
    .name:           _ZN7rocprim17ROCPRIM_400000_NS6detail17trampoline_kernelINS0_14default_configENS1_29binary_search_config_selectorIyiEEZNS1_14transform_implILb0ES3_S5_N6thrust23THRUST_200600_302600_NS6detail15normal_iteratorINS8_7pointerIyNS8_11hip_rocprim5par_tENS8_11use_defaultESE_EEEENSA_INSB_IiSD_SE_SE_EEEEZNS1_13binary_searchIS3_S5_PySG_SI_NS1_16binary_search_opENS9_16wrapped_functionINS8_6system6detail7generic6detail18binary_search_lessEbEEEE10hipError_tPvRmT1_T2_T3_mmT4_T5_P12ihipStream_tbEUlRKyE_EEST_SX_SY_mSZ_S12_bEUlT_E_NS1_11comp_targetILNS1_3genE3ELNS1_11target_archE908ELNS1_3gpuE7ELNS1_3repE0EEENS1_30default_config_static_selectorELNS0_4arch9wavefront6targetE0EEEvSW_
    .private_segment_fixed_size: 0
    .sgpr_count:     0
    .sgpr_spill_count: 0
    .symbol:         _ZN7rocprim17ROCPRIM_400000_NS6detail17trampoline_kernelINS0_14default_configENS1_29binary_search_config_selectorIyiEEZNS1_14transform_implILb0ES3_S5_N6thrust23THRUST_200600_302600_NS6detail15normal_iteratorINS8_7pointerIyNS8_11hip_rocprim5par_tENS8_11use_defaultESE_EEEENSA_INSB_IiSD_SE_SE_EEEEZNS1_13binary_searchIS3_S5_PySG_SI_NS1_16binary_search_opENS9_16wrapped_functionINS8_6system6detail7generic6detail18binary_search_lessEbEEEE10hipError_tPvRmT1_T2_T3_mmT4_T5_P12ihipStream_tbEUlRKyE_EEST_SX_SY_mSZ_S12_bEUlT_E_NS1_11comp_targetILNS1_3genE3ELNS1_11target_archE908ELNS1_3gpuE7ELNS1_3repE0EEENS1_30default_config_static_selectorELNS0_4arch9wavefront6targetE0EEEvSW_.kd
    .uniform_work_group_size: 1
    .uses_dynamic_stack: false
    .vgpr_count:     0
    .vgpr_spill_count: 0
    .wavefront_size: 32
    .workgroup_processor_mode: 1
  - .args:
      - .offset:         0
        .size:           56
        .value_kind:     by_value
    .group_segment_fixed_size: 0
    .kernarg_segment_align: 8
    .kernarg_segment_size: 56
    .language:       OpenCL C
    .language_version:
      - 2
      - 0
    .max_flat_workgroup_size: 256
    .name:           _ZN7rocprim17ROCPRIM_400000_NS6detail17trampoline_kernelINS0_14default_configENS1_29binary_search_config_selectorIyiEEZNS1_14transform_implILb0ES3_S5_N6thrust23THRUST_200600_302600_NS6detail15normal_iteratorINS8_7pointerIyNS8_11hip_rocprim5par_tENS8_11use_defaultESE_EEEENSA_INSB_IiSD_SE_SE_EEEEZNS1_13binary_searchIS3_S5_PySG_SI_NS1_16binary_search_opENS9_16wrapped_functionINS8_6system6detail7generic6detail18binary_search_lessEbEEEE10hipError_tPvRmT1_T2_T3_mmT4_T5_P12ihipStream_tbEUlRKyE_EEST_SX_SY_mSZ_S12_bEUlT_E_NS1_11comp_targetILNS1_3genE2ELNS1_11target_archE906ELNS1_3gpuE6ELNS1_3repE0EEENS1_30default_config_static_selectorELNS0_4arch9wavefront6targetE0EEEvSW_
    .private_segment_fixed_size: 0
    .sgpr_count:     0
    .sgpr_spill_count: 0
    .symbol:         _ZN7rocprim17ROCPRIM_400000_NS6detail17trampoline_kernelINS0_14default_configENS1_29binary_search_config_selectorIyiEEZNS1_14transform_implILb0ES3_S5_N6thrust23THRUST_200600_302600_NS6detail15normal_iteratorINS8_7pointerIyNS8_11hip_rocprim5par_tENS8_11use_defaultESE_EEEENSA_INSB_IiSD_SE_SE_EEEEZNS1_13binary_searchIS3_S5_PySG_SI_NS1_16binary_search_opENS9_16wrapped_functionINS8_6system6detail7generic6detail18binary_search_lessEbEEEE10hipError_tPvRmT1_T2_T3_mmT4_T5_P12ihipStream_tbEUlRKyE_EEST_SX_SY_mSZ_S12_bEUlT_E_NS1_11comp_targetILNS1_3genE2ELNS1_11target_archE906ELNS1_3gpuE6ELNS1_3repE0EEENS1_30default_config_static_selectorELNS0_4arch9wavefront6targetE0EEEvSW_.kd
    .uniform_work_group_size: 1
    .uses_dynamic_stack: false
    .vgpr_count:     0
    .vgpr_spill_count: 0
    .wavefront_size: 32
    .workgroup_processor_mode: 1
  - .args:
      - .offset:         0
        .size:           56
        .value_kind:     by_value
    .group_segment_fixed_size: 0
    .kernarg_segment_align: 8
    .kernarg_segment_size: 56
    .language:       OpenCL C
    .language_version:
      - 2
      - 0
    .max_flat_workgroup_size: 128
    .name:           _ZN7rocprim17ROCPRIM_400000_NS6detail17trampoline_kernelINS0_14default_configENS1_29binary_search_config_selectorIyiEEZNS1_14transform_implILb0ES3_S5_N6thrust23THRUST_200600_302600_NS6detail15normal_iteratorINS8_7pointerIyNS8_11hip_rocprim5par_tENS8_11use_defaultESE_EEEENSA_INSB_IiSD_SE_SE_EEEEZNS1_13binary_searchIS3_S5_PySG_SI_NS1_16binary_search_opENS9_16wrapped_functionINS8_6system6detail7generic6detail18binary_search_lessEbEEEE10hipError_tPvRmT1_T2_T3_mmT4_T5_P12ihipStream_tbEUlRKyE_EEST_SX_SY_mSZ_S12_bEUlT_E_NS1_11comp_targetILNS1_3genE10ELNS1_11target_archE1201ELNS1_3gpuE5ELNS1_3repE0EEENS1_30default_config_static_selectorELNS0_4arch9wavefront6targetE0EEEvSW_
    .private_segment_fixed_size: 0
    .sgpr_count:     0
    .sgpr_spill_count: 0
    .symbol:         _ZN7rocprim17ROCPRIM_400000_NS6detail17trampoline_kernelINS0_14default_configENS1_29binary_search_config_selectorIyiEEZNS1_14transform_implILb0ES3_S5_N6thrust23THRUST_200600_302600_NS6detail15normal_iteratorINS8_7pointerIyNS8_11hip_rocprim5par_tENS8_11use_defaultESE_EEEENSA_INSB_IiSD_SE_SE_EEEEZNS1_13binary_searchIS3_S5_PySG_SI_NS1_16binary_search_opENS9_16wrapped_functionINS8_6system6detail7generic6detail18binary_search_lessEbEEEE10hipError_tPvRmT1_T2_T3_mmT4_T5_P12ihipStream_tbEUlRKyE_EEST_SX_SY_mSZ_S12_bEUlT_E_NS1_11comp_targetILNS1_3genE10ELNS1_11target_archE1201ELNS1_3gpuE5ELNS1_3repE0EEENS1_30default_config_static_selectorELNS0_4arch9wavefront6targetE0EEEvSW_.kd
    .uniform_work_group_size: 1
    .uses_dynamic_stack: false
    .vgpr_count:     0
    .vgpr_spill_count: 0
    .wavefront_size: 32
    .workgroup_processor_mode: 1
  - .args:
      - .offset:         0
        .size:           56
        .value_kind:     by_value
    .group_segment_fixed_size: 0
    .kernarg_segment_align: 8
    .kernarg_segment_size: 56
    .language:       OpenCL C
    .language_version:
      - 2
      - 0
    .max_flat_workgroup_size: 128
    .name:           _ZN7rocprim17ROCPRIM_400000_NS6detail17trampoline_kernelINS0_14default_configENS1_29binary_search_config_selectorIyiEEZNS1_14transform_implILb0ES3_S5_N6thrust23THRUST_200600_302600_NS6detail15normal_iteratorINS8_7pointerIyNS8_11hip_rocprim5par_tENS8_11use_defaultESE_EEEENSA_INSB_IiSD_SE_SE_EEEEZNS1_13binary_searchIS3_S5_PySG_SI_NS1_16binary_search_opENS9_16wrapped_functionINS8_6system6detail7generic6detail18binary_search_lessEbEEEE10hipError_tPvRmT1_T2_T3_mmT4_T5_P12ihipStream_tbEUlRKyE_EEST_SX_SY_mSZ_S12_bEUlT_E_NS1_11comp_targetILNS1_3genE10ELNS1_11target_archE1200ELNS1_3gpuE4ELNS1_3repE0EEENS1_30default_config_static_selectorELNS0_4arch9wavefront6targetE0EEEvSW_
    .private_segment_fixed_size: 0
    .sgpr_count:     0
    .sgpr_spill_count: 0
    .symbol:         _ZN7rocprim17ROCPRIM_400000_NS6detail17trampoline_kernelINS0_14default_configENS1_29binary_search_config_selectorIyiEEZNS1_14transform_implILb0ES3_S5_N6thrust23THRUST_200600_302600_NS6detail15normal_iteratorINS8_7pointerIyNS8_11hip_rocprim5par_tENS8_11use_defaultESE_EEEENSA_INSB_IiSD_SE_SE_EEEEZNS1_13binary_searchIS3_S5_PySG_SI_NS1_16binary_search_opENS9_16wrapped_functionINS8_6system6detail7generic6detail18binary_search_lessEbEEEE10hipError_tPvRmT1_T2_T3_mmT4_T5_P12ihipStream_tbEUlRKyE_EEST_SX_SY_mSZ_S12_bEUlT_E_NS1_11comp_targetILNS1_3genE10ELNS1_11target_archE1200ELNS1_3gpuE4ELNS1_3repE0EEENS1_30default_config_static_selectorELNS0_4arch9wavefront6targetE0EEEvSW_.kd
    .uniform_work_group_size: 1
    .uses_dynamic_stack: false
    .vgpr_count:     0
    .vgpr_spill_count: 0
    .wavefront_size: 32
    .workgroup_processor_mode: 1
  - .args:
      - .offset:         0
        .size:           56
        .value_kind:     by_value
    .group_segment_fixed_size: 0
    .kernarg_segment_align: 8
    .kernarg_segment_size: 56
    .language:       OpenCL C
    .language_version:
      - 2
      - 0
    .max_flat_workgroup_size: 256
    .name:           _ZN7rocprim17ROCPRIM_400000_NS6detail17trampoline_kernelINS0_14default_configENS1_29binary_search_config_selectorIyiEEZNS1_14transform_implILb0ES3_S5_N6thrust23THRUST_200600_302600_NS6detail15normal_iteratorINS8_7pointerIyNS8_11hip_rocprim5par_tENS8_11use_defaultESE_EEEENSA_INSB_IiSD_SE_SE_EEEEZNS1_13binary_searchIS3_S5_PySG_SI_NS1_16binary_search_opENS9_16wrapped_functionINS8_6system6detail7generic6detail18binary_search_lessEbEEEE10hipError_tPvRmT1_T2_T3_mmT4_T5_P12ihipStream_tbEUlRKyE_EEST_SX_SY_mSZ_S12_bEUlT_E_NS1_11comp_targetILNS1_3genE9ELNS1_11target_archE1100ELNS1_3gpuE3ELNS1_3repE0EEENS1_30default_config_static_selectorELNS0_4arch9wavefront6targetE0EEEvSW_
    .private_segment_fixed_size: 0
    .sgpr_count:     0
    .sgpr_spill_count: 0
    .symbol:         _ZN7rocprim17ROCPRIM_400000_NS6detail17trampoline_kernelINS0_14default_configENS1_29binary_search_config_selectorIyiEEZNS1_14transform_implILb0ES3_S5_N6thrust23THRUST_200600_302600_NS6detail15normal_iteratorINS8_7pointerIyNS8_11hip_rocprim5par_tENS8_11use_defaultESE_EEEENSA_INSB_IiSD_SE_SE_EEEEZNS1_13binary_searchIS3_S5_PySG_SI_NS1_16binary_search_opENS9_16wrapped_functionINS8_6system6detail7generic6detail18binary_search_lessEbEEEE10hipError_tPvRmT1_T2_T3_mmT4_T5_P12ihipStream_tbEUlRKyE_EEST_SX_SY_mSZ_S12_bEUlT_E_NS1_11comp_targetILNS1_3genE9ELNS1_11target_archE1100ELNS1_3gpuE3ELNS1_3repE0EEENS1_30default_config_static_selectorELNS0_4arch9wavefront6targetE0EEEvSW_.kd
    .uniform_work_group_size: 1
    .uses_dynamic_stack: false
    .vgpr_count:     0
    .vgpr_spill_count: 0
    .wavefront_size: 32
    .workgroup_processor_mode: 1
  - .args:
      - .offset:         0
        .size:           56
        .value_kind:     by_value
      - .offset:         56
        .size:           4
        .value_kind:     hidden_block_count_x
      - .offset:         60
        .size:           4
        .value_kind:     hidden_block_count_y
      - .offset:         64
        .size:           4
        .value_kind:     hidden_block_count_z
      - .offset:         68
        .size:           2
        .value_kind:     hidden_group_size_x
      - .offset:         70
        .size:           2
        .value_kind:     hidden_group_size_y
      - .offset:         72
        .size:           2
        .value_kind:     hidden_group_size_z
      - .offset:         74
        .size:           2
        .value_kind:     hidden_remainder_x
      - .offset:         76
        .size:           2
        .value_kind:     hidden_remainder_y
      - .offset:         78
        .size:           2
        .value_kind:     hidden_remainder_z
      - .offset:         96
        .size:           8
        .value_kind:     hidden_global_offset_x
      - .offset:         104
        .size:           8
        .value_kind:     hidden_global_offset_y
      - .offset:         112
        .size:           8
        .value_kind:     hidden_global_offset_z
      - .offset:         120
        .size:           2
        .value_kind:     hidden_grid_dims
    .group_segment_fixed_size: 0
    .kernarg_segment_align: 8
    .kernarg_segment_size: 312
    .language:       OpenCL C
    .language_version:
      - 2
      - 0
    .max_flat_workgroup_size: 256
    .name:           _ZN7rocprim17ROCPRIM_400000_NS6detail17trampoline_kernelINS0_14default_configENS1_29binary_search_config_selectorIyiEEZNS1_14transform_implILb0ES3_S5_N6thrust23THRUST_200600_302600_NS6detail15normal_iteratorINS8_7pointerIyNS8_11hip_rocprim5par_tENS8_11use_defaultESE_EEEENSA_INSB_IiSD_SE_SE_EEEEZNS1_13binary_searchIS3_S5_PySG_SI_NS1_16binary_search_opENS9_16wrapped_functionINS8_6system6detail7generic6detail18binary_search_lessEbEEEE10hipError_tPvRmT1_T2_T3_mmT4_T5_P12ihipStream_tbEUlRKyE_EEST_SX_SY_mSZ_S12_bEUlT_E_NS1_11comp_targetILNS1_3genE8ELNS1_11target_archE1030ELNS1_3gpuE2ELNS1_3repE0EEENS1_30default_config_static_selectorELNS0_4arch9wavefront6targetE0EEEvSW_
    .private_segment_fixed_size: 0
    .sgpr_count:     22
    .sgpr_spill_count: 0
    .symbol:         _ZN7rocprim17ROCPRIM_400000_NS6detail17trampoline_kernelINS0_14default_configENS1_29binary_search_config_selectorIyiEEZNS1_14transform_implILb0ES3_S5_N6thrust23THRUST_200600_302600_NS6detail15normal_iteratorINS8_7pointerIyNS8_11hip_rocprim5par_tENS8_11use_defaultESE_EEEENSA_INSB_IiSD_SE_SE_EEEEZNS1_13binary_searchIS3_S5_PySG_SI_NS1_16binary_search_opENS9_16wrapped_functionINS8_6system6detail7generic6detail18binary_search_lessEbEEEE10hipError_tPvRmT1_T2_T3_mmT4_T5_P12ihipStream_tbEUlRKyE_EEST_SX_SY_mSZ_S12_bEUlT_E_NS1_11comp_targetILNS1_3genE8ELNS1_11target_archE1030ELNS1_3gpuE2ELNS1_3repE0EEENS1_30default_config_static_selectorELNS0_4arch9wavefront6targetE0EEEvSW_.kd
    .uniform_work_group_size: 1
    .uses_dynamic_stack: false
    .vgpr_count:     13
    .vgpr_spill_count: 0
    .wavefront_size: 32
    .workgroup_processor_mode: 1
  - .args:
      - .offset:         0
        .size:           8
        .value_kind:     by_value
      - .address_space:  global
        .offset:         8
        .size:           8
        .value_kind:     global_buffer
      - .address_space:  global
        .offset:         16
        .size:           8
        .value_kind:     global_buffer
    .group_segment_fixed_size: 0
    .kernarg_segment_align: 8
    .kernarg_segment_size: 24
    .language:       OpenCL C
    .language_version:
      - 2
      - 0
    .max_flat_workgroup_size: 256
    .name:           _Z20binary_search_kernelIjEvmPT_Pb
    .private_segment_fixed_size: 0
    .sgpr_count:     20
    .sgpr_spill_count: 0
    .symbol:         _Z20binary_search_kernelIjEvmPT_Pb.kd
    .uniform_work_group_size: 1
    .uses_dynamic_stack: false
    .vgpr_count:     2
    .vgpr_spill_count: 0
    .wavefront_size: 32
    .workgroup_processor_mode: 1
  - .args:
      - .offset:         0
        .size:           56
        .value_kind:     by_value
    .group_segment_fixed_size: 0
    .kernarg_segment_align: 8
    .kernarg_segment_size: 56
    .language:       OpenCL C
    .language_version:
      - 2
      - 0
    .max_flat_workgroup_size: 256
    .name:           _ZN7rocprim17ROCPRIM_400000_NS6detail17trampoline_kernelINS0_14default_configENS1_29binary_search_config_selectorIjiEEZNS1_14transform_implILb0ES3_S5_N6thrust23THRUST_200600_302600_NS6detail15normal_iteratorINS8_7pointerIjNS8_11hip_rocprim5par_tENS8_11use_defaultESE_EEEENSA_INSB_IiSD_SE_SE_EEEEZNS1_13binary_searchIS3_S5_PjSG_SI_NS1_16binary_search_opENS9_16wrapped_functionINS8_6system6detail7generic6detail18binary_search_lessEbEEEE10hipError_tPvRmT1_T2_T3_mmT4_T5_P12ihipStream_tbEUlRKjE_EEST_SX_SY_mSZ_S12_bEUlT_E_NS1_11comp_targetILNS1_3genE0ELNS1_11target_archE4294967295ELNS1_3gpuE0ELNS1_3repE0EEENS1_30default_config_static_selectorELNS0_4arch9wavefront6targetE0EEEvSW_
    .private_segment_fixed_size: 0
    .sgpr_count:     0
    .sgpr_spill_count: 0
    .symbol:         _ZN7rocprim17ROCPRIM_400000_NS6detail17trampoline_kernelINS0_14default_configENS1_29binary_search_config_selectorIjiEEZNS1_14transform_implILb0ES3_S5_N6thrust23THRUST_200600_302600_NS6detail15normal_iteratorINS8_7pointerIjNS8_11hip_rocprim5par_tENS8_11use_defaultESE_EEEENSA_INSB_IiSD_SE_SE_EEEEZNS1_13binary_searchIS3_S5_PjSG_SI_NS1_16binary_search_opENS9_16wrapped_functionINS8_6system6detail7generic6detail18binary_search_lessEbEEEE10hipError_tPvRmT1_T2_T3_mmT4_T5_P12ihipStream_tbEUlRKjE_EEST_SX_SY_mSZ_S12_bEUlT_E_NS1_11comp_targetILNS1_3genE0ELNS1_11target_archE4294967295ELNS1_3gpuE0ELNS1_3repE0EEENS1_30default_config_static_selectorELNS0_4arch9wavefront6targetE0EEEvSW_.kd
    .uniform_work_group_size: 1
    .uses_dynamic_stack: false
    .vgpr_count:     0
    .vgpr_spill_count: 0
    .wavefront_size: 32
    .workgroup_processor_mode: 1
  - .args:
      - .offset:         0
        .size:           56
        .value_kind:     by_value
    .group_segment_fixed_size: 0
    .kernarg_segment_align: 8
    .kernarg_segment_size: 56
    .language:       OpenCL C
    .language_version:
      - 2
      - 0
    .max_flat_workgroup_size: 256
    .name:           _ZN7rocprim17ROCPRIM_400000_NS6detail17trampoline_kernelINS0_14default_configENS1_29binary_search_config_selectorIjiEEZNS1_14transform_implILb0ES3_S5_N6thrust23THRUST_200600_302600_NS6detail15normal_iteratorINS8_7pointerIjNS8_11hip_rocprim5par_tENS8_11use_defaultESE_EEEENSA_INSB_IiSD_SE_SE_EEEEZNS1_13binary_searchIS3_S5_PjSG_SI_NS1_16binary_search_opENS9_16wrapped_functionINS8_6system6detail7generic6detail18binary_search_lessEbEEEE10hipError_tPvRmT1_T2_T3_mmT4_T5_P12ihipStream_tbEUlRKjE_EEST_SX_SY_mSZ_S12_bEUlT_E_NS1_11comp_targetILNS1_3genE5ELNS1_11target_archE942ELNS1_3gpuE9ELNS1_3repE0EEENS1_30default_config_static_selectorELNS0_4arch9wavefront6targetE0EEEvSW_
    .private_segment_fixed_size: 0
    .sgpr_count:     0
    .sgpr_spill_count: 0
    .symbol:         _ZN7rocprim17ROCPRIM_400000_NS6detail17trampoline_kernelINS0_14default_configENS1_29binary_search_config_selectorIjiEEZNS1_14transform_implILb0ES3_S5_N6thrust23THRUST_200600_302600_NS6detail15normal_iteratorINS8_7pointerIjNS8_11hip_rocprim5par_tENS8_11use_defaultESE_EEEENSA_INSB_IiSD_SE_SE_EEEEZNS1_13binary_searchIS3_S5_PjSG_SI_NS1_16binary_search_opENS9_16wrapped_functionINS8_6system6detail7generic6detail18binary_search_lessEbEEEE10hipError_tPvRmT1_T2_T3_mmT4_T5_P12ihipStream_tbEUlRKjE_EEST_SX_SY_mSZ_S12_bEUlT_E_NS1_11comp_targetILNS1_3genE5ELNS1_11target_archE942ELNS1_3gpuE9ELNS1_3repE0EEENS1_30default_config_static_selectorELNS0_4arch9wavefront6targetE0EEEvSW_.kd
    .uniform_work_group_size: 1
    .uses_dynamic_stack: false
    .vgpr_count:     0
    .vgpr_spill_count: 0
    .wavefront_size: 32
    .workgroup_processor_mode: 1
  - .args:
      - .offset:         0
        .size:           56
        .value_kind:     by_value
    .group_segment_fixed_size: 0
    .kernarg_segment_align: 8
    .kernarg_segment_size: 56
    .language:       OpenCL C
    .language_version:
      - 2
      - 0
    .max_flat_workgroup_size: 256
    .name:           _ZN7rocprim17ROCPRIM_400000_NS6detail17trampoline_kernelINS0_14default_configENS1_29binary_search_config_selectorIjiEEZNS1_14transform_implILb0ES3_S5_N6thrust23THRUST_200600_302600_NS6detail15normal_iteratorINS8_7pointerIjNS8_11hip_rocprim5par_tENS8_11use_defaultESE_EEEENSA_INSB_IiSD_SE_SE_EEEEZNS1_13binary_searchIS3_S5_PjSG_SI_NS1_16binary_search_opENS9_16wrapped_functionINS8_6system6detail7generic6detail18binary_search_lessEbEEEE10hipError_tPvRmT1_T2_T3_mmT4_T5_P12ihipStream_tbEUlRKjE_EEST_SX_SY_mSZ_S12_bEUlT_E_NS1_11comp_targetILNS1_3genE4ELNS1_11target_archE910ELNS1_3gpuE8ELNS1_3repE0EEENS1_30default_config_static_selectorELNS0_4arch9wavefront6targetE0EEEvSW_
    .private_segment_fixed_size: 0
    .sgpr_count:     0
    .sgpr_spill_count: 0
    .symbol:         _ZN7rocprim17ROCPRIM_400000_NS6detail17trampoline_kernelINS0_14default_configENS1_29binary_search_config_selectorIjiEEZNS1_14transform_implILb0ES3_S5_N6thrust23THRUST_200600_302600_NS6detail15normal_iteratorINS8_7pointerIjNS8_11hip_rocprim5par_tENS8_11use_defaultESE_EEEENSA_INSB_IiSD_SE_SE_EEEEZNS1_13binary_searchIS3_S5_PjSG_SI_NS1_16binary_search_opENS9_16wrapped_functionINS8_6system6detail7generic6detail18binary_search_lessEbEEEE10hipError_tPvRmT1_T2_T3_mmT4_T5_P12ihipStream_tbEUlRKjE_EEST_SX_SY_mSZ_S12_bEUlT_E_NS1_11comp_targetILNS1_3genE4ELNS1_11target_archE910ELNS1_3gpuE8ELNS1_3repE0EEENS1_30default_config_static_selectorELNS0_4arch9wavefront6targetE0EEEvSW_.kd
    .uniform_work_group_size: 1
    .uses_dynamic_stack: false
    .vgpr_count:     0
    .vgpr_spill_count: 0
    .wavefront_size: 32
    .workgroup_processor_mode: 1
  - .args:
      - .offset:         0
        .size:           56
        .value_kind:     by_value
    .group_segment_fixed_size: 0
    .kernarg_segment_align: 8
    .kernarg_segment_size: 56
    .language:       OpenCL C
    .language_version:
      - 2
      - 0
    .max_flat_workgroup_size: 256
    .name:           _ZN7rocprim17ROCPRIM_400000_NS6detail17trampoline_kernelINS0_14default_configENS1_29binary_search_config_selectorIjiEEZNS1_14transform_implILb0ES3_S5_N6thrust23THRUST_200600_302600_NS6detail15normal_iteratorINS8_7pointerIjNS8_11hip_rocprim5par_tENS8_11use_defaultESE_EEEENSA_INSB_IiSD_SE_SE_EEEEZNS1_13binary_searchIS3_S5_PjSG_SI_NS1_16binary_search_opENS9_16wrapped_functionINS8_6system6detail7generic6detail18binary_search_lessEbEEEE10hipError_tPvRmT1_T2_T3_mmT4_T5_P12ihipStream_tbEUlRKjE_EEST_SX_SY_mSZ_S12_bEUlT_E_NS1_11comp_targetILNS1_3genE3ELNS1_11target_archE908ELNS1_3gpuE7ELNS1_3repE0EEENS1_30default_config_static_selectorELNS0_4arch9wavefront6targetE0EEEvSW_
    .private_segment_fixed_size: 0
    .sgpr_count:     0
    .sgpr_spill_count: 0
    .symbol:         _ZN7rocprim17ROCPRIM_400000_NS6detail17trampoline_kernelINS0_14default_configENS1_29binary_search_config_selectorIjiEEZNS1_14transform_implILb0ES3_S5_N6thrust23THRUST_200600_302600_NS6detail15normal_iteratorINS8_7pointerIjNS8_11hip_rocprim5par_tENS8_11use_defaultESE_EEEENSA_INSB_IiSD_SE_SE_EEEEZNS1_13binary_searchIS3_S5_PjSG_SI_NS1_16binary_search_opENS9_16wrapped_functionINS8_6system6detail7generic6detail18binary_search_lessEbEEEE10hipError_tPvRmT1_T2_T3_mmT4_T5_P12ihipStream_tbEUlRKjE_EEST_SX_SY_mSZ_S12_bEUlT_E_NS1_11comp_targetILNS1_3genE3ELNS1_11target_archE908ELNS1_3gpuE7ELNS1_3repE0EEENS1_30default_config_static_selectorELNS0_4arch9wavefront6targetE0EEEvSW_.kd
    .uniform_work_group_size: 1
    .uses_dynamic_stack: false
    .vgpr_count:     0
    .vgpr_spill_count: 0
    .wavefront_size: 32
    .workgroup_processor_mode: 1
  - .args:
      - .offset:         0
        .size:           56
        .value_kind:     by_value
    .group_segment_fixed_size: 0
    .kernarg_segment_align: 8
    .kernarg_segment_size: 56
    .language:       OpenCL C
    .language_version:
      - 2
      - 0
    .max_flat_workgroup_size: 256
    .name:           _ZN7rocprim17ROCPRIM_400000_NS6detail17trampoline_kernelINS0_14default_configENS1_29binary_search_config_selectorIjiEEZNS1_14transform_implILb0ES3_S5_N6thrust23THRUST_200600_302600_NS6detail15normal_iteratorINS8_7pointerIjNS8_11hip_rocprim5par_tENS8_11use_defaultESE_EEEENSA_INSB_IiSD_SE_SE_EEEEZNS1_13binary_searchIS3_S5_PjSG_SI_NS1_16binary_search_opENS9_16wrapped_functionINS8_6system6detail7generic6detail18binary_search_lessEbEEEE10hipError_tPvRmT1_T2_T3_mmT4_T5_P12ihipStream_tbEUlRKjE_EEST_SX_SY_mSZ_S12_bEUlT_E_NS1_11comp_targetILNS1_3genE2ELNS1_11target_archE906ELNS1_3gpuE6ELNS1_3repE0EEENS1_30default_config_static_selectorELNS0_4arch9wavefront6targetE0EEEvSW_
    .private_segment_fixed_size: 0
    .sgpr_count:     0
    .sgpr_spill_count: 0
    .symbol:         _ZN7rocprim17ROCPRIM_400000_NS6detail17trampoline_kernelINS0_14default_configENS1_29binary_search_config_selectorIjiEEZNS1_14transform_implILb0ES3_S5_N6thrust23THRUST_200600_302600_NS6detail15normal_iteratorINS8_7pointerIjNS8_11hip_rocprim5par_tENS8_11use_defaultESE_EEEENSA_INSB_IiSD_SE_SE_EEEEZNS1_13binary_searchIS3_S5_PjSG_SI_NS1_16binary_search_opENS9_16wrapped_functionINS8_6system6detail7generic6detail18binary_search_lessEbEEEE10hipError_tPvRmT1_T2_T3_mmT4_T5_P12ihipStream_tbEUlRKjE_EEST_SX_SY_mSZ_S12_bEUlT_E_NS1_11comp_targetILNS1_3genE2ELNS1_11target_archE906ELNS1_3gpuE6ELNS1_3repE0EEENS1_30default_config_static_selectorELNS0_4arch9wavefront6targetE0EEEvSW_.kd
    .uniform_work_group_size: 1
    .uses_dynamic_stack: false
    .vgpr_count:     0
    .vgpr_spill_count: 0
    .wavefront_size: 32
    .workgroup_processor_mode: 1
  - .args:
      - .offset:         0
        .size:           56
        .value_kind:     by_value
    .group_segment_fixed_size: 0
    .kernarg_segment_align: 8
    .kernarg_segment_size: 56
    .language:       OpenCL C
    .language_version:
      - 2
      - 0
    .max_flat_workgroup_size: 128
    .name:           _ZN7rocprim17ROCPRIM_400000_NS6detail17trampoline_kernelINS0_14default_configENS1_29binary_search_config_selectorIjiEEZNS1_14transform_implILb0ES3_S5_N6thrust23THRUST_200600_302600_NS6detail15normal_iteratorINS8_7pointerIjNS8_11hip_rocprim5par_tENS8_11use_defaultESE_EEEENSA_INSB_IiSD_SE_SE_EEEEZNS1_13binary_searchIS3_S5_PjSG_SI_NS1_16binary_search_opENS9_16wrapped_functionINS8_6system6detail7generic6detail18binary_search_lessEbEEEE10hipError_tPvRmT1_T2_T3_mmT4_T5_P12ihipStream_tbEUlRKjE_EEST_SX_SY_mSZ_S12_bEUlT_E_NS1_11comp_targetILNS1_3genE10ELNS1_11target_archE1201ELNS1_3gpuE5ELNS1_3repE0EEENS1_30default_config_static_selectorELNS0_4arch9wavefront6targetE0EEEvSW_
    .private_segment_fixed_size: 0
    .sgpr_count:     0
    .sgpr_spill_count: 0
    .symbol:         _ZN7rocprim17ROCPRIM_400000_NS6detail17trampoline_kernelINS0_14default_configENS1_29binary_search_config_selectorIjiEEZNS1_14transform_implILb0ES3_S5_N6thrust23THRUST_200600_302600_NS6detail15normal_iteratorINS8_7pointerIjNS8_11hip_rocprim5par_tENS8_11use_defaultESE_EEEENSA_INSB_IiSD_SE_SE_EEEEZNS1_13binary_searchIS3_S5_PjSG_SI_NS1_16binary_search_opENS9_16wrapped_functionINS8_6system6detail7generic6detail18binary_search_lessEbEEEE10hipError_tPvRmT1_T2_T3_mmT4_T5_P12ihipStream_tbEUlRKjE_EEST_SX_SY_mSZ_S12_bEUlT_E_NS1_11comp_targetILNS1_3genE10ELNS1_11target_archE1201ELNS1_3gpuE5ELNS1_3repE0EEENS1_30default_config_static_selectorELNS0_4arch9wavefront6targetE0EEEvSW_.kd
    .uniform_work_group_size: 1
    .uses_dynamic_stack: false
    .vgpr_count:     0
    .vgpr_spill_count: 0
    .wavefront_size: 32
    .workgroup_processor_mode: 1
  - .args:
      - .offset:         0
        .size:           56
        .value_kind:     by_value
    .group_segment_fixed_size: 0
    .kernarg_segment_align: 8
    .kernarg_segment_size: 56
    .language:       OpenCL C
    .language_version:
      - 2
      - 0
    .max_flat_workgroup_size: 128
    .name:           _ZN7rocprim17ROCPRIM_400000_NS6detail17trampoline_kernelINS0_14default_configENS1_29binary_search_config_selectorIjiEEZNS1_14transform_implILb0ES3_S5_N6thrust23THRUST_200600_302600_NS6detail15normal_iteratorINS8_7pointerIjNS8_11hip_rocprim5par_tENS8_11use_defaultESE_EEEENSA_INSB_IiSD_SE_SE_EEEEZNS1_13binary_searchIS3_S5_PjSG_SI_NS1_16binary_search_opENS9_16wrapped_functionINS8_6system6detail7generic6detail18binary_search_lessEbEEEE10hipError_tPvRmT1_T2_T3_mmT4_T5_P12ihipStream_tbEUlRKjE_EEST_SX_SY_mSZ_S12_bEUlT_E_NS1_11comp_targetILNS1_3genE10ELNS1_11target_archE1200ELNS1_3gpuE4ELNS1_3repE0EEENS1_30default_config_static_selectorELNS0_4arch9wavefront6targetE0EEEvSW_
    .private_segment_fixed_size: 0
    .sgpr_count:     0
    .sgpr_spill_count: 0
    .symbol:         _ZN7rocprim17ROCPRIM_400000_NS6detail17trampoline_kernelINS0_14default_configENS1_29binary_search_config_selectorIjiEEZNS1_14transform_implILb0ES3_S5_N6thrust23THRUST_200600_302600_NS6detail15normal_iteratorINS8_7pointerIjNS8_11hip_rocprim5par_tENS8_11use_defaultESE_EEEENSA_INSB_IiSD_SE_SE_EEEEZNS1_13binary_searchIS3_S5_PjSG_SI_NS1_16binary_search_opENS9_16wrapped_functionINS8_6system6detail7generic6detail18binary_search_lessEbEEEE10hipError_tPvRmT1_T2_T3_mmT4_T5_P12ihipStream_tbEUlRKjE_EEST_SX_SY_mSZ_S12_bEUlT_E_NS1_11comp_targetILNS1_3genE10ELNS1_11target_archE1200ELNS1_3gpuE4ELNS1_3repE0EEENS1_30default_config_static_selectorELNS0_4arch9wavefront6targetE0EEEvSW_.kd
    .uniform_work_group_size: 1
    .uses_dynamic_stack: false
    .vgpr_count:     0
    .vgpr_spill_count: 0
    .wavefront_size: 32
    .workgroup_processor_mode: 1
  - .args:
      - .offset:         0
        .size:           56
        .value_kind:     by_value
    .group_segment_fixed_size: 0
    .kernarg_segment_align: 8
    .kernarg_segment_size: 56
    .language:       OpenCL C
    .language_version:
      - 2
      - 0
    .max_flat_workgroup_size: 256
    .name:           _ZN7rocprim17ROCPRIM_400000_NS6detail17trampoline_kernelINS0_14default_configENS1_29binary_search_config_selectorIjiEEZNS1_14transform_implILb0ES3_S5_N6thrust23THRUST_200600_302600_NS6detail15normal_iteratorINS8_7pointerIjNS8_11hip_rocprim5par_tENS8_11use_defaultESE_EEEENSA_INSB_IiSD_SE_SE_EEEEZNS1_13binary_searchIS3_S5_PjSG_SI_NS1_16binary_search_opENS9_16wrapped_functionINS8_6system6detail7generic6detail18binary_search_lessEbEEEE10hipError_tPvRmT1_T2_T3_mmT4_T5_P12ihipStream_tbEUlRKjE_EEST_SX_SY_mSZ_S12_bEUlT_E_NS1_11comp_targetILNS1_3genE9ELNS1_11target_archE1100ELNS1_3gpuE3ELNS1_3repE0EEENS1_30default_config_static_selectorELNS0_4arch9wavefront6targetE0EEEvSW_
    .private_segment_fixed_size: 0
    .sgpr_count:     0
    .sgpr_spill_count: 0
    .symbol:         _ZN7rocprim17ROCPRIM_400000_NS6detail17trampoline_kernelINS0_14default_configENS1_29binary_search_config_selectorIjiEEZNS1_14transform_implILb0ES3_S5_N6thrust23THRUST_200600_302600_NS6detail15normal_iteratorINS8_7pointerIjNS8_11hip_rocprim5par_tENS8_11use_defaultESE_EEEENSA_INSB_IiSD_SE_SE_EEEEZNS1_13binary_searchIS3_S5_PjSG_SI_NS1_16binary_search_opENS9_16wrapped_functionINS8_6system6detail7generic6detail18binary_search_lessEbEEEE10hipError_tPvRmT1_T2_T3_mmT4_T5_P12ihipStream_tbEUlRKjE_EEST_SX_SY_mSZ_S12_bEUlT_E_NS1_11comp_targetILNS1_3genE9ELNS1_11target_archE1100ELNS1_3gpuE3ELNS1_3repE0EEENS1_30default_config_static_selectorELNS0_4arch9wavefront6targetE0EEEvSW_.kd
    .uniform_work_group_size: 1
    .uses_dynamic_stack: false
    .vgpr_count:     0
    .vgpr_spill_count: 0
    .wavefront_size: 32
    .workgroup_processor_mode: 1
  - .args:
      - .offset:         0
        .size:           56
        .value_kind:     by_value
      - .offset:         56
        .size:           4
        .value_kind:     hidden_block_count_x
      - .offset:         60
        .size:           4
        .value_kind:     hidden_block_count_y
      - .offset:         64
        .size:           4
        .value_kind:     hidden_block_count_z
      - .offset:         68
        .size:           2
        .value_kind:     hidden_group_size_x
      - .offset:         70
        .size:           2
        .value_kind:     hidden_group_size_y
      - .offset:         72
        .size:           2
        .value_kind:     hidden_group_size_z
      - .offset:         74
        .size:           2
        .value_kind:     hidden_remainder_x
      - .offset:         76
        .size:           2
        .value_kind:     hidden_remainder_y
      - .offset:         78
        .size:           2
        .value_kind:     hidden_remainder_z
      - .offset:         96
        .size:           8
        .value_kind:     hidden_global_offset_x
      - .offset:         104
        .size:           8
        .value_kind:     hidden_global_offset_y
      - .offset:         112
        .size:           8
        .value_kind:     hidden_global_offset_z
      - .offset:         120
        .size:           2
        .value_kind:     hidden_grid_dims
    .group_segment_fixed_size: 0
    .kernarg_segment_align: 8
    .kernarg_segment_size: 312
    .language:       OpenCL C
    .language_version:
      - 2
      - 0
    .max_flat_workgroup_size: 256
    .name:           _ZN7rocprim17ROCPRIM_400000_NS6detail17trampoline_kernelINS0_14default_configENS1_29binary_search_config_selectorIjiEEZNS1_14transform_implILb0ES3_S5_N6thrust23THRUST_200600_302600_NS6detail15normal_iteratorINS8_7pointerIjNS8_11hip_rocprim5par_tENS8_11use_defaultESE_EEEENSA_INSB_IiSD_SE_SE_EEEEZNS1_13binary_searchIS3_S5_PjSG_SI_NS1_16binary_search_opENS9_16wrapped_functionINS8_6system6detail7generic6detail18binary_search_lessEbEEEE10hipError_tPvRmT1_T2_T3_mmT4_T5_P12ihipStream_tbEUlRKjE_EEST_SX_SY_mSZ_S12_bEUlT_E_NS1_11comp_targetILNS1_3genE8ELNS1_11target_archE1030ELNS1_3gpuE2ELNS1_3repE0EEENS1_30default_config_static_selectorELNS0_4arch9wavefront6targetE0EEEvSW_
    .private_segment_fixed_size: 0
    .sgpr_count:     22
    .sgpr_spill_count: 0
    .symbol:         _ZN7rocprim17ROCPRIM_400000_NS6detail17trampoline_kernelINS0_14default_configENS1_29binary_search_config_selectorIjiEEZNS1_14transform_implILb0ES3_S5_N6thrust23THRUST_200600_302600_NS6detail15normal_iteratorINS8_7pointerIjNS8_11hip_rocprim5par_tENS8_11use_defaultESE_EEEENSA_INSB_IiSD_SE_SE_EEEEZNS1_13binary_searchIS3_S5_PjSG_SI_NS1_16binary_search_opENS9_16wrapped_functionINS8_6system6detail7generic6detail18binary_search_lessEbEEEE10hipError_tPvRmT1_T2_T3_mmT4_T5_P12ihipStream_tbEUlRKjE_EEST_SX_SY_mSZ_S12_bEUlT_E_NS1_11comp_targetILNS1_3genE8ELNS1_11target_archE1030ELNS1_3gpuE2ELNS1_3repE0EEENS1_30default_config_static_selectorELNS0_4arch9wavefront6targetE0EEEvSW_.kd
    .uniform_work_group_size: 1
    .uses_dynamic_stack: false
    .vgpr_count:     12
    .vgpr_spill_count: 0
    .wavefront_size: 32
    .workgroup_processor_mode: 1
  - .args:
      - .offset:         0
        .size:           8
        .value_kind:     by_value
      - .address_space:  global
        .offset:         8
        .size:           8
        .value_kind:     global_buffer
      - .address_space:  global
        .offset:         16
        .size:           8
        .value_kind:     global_buffer
    .group_segment_fixed_size: 0
    .kernarg_segment_align: 8
    .kernarg_segment_size: 24
    .language:       OpenCL C
    .language_version:
      - 2
      - 0
    .max_flat_workgroup_size: 256
    .name:           _Z20binary_search_kernelItEvmPT_Pb
    .private_segment_fixed_size: 0
    .sgpr_count:     20
    .sgpr_spill_count: 0
    .symbol:         _Z20binary_search_kernelItEvmPT_Pb.kd
    .uniform_work_group_size: 1
    .uses_dynamic_stack: false
    .vgpr_count:     2
    .vgpr_spill_count: 0
    .wavefront_size: 32
    .workgroup_processor_mode: 1
  - .args:
      - .offset:         0
        .size:           56
        .value_kind:     by_value
    .group_segment_fixed_size: 0
    .kernarg_segment_align: 8
    .kernarg_segment_size: 56
    .language:       OpenCL C
    .language_version:
      - 2
      - 0
    .max_flat_workgroup_size: 128
    .name:           _ZN7rocprim17ROCPRIM_400000_NS6detail17trampoline_kernelINS0_14default_configENS1_29binary_search_config_selectorItiEEZNS1_14transform_implILb0ES3_S5_N6thrust23THRUST_200600_302600_NS6detail15normal_iteratorINS8_7pointerItNS8_11hip_rocprim5par_tENS8_11use_defaultESE_EEEENSA_INSB_IiSD_SE_SE_EEEEZNS1_13binary_searchIS3_S5_PtSG_SI_NS1_16binary_search_opENS9_16wrapped_functionINS8_6system6detail7generic6detail18binary_search_lessEbEEEE10hipError_tPvRmT1_T2_T3_mmT4_T5_P12ihipStream_tbEUlRKtE_EEST_SX_SY_mSZ_S12_bEUlT_E_NS1_11comp_targetILNS1_3genE0ELNS1_11target_archE4294967295ELNS1_3gpuE0ELNS1_3repE0EEENS1_30default_config_static_selectorELNS0_4arch9wavefront6targetE0EEEvSW_
    .private_segment_fixed_size: 0
    .sgpr_count:     0
    .sgpr_spill_count: 0
    .symbol:         _ZN7rocprim17ROCPRIM_400000_NS6detail17trampoline_kernelINS0_14default_configENS1_29binary_search_config_selectorItiEEZNS1_14transform_implILb0ES3_S5_N6thrust23THRUST_200600_302600_NS6detail15normal_iteratorINS8_7pointerItNS8_11hip_rocprim5par_tENS8_11use_defaultESE_EEEENSA_INSB_IiSD_SE_SE_EEEEZNS1_13binary_searchIS3_S5_PtSG_SI_NS1_16binary_search_opENS9_16wrapped_functionINS8_6system6detail7generic6detail18binary_search_lessEbEEEE10hipError_tPvRmT1_T2_T3_mmT4_T5_P12ihipStream_tbEUlRKtE_EEST_SX_SY_mSZ_S12_bEUlT_E_NS1_11comp_targetILNS1_3genE0ELNS1_11target_archE4294967295ELNS1_3gpuE0ELNS1_3repE0EEENS1_30default_config_static_selectorELNS0_4arch9wavefront6targetE0EEEvSW_.kd
    .uniform_work_group_size: 1
    .uses_dynamic_stack: false
    .vgpr_count:     0
    .vgpr_spill_count: 0
    .wavefront_size: 32
    .workgroup_processor_mode: 1
  - .args:
      - .offset:         0
        .size:           56
        .value_kind:     by_value
    .group_segment_fixed_size: 0
    .kernarg_segment_align: 8
    .kernarg_segment_size: 56
    .language:       OpenCL C
    .language_version:
      - 2
      - 0
    .max_flat_workgroup_size: 256
    .name:           _ZN7rocprim17ROCPRIM_400000_NS6detail17trampoline_kernelINS0_14default_configENS1_29binary_search_config_selectorItiEEZNS1_14transform_implILb0ES3_S5_N6thrust23THRUST_200600_302600_NS6detail15normal_iteratorINS8_7pointerItNS8_11hip_rocprim5par_tENS8_11use_defaultESE_EEEENSA_INSB_IiSD_SE_SE_EEEEZNS1_13binary_searchIS3_S5_PtSG_SI_NS1_16binary_search_opENS9_16wrapped_functionINS8_6system6detail7generic6detail18binary_search_lessEbEEEE10hipError_tPvRmT1_T2_T3_mmT4_T5_P12ihipStream_tbEUlRKtE_EEST_SX_SY_mSZ_S12_bEUlT_E_NS1_11comp_targetILNS1_3genE5ELNS1_11target_archE942ELNS1_3gpuE9ELNS1_3repE0EEENS1_30default_config_static_selectorELNS0_4arch9wavefront6targetE0EEEvSW_
    .private_segment_fixed_size: 0
    .sgpr_count:     0
    .sgpr_spill_count: 0
    .symbol:         _ZN7rocprim17ROCPRIM_400000_NS6detail17trampoline_kernelINS0_14default_configENS1_29binary_search_config_selectorItiEEZNS1_14transform_implILb0ES3_S5_N6thrust23THRUST_200600_302600_NS6detail15normal_iteratorINS8_7pointerItNS8_11hip_rocprim5par_tENS8_11use_defaultESE_EEEENSA_INSB_IiSD_SE_SE_EEEEZNS1_13binary_searchIS3_S5_PtSG_SI_NS1_16binary_search_opENS9_16wrapped_functionINS8_6system6detail7generic6detail18binary_search_lessEbEEEE10hipError_tPvRmT1_T2_T3_mmT4_T5_P12ihipStream_tbEUlRKtE_EEST_SX_SY_mSZ_S12_bEUlT_E_NS1_11comp_targetILNS1_3genE5ELNS1_11target_archE942ELNS1_3gpuE9ELNS1_3repE0EEENS1_30default_config_static_selectorELNS0_4arch9wavefront6targetE0EEEvSW_.kd
    .uniform_work_group_size: 1
    .uses_dynamic_stack: false
    .vgpr_count:     0
    .vgpr_spill_count: 0
    .wavefront_size: 32
    .workgroup_processor_mode: 1
  - .args:
      - .offset:         0
        .size:           56
        .value_kind:     by_value
    .group_segment_fixed_size: 0
    .kernarg_segment_align: 8
    .kernarg_segment_size: 56
    .language:       OpenCL C
    .language_version:
      - 2
      - 0
    .max_flat_workgroup_size: 256
    .name:           _ZN7rocprim17ROCPRIM_400000_NS6detail17trampoline_kernelINS0_14default_configENS1_29binary_search_config_selectorItiEEZNS1_14transform_implILb0ES3_S5_N6thrust23THRUST_200600_302600_NS6detail15normal_iteratorINS8_7pointerItNS8_11hip_rocprim5par_tENS8_11use_defaultESE_EEEENSA_INSB_IiSD_SE_SE_EEEEZNS1_13binary_searchIS3_S5_PtSG_SI_NS1_16binary_search_opENS9_16wrapped_functionINS8_6system6detail7generic6detail18binary_search_lessEbEEEE10hipError_tPvRmT1_T2_T3_mmT4_T5_P12ihipStream_tbEUlRKtE_EEST_SX_SY_mSZ_S12_bEUlT_E_NS1_11comp_targetILNS1_3genE4ELNS1_11target_archE910ELNS1_3gpuE8ELNS1_3repE0EEENS1_30default_config_static_selectorELNS0_4arch9wavefront6targetE0EEEvSW_
    .private_segment_fixed_size: 0
    .sgpr_count:     0
    .sgpr_spill_count: 0
    .symbol:         _ZN7rocprim17ROCPRIM_400000_NS6detail17trampoline_kernelINS0_14default_configENS1_29binary_search_config_selectorItiEEZNS1_14transform_implILb0ES3_S5_N6thrust23THRUST_200600_302600_NS6detail15normal_iteratorINS8_7pointerItNS8_11hip_rocprim5par_tENS8_11use_defaultESE_EEEENSA_INSB_IiSD_SE_SE_EEEEZNS1_13binary_searchIS3_S5_PtSG_SI_NS1_16binary_search_opENS9_16wrapped_functionINS8_6system6detail7generic6detail18binary_search_lessEbEEEE10hipError_tPvRmT1_T2_T3_mmT4_T5_P12ihipStream_tbEUlRKtE_EEST_SX_SY_mSZ_S12_bEUlT_E_NS1_11comp_targetILNS1_3genE4ELNS1_11target_archE910ELNS1_3gpuE8ELNS1_3repE0EEENS1_30default_config_static_selectorELNS0_4arch9wavefront6targetE0EEEvSW_.kd
    .uniform_work_group_size: 1
    .uses_dynamic_stack: false
    .vgpr_count:     0
    .vgpr_spill_count: 0
    .wavefront_size: 32
    .workgroup_processor_mode: 1
  - .args:
      - .offset:         0
        .size:           56
        .value_kind:     by_value
    .group_segment_fixed_size: 0
    .kernarg_segment_align: 8
    .kernarg_segment_size: 56
    .language:       OpenCL C
    .language_version:
      - 2
      - 0
    .max_flat_workgroup_size: 128
    .name:           _ZN7rocprim17ROCPRIM_400000_NS6detail17trampoline_kernelINS0_14default_configENS1_29binary_search_config_selectorItiEEZNS1_14transform_implILb0ES3_S5_N6thrust23THRUST_200600_302600_NS6detail15normal_iteratorINS8_7pointerItNS8_11hip_rocprim5par_tENS8_11use_defaultESE_EEEENSA_INSB_IiSD_SE_SE_EEEEZNS1_13binary_searchIS3_S5_PtSG_SI_NS1_16binary_search_opENS9_16wrapped_functionINS8_6system6detail7generic6detail18binary_search_lessEbEEEE10hipError_tPvRmT1_T2_T3_mmT4_T5_P12ihipStream_tbEUlRKtE_EEST_SX_SY_mSZ_S12_bEUlT_E_NS1_11comp_targetILNS1_3genE3ELNS1_11target_archE908ELNS1_3gpuE7ELNS1_3repE0EEENS1_30default_config_static_selectorELNS0_4arch9wavefront6targetE0EEEvSW_
    .private_segment_fixed_size: 0
    .sgpr_count:     0
    .sgpr_spill_count: 0
    .symbol:         _ZN7rocprim17ROCPRIM_400000_NS6detail17trampoline_kernelINS0_14default_configENS1_29binary_search_config_selectorItiEEZNS1_14transform_implILb0ES3_S5_N6thrust23THRUST_200600_302600_NS6detail15normal_iteratorINS8_7pointerItNS8_11hip_rocprim5par_tENS8_11use_defaultESE_EEEENSA_INSB_IiSD_SE_SE_EEEEZNS1_13binary_searchIS3_S5_PtSG_SI_NS1_16binary_search_opENS9_16wrapped_functionINS8_6system6detail7generic6detail18binary_search_lessEbEEEE10hipError_tPvRmT1_T2_T3_mmT4_T5_P12ihipStream_tbEUlRKtE_EEST_SX_SY_mSZ_S12_bEUlT_E_NS1_11comp_targetILNS1_3genE3ELNS1_11target_archE908ELNS1_3gpuE7ELNS1_3repE0EEENS1_30default_config_static_selectorELNS0_4arch9wavefront6targetE0EEEvSW_.kd
    .uniform_work_group_size: 1
    .uses_dynamic_stack: false
    .vgpr_count:     0
    .vgpr_spill_count: 0
    .wavefront_size: 32
    .workgroup_processor_mode: 1
  - .args:
      - .offset:         0
        .size:           56
        .value_kind:     by_value
    .group_segment_fixed_size: 0
    .kernarg_segment_align: 8
    .kernarg_segment_size: 56
    .language:       OpenCL C
    .language_version:
      - 2
      - 0
    .max_flat_workgroup_size: 256
    .name:           _ZN7rocprim17ROCPRIM_400000_NS6detail17trampoline_kernelINS0_14default_configENS1_29binary_search_config_selectorItiEEZNS1_14transform_implILb0ES3_S5_N6thrust23THRUST_200600_302600_NS6detail15normal_iteratorINS8_7pointerItNS8_11hip_rocprim5par_tENS8_11use_defaultESE_EEEENSA_INSB_IiSD_SE_SE_EEEEZNS1_13binary_searchIS3_S5_PtSG_SI_NS1_16binary_search_opENS9_16wrapped_functionINS8_6system6detail7generic6detail18binary_search_lessEbEEEE10hipError_tPvRmT1_T2_T3_mmT4_T5_P12ihipStream_tbEUlRKtE_EEST_SX_SY_mSZ_S12_bEUlT_E_NS1_11comp_targetILNS1_3genE2ELNS1_11target_archE906ELNS1_3gpuE6ELNS1_3repE0EEENS1_30default_config_static_selectorELNS0_4arch9wavefront6targetE0EEEvSW_
    .private_segment_fixed_size: 0
    .sgpr_count:     0
    .sgpr_spill_count: 0
    .symbol:         _ZN7rocprim17ROCPRIM_400000_NS6detail17trampoline_kernelINS0_14default_configENS1_29binary_search_config_selectorItiEEZNS1_14transform_implILb0ES3_S5_N6thrust23THRUST_200600_302600_NS6detail15normal_iteratorINS8_7pointerItNS8_11hip_rocprim5par_tENS8_11use_defaultESE_EEEENSA_INSB_IiSD_SE_SE_EEEEZNS1_13binary_searchIS3_S5_PtSG_SI_NS1_16binary_search_opENS9_16wrapped_functionINS8_6system6detail7generic6detail18binary_search_lessEbEEEE10hipError_tPvRmT1_T2_T3_mmT4_T5_P12ihipStream_tbEUlRKtE_EEST_SX_SY_mSZ_S12_bEUlT_E_NS1_11comp_targetILNS1_3genE2ELNS1_11target_archE906ELNS1_3gpuE6ELNS1_3repE0EEENS1_30default_config_static_selectorELNS0_4arch9wavefront6targetE0EEEvSW_.kd
    .uniform_work_group_size: 1
    .uses_dynamic_stack: false
    .vgpr_count:     0
    .vgpr_spill_count: 0
    .wavefront_size: 32
    .workgroup_processor_mode: 1
  - .args:
      - .offset:         0
        .size:           56
        .value_kind:     by_value
    .group_segment_fixed_size: 0
    .kernarg_segment_align: 8
    .kernarg_segment_size: 56
    .language:       OpenCL C
    .language_version:
      - 2
      - 0
    .max_flat_workgroup_size: 256
    .name:           _ZN7rocprim17ROCPRIM_400000_NS6detail17trampoline_kernelINS0_14default_configENS1_29binary_search_config_selectorItiEEZNS1_14transform_implILb0ES3_S5_N6thrust23THRUST_200600_302600_NS6detail15normal_iteratorINS8_7pointerItNS8_11hip_rocprim5par_tENS8_11use_defaultESE_EEEENSA_INSB_IiSD_SE_SE_EEEEZNS1_13binary_searchIS3_S5_PtSG_SI_NS1_16binary_search_opENS9_16wrapped_functionINS8_6system6detail7generic6detail18binary_search_lessEbEEEE10hipError_tPvRmT1_T2_T3_mmT4_T5_P12ihipStream_tbEUlRKtE_EEST_SX_SY_mSZ_S12_bEUlT_E_NS1_11comp_targetILNS1_3genE10ELNS1_11target_archE1201ELNS1_3gpuE5ELNS1_3repE0EEENS1_30default_config_static_selectorELNS0_4arch9wavefront6targetE0EEEvSW_
    .private_segment_fixed_size: 0
    .sgpr_count:     0
    .sgpr_spill_count: 0
    .symbol:         _ZN7rocprim17ROCPRIM_400000_NS6detail17trampoline_kernelINS0_14default_configENS1_29binary_search_config_selectorItiEEZNS1_14transform_implILb0ES3_S5_N6thrust23THRUST_200600_302600_NS6detail15normal_iteratorINS8_7pointerItNS8_11hip_rocprim5par_tENS8_11use_defaultESE_EEEENSA_INSB_IiSD_SE_SE_EEEEZNS1_13binary_searchIS3_S5_PtSG_SI_NS1_16binary_search_opENS9_16wrapped_functionINS8_6system6detail7generic6detail18binary_search_lessEbEEEE10hipError_tPvRmT1_T2_T3_mmT4_T5_P12ihipStream_tbEUlRKtE_EEST_SX_SY_mSZ_S12_bEUlT_E_NS1_11comp_targetILNS1_3genE10ELNS1_11target_archE1201ELNS1_3gpuE5ELNS1_3repE0EEENS1_30default_config_static_selectorELNS0_4arch9wavefront6targetE0EEEvSW_.kd
    .uniform_work_group_size: 1
    .uses_dynamic_stack: false
    .vgpr_count:     0
    .vgpr_spill_count: 0
    .wavefront_size: 32
    .workgroup_processor_mode: 1
  - .args:
      - .offset:         0
        .size:           56
        .value_kind:     by_value
    .group_segment_fixed_size: 0
    .kernarg_segment_align: 8
    .kernarg_segment_size: 56
    .language:       OpenCL C
    .language_version:
      - 2
      - 0
    .max_flat_workgroup_size: 256
    .name:           _ZN7rocprim17ROCPRIM_400000_NS6detail17trampoline_kernelINS0_14default_configENS1_29binary_search_config_selectorItiEEZNS1_14transform_implILb0ES3_S5_N6thrust23THRUST_200600_302600_NS6detail15normal_iteratorINS8_7pointerItNS8_11hip_rocprim5par_tENS8_11use_defaultESE_EEEENSA_INSB_IiSD_SE_SE_EEEEZNS1_13binary_searchIS3_S5_PtSG_SI_NS1_16binary_search_opENS9_16wrapped_functionINS8_6system6detail7generic6detail18binary_search_lessEbEEEE10hipError_tPvRmT1_T2_T3_mmT4_T5_P12ihipStream_tbEUlRKtE_EEST_SX_SY_mSZ_S12_bEUlT_E_NS1_11comp_targetILNS1_3genE10ELNS1_11target_archE1200ELNS1_3gpuE4ELNS1_3repE0EEENS1_30default_config_static_selectorELNS0_4arch9wavefront6targetE0EEEvSW_
    .private_segment_fixed_size: 0
    .sgpr_count:     0
    .sgpr_spill_count: 0
    .symbol:         _ZN7rocprim17ROCPRIM_400000_NS6detail17trampoline_kernelINS0_14default_configENS1_29binary_search_config_selectorItiEEZNS1_14transform_implILb0ES3_S5_N6thrust23THRUST_200600_302600_NS6detail15normal_iteratorINS8_7pointerItNS8_11hip_rocprim5par_tENS8_11use_defaultESE_EEEENSA_INSB_IiSD_SE_SE_EEEEZNS1_13binary_searchIS3_S5_PtSG_SI_NS1_16binary_search_opENS9_16wrapped_functionINS8_6system6detail7generic6detail18binary_search_lessEbEEEE10hipError_tPvRmT1_T2_T3_mmT4_T5_P12ihipStream_tbEUlRKtE_EEST_SX_SY_mSZ_S12_bEUlT_E_NS1_11comp_targetILNS1_3genE10ELNS1_11target_archE1200ELNS1_3gpuE4ELNS1_3repE0EEENS1_30default_config_static_selectorELNS0_4arch9wavefront6targetE0EEEvSW_.kd
    .uniform_work_group_size: 1
    .uses_dynamic_stack: false
    .vgpr_count:     0
    .vgpr_spill_count: 0
    .wavefront_size: 32
    .workgroup_processor_mode: 1
  - .args:
      - .offset:         0
        .size:           56
        .value_kind:     by_value
    .group_segment_fixed_size: 0
    .kernarg_segment_align: 8
    .kernarg_segment_size: 56
    .language:       OpenCL C
    .language_version:
      - 2
      - 0
    .max_flat_workgroup_size: 64
    .name:           _ZN7rocprim17ROCPRIM_400000_NS6detail17trampoline_kernelINS0_14default_configENS1_29binary_search_config_selectorItiEEZNS1_14transform_implILb0ES3_S5_N6thrust23THRUST_200600_302600_NS6detail15normal_iteratorINS8_7pointerItNS8_11hip_rocprim5par_tENS8_11use_defaultESE_EEEENSA_INSB_IiSD_SE_SE_EEEEZNS1_13binary_searchIS3_S5_PtSG_SI_NS1_16binary_search_opENS9_16wrapped_functionINS8_6system6detail7generic6detail18binary_search_lessEbEEEE10hipError_tPvRmT1_T2_T3_mmT4_T5_P12ihipStream_tbEUlRKtE_EEST_SX_SY_mSZ_S12_bEUlT_E_NS1_11comp_targetILNS1_3genE9ELNS1_11target_archE1100ELNS1_3gpuE3ELNS1_3repE0EEENS1_30default_config_static_selectorELNS0_4arch9wavefront6targetE0EEEvSW_
    .private_segment_fixed_size: 0
    .sgpr_count:     0
    .sgpr_spill_count: 0
    .symbol:         _ZN7rocprim17ROCPRIM_400000_NS6detail17trampoline_kernelINS0_14default_configENS1_29binary_search_config_selectorItiEEZNS1_14transform_implILb0ES3_S5_N6thrust23THRUST_200600_302600_NS6detail15normal_iteratorINS8_7pointerItNS8_11hip_rocprim5par_tENS8_11use_defaultESE_EEEENSA_INSB_IiSD_SE_SE_EEEEZNS1_13binary_searchIS3_S5_PtSG_SI_NS1_16binary_search_opENS9_16wrapped_functionINS8_6system6detail7generic6detail18binary_search_lessEbEEEE10hipError_tPvRmT1_T2_T3_mmT4_T5_P12ihipStream_tbEUlRKtE_EEST_SX_SY_mSZ_S12_bEUlT_E_NS1_11comp_targetILNS1_3genE9ELNS1_11target_archE1100ELNS1_3gpuE3ELNS1_3repE0EEENS1_30default_config_static_selectorELNS0_4arch9wavefront6targetE0EEEvSW_.kd
    .uniform_work_group_size: 1
    .uses_dynamic_stack: false
    .vgpr_count:     0
    .vgpr_spill_count: 0
    .wavefront_size: 32
    .workgroup_processor_mode: 1
  - .args:
      - .offset:         0
        .size:           56
        .value_kind:     by_value
      - .offset:         56
        .size:           4
        .value_kind:     hidden_block_count_x
      - .offset:         60
        .size:           4
        .value_kind:     hidden_block_count_y
      - .offset:         64
        .size:           4
        .value_kind:     hidden_block_count_z
      - .offset:         68
        .size:           2
        .value_kind:     hidden_group_size_x
      - .offset:         70
        .size:           2
        .value_kind:     hidden_group_size_y
      - .offset:         72
        .size:           2
        .value_kind:     hidden_group_size_z
      - .offset:         74
        .size:           2
        .value_kind:     hidden_remainder_x
      - .offset:         76
        .size:           2
        .value_kind:     hidden_remainder_y
      - .offset:         78
        .size:           2
        .value_kind:     hidden_remainder_z
      - .offset:         96
        .size:           8
        .value_kind:     hidden_global_offset_x
      - .offset:         104
        .size:           8
        .value_kind:     hidden_global_offset_y
      - .offset:         112
        .size:           8
        .value_kind:     hidden_global_offset_z
      - .offset:         120
        .size:           2
        .value_kind:     hidden_grid_dims
    .group_segment_fixed_size: 0
    .kernarg_segment_align: 8
    .kernarg_segment_size: 312
    .language:       OpenCL C
    .language_version:
      - 2
      - 0
    .max_flat_workgroup_size: 128
    .name:           _ZN7rocprim17ROCPRIM_400000_NS6detail17trampoline_kernelINS0_14default_configENS1_29binary_search_config_selectorItiEEZNS1_14transform_implILb0ES3_S5_N6thrust23THRUST_200600_302600_NS6detail15normal_iteratorINS8_7pointerItNS8_11hip_rocprim5par_tENS8_11use_defaultESE_EEEENSA_INSB_IiSD_SE_SE_EEEEZNS1_13binary_searchIS3_S5_PtSG_SI_NS1_16binary_search_opENS9_16wrapped_functionINS8_6system6detail7generic6detail18binary_search_lessEbEEEE10hipError_tPvRmT1_T2_T3_mmT4_T5_P12ihipStream_tbEUlRKtE_EEST_SX_SY_mSZ_S12_bEUlT_E_NS1_11comp_targetILNS1_3genE8ELNS1_11target_archE1030ELNS1_3gpuE2ELNS1_3repE0EEENS1_30default_config_static_selectorELNS0_4arch9wavefront6targetE0EEEvSW_
    .private_segment_fixed_size: 0
    .sgpr_count:     22
    .sgpr_spill_count: 0
    .symbol:         _ZN7rocprim17ROCPRIM_400000_NS6detail17trampoline_kernelINS0_14default_configENS1_29binary_search_config_selectorItiEEZNS1_14transform_implILb0ES3_S5_N6thrust23THRUST_200600_302600_NS6detail15normal_iteratorINS8_7pointerItNS8_11hip_rocprim5par_tENS8_11use_defaultESE_EEEENSA_INSB_IiSD_SE_SE_EEEEZNS1_13binary_searchIS3_S5_PtSG_SI_NS1_16binary_search_opENS9_16wrapped_functionINS8_6system6detail7generic6detail18binary_search_lessEbEEEE10hipError_tPvRmT1_T2_T3_mmT4_T5_P12ihipStream_tbEUlRKtE_EEST_SX_SY_mSZ_S12_bEUlT_E_NS1_11comp_targetILNS1_3genE8ELNS1_11target_archE1030ELNS1_3gpuE2ELNS1_3repE0EEENS1_30default_config_static_selectorELNS0_4arch9wavefront6targetE0EEEvSW_.kd
    .uniform_work_group_size: 1
    .uses_dynamic_stack: false
    .vgpr_count:     15
    .vgpr_spill_count: 0
    .wavefront_size: 32
    .workgroup_processor_mode: 1
  - .args:
      - .offset:         0
        .size:           8
        .value_kind:     by_value
      - .address_space:  global
        .offset:         8
        .size:           8
        .value_kind:     global_buffer
      - .address_space:  global
        .offset:         16
        .size:           8
        .value_kind:     global_buffer
    .group_segment_fixed_size: 0
    .kernarg_segment_align: 8
    .kernarg_segment_size: 24
    .language:       OpenCL C
    .language_version:
      - 2
      - 0
    .max_flat_workgroup_size: 256
    .name:           _Z20binary_search_kernelIxEvmPT_Pb
    .private_segment_fixed_size: 0
    .sgpr_count:     20
    .sgpr_spill_count: 0
    .symbol:         _Z20binary_search_kernelIxEvmPT_Pb.kd
    .uniform_work_group_size: 1
    .uses_dynamic_stack: false
    .vgpr_count:     2
    .vgpr_spill_count: 0
    .wavefront_size: 32
    .workgroup_processor_mode: 1
  - .args:
      - .offset:         0
        .size:           56
        .value_kind:     by_value
    .group_segment_fixed_size: 0
    .kernarg_segment_align: 8
    .kernarg_segment_size: 56
    .language:       OpenCL C
    .language_version:
      - 2
      - 0
    .max_flat_workgroup_size: 256
    .name:           _ZN7rocprim17ROCPRIM_400000_NS6detail17trampoline_kernelINS0_14default_configENS1_29binary_search_config_selectorIxiEEZNS1_14transform_implILb0ES3_S5_N6thrust23THRUST_200600_302600_NS6detail15normal_iteratorINS8_7pointerIxNS8_11hip_rocprim5par_tENS8_11use_defaultESE_EEEENSA_INSB_IiSD_SE_SE_EEEEZNS1_13binary_searchIS3_S5_PxSG_SI_NS1_16binary_search_opENS9_16wrapped_functionINS8_6system6detail7generic6detail18binary_search_lessEbEEEE10hipError_tPvRmT1_T2_T3_mmT4_T5_P12ihipStream_tbEUlRKxE_EEST_SX_SY_mSZ_S12_bEUlT_E_NS1_11comp_targetILNS1_3genE0ELNS1_11target_archE4294967295ELNS1_3gpuE0ELNS1_3repE0EEENS1_30default_config_static_selectorELNS0_4arch9wavefront6targetE0EEEvSW_
    .private_segment_fixed_size: 0
    .sgpr_count:     0
    .sgpr_spill_count: 0
    .symbol:         _ZN7rocprim17ROCPRIM_400000_NS6detail17trampoline_kernelINS0_14default_configENS1_29binary_search_config_selectorIxiEEZNS1_14transform_implILb0ES3_S5_N6thrust23THRUST_200600_302600_NS6detail15normal_iteratorINS8_7pointerIxNS8_11hip_rocprim5par_tENS8_11use_defaultESE_EEEENSA_INSB_IiSD_SE_SE_EEEEZNS1_13binary_searchIS3_S5_PxSG_SI_NS1_16binary_search_opENS9_16wrapped_functionINS8_6system6detail7generic6detail18binary_search_lessEbEEEE10hipError_tPvRmT1_T2_T3_mmT4_T5_P12ihipStream_tbEUlRKxE_EEST_SX_SY_mSZ_S12_bEUlT_E_NS1_11comp_targetILNS1_3genE0ELNS1_11target_archE4294967295ELNS1_3gpuE0ELNS1_3repE0EEENS1_30default_config_static_selectorELNS0_4arch9wavefront6targetE0EEEvSW_.kd
    .uniform_work_group_size: 1
    .uses_dynamic_stack: false
    .vgpr_count:     0
    .vgpr_spill_count: 0
    .wavefront_size: 32
    .workgroup_processor_mode: 1
  - .args:
      - .offset:         0
        .size:           56
        .value_kind:     by_value
    .group_segment_fixed_size: 0
    .kernarg_segment_align: 8
    .kernarg_segment_size: 56
    .language:       OpenCL C
    .language_version:
      - 2
      - 0
    .max_flat_workgroup_size: 64
    .name:           _ZN7rocprim17ROCPRIM_400000_NS6detail17trampoline_kernelINS0_14default_configENS1_29binary_search_config_selectorIxiEEZNS1_14transform_implILb0ES3_S5_N6thrust23THRUST_200600_302600_NS6detail15normal_iteratorINS8_7pointerIxNS8_11hip_rocprim5par_tENS8_11use_defaultESE_EEEENSA_INSB_IiSD_SE_SE_EEEEZNS1_13binary_searchIS3_S5_PxSG_SI_NS1_16binary_search_opENS9_16wrapped_functionINS8_6system6detail7generic6detail18binary_search_lessEbEEEE10hipError_tPvRmT1_T2_T3_mmT4_T5_P12ihipStream_tbEUlRKxE_EEST_SX_SY_mSZ_S12_bEUlT_E_NS1_11comp_targetILNS1_3genE5ELNS1_11target_archE942ELNS1_3gpuE9ELNS1_3repE0EEENS1_30default_config_static_selectorELNS0_4arch9wavefront6targetE0EEEvSW_
    .private_segment_fixed_size: 0
    .sgpr_count:     0
    .sgpr_spill_count: 0
    .symbol:         _ZN7rocprim17ROCPRIM_400000_NS6detail17trampoline_kernelINS0_14default_configENS1_29binary_search_config_selectorIxiEEZNS1_14transform_implILb0ES3_S5_N6thrust23THRUST_200600_302600_NS6detail15normal_iteratorINS8_7pointerIxNS8_11hip_rocprim5par_tENS8_11use_defaultESE_EEEENSA_INSB_IiSD_SE_SE_EEEEZNS1_13binary_searchIS3_S5_PxSG_SI_NS1_16binary_search_opENS9_16wrapped_functionINS8_6system6detail7generic6detail18binary_search_lessEbEEEE10hipError_tPvRmT1_T2_T3_mmT4_T5_P12ihipStream_tbEUlRKxE_EEST_SX_SY_mSZ_S12_bEUlT_E_NS1_11comp_targetILNS1_3genE5ELNS1_11target_archE942ELNS1_3gpuE9ELNS1_3repE0EEENS1_30default_config_static_selectorELNS0_4arch9wavefront6targetE0EEEvSW_.kd
    .uniform_work_group_size: 1
    .uses_dynamic_stack: false
    .vgpr_count:     0
    .vgpr_spill_count: 0
    .wavefront_size: 32
    .workgroup_processor_mode: 1
  - .args:
      - .offset:         0
        .size:           56
        .value_kind:     by_value
    .group_segment_fixed_size: 0
    .kernarg_segment_align: 8
    .kernarg_segment_size: 56
    .language:       OpenCL C
    .language_version:
      - 2
      - 0
    .max_flat_workgroup_size: 64
    .name:           _ZN7rocprim17ROCPRIM_400000_NS6detail17trampoline_kernelINS0_14default_configENS1_29binary_search_config_selectorIxiEEZNS1_14transform_implILb0ES3_S5_N6thrust23THRUST_200600_302600_NS6detail15normal_iteratorINS8_7pointerIxNS8_11hip_rocprim5par_tENS8_11use_defaultESE_EEEENSA_INSB_IiSD_SE_SE_EEEEZNS1_13binary_searchIS3_S5_PxSG_SI_NS1_16binary_search_opENS9_16wrapped_functionINS8_6system6detail7generic6detail18binary_search_lessEbEEEE10hipError_tPvRmT1_T2_T3_mmT4_T5_P12ihipStream_tbEUlRKxE_EEST_SX_SY_mSZ_S12_bEUlT_E_NS1_11comp_targetILNS1_3genE4ELNS1_11target_archE910ELNS1_3gpuE8ELNS1_3repE0EEENS1_30default_config_static_selectorELNS0_4arch9wavefront6targetE0EEEvSW_
    .private_segment_fixed_size: 0
    .sgpr_count:     0
    .sgpr_spill_count: 0
    .symbol:         _ZN7rocprim17ROCPRIM_400000_NS6detail17trampoline_kernelINS0_14default_configENS1_29binary_search_config_selectorIxiEEZNS1_14transform_implILb0ES3_S5_N6thrust23THRUST_200600_302600_NS6detail15normal_iteratorINS8_7pointerIxNS8_11hip_rocprim5par_tENS8_11use_defaultESE_EEEENSA_INSB_IiSD_SE_SE_EEEEZNS1_13binary_searchIS3_S5_PxSG_SI_NS1_16binary_search_opENS9_16wrapped_functionINS8_6system6detail7generic6detail18binary_search_lessEbEEEE10hipError_tPvRmT1_T2_T3_mmT4_T5_P12ihipStream_tbEUlRKxE_EEST_SX_SY_mSZ_S12_bEUlT_E_NS1_11comp_targetILNS1_3genE4ELNS1_11target_archE910ELNS1_3gpuE8ELNS1_3repE0EEENS1_30default_config_static_selectorELNS0_4arch9wavefront6targetE0EEEvSW_.kd
    .uniform_work_group_size: 1
    .uses_dynamic_stack: false
    .vgpr_count:     0
    .vgpr_spill_count: 0
    .wavefront_size: 32
    .workgroup_processor_mode: 1
  - .args:
      - .offset:         0
        .size:           56
        .value_kind:     by_value
    .group_segment_fixed_size: 0
    .kernarg_segment_align: 8
    .kernarg_segment_size: 56
    .language:       OpenCL C
    .language_version:
      - 2
      - 0
    .max_flat_workgroup_size: 256
    .name:           _ZN7rocprim17ROCPRIM_400000_NS6detail17trampoline_kernelINS0_14default_configENS1_29binary_search_config_selectorIxiEEZNS1_14transform_implILb0ES3_S5_N6thrust23THRUST_200600_302600_NS6detail15normal_iteratorINS8_7pointerIxNS8_11hip_rocprim5par_tENS8_11use_defaultESE_EEEENSA_INSB_IiSD_SE_SE_EEEEZNS1_13binary_searchIS3_S5_PxSG_SI_NS1_16binary_search_opENS9_16wrapped_functionINS8_6system6detail7generic6detail18binary_search_lessEbEEEE10hipError_tPvRmT1_T2_T3_mmT4_T5_P12ihipStream_tbEUlRKxE_EEST_SX_SY_mSZ_S12_bEUlT_E_NS1_11comp_targetILNS1_3genE3ELNS1_11target_archE908ELNS1_3gpuE7ELNS1_3repE0EEENS1_30default_config_static_selectorELNS0_4arch9wavefront6targetE0EEEvSW_
    .private_segment_fixed_size: 0
    .sgpr_count:     0
    .sgpr_spill_count: 0
    .symbol:         _ZN7rocprim17ROCPRIM_400000_NS6detail17trampoline_kernelINS0_14default_configENS1_29binary_search_config_selectorIxiEEZNS1_14transform_implILb0ES3_S5_N6thrust23THRUST_200600_302600_NS6detail15normal_iteratorINS8_7pointerIxNS8_11hip_rocprim5par_tENS8_11use_defaultESE_EEEENSA_INSB_IiSD_SE_SE_EEEEZNS1_13binary_searchIS3_S5_PxSG_SI_NS1_16binary_search_opENS9_16wrapped_functionINS8_6system6detail7generic6detail18binary_search_lessEbEEEE10hipError_tPvRmT1_T2_T3_mmT4_T5_P12ihipStream_tbEUlRKxE_EEST_SX_SY_mSZ_S12_bEUlT_E_NS1_11comp_targetILNS1_3genE3ELNS1_11target_archE908ELNS1_3gpuE7ELNS1_3repE0EEENS1_30default_config_static_selectorELNS0_4arch9wavefront6targetE0EEEvSW_.kd
    .uniform_work_group_size: 1
    .uses_dynamic_stack: false
    .vgpr_count:     0
    .vgpr_spill_count: 0
    .wavefront_size: 32
    .workgroup_processor_mode: 1
  - .args:
      - .offset:         0
        .size:           56
        .value_kind:     by_value
    .group_segment_fixed_size: 0
    .kernarg_segment_align: 8
    .kernarg_segment_size: 56
    .language:       OpenCL C
    .language_version:
      - 2
      - 0
    .max_flat_workgroup_size: 256
    .name:           _ZN7rocprim17ROCPRIM_400000_NS6detail17trampoline_kernelINS0_14default_configENS1_29binary_search_config_selectorIxiEEZNS1_14transform_implILb0ES3_S5_N6thrust23THRUST_200600_302600_NS6detail15normal_iteratorINS8_7pointerIxNS8_11hip_rocprim5par_tENS8_11use_defaultESE_EEEENSA_INSB_IiSD_SE_SE_EEEEZNS1_13binary_searchIS3_S5_PxSG_SI_NS1_16binary_search_opENS9_16wrapped_functionINS8_6system6detail7generic6detail18binary_search_lessEbEEEE10hipError_tPvRmT1_T2_T3_mmT4_T5_P12ihipStream_tbEUlRKxE_EEST_SX_SY_mSZ_S12_bEUlT_E_NS1_11comp_targetILNS1_3genE2ELNS1_11target_archE906ELNS1_3gpuE6ELNS1_3repE0EEENS1_30default_config_static_selectorELNS0_4arch9wavefront6targetE0EEEvSW_
    .private_segment_fixed_size: 0
    .sgpr_count:     0
    .sgpr_spill_count: 0
    .symbol:         _ZN7rocprim17ROCPRIM_400000_NS6detail17trampoline_kernelINS0_14default_configENS1_29binary_search_config_selectorIxiEEZNS1_14transform_implILb0ES3_S5_N6thrust23THRUST_200600_302600_NS6detail15normal_iteratorINS8_7pointerIxNS8_11hip_rocprim5par_tENS8_11use_defaultESE_EEEENSA_INSB_IiSD_SE_SE_EEEEZNS1_13binary_searchIS3_S5_PxSG_SI_NS1_16binary_search_opENS9_16wrapped_functionINS8_6system6detail7generic6detail18binary_search_lessEbEEEE10hipError_tPvRmT1_T2_T3_mmT4_T5_P12ihipStream_tbEUlRKxE_EEST_SX_SY_mSZ_S12_bEUlT_E_NS1_11comp_targetILNS1_3genE2ELNS1_11target_archE906ELNS1_3gpuE6ELNS1_3repE0EEENS1_30default_config_static_selectorELNS0_4arch9wavefront6targetE0EEEvSW_.kd
    .uniform_work_group_size: 1
    .uses_dynamic_stack: false
    .vgpr_count:     0
    .vgpr_spill_count: 0
    .wavefront_size: 32
    .workgroup_processor_mode: 1
  - .args:
      - .offset:         0
        .size:           56
        .value_kind:     by_value
    .group_segment_fixed_size: 0
    .kernarg_segment_align: 8
    .kernarg_segment_size: 56
    .language:       OpenCL C
    .language_version:
      - 2
      - 0
    .max_flat_workgroup_size: 128
    .name:           _ZN7rocprim17ROCPRIM_400000_NS6detail17trampoline_kernelINS0_14default_configENS1_29binary_search_config_selectorIxiEEZNS1_14transform_implILb0ES3_S5_N6thrust23THRUST_200600_302600_NS6detail15normal_iteratorINS8_7pointerIxNS8_11hip_rocprim5par_tENS8_11use_defaultESE_EEEENSA_INSB_IiSD_SE_SE_EEEEZNS1_13binary_searchIS3_S5_PxSG_SI_NS1_16binary_search_opENS9_16wrapped_functionINS8_6system6detail7generic6detail18binary_search_lessEbEEEE10hipError_tPvRmT1_T2_T3_mmT4_T5_P12ihipStream_tbEUlRKxE_EEST_SX_SY_mSZ_S12_bEUlT_E_NS1_11comp_targetILNS1_3genE10ELNS1_11target_archE1201ELNS1_3gpuE5ELNS1_3repE0EEENS1_30default_config_static_selectorELNS0_4arch9wavefront6targetE0EEEvSW_
    .private_segment_fixed_size: 0
    .sgpr_count:     0
    .sgpr_spill_count: 0
    .symbol:         _ZN7rocprim17ROCPRIM_400000_NS6detail17trampoline_kernelINS0_14default_configENS1_29binary_search_config_selectorIxiEEZNS1_14transform_implILb0ES3_S5_N6thrust23THRUST_200600_302600_NS6detail15normal_iteratorINS8_7pointerIxNS8_11hip_rocprim5par_tENS8_11use_defaultESE_EEEENSA_INSB_IiSD_SE_SE_EEEEZNS1_13binary_searchIS3_S5_PxSG_SI_NS1_16binary_search_opENS9_16wrapped_functionINS8_6system6detail7generic6detail18binary_search_lessEbEEEE10hipError_tPvRmT1_T2_T3_mmT4_T5_P12ihipStream_tbEUlRKxE_EEST_SX_SY_mSZ_S12_bEUlT_E_NS1_11comp_targetILNS1_3genE10ELNS1_11target_archE1201ELNS1_3gpuE5ELNS1_3repE0EEENS1_30default_config_static_selectorELNS0_4arch9wavefront6targetE0EEEvSW_.kd
    .uniform_work_group_size: 1
    .uses_dynamic_stack: false
    .vgpr_count:     0
    .vgpr_spill_count: 0
    .wavefront_size: 32
    .workgroup_processor_mode: 1
  - .args:
      - .offset:         0
        .size:           56
        .value_kind:     by_value
    .group_segment_fixed_size: 0
    .kernarg_segment_align: 8
    .kernarg_segment_size: 56
    .language:       OpenCL C
    .language_version:
      - 2
      - 0
    .max_flat_workgroup_size: 128
    .name:           _ZN7rocprim17ROCPRIM_400000_NS6detail17trampoline_kernelINS0_14default_configENS1_29binary_search_config_selectorIxiEEZNS1_14transform_implILb0ES3_S5_N6thrust23THRUST_200600_302600_NS6detail15normal_iteratorINS8_7pointerIxNS8_11hip_rocprim5par_tENS8_11use_defaultESE_EEEENSA_INSB_IiSD_SE_SE_EEEEZNS1_13binary_searchIS3_S5_PxSG_SI_NS1_16binary_search_opENS9_16wrapped_functionINS8_6system6detail7generic6detail18binary_search_lessEbEEEE10hipError_tPvRmT1_T2_T3_mmT4_T5_P12ihipStream_tbEUlRKxE_EEST_SX_SY_mSZ_S12_bEUlT_E_NS1_11comp_targetILNS1_3genE10ELNS1_11target_archE1200ELNS1_3gpuE4ELNS1_3repE0EEENS1_30default_config_static_selectorELNS0_4arch9wavefront6targetE0EEEvSW_
    .private_segment_fixed_size: 0
    .sgpr_count:     0
    .sgpr_spill_count: 0
    .symbol:         _ZN7rocprim17ROCPRIM_400000_NS6detail17trampoline_kernelINS0_14default_configENS1_29binary_search_config_selectorIxiEEZNS1_14transform_implILb0ES3_S5_N6thrust23THRUST_200600_302600_NS6detail15normal_iteratorINS8_7pointerIxNS8_11hip_rocprim5par_tENS8_11use_defaultESE_EEEENSA_INSB_IiSD_SE_SE_EEEEZNS1_13binary_searchIS3_S5_PxSG_SI_NS1_16binary_search_opENS9_16wrapped_functionINS8_6system6detail7generic6detail18binary_search_lessEbEEEE10hipError_tPvRmT1_T2_T3_mmT4_T5_P12ihipStream_tbEUlRKxE_EEST_SX_SY_mSZ_S12_bEUlT_E_NS1_11comp_targetILNS1_3genE10ELNS1_11target_archE1200ELNS1_3gpuE4ELNS1_3repE0EEENS1_30default_config_static_selectorELNS0_4arch9wavefront6targetE0EEEvSW_.kd
    .uniform_work_group_size: 1
    .uses_dynamic_stack: false
    .vgpr_count:     0
    .vgpr_spill_count: 0
    .wavefront_size: 32
    .workgroup_processor_mode: 1
  - .args:
      - .offset:         0
        .size:           56
        .value_kind:     by_value
    .group_segment_fixed_size: 0
    .kernarg_segment_align: 8
    .kernarg_segment_size: 56
    .language:       OpenCL C
    .language_version:
      - 2
      - 0
    .max_flat_workgroup_size: 256
    .name:           _ZN7rocprim17ROCPRIM_400000_NS6detail17trampoline_kernelINS0_14default_configENS1_29binary_search_config_selectorIxiEEZNS1_14transform_implILb0ES3_S5_N6thrust23THRUST_200600_302600_NS6detail15normal_iteratorINS8_7pointerIxNS8_11hip_rocprim5par_tENS8_11use_defaultESE_EEEENSA_INSB_IiSD_SE_SE_EEEEZNS1_13binary_searchIS3_S5_PxSG_SI_NS1_16binary_search_opENS9_16wrapped_functionINS8_6system6detail7generic6detail18binary_search_lessEbEEEE10hipError_tPvRmT1_T2_T3_mmT4_T5_P12ihipStream_tbEUlRKxE_EEST_SX_SY_mSZ_S12_bEUlT_E_NS1_11comp_targetILNS1_3genE9ELNS1_11target_archE1100ELNS1_3gpuE3ELNS1_3repE0EEENS1_30default_config_static_selectorELNS0_4arch9wavefront6targetE0EEEvSW_
    .private_segment_fixed_size: 0
    .sgpr_count:     0
    .sgpr_spill_count: 0
    .symbol:         _ZN7rocprim17ROCPRIM_400000_NS6detail17trampoline_kernelINS0_14default_configENS1_29binary_search_config_selectorIxiEEZNS1_14transform_implILb0ES3_S5_N6thrust23THRUST_200600_302600_NS6detail15normal_iteratorINS8_7pointerIxNS8_11hip_rocprim5par_tENS8_11use_defaultESE_EEEENSA_INSB_IiSD_SE_SE_EEEEZNS1_13binary_searchIS3_S5_PxSG_SI_NS1_16binary_search_opENS9_16wrapped_functionINS8_6system6detail7generic6detail18binary_search_lessEbEEEE10hipError_tPvRmT1_T2_T3_mmT4_T5_P12ihipStream_tbEUlRKxE_EEST_SX_SY_mSZ_S12_bEUlT_E_NS1_11comp_targetILNS1_3genE9ELNS1_11target_archE1100ELNS1_3gpuE3ELNS1_3repE0EEENS1_30default_config_static_selectorELNS0_4arch9wavefront6targetE0EEEvSW_.kd
    .uniform_work_group_size: 1
    .uses_dynamic_stack: false
    .vgpr_count:     0
    .vgpr_spill_count: 0
    .wavefront_size: 32
    .workgroup_processor_mode: 1
  - .args:
      - .offset:         0
        .size:           56
        .value_kind:     by_value
      - .offset:         56
        .size:           4
        .value_kind:     hidden_block_count_x
      - .offset:         60
        .size:           4
        .value_kind:     hidden_block_count_y
      - .offset:         64
        .size:           4
        .value_kind:     hidden_block_count_z
      - .offset:         68
        .size:           2
        .value_kind:     hidden_group_size_x
      - .offset:         70
        .size:           2
        .value_kind:     hidden_group_size_y
      - .offset:         72
        .size:           2
        .value_kind:     hidden_group_size_z
      - .offset:         74
        .size:           2
        .value_kind:     hidden_remainder_x
      - .offset:         76
        .size:           2
        .value_kind:     hidden_remainder_y
      - .offset:         78
        .size:           2
        .value_kind:     hidden_remainder_z
      - .offset:         96
        .size:           8
        .value_kind:     hidden_global_offset_x
      - .offset:         104
        .size:           8
        .value_kind:     hidden_global_offset_y
      - .offset:         112
        .size:           8
        .value_kind:     hidden_global_offset_z
      - .offset:         120
        .size:           2
        .value_kind:     hidden_grid_dims
    .group_segment_fixed_size: 0
    .kernarg_segment_align: 8
    .kernarg_segment_size: 312
    .language:       OpenCL C
    .language_version:
      - 2
      - 0
    .max_flat_workgroup_size: 256
    .name:           _ZN7rocprim17ROCPRIM_400000_NS6detail17trampoline_kernelINS0_14default_configENS1_29binary_search_config_selectorIxiEEZNS1_14transform_implILb0ES3_S5_N6thrust23THRUST_200600_302600_NS6detail15normal_iteratorINS8_7pointerIxNS8_11hip_rocprim5par_tENS8_11use_defaultESE_EEEENSA_INSB_IiSD_SE_SE_EEEEZNS1_13binary_searchIS3_S5_PxSG_SI_NS1_16binary_search_opENS9_16wrapped_functionINS8_6system6detail7generic6detail18binary_search_lessEbEEEE10hipError_tPvRmT1_T2_T3_mmT4_T5_P12ihipStream_tbEUlRKxE_EEST_SX_SY_mSZ_S12_bEUlT_E_NS1_11comp_targetILNS1_3genE8ELNS1_11target_archE1030ELNS1_3gpuE2ELNS1_3repE0EEENS1_30default_config_static_selectorELNS0_4arch9wavefront6targetE0EEEvSW_
    .private_segment_fixed_size: 0
    .sgpr_count:     22
    .sgpr_spill_count: 0
    .symbol:         _ZN7rocprim17ROCPRIM_400000_NS6detail17trampoline_kernelINS0_14default_configENS1_29binary_search_config_selectorIxiEEZNS1_14transform_implILb0ES3_S5_N6thrust23THRUST_200600_302600_NS6detail15normal_iteratorINS8_7pointerIxNS8_11hip_rocprim5par_tENS8_11use_defaultESE_EEEENSA_INSB_IiSD_SE_SE_EEEEZNS1_13binary_searchIS3_S5_PxSG_SI_NS1_16binary_search_opENS9_16wrapped_functionINS8_6system6detail7generic6detail18binary_search_lessEbEEEE10hipError_tPvRmT1_T2_T3_mmT4_T5_P12ihipStream_tbEUlRKxE_EEST_SX_SY_mSZ_S12_bEUlT_E_NS1_11comp_targetILNS1_3genE8ELNS1_11target_archE1030ELNS1_3gpuE2ELNS1_3repE0EEENS1_30default_config_static_selectorELNS0_4arch9wavefront6targetE0EEEvSW_.kd
    .uniform_work_group_size: 1
    .uses_dynamic_stack: false
    .vgpr_count:     13
    .vgpr_spill_count: 0
    .wavefront_size: 32
    .workgroup_processor_mode: 1
  - .args:
      - .offset:         0
        .size:           8
        .value_kind:     by_value
      - .address_space:  global
        .offset:         8
        .size:           8
        .value_kind:     global_buffer
      - .address_space:  global
        .offset:         16
        .size:           8
        .value_kind:     global_buffer
    .group_segment_fixed_size: 0
    .kernarg_segment_align: 8
    .kernarg_segment_size: 24
    .language:       OpenCL C
    .language_version:
      - 2
      - 0
    .max_flat_workgroup_size: 256
    .name:           _Z20binary_search_kernelIiEvmPT_Pb
    .private_segment_fixed_size: 0
    .sgpr_count:     20
    .sgpr_spill_count: 0
    .symbol:         _Z20binary_search_kernelIiEvmPT_Pb.kd
    .uniform_work_group_size: 1
    .uses_dynamic_stack: false
    .vgpr_count:     2
    .vgpr_spill_count: 0
    .wavefront_size: 32
    .workgroup_processor_mode: 1
  - .args:
      - .offset:         0
        .size:           56
        .value_kind:     by_value
    .group_segment_fixed_size: 0
    .kernarg_segment_align: 8
    .kernarg_segment_size: 56
    .language:       OpenCL C
    .language_version:
      - 2
      - 0
    .max_flat_workgroup_size: 256
    .name:           _ZN7rocprim17ROCPRIM_400000_NS6detail17trampoline_kernelINS0_14default_configENS1_29binary_search_config_selectorIiiEEZNS1_14transform_implILb0ES3_S5_N6thrust23THRUST_200600_302600_NS6detail15normal_iteratorINS8_7pointerIiNS8_11hip_rocprim5par_tENS8_11use_defaultESE_EEEESG_ZNS1_13binary_searchIS3_S5_PiSG_SG_NS1_16binary_search_opENS9_16wrapped_functionINS8_6system6detail7generic6detail18binary_search_lessEbEEEE10hipError_tPvRmT1_T2_T3_mmT4_T5_P12ihipStream_tbEUlRKiE_EESR_SV_SW_mSX_S10_bEUlT_E_NS1_11comp_targetILNS1_3genE0ELNS1_11target_archE4294967295ELNS1_3gpuE0ELNS1_3repE0EEENS1_30default_config_static_selectorELNS0_4arch9wavefront6targetE0EEEvSU_
    .private_segment_fixed_size: 0
    .sgpr_count:     0
    .sgpr_spill_count: 0
    .symbol:         _ZN7rocprim17ROCPRIM_400000_NS6detail17trampoline_kernelINS0_14default_configENS1_29binary_search_config_selectorIiiEEZNS1_14transform_implILb0ES3_S5_N6thrust23THRUST_200600_302600_NS6detail15normal_iteratorINS8_7pointerIiNS8_11hip_rocprim5par_tENS8_11use_defaultESE_EEEESG_ZNS1_13binary_searchIS3_S5_PiSG_SG_NS1_16binary_search_opENS9_16wrapped_functionINS8_6system6detail7generic6detail18binary_search_lessEbEEEE10hipError_tPvRmT1_T2_T3_mmT4_T5_P12ihipStream_tbEUlRKiE_EESR_SV_SW_mSX_S10_bEUlT_E_NS1_11comp_targetILNS1_3genE0ELNS1_11target_archE4294967295ELNS1_3gpuE0ELNS1_3repE0EEENS1_30default_config_static_selectorELNS0_4arch9wavefront6targetE0EEEvSU_.kd
    .uniform_work_group_size: 1
    .uses_dynamic_stack: false
    .vgpr_count:     0
    .vgpr_spill_count: 0
    .wavefront_size: 32
    .workgroup_processor_mode: 1
  - .args:
      - .offset:         0
        .size:           56
        .value_kind:     by_value
    .group_segment_fixed_size: 0
    .kernarg_segment_align: 8
    .kernarg_segment_size: 56
    .language:       OpenCL C
    .language_version:
      - 2
      - 0
    .max_flat_workgroup_size: 256
    .name:           _ZN7rocprim17ROCPRIM_400000_NS6detail17trampoline_kernelINS0_14default_configENS1_29binary_search_config_selectorIiiEEZNS1_14transform_implILb0ES3_S5_N6thrust23THRUST_200600_302600_NS6detail15normal_iteratorINS8_7pointerIiNS8_11hip_rocprim5par_tENS8_11use_defaultESE_EEEESG_ZNS1_13binary_searchIS3_S5_PiSG_SG_NS1_16binary_search_opENS9_16wrapped_functionINS8_6system6detail7generic6detail18binary_search_lessEbEEEE10hipError_tPvRmT1_T2_T3_mmT4_T5_P12ihipStream_tbEUlRKiE_EESR_SV_SW_mSX_S10_bEUlT_E_NS1_11comp_targetILNS1_3genE5ELNS1_11target_archE942ELNS1_3gpuE9ELNS1_3repE0EEENS1_30default_config_static_selectorELNS0_4arch9wavefront6targetE0EEEvSU_
    .private_segment_fixed_size: 0
    .sgpr_count:     0
    .sgpr_spill_count: 0
    .symbol:         _ZN7rocprim17ROCPRIM_400000_NS6detail17trampoline_kernelINS0_14default_configENS1_29binary_search_config_selectorIiiEEZNS1_14transform_implILb0ES3_S5_N6thrust23THRUST_200600_302600_NS6detail15normal_iteratorINS8_7pointerIiNS8_11hip_rocprim5par_tENS8_11use_defaultESE_EEEESG_ZNS1_13binary_searchIS3_S5_PiSG_SG_NS1_16binary_search_opENS9_16wrapped_functionINS8_6system6detail7generic6detail18binary_search_lessEbEEEE10hipError_tPvRmT1_T2_T3_mmT4_T5_P12ihipStream_tbEUlRKiE_EESR_SV_SW_mSX_S10_bEUlT_E_NS1_11comp_targetILNS1_3genE5ELNS1_11target_archE942ELNS1_3gpuE9ELNS1_3repE0EEENS1_30default_config_static_selectorELNS0_4arch9wavefront6targetE0EEEvSU_.kd
    .uniform_work_group_size: 1
    .uses_dynamic_stack: false
    .vgpr_count:     0
    .vgpr_spill_count: 0
    .wavefront_size: 32
    .workgroup_processor_mode: 1
  - .args:
      - .offset:         0
        .size:           56
        .value_kind:     by_value
    .group_segment_fixed_size: 0
    .kernarg_segment_align: 8
    .kernarg_segment_size: 56
    .language:       OpenCL C
    .language_version:
      - 2
      - 0
    .max_flat_workgroup_size: 256
    .name:           _ZN7rocprim17ROCPRIM_400000_NS6detail17trampoline_kernelINS0_14default_configENS1_29binary_search_config_selectorIiiEEZNS1_14transform_implILb0ES3_S5_N6thrust23THRUST_200600_302600_NS6detail15normal_iteratorINS8_7pointerIiNS8_11hip_rocprim5par_tENS8_11use_defaultESE_EEEESG_ZNS1_13binary_searchIS3_S5_PiSG_SG_NS1_16binary_search_opENS9_16wrapped_functionINS8_6system6detail7generic6detail18binary_search_lessEbEEEE10hipError_tPvRmT1_T2_T3_mmT4_T5_P12ihipStream_tbEUlRKiE_EESR_SV_SW_mSX_S10_bEUlT_E_NS1_11comp_targetILNS1_3genE4ELNS1_11target_archE910ELNS1_3gpuE8ELNS1_3repE0EEENS1_30default_config_static_selectorELNS0_4arch9wavefront6targetE0EEEvSU_
    .private_segment_fixed_size: 0
    .sgpr_count:     0
    .sgpr_spill_count: 0
    .symbol:         _ZN7rocprim17ROCPRIM_400000_NS6detail17trampoline_kernelINS0_14default_configENS1_29binary_search_config_selectorIiiEEZNS1_14transform_implILb0ES3_S5_N6thrust23THRUST_200600_302600_NS6detail15normal_iteratorINS8_7pointerIiNS8_11hip_rocprim5par_tENS8_11use_defaultESE_EEEESG_ZNS1_13binary_searchIS3_S5_PiSG_SG_NS1_16binary_search_opENS9_16wrapped_functionINS8_6system6detail7generic6detail18binary_search_lessEbEEEE10hipError_tPvRmT1_T2_T3_mmT4_T5_P12ihipStream_tbEUlRKiE_EESR_SV_SW_mSX_S10_bEUlT_E_NS1_11comp_targetILNS1_3genE4ELNS1_11target_archE910ELNS1_3gpuE8ELNS1_3repE0EEENS1_30default_config_static_selectorELNS0_4arch9wavefront6targetE0EEEvSU_.kd
    .uniform_work_group_size: 1
    .uses_dynamic_stack: false
    .vgpr_count:     0
    .vgpr_spill_count: 0
    .wavefront_size: 32
    .workgroup_processor_mode: 1
  - .args:
      - .offset:         0
        .size:           56
        .value_kind:     by_value
    .group_segment_fixed_size: 0
    .kernarg_segment_align: 8
    .kernarg_segment_size: 56
    .language:       OpenCL C
    .language_version:
      - 2
      - 0
    .max_flat_workgroup_size: 256
    .name:           _ZN7rocprim17ROCPRIM_400000_NS6detail17trampoline_kernelINS0_14default_configENS1_29binary_search_config_selectorIiiEEZNS1_14transform_implILb0ES3_S5_N6thrust23THRUST_200600_302600_NS6detail15normal_iteratorINS8_7pointerIiNS8_11hip_rocprim5par_tENS8_11use_defaultESE_EEEESG_ZNS1_13binary_searchIS3_S5_PiSG_SG_NS1_16binary_search_opENS9_16wrapped_functionINS8_6system6detail7generic6detail18binary_search_lessEbEEEE10hipError_tPvRmT1_T2_T3_mmT4_T5_P12ihipStream_tbEUlRKiE_EESR_SV_SW_mSX_S10_bEUlT_E_NS1_11comp_targetILNS1_3genE3ELNS1_11target_archE908ELNS1_3gpuE7ELNS1_3repE0EEENS1_30default_config_static_selectorELNS0_4arch9wavefront6targetE0EEEvSU_
    .private_segment_fixed_size: 0
    .sgpr_count:     0
    .sgpr_spill_count: 0
    .symbol:         _ZN7rocprim17ROCPRIM_400000_NS6detail17trampoline_kernelINS0_14default_configENS1_29binary_search_config_selectorIiiEEZNS1_14transform_implILb0ES3_S5_N6thrust23THRUST_200600_302600_NS6detail15normal_iteratorINS8_7pointerIiNS8_11hip_rocprim5par_tENS8_11use_defaultESE_EEEESG_ZNS1_13binary_searchIS3_S5_PiSG_SG_NS1_16binary_search_opENS9_16wrapped_functionINS8_6system6detail7generic6detail18binary_search_lessEbEEEE10hipError_tPvRmT1_T2_T3_mmT4_T5_P12ihipStream_tbEUlRKiE_EESR_SV_SW_mSX_S10_bEUlT_E_NS1_11comp_targetILNS1_3genE3ELNS1_11target_archE908ELNS1_3gpuE7ELNS1_3repE0EEENS1_30default_config_static_selectorELNS0_4arch9wavefront6targetE0EEEvSU_.kd
    .uniform_work_group_size: 1
    .uses_dynamic_stack: false
    .vgpr_count:     0
    .vgpr_spill_count: 0
    .wavefront_size: 32
    .workgroup_processor_mode: 1
  - .args:
      - .offset:         0
        .size:           56
        .value_kind:     by_value
    .group_segment_fixed_size: 0
    .kernarg_segment_align: 8
    .kernarg_segment_size: 56
    .language:       OpenCL C
    .language_version:
      - 2
      - 0
    .max_flat_workgroup_size: 256
    .name:           _ZN7rocprim17ROCPRIM_400000_NS6detail17trampoline_kernelINS0_14default_configENS1_29binary_search_config_selectorIiiEEZNS1_14transform_implILb0ES3_S5_N6thrust23THRUST_200600_302600_NS6detail15normal_iteratorINS8_7pointerIiNS8_11hip_rocprim5par_tENS8_11use_defaultESE_EEEESG_ZNS1_13binary_searchIS3_S5_PiSG_SG_NS1_16binary_search_opENS9_16wrapped_functionINS8_6system6detail7generic6detail18binary_search_lessEbEEEE10hipError_tPvRmT1_T2_T3_mmT4_T5_P12ihipStream_tbEUlRKiE_EESR_SV_SW_mSX_S10_bEUlT_E_NS1_11comp_targetILNS1_3genE2ELNS1_11target_archE906ELNS1_3gpuE6ELNS1_3repE0EEENS1_30default_config_static_selectorELNS0_4arch9wavefront6targetE0EEEvSU_
    .private_segment_fixed_size: 0
    .sgpr_count:     0
    .sgpr_spill_count: 0
    .symbol:         _ZN7rocprim17ROCPRIM_400000_NS6detail17trampoline_kernelINS0_14default_configENS1_29binary_search_config_selectorIiiEEZNS1_14transform_implILb0ES3_S5_N6thrust23THRUST_200600_302600_NS6detail15normal_iteratorINS8_7pointerIiNS8_11hip_rocprim5par_tENS8_11use_defaultESE_EEEESG_ZNS1_13binary_searchIS3_S5_PiSG_SG_NS1_16binary_search_opENS9_16wrapped_functionINS8_6system6detail7generic6detail18binary_search_lessEbEEEE10hipError_tPvRmT1_T2_T3_mmT4_T5_P12ihipStream_tbEUlRKiE_EESR_SV_SW_mSX_S10_bEUlT_E_NS1_11comp_targetILNS1_3genE2ELNS1_11target_archE906ELNS1_3gpuE6ELNS1_3repE0EEENS1_30default_config_static_selectorELNS0_4arch9wavefront6targetE0EEEvSU_.kd
    .uniform_work_group_size: 1
    .uses_dynamic_stack: false
    .vgpr_count:     0
    .vgpr_spill_count: 0
    .wavefront_size: 32
    .workgroup_processor_mode: 1
  - .args:
      - .offset:         0
        .size:           56
        .value_kind:     by_value
    .group_segment_fixed_size: 0
    .kernarg_segment_align: 8
    .kernarg_segment_size: 56
    .language:       OpenCL C
    .language_version:
      - 2
      - 0
    .max_flat_workgroup_size: 128
    .name:           _ZN7rocprim17ROCPRIM_400000_NS6detail17trampoline_kernelINS0_14default_configENS1_29binary_search_config_selectorIiiEEZNS1_14transform_implILb0ES3_S5_N6thrust23THRUST_200600_302600_NS6detail15normal_iteratorINS8_7pointerIiNS8_11hip_rocprim5par_tENS8_11use_defaultESE_EEEESG_ZNS1_13binary_searchIS3_S5_PiSG_SG_NS1_16binary_search_opENS9_16wrapped_functionINS8_6system6detail7generic6detail18binary_search_lessEbEEEE10hipError_tPvRmT1_T2_T3_mmT4_T5_P12ihipStream_tbEUlRKiE_EESR_SV_SW_mSX_S10_bEUlT_E_NS1_11comp_targetILNS1_3genE10ELNS1_11target_archE1201ELNS1_3gpuE5ELNS1_3repE0EEENS1_30default_config_static_selectorELNS0_4arch9wavefront6targetE0EEEvSU_
    .private_segment_fixed_size: 0
    .sgpr_count:     0
    .sgpr_spill_count: 0
    .symbol:         _ZN7rocprim17ROCPRIM_400000_NS6detail17trampoline_kernelINS0_14default_configENS1_29binary_search_config_selectorIiiEEZNS1_14transform_implILb0ES3_S5_N6thrust23THRUST_200600_302600_NS6detail15normal_iteratorINS8_7pointerIiNS8_11hip_rocprim5par_tENS8_11use_defaultESE_EEEESG_ZNS1_13binary_searchIS3_S5_PiSG_SG_NS1_16binary_search_opENS9_16wrapped_functionINS8_6system6detail7generic6detail18binary_search_lessEbEEEE10hipError_tPvRmT1_T2_T3_mmT4_T5_P12ihipStream_tbEUlRKiE_EESR_SV_SW_mSX_S10_bEUlT_E_NS1_11comp_targetILNS1_3genE10ELNS1_11target_archE1201ELNS1_3gpuE5ELNS1_3repE0EEENS1_30default_config_static_selectorELNS0_4arch9wavefront6targetE0EEEvSU_.kd
    .uniform_work_group_size: 1
    .uses_dynamic_stack: false
    .vgpr_count:     0
    .vgpr_spill_count: 0
    .wavefront_size: 32
    .workgroup_processor_mode: 1
  - .args:
      - .offset:         0
        .size:           56
        .value_kind:     by_value
    .group_segment_fixed_size: 0
    .kernarg_segment_align: 8
    .kernarg_segment_size: 56
    .language:       OpenCL C
    .language_version:
      - 2
      - 0
    .max_flat_workgroup_size: 128
    .name:           _ZN7rocprim17ROCPRIM_400000_NS6detail17trampoline_kernelINS0_14default_configENS1_29binary_search_config_selectorIiiEEZNS1_14transform_implILb0ES3_S5_N6thrust23THRUST_200600_302600_NS6detail15normal_iteratorINS8_7pointerIiNS8_11hip_rocprim5par_tENS8_11use_defaultESE_EEEESG_ZNS1_13binary_searchIS3_S5_PiSG_SG_NS1_16binary_search_opENS9_16wrapped_functionINS8_6system6detail7generic6detail18binary_search_lessEbEEEE10hipError_tPvRmT1_T2_T3_mmT4_T5_P12ihipStream_tbEUlRKiE_EESR_SV_SW_mSX_S10_bEUlT_E_NS1_11comp_targetILNS1_3genE10ELNS1_11target_archE1200ELNS1_3gpuE4ELNS1_3repE0EEENS1_30default_config_static_selectorELNS0_4arch9wavefront6targetE0EEEvSU_
    .private_segment_fixed_size: 0
    .sgpr_count:     0
    .sgpr_spill_count: 0
    .symbol:         _ZN7rocprim17ROCPRIM_400000_NS6detail17trampoline_kernelINS0_14default_configENS1_29binary_search_config_selectorIiiEEZNS1_14transform_implILb0ES3_S5_N6thrust23THRUST_200600_302600_NS6detail15normal_iteratorINS8_7pointerIiNS8_11hip_rocprim5par_tENS8_11use_defaultESE_EEEESG_ZNS1_13binary_searchIS3_S5_PiSG_SG_NS1_16binary_search_opENS9_16wrapped_functionINS8_6system6detail7generic6detail18binary_search_lessEbEEEE10hipError_tPvRmT1_T2_T3_mmT4_T5_P12ihipStream_tbEUlRKiE_EESR_SV_SW_mSX_S10_bEUlT_E_NS1_11comp_targetILNS1_3genE10ELNS1_11target_archE1200ELNS1_3gpuE4ELNS1_3repE0EEENS1_30default_config_static_selectorELNS0_4arch9wavefront6targetE0EEEvSU_.kd
    .uniform_work_group_size: 1
    .uses_dynamic_stack: false
    .vgpr_count:     0
    .vgpr_spill_count: 0
    .wavefront_size: 32
    .workgroup_processor_mode: 1
  - .args:
      - .offset:         0
        .size:           56
        .value_kind:     by_value
    .group_segment_fixed_size: 0
    .kernarg_segment_align: 8
    .kernarg_segment_size: 56
    .language:       OpenCL C
    .language_version:
      - 2
      - 0
    .max_flat_workgroup_size: 256
    .name:           _ZN7rocprim17ROCPRIM_400000_NS6detail17trampoline_kernelINS0_14default_configENS1_29binary_search_config_selectorIiiEEZNS1_14transform_implILb0ES3_S5_N6thrust23THRUST_200600_302600_NS6detail15normal_iteratorINS8_7pointerIiNS8_11hip_rocprim5par_tENS8_11use_defaultESE_EEEESG_ZNS1_13binary_searchIS3_S5_PiSG_SG_NS1_16binary_search_opENS9_16wrapped_functionINS8_6system6detail7generic6detail18binary_search_lessEbEEEE10hipError_tPvRmT1_T2_T3_mmT4_T5_P12ihipStream_tbEUlRKiE_EESR_SV_SW_mSX_S10_bEUlT_E_NS1_11comp_targetILNS1_3genE9ELNS1_11target_archE1100ELNS1_3gpuE3ELNS1_3repE0EEENS1_30default_config_static_selectorELNS0_4arch9wavefront6targetE0EEEvSU_
    .private_segment_fixed_size: 0
    .sgpr_count:     0
    .sgpr_spill_count: 0
    .symbol:         _ZN7rocprim17ROCPRIM_400000_NS6detail17trampoline_kernelINS0_14default_configENS1_29binary_search_config_selectorIiiEEZNS1_14transform_implILb0ES3_S5_N6thrust23THRUST_200600_302600_NS6detail15normal_iteratorINS8_7pointerIiNS8_11hip_rocprim5par_tENS8_11use_defaultESE_EEEESG_ZNS1_13binary_searchIS3_S5_PiSG_SG_NS1_16binary_search_opENS9_16wrapped_functionINS8_6system6detail7generic6detail18binary_search_lessEbEEEE10hipError_tPvRmT1_T2_T3_mmT4_T5_P12ihipStream_tbEUlRKiE_EESR_SV_SW_mSX_S10_bEUlT_E_NS1_11comp_targetILNS1_3genE9ELNS1_11target_archE1100ELNS1_3gpuE3ELNS1_3repE0EEENS1_30default_config_static_selectorELNS0_4arch9wavefront6targetE0EEEvSU_.kd
    .uniform_work_group_size: 1
    .uses_dynamic_stack: false
    .vgpr_count:     0
    .vgpr_spill_count: 0
    .wavefront_size: 32
    .workgroup_processor_mode: 1
  - .args:
      - .offset:         0
        .size:           56
        .value_kind:     by_value
      - .offset:         56
        .size:           4
        .value_kind:     hidden_block_count_x
      - .offset:         60
        .size:           4
        .value_kind:     hidden_block_count_y
      - .offset:         64
        .size:           4
        .value_kind:     hidden_block_count_z
      - .offset:         68
        .size:           2
        .value_kind:     hidden_group_size_x
      - .offset:         70
        .size:           2
        .value_kind:     hidden_group_size_y
      - .offset:         72
        .size:           2
        .value_kind:     hidden_group_size_z
      - .offset:         74
        .size:           2
        .value_kind:     hidden_remainder_x
      - .offset:         76
        .size:           2
        .value_kind:     hidden_remainder_y
      - .offset:         78
        .size:           2
        .value_kind:     hidden_remainder_z
      - .offset:         96
        .size:           8
        .value_kind:     hidden_global_offset_x
      - .offset:         104
        .size:           8
        .value_kind:     hidden_global_offset_y
      - .offset:         112
        .size:           8
        .value_kind:     hidden_global_offset_z
      - .offset:         120
        .size:           2
        .value_kind:     hidden_grid_dims
    .group_segment_fixed_size: 0
    .kernarg_segment_align: 8
    .kernarg_segment_size: 312
    .language:       OpenCL C
    .language_version:
      - 2
      - 0
    .max_flat_workgroup_size: 256
    .name:           _ZN7rocprim17ROCPRIM_400000_NS6detail17trampoline_kernelINS0_14default_configENS1_29binary_search_config_selectorIiiEEZNS1_14transform_implILb0ES3_S5_N6thrust23THRUST_200600_302600_NS6detail15normal_iteratorINS8_7pointerIiNS8_11hip_rocprim5par_tENS8_11use_defaultESE_EEEESG_ZNS1_13binary_searchIS3_S5_PiSG_SG_NS1_16binary_search_opENS9_16wrapped_functionINS8_6system6detail7generic6detail18binary_search_lessEbEEEE10hipError_tPvRmT1_T2_T3_mmT4_T5_P12ihipStream_tbEUlRKiE_EESR_SV_SW_mSX_S10_bEUlT_E_NS1_11comp_targetILNS1_3genE8ELNS1_11target_archE1030ELNS1_3gpuE2ELNS1_3repE0EEENS1_30default_config_static_selectorELNS0_4arch9wavefront6targetE0EEEvSU_
    .private_segment_fixed_size: 0
    .sgpr_count:     22
    .sgpr_spill_count: 0
    .symbol:         _ZN7rocprim17ROCPRIM_400000_NS6detail17trampoline_kernelINS0_14default_configENS1_29binary_search_config_selectorIiiEEZNS1_14transform_implILb0ES3_S5_N6thrust23THRUST_200600_302600_NS6detail15normal_iteratorINS8_7pointerIiNS8_11hip_rocprim5par_tENS8_11use_defaultESE_EEEESG_ZNS1_13binary_searchIS3_S5_PiSG_SG_NS1_16binary_search_opENS9_16wrapped_functionINS8_6system6detail7generic6detail18binary_search_lessEbEEEE10hipError_tPvRmT1_T2_T3_mmT4_T5_P12ihipStream_tbEUlRKiE_EESR_SV_SW_mSX_S10_bEUlT_E_NS1_11comp_targetILNS1_3genE8ELNS1_11target_archE1030ELNS1_3gpuE2ELNS1_3repE0EEENS1_30default_config_static_selectorELNS0_4arch9wavefront6targetE0EEEvSU_.kd
    .uniform_work_group_size: 1
    .uses_dynamic_stack: false
    .vgpr_count:     12
    .vgpr_spill_count: 0
    .wavefront_size: 32
    .workgroup_processor_mode: 1
  - .args:
      - .offset:         0
        .size:           8
        .value_kind:     by_value
      - .address_space:  global
        .offset:         8
        .size:           8
        .value_kind:     global_buffer
      - .address_space:  global
        .offset:         16
        .size:           8
        .value_kind:     global_buffer
    .group_segment_fixed_size: 0
    .kernarg_segment_align: 8
    .kernarg_segment_size: 24
    .language:       OpenCL C
    .language_version:
      - 2
      - 0
    .max_flat_workgroup_size: 256
    .name:           _Z20binary_search_kernelIsEvmPT_Pb
    .private_segment_fixed_size: 0
    .sgpr_count:     20
    .sgpr_spill_count: 0
    .symbol:         _Z20binary_search_kernelIsEvmPT_Pb.kd
    .uniform_work_group_size: 1
    .uses_dynamic_stack: false
    .vgpr_count:     2
    .vgpr_spill_count: 0
    .wavefront_size: 32
    .workgroup_processor_mode: 1
  - .args:
      - .offset:         0
        .size:           56
        .value_kind:     by_value
    .group_segment_fixed_size: 0
    .kernarg_segment_align: 8
    .kernarg_segment_size: 56
    .language:       OpenCL C
    .language_version:
      - 2
      - 0
    .max_flat_workgroup_size: 128
    .name:           _ZN7rocprim17ROCPRIM_400000_NS6detail17trampoline_kernelINS0_14default_configENS1_29binary_search_config_selectorIsiEEZNS1_14transform_implILb0ES3_S5_N6thrust23THRUST_200600_302600_NS6detail15normal_iteratorINS8_7pointerIsNS8_11hip_rocprim5par_tENS8_11use_defaultESE_EEEENSA_INSB_IiSD_SE_SE_EEEEZNS1_13binary_searchIS3_S5_PsSG_SI_NS1_16binary_search_opENS9_16wrapped_functionINS8_6system6detail7generic6detail18binary_search_lessEbEEEE10hipError_tPvRmT1_T2_T3_mmT4_T5_P12ihipStream_tbEUlRKsE_EEST_SX_SY_mSZ_S12_bEUlT_E_NS1_11comp_targetILNS1_3genE0ELNS1_11target_archE4294967295ELNS1_3gpuE0ELNS1_3repE0EEENS1_30default_config_static_selectorELNS0_4arch9wavefront6targetE0EEEvSW_
    .private_segment_fixed_size: 0
    .sgpr_count:     0
    .sgpr_spill_count: 0
    .symbol:         _ZN7rocprim17ROCPRIM_400000_NS6detail17trampoline_kernelINS0_14default_configENS1_29binary_search_config_selectorIsiEEZNS1_14transform_implILb0ES3_S5_N6thrust23THRUST_200600_302600_NS6detail15normal_iteratorINS8_7pointerIsNS8_11hip_rocprim5par_tENS8_11use_defaultESE_EEEENSA_INSB_IiSD_SE_SE_EEEEZNS1_13binary_searchIS3_S5_PsSG_SI_NS1_16binary_search_opENS9_16wrapped_functionINS8_6system6detail7generic6detail18binary_search_lessEbEEEE10hipError_tPvRmT1_T2_T3_mmT4_T5_P12ihipStream_tbEUlRKsE_EEST_SX_SY_mSZ_S12_bEUlT_E_NS1_11comp_targetILNS1_3genE0ELNS1_11target_archE4294967295ELNS1_3gpuE0ELNS1_3repE0EEENS1_30default_config_static_selectorELNS0_4arch9wavefront6targetE0EEEvSW_.kd
    .uniform_work_group_size: 1
    .uses_dynamic_stack: false
    .vgpr_count:     0
    .vgpr_spill_count: 0
    .wavefront_size: 32
    .workgroup_processor_mode: 1
  - .args:
      - .offset:         0
        .size:           56
        .value_kind:     by_value
    .group_segment_fixed_size: 0
    .kernarg_segment_align: 8
    .kernarg_segment_size: 56
    .language:       OpenCL C
    .language_version:
      - 2
      - 0
    .max_flat_workgroup_size: 256
    .name:           _ZN7rocprim17ROCPRIM_400000_NS6detail17trampoline_kernelINS0_14default_configENS1_29binary_search_config_selectorIsiEEZNS1_14transform_implILb0ES3_S5_N6thrust23THRUST_200600_302600_NS6detail15normal_iteratorINS8_7pointerIsNS8_11hip_rocprim5par_tENS8_11use_defaultESE_EEEENSA_INSB_IiSD_SE_SE_EEEEZNS1_13binary_searchIS3_S5_PsSG_SI_NS1_16binary_search_opENS9_16wrapped_functionINS8_6system6detail7generic6detail18binary_search_lessEbEEEE10hipError_tPvRmT1_T2_T3_mmT4_T5_P12ihipStream_tbEUlRKsE_EEST_SX_SY_mSZ_S12_bEUlT_E_NS1_11comp_targetILNS1_3genE5ELNS1_11target_archE942ELNS1_3gpuE9ELNS1_3repE0EEENS1_30default_config_static_selectorELNS0_4arch9wavefront6targetE0EEEvSW_
    .private_segment_fixed_size: 0
    .sgpr_count:     0
    .sgpr_spill_count: 0
    .symbol:         _ZN7rocprim17ROCPRIM_400000_NS6detail17trampoline_kernelINS0_14default_configENS1_29binary_search_config_selectorIsiEEZNS1_14transform_implILb0ES3_S5_N6thrust23THRUST_200600_302600_NS6detail15normal_iteratorINS8_7pointerIsNS8_11hip_rocprim5par_tENS8_11use_defaultESE_EEEENSA_INSB_IiSD_SE_SE_EEEEZNS1_13binary_searchIS3_S5_PsSG_SI_NS1_16binary_search_opENS9_16wrapped_functionINS8_6system6detail7generic6detail18binary_search_lessEbEEEE10hipError_tPvRmT1_T2_T3_mmT4_T5_P12ihipStream_tbEUlRKsE_EEST_SX_SY_mSZ_S12_bEUlT_E_NS1_11comp_targetILNS1_3genE5ELNS1_11target_archE942ELNS1_3gpuE9ELNS1_3repE0EEENS1_30default_config_static_selectorELNS0_4arch9wavefront6targetE0EEEvSW_.kd
    .uniform_work_group_size: 1
    .uses_dynamic_stack: false
    .vgpr_count:     0
    .vgpr_spill_count: 0
    .wavefront_size: 32
    .workgroup_processor_mode: 1
  - .args:
      - .offset:         0
        .size:           56
        .value_kind:     by_value
    .group_segment_fixed_size: 0
    .kernarg_segment_align: 8
    .kernarg_segment_size: 56
    .language:       OpenCL C
    .language_version:
      - 2
      - 0
    .max_flat_workgroup_size: 256
    .name:           _ZN7rocprim17ROCPRIM_400000_NS6detail17trampoline_kernelINS0_14default_configENS1_29binary_search_config_selectorIsiEEZNS1_14transform_implILb0ES3_S5_N6thrust23THRUST_200600_302600_NS6detail15normal_iteratorINS8_7pointerIsNS8_11hip_rocprim5par_tENS8_11use_defaultESE_EEEENSA_INSB_IiSD_SE_SE_EEEEZNS1_13binary_searchIS3_S5_PsSG_SI_NS1_16binary_search_opENS9_16wrapped_functionINS8_6system6detail7generic6detail18binary_search_lessEbEEEE10hipError_tPvRmT1_T2_T3_mmT4_T5_P12ihipStream_tbEUlRKsE_EEST_SX_SY_mSZ_S12_bEUlT_E_NS1_11comp_targetILNS1_3genE4ELNS1_11target_archE910ELNS1_3gpuE8ELNS1_3repE0EEENS1_30default_config_static_selectorELNS0_4arch9wavefront6targetE0EEEvSW_
    .private_segment_fixed_size: 0
    .sgpr_count:     0
    .sgpr_spill_count: 0
    .symbol:         _ZN7rocprim17ROCPRIM_400000_NS6detail17trampoline_kernelINS0_14default_configENS1_29binary_search_config_selectorIsiEEZNS1_14transform_implILb0ES3_S5_N6thrust23THRUST_200600_302600_NS6detail15normal_iteratorINS8_7pointerIsNS8_11hip_rocprim5par_tENS8_11use_defaultESE_EEEENSA_INSB_IiSD_SE_SE_EEEEZNS1_13binary_searchIS3_S5_PsSG_SI_NS1_16binary_search_opENS9_16wrapped_functionINS8_6system6detail7generic6detail18binary_search_lessEbEEEE10hipError_tPvRmT1_T2_T3_mmT4_T5_P12ihipStream_tbEUlRKsE_EEST_SX_SY_mSZ_S12_bEUlT_E_NS1_11comp_targetILNS1_3genE4ELNS1_11target_archE910ELNS1_3gpuE8ELNS1_3repE0EEENS1_30default_config_static_selectorELNS0_4arch9wavefront6targetE0EEEvSW_.kd
    .uniform_work_group_size: 1
    .uses_dynamic_stack: false
    .vgpr_count:     0
    .vgpr_spill_count: 0
    .wavefront_size: 32
    .workgroup_processor_mode: 1
  - .args:
      - .offset:         0
        .size:           56
        .value_kind:     by_value
    .group_segment_fixed_size: 0
    .kernarg_segment_align: 8
    .kernarg_segment_size: 56
    .language:       OpenCL C
    .language_version:
      - 2
      - 0
    .max_flat_workgroup_size: 128
    .name:           _ZN7rocprim17ROCPRIM_400000_NS6detail17trampoline_kernelINS0_14default_configENS1_29binary_search_config_selectorIsiEEZNS1_14transform_implILb0ES3_S5_N6thrust23THRUST_200600_302600_NS6detail15normal_iteratorINS8_7pointerIsNS8_11hip_rocprim5par_tENS8_11use_defaultESE_EEEENSA_INSB_IiSD_SE_SE_EEEEZNS1_13binary_searchIS3_S5_PsSG_SI_NS1_16binary_search_opENS9_16wrapped_functionINS8_6system6detail7generic6detail18binary_search_lessEbEEEE10hipError_tPvRmT1_T2_T3_mmT4_T5_P12ihipStream_tbEUlRKsE_EEST_SX_SY_mSZ_S12_bEUlT_E_NS1_11comp_targetILNS1_3genE3ELNS1_11target_archE908ELNS1_3gpuE7ELNS1_3repE0EEENS1_30default_config_static_selectorELNS0_4arch9wavefront6targetE0EEEvSW_
    .private_segment_fixed_size: 0
    .sgpr_count:     0
    .sgpr_spill_count: 0
    .symbol:         _ZN7rocprim17ROCPRIM_400000_NS6detail17trampoline_kernelINS0_14default_configENS1_29binary_search_config_selectorIsiEEZNS1_14transform_implILb0ES3_S5_N6thrust23THRUST_200600_302600_NS6detail15normal_iteratorINS8_7pointerIsNS8_11hip_rocprim5par_tENS8_11use_defaultESE_EEEENSA_INSB_IiSD_SE_SE_EEEEZNS1_13binary_searchIS3_S5_PsSG_SI_NS1_16binary_search_opENS9_16wrapped_functionINS8_6system6detail7generic6detail18binary_search_lessEbEEEE10hipError_tPvRmT1_T2_T3_mmT4_T5_P12ihipStream_tbEUlRKsE_EEST_SX_SY_mSZ_S12_bEUlT_E_NS1_11comp_targetILNS1_3genE3ELNS1_11target_archE908ELNS1_3gpuE7ELNS1_3repE0EEENS1_30default_config_static_selectorELNS0_4arch9wavefront6targetE0EEEvSW_.kd
    .uniform_work_group_size: 1
    .uses_dynamic_stack: false
    .vgpr_count:     0
    .vgpr_spill_count: 0
    .wavefront_size: 32
    .workgroup_processor_mode: 1
  - .args:
      - .offset:         0
        .size:           56
        .value_kind:     by_value
    .group_segment_fixed_size: 0
    .kernarg_segment_align: 8
    .kernarg_segment_size: 56
    .language:       OpenCL C
    .language_version:
      - 2
      - 0
    .max_flat_workgroup_size: 256
    .name:           _ZN7rocprim17ROCPRIM_400000_NS6detail17trampoline_kernelINS0_14default_configENS1_29binary_search_config_selectorIsiEEZNS1_14transform_implILb0ES3_S5_N6thrust23THRUST_200600_302600_NS6detail15normal_iteratorINS8_7pointerIsNS8_11hip_rocprim5par_tENS8_11use_defaultESE_EEEENSA_INSB_IiSD_SE_SE_EEEEZNS1_13binary_searchIS3_S5_PsSG_SI_NS1_16binary_search_opENS9_16wrapped_functionINS8_6system6detail7generic6detail18binary_search_lessEbEEEE10hipError_tPvRmT1_T2_T3_mmT4_T5_P12ihipStream_tbEUlRKsE_EEST_SX_SY_mSZ_S12_bEUlT_E_NS1_11comp_targetILNS1_3genE2ELNS1_11target_archE906ELNS1_3gpuE6ELNS1_3repE0EEENS1_30default_config_static_selectorELNS0_4arch9wavefront6targetE0EEEvSW_
    .private_segment_fixed_size: 0
    .sgpr_count:     0
    .sgpr_spill_count: 0
    .symbol:         _ZN7rocprim17ROCPRIM_400000_NS6detail17trampoline_kernelINS0_14default_configENS1_29binary_search_config_selectorIsiEEZNS1_14transform_implILb0ES3_S5_N6thrust23THRUST_200600_302600_NS6detail15normal_iteratorINS8_7pointerIsNS8_11hip_rocprim5par_tENS8_11use_defaultESE_EEEENSA_INSB_IiSD_SE_SE_EEEEZNS1_13binary_searchIS3_S5_PsSG_SI_NS1_16binary_search_opENS9_16wrapped_functionINS8_6system6detail7generic6detail18binary_search_lessEbEEEE10hipError_tPvRmT1_T2_T3_mmT4_T5_P12ihipStream_tbEUlRKsE_EEST_SX_SY_mSZ_S12_bEUlT_E_NS1_11comp_targetILNS1_3genE2ELNS1_11target_archE906ELNS1_3gpuE6ELNS1_3repE0EEENS1_30default_config_static_selectorELNS0_4arch9wavefront6targetE0EEEvSW_.kd
    .uniform_work_group_size: 1
    .uses_dynamic_stack: false
    .vgpr_count:     0
    .vgpr_spill_count: 0
    .wavefront_size: 32
    .workgroup_processor_mode: 1
  - .args:
      - .offset:         0
        .size:           56
        .value_kind:     by_value
    .group_segment_fixed_size: 0
    .kernarg_segment_align: 8
    .kernarg_segment_size: 56
    .language:       OpenCL C
    .language_version:
      - 2
      - 0
    .max_flat_workgroup_size: 256
    .name:           _ZN7rocprim17ROCPRIM_400000_NS6detail17trampoline_kernelINS0_14default_configENS1_29binary_search_config_selectorIsiEEZNS1_14transform_implILb0ES3_S5_N6thrust23THRUST_200600_302600_NS6detail15normal_iteratorINS8_7pointerIsNS8_11hip_rocprim5par_tENS8_11use_defaultESE_EEEENSA_INSB_IiSD_SE_SE_EEEEZNS1_13binary_searchIS3_S5_PsSG_SI_NS1_16binary_search_opENS9_16wrapped_functionINS8_6system6detail7generic6detail18binary_search_lessEbEEEE10hipError_tPvRmT1_T2_T3_mmT4_T5_P12ihipStream_tbEUlRKsE_EEST_SX_SY_mSZ_S12_bEUlT_E_NS1_11comp_targetILNS1_3genE10ELNS1_11target_archE1201ELNS1_3gpuE5ELNS1_3repE0EEENS1_30default_config_static_selectorELNS0_4arch9wavefront6targetE0EEEvSW_
    .private_segment_fixed_size: 0
    .sgpr_count:     0
    .sgpr_spill_count: 0
    .symbol:         _ZN7rocprim17ROCPRIM_400000_NS6detail17trampoline_kernelINS0_14default_configENS1_29binary_search_config_selectorIsiEEZNS1_14transform_implILb0ES3_S5_N6thrust23THRUST_200600_302600_NS6detail15normal_iteratorINS8_7pointerIsNS8_11hip_rocprim5par_tENS8_11use_defaultESE_EEEENSA_INSB_IiSD_SE_SE_EEEEZNS1_13binary_searchIS3_S5_PsSG_SI_NS1_16binary_search_opENS9_16wrapped_functionINS8_6system6detail7generic6detail18binary_search_lessEbEEEE10hipError_tPvRmT1_T2_T3_mmT4_T5_P12ihipStream_tbEUlRKsE_EEST_SX_SY_mSZ_S12_bEUlT_E_NS1_11comp_targetILNS1_3genE10ELNS1_11target_archE1201ELNS1_3gpuE5ELNS1_3repE0EEENS1_30default_config_static_selectorELNS0_4arch9wavefront6targetE0EEEvSW_.kd
    .uniform_work_group_size: 1
    .uses_dynamic_stack: false
    .vgpr_count:     0
    .vgpr_spill_count: 0
    .wavefront_size: 32
    .workgroup_processor_mode: 1
  - .args:
      - .offset:         0
        .size:           56
        .value_kind:     by_value
    .group_segment_fixed_size: 0
    .kernarg_segment_align: 8
    .kernarg_segment_size: 56
    .language:       OpenCL C
    .language_version:
      - 2
      - 0
    .max_flat_workgroup_size: 256
    .name:           _ZN7rocprim17ROCPRIM_400000_NS6detail17trampoline_kernelINS0_14default_configENS1_29binary_search_config_selectorIsiEEZNS1_14transform_implILb0ES3_S5_N6thrust23THRUST_200600_302600_NS6detail15normal_iteratorINS8_7pointerIsNS8_11hip_rocprim5par_tENS8_11use_defaultESE_EEEENSA_INSB_IiSD_SE_SE_EEEEZNS1_13binary_searchIS3_S5_PsSG_SI_NS1_16binary_search_opENS9_16wrapped_functionINS8_6system6detail7generic6detail18binary_search_lessEbEEEE10hipError_tPvRmT1_T2_T3_mmT4_T5_P12ihipStream_tbEUlRKsE_EEST_SX_SY_mSZ_S12_bEUlT_E_NS1_11comp_targetILNS1_3genE10ELNS1_11target_archE1200ELNS1_3gpuE4ELNS1_3repE0EEENS1_30default_config_static_selectorELNS0_4arch9wavefront6targetE0EEEvSW_
    .private_segment_fixed_size: 0
    .sgpr_count:     0
    .sgpr_spill_count: 0
    .symbol:         _ZN7rocprim17ROCPRIM_400000_NS6detail17trampoline_kernelINS0_14default_configENS1_29binary_search_config_selectorIsiEEZNS1_14transform_implILb0ES3_S5_N6thrust23THRUST_200600_302600_NS6detail15normal_iteratorINS8_7pointerIsNS8_11hip_rocprim5par_tENS8_11use_defaultESE_EEEENSA_INSB_IiSD_SE_SE_EEEEZNS1_13binary_searchIS3_S5_PsSG_SI_NS1_16binary_search_opENS9_16wrapped_functionINS8_6system6detail7generic6detail18binary_search_lessEbEEEE10hipError_tPvRmT1_T2_T3_mmT4_T5_P12ihipStream_tbEUlRKsE_EEST_SX_SY_mSZ_S12_bEUlT_E_NS1_11comp_targetILNS1_3genE10ELNS1_11target_archE1200ELNS1_3gpuE4ELNS1_3repE0EEENS1_30default_config_static_selectorELNS0_4arch9wavefront6targetE0EEEvSW_.kd
    .uniform_work_group_size: 1
    .uses_dynamic_stack: false
    .vgpr_count:     0
    .vgpr_spill_count: 0
    .wavefront_size: 32
    .workgroup_processor_mode: 1
  - .args:
      - .offset:         0
        .size:           56
        .value_kind:     by_value
    .group_segment_fixed_size: 0
    .kernarg_segment_align: 8
    .kernarg_segment_size: 56
    .language:       OpenCL C
    .language_version:
      - 2
      - 0
    .max_flat_workgroup_size: 64
    .name:           _ZN7rocprim17ROCPRIM_400000_NS6detail17trampoline_kernelINS0_14default_configENS1_29binary_search_config_selectorIsiEEZNS1_14transform_implILb0ES3_S5_N6thrust23THRUST_200600_302600_NS6detail15normal_iteratorINS8_7pointerIsNS8_11hip_rocprim5par_tENS8_11use_defaultESE_EEEENSA_INSB_IiSD_SE_SE_EEEEZNS1_13binary_searchIS3_S5_PsSG_SI_NS1_16binary_search_opENS9_16wrapped_functionINS8_6system6detail7generic6detail18binary_search_lessEbEEEE10hipError_tPvRmT1_T2_T3_mmT4_T5_P12ihipStream_tbEUlRKsE_EEST_SX_SY_mSZ_S12_bEUlT_E_NS1_11comp_targetILNS1_3genE9ELNS1_11target_archE1100ELNS1_3gpuE3ELNS1_3repE0EEENS1_30default_config_static_selectorELNS0_4arch9wavefront6targetE0EEEvSW_
    .private_segment_fixed_size: 0
    .sgpr_count:     0
    .sgpr_spill_count: 0
    .symbol:         _ZN7rocprim17ROCPRIM_400000_NS6detail17trampoline_kernelINS0_14default_configENS1_29binary_search_config_selectorIsiEEZNS1_14transform_implILb0ES3_S5_N6thrust23THRUST_200600_302600_NS6detail15normal_iteratorINS8_7pointerIsNS8_11hip_rocprim5par_tENS8_11use_defaultESE_EEEENSA_INSB_IiSD_SE_SE_EEEEZNS1_13binary_searchIS3_S5_PsSG_SI_NS1_16binary_search_opENS9_16wrapped_functionINS8_6system6detail7generic6detail18binary_search_lessEbEEEE10hipError_tPvRmT1_T2_T3_mmT4_T5_P12ihipStream_tbEUlRKsE_EEST_SX_SY_mSZ_S12_bEUlT_E_NS1_11comp_targetILNS1_3genE9ELNS1_11target_archE1100ELNS1_3gpuE3ELNS1_3repE0EEENS1_30default_config_static_selectorELNS0_4arch9wavefront6targetE0EEEvSW_.kd
    .uniform_work_group_size: 1
    .uses_dynamic_stack: false
    .vgpr_count:     0
    .vgpr_spill_count: 0
    .wavefront_size: 32
    .workgroup_processor_mode: 1
  - .args:
      - .offset:         0
        .size:           56
        .value_kind:     by_value
      - .offset:         56
        .size:           4
        .value_kind:     hidden_block_count_x
      - .offset:         60
        .size:           4
        .value_kind:     hidden_block_count_y
      - .offset:         64
        .size:           4
        .value_kind:     hidden_block_count_z
      - .offset:         68
        .size:           2
        .value_kind:     hidden_group_size_x
      - .offset:         70
        .size:           2
        .value_kind:     hidden_group_size_y
      - .offset:         72
        .size:           2
        .value_kind:     hidden_group_size_z
      - .offset:         74
        .size:           2
        .value_kind:     hidden_remainder_x
      - .offset:         76
        .size:           2
        .value_kind:     hidden_remainder_y
      - .offset:         78
        .size:           2
        .value_kind:     hidden_remainder_z
      - .offset:         96
        .size:           8
        .value_kind:     hidden_global_offset_x
      - .offset:         104
        .size:           8
        .value_kind:     hidden_global_offset_y
      - .offset:         112
        .size:           8
        .value_kind:     hidden_global_offset_z
      - .offset:         120
        .size:           2
        .value_kind:     hidden_grid_dims
    .group_segment_fixed_size: 0
    .kernarg_segment_align: 8
    .kernarg_segment_size: 312
    .language:       OpenCL C
    .language_version:
      - 2
      - 0
    .max_flat_workgroup_size: 128
    .name:           _ZN7rocprim17ROCPRIM_400000_NS6detail17trampoline_kernelINS0_14default_configENS1_29binary_search_config_selectorIsiEEZNS1_14transform_implILb0ES3_S5_N6thrust23THRUST_200600_302600_NS6detail15normal_iteratorINS8_7pointerIsNS8_11hip_rocprim5par_tENS8_11use_defaultESE_EEEENSA_INSB_IiSD_SE_SE_EEEEZNS1_13binary_searchIS3_S5_PsSG_SI_NS1_16binary_search_opENS9_16wrapped_functionINS8_6system6detail7generic6detail18binary_search_lessEbEEEE10hipError_tPvRmT1_T2_T3_mmT4_T5_P12ihipStream_tbEUlRKsE_EEST_SX_SY_mSZ_S12_bEUlT_E_NS1_11comp_targetILNS1_3genE8ELNS1_11target_archE1030ELNS1_3gpuE2ELNS1_3repE0EEENS1_30default_config_static_selectorELNS0_4arch9wavefront6targetE0EEEvSW_
    .private_segment_fixed_size: 0
    .sgpr_count:     22
    .sgpr_spill_count: 0
    .symbol:         _ZN7rocprim17ROCPRIM_400000_NS6detail17trampoline_kernelINS0_14default_configENS1_29binary_search_config_selectorIsiEEZNS1_14transform_implILb0ES3_S5_N6thrust23THRUST_200600_302600_NS6detail15normal_iteratorINS8_7pointerIsNS8_11hip_rocprim5par_tENS8_11use_defaultESE_EEEENSA_INSB_IiSD_SE_SE_EEEEZNS1_13binary_searchIS3_S5_PsSG_SI_NS1_16binary_search_opENS9_16wrapped_functionINS8_6system6detail7generic6detail18binary_search_lessEbEEEE10hipError_tPvRmT1_T2_T3_mmT4_T5_P12ihipStream_tbEUlRKsE_EEST_SX_SY_mSZ_S12_bEUlT_E_NS1_11comp_targetILNS1_3genE8ELNS1_11target_archE1030ELNS1_3gpuE2ELNS1_3repE0EEENS1_30default_config_static_selectorELNS0_4arch9wavefront6targetE0EEEvSW_.kd
    .uniform_work_group_size: 1
    .uses_dynamic_stack: false
    .vgpr_count:     15
    .vgpr_spill_count: 0
    .wavefront_size: 32
    .workgroup_processor_mode: 1
  - .args:
      - .offset:         0
        .size:           56
        .value_kind:     by_value
    .group_segment_fixed_size: 0
    .kernarg_segment_align: 8
    .kernarg_segment_size: 56
    .language:       OpenCL C
    .language_version:
      - 2
      - 0
    .max_flat_workgroup_size: 64
    .name:           _ZN7rocprim17ROCPRIM_400000_NS6detail17trampoline_kernelINS0_14default_configENS1_27lower_bound_config_selectorIdlEEZNS1_14transform_implILb0ES3_S5_N6thrust23THRUST_200600_302600_NS6detail15normal_iteratorINS8_7pointerIdNS8_11hip_rocprim5par_tENS8_11use_defaultESE_EEEENSA_INSB_IlSD_SE_SE_EEEEZNS1_13binary_searchIS3_S5_NSA_INS8_10device_ptrIdEEEESG_SI_NS1_21lower_bound_search_opENS9_16wrapped_functionINS8_6system6detail7generic6detail18binary_search_lessEbEEEE10hipError_tPvRmT1_T2_T3_mmT4_T5_P12ihipStream_tbEUlRKdE_EESV_SZ_S10_mS11_S14_bEUlT_E_NS1_11comp_targetILNS1_3genE0ELNS1_11target_archE4294967295ELNS1_3gpuE0ELNS1_3repE0EEENS1_30default_config_static_selectorELNS0_4arch9wavefront6targetE0EEEvSY_
    .private_segment_fixed_size: 0
    .sgpr_count:     0
    .sgpr_spill_count: 0
    .symbol:         _ZN7rocprim17ROCPRIM_400000_NS6detail17trampoline_kernelINS0_14default_configENS1_27lower_bound_config_selectorIdlEEZNS1_14transform_implILb0ES3_S5_N6thrust23THRUST_200600_302600_NS6detail15normal_iteratorINS8_7pointerIdNS8_11hip_rocprim5par_tENS8_11use_defaultESE_EEEENSA_INSB_IlSD_SE_SE_EEEEZNS1_13binary_searchIS3_S5_NSA_INS8_10device_ptrIdEEEESG_SI_NS1_21lower_bound_search_opENS9_16wrapped_functionINS8_6system6detail7generic6detail18binary_search_lessEbEEEE10hipError_tPvRmT1_T2_T3_mmT4_T5_P12ihipStream_tbEUlRKdE_EESV_SZ_S10_mS11_S14_bEUlT_E_NS1_11comp_targetILNS1_3genE0ELNS1_11target_archE4294967295ELNS1_3gpuE0ELNS1_3repE0EEENS1_30default_config_static_selectorELNS0_4arch9wavefront6targetE0EEEvSY_.kd
    .uniform_work_group_size: 1
    .uses_dynamic_stack: false
    .vgpr_count:     0
    .vgpr_spill_count: 0
    .wavefront_size: 32
    .workgroup_processor_mode: 1
  - .args:
      - .offset:         0
        .size:           56
        .value_kind:     by_value
    .group_segment_fixed_size: 0
    .kernarg_segment_align: 8
    .kernarg_segment_size: 56
    .language:       OpenCL C
    .language_version:
      - 2
      - 0
    .max_flat_workgroup_size: 64
    .name:           _ZN7rocprim17ROCPRIM_400000_NS6detail17trampoline_kernelINS0_14default_configENS1_27lower_bound_config_selectorIdlEEZNS1_14transform_implILb0ES3_S5_N6thrust23THRUST_200600_302600_NS6detail15normal_iteratorINS8_7pointerIdNS8_11hip_rocprim5par_tENS8_11use_defaultESE_EEEENSA_INSB_IlSD_SE_SE_EEEEZNS1_13binary_searchIS3_S5_NSA_INS8_10device_ptrIdEEEESG_SI_NS1_21lower_bound_search_opENS9_16wrapped_functionINS8_6system6detail7generic6detail18binary_search_lessEbEEEE10hipError_tPvRmT1_T2_T3_mmT4_T5_P12ihipStream_tbEUlRKdE_EESV_SZ_S10_mS11_S14_bEUlT_E_NS1_11comp_targetILNS1_3genE5ELNS1_11target_archE942ELNS1_3gpuE9ELNS1_3repE0EEENS1_30default_config_static_selectorELNS0_4arch9wavefront6targetE0EEEvSY_
    .private_segment_fixed_size: 0
    .sgpr_count:     0
    .sgpr_spill_count: 0
    .symbol:         _ZN7rocprim17ROCPRIM_400000_NS6detail17trampoline_kernelINS0_14default_configENS1_27lower_bound_config_selectorIdlEEZNS1_14transform_implILb0ES3_S5_N6thrust23THRUST_200600_302600_NS6detail15normal_iteratorINS8_7pointerIdNS8_11hip_rocprim5par_tENS8_11use_defaultESE_EEEENSA_INSB_IlSD_SE_SE_EEEEZNS1_13binary_searchIS3_S5_NSA_INS8_10device_ptrIdEEEESG_SI_NS1_21lower_bound_search_opENS9_16wrapped_functionINS8_6system6detail7generic6detail18binary_search_lessEbEEEE10hipError_tPvRmT1_T2_T3_mmT4_T5_P12ihipStream_tbEUlRKdE_EESV_SZ_S10_mS11_S14_bEUlT_E_NS1_11comp_targetILNS1_3genE5ELNS1_11target_archE942ELNS1_3gpuE9ELNS1_3repE0EEENS1_30default_config_static_selectorELNS0_4arch9wavefront6targetE0EEEvSY_.kd
    .uniform_work_group_size: 1
    .uses_dynamic_stack: false
    .vgpr_count:     0
    .vgpr_spill_count: 0
    .wavefront_size: 32
    .workgroup_processor_mode: 1
  - .args:
      - .offset:         0
        .size:           56
        .value_kind:     by_value
    .group_segment_fixed_size: 0
    .kernarg_segment_align: 8
    .kernarg_segment_size: 56
    .language:       OpenCL C
    .language_version:
      - 2
      - 0
    .max_flat_workgroup_size: 64
    .name:           _ZN7rocprim17ROCPRIM_400000_NS6detail17trampoline_kernelINS0_14default_configENS1_27lower_bound_config_selectorIdlEEZNS1_14transform_implILb0ES3_S5_N6thrust23THRUST_200600_302600_NS6detail15normal_iteratorINS8_7pointerIdNS8_11hip_rocprim5par_tENS8_11use_defaultESE_EEEENSA_INSB_IlSD_SE_SE_EEEEZNS1_13binary_searchIS3_S5_NSA_INS8_10device_ptrIdEEEESG_SI_NS1_21lower_bound_search_opENS9_16wrapped_functionINS8_6system6detail7generic6detail18binary_search_lessEbEEEE10hipError_tPvRmT1_T2_T3_mmT4_T5_P12ihipStream_tbEUlRKdE_EESV_SZ_S10_mS11_S14_bEUlT_E_NS1_11comp_targetILNS1_3genE4ELNS1_11target_archE910ELNS1_3gpuE8ELNS1_3repE0EEENS1_30default_config_static_selectorELNS0_4arch9wavefront6targetE0EEEvSY_
    .private_segment_fixed_size: 0
    .sgpr_count:     0
    .sgpr_spill_count: 0
    .symbol:         _ZN7rocprim17ROCPRIM_400000_NS6detail17trampoline_kernelINS0_14default_configENS1_27lower_bound_config_selectorIdlEEZNS1_14transform_implILb0ES3_S5_N6thrust23THRUST_200600_302600_NS6detail15normal_iteratorINS8_7pointerIdNS8_11hip_rocprim5par_tENS8_11use_defaultESE_EEEENSA_INSB_IlSD_SE_SE_EEEEZNS1_13binary_searchIS3_S5_NSA_INS8_10device_ptrIdEEEESG_SI_NS1_21lower_bound_search_opENS9_16wrapped_functionINS8_6system6detail7generic6detail18binary_search_lessEbEEEE10hipError_tPvRmT1_T2_T3_mmT4_T5_P12ihipStream_tbEUlRKdE_EESV_SZ_S10_mS11_S14_bEUlT_E_NS1_11comp_targetILNS1_3genE4ELNS1_11target_archE910ELNS1_3gpuE8ELNS1_3repE0EEENS1_30default_config_static_selectorELNS0_4arch9wavefront6targetE0EEEvSY_.kd
    .uniform_work_group_size: 1
    .uses_dynamic_stack: false
    .vgpr_count:     0
    .vgpr_spill_count: 0
    .wavefront_size: 32
    .workgroup_processor_mode: 1
  - .args:
      - .offset:         0
        .size:           56
        .value_kind:     by_value
    .group_segment_fixed_size: 0
    .kernarg_segment_align: 8
    .kernarg_segment_size: 56
    .language:       OpenCL C
    .language_version:
      - 2
      - 0
    .max_flat_workgroup_size: 64
    .name:           _ZN7rocprim17ROCPRIM_400000_NS6detail17trampoline_kernelINS0_14default_configENS1_27lower_bound_config_selectorIdlEEZNS1_14transform_implILb0ES3_S5_N6thrust23THRUST_200600_302600_NS6detail15normal_iteratorINS8_7pointerIdNS8_11hip_rocprim5par_tENS8_11use_defaultESE_EEEENSA_INSB_IlSD_SE_SE_EEEEZNS1_13binary_searchIS3_S5_NSA_INS8_10device_ptrIdEEEESG_SI_NS1_21lower_bound_search_opENS9_16wrapped_functionINS8_6system6detail7generic6detail18binary_search_lessEbEEEE10hipError_tPvRmT1_T2_T3_mmT4_T5_P12ihipStream_tbEUlRKdE_EESV_SZ_S10_mS11_S14_bEUlT_E_NS1_11comp_targetILNS1_3genE3ELNS1_11target_archE908ELNS1_3gpuE7ELNS1_3repE0EEENS1_30default_config_static_selectorELNS0_4arch9wavefront6targetE0EEEvSY_
    .private_segment_fixed_size: 0
    .sgpr_count:     0
    .sgpr_spill_count: 0
    .symbol:         _ZN7rocprim17ROCPRIM_400000_NS6detail17trampoline_kernelINS0_14default_configENS1_27lower_bound_config_selectorIdlEEZNS1_14transform_implILb0ES3_S5_N6thrust23THRUST_200600_302600_NS6detail15normal_iteratorINS8_7pointerIdNS8_11hip_rocprim5par_tENS8_11use_defaultESE_EEEENSA_INSB_IlSD_SE_SE_EEEEZNS1_13binary_searchIS3_S5_NSA_INS8_10device_ptrIdEEEESG_SI_NS1_21lower_bound_search_opENS9_16wrapped_functionINS8_6system6detail7generic6detail18binary_search_lessEbEEEE10hipError_tPvRmT1_T2_T3_mmT4_T5_P12ihipStream_tbEUlRKdE_EESV_SZ_S10_mS11_S14_bEUlT_E_NS1_11comp_targetILNS1_3genE3ELNS1_11target_archE908ELNS1_3gpuE7ELNS1_3repE0EEENS1_30default_config_static_selectorELNS0_4arch9wavefront6targetE0EEEvSY_.kd
    .uniform_work_group_size: 1
    .uses_dynamic_stack: false
    .vgpr_count:     0
    .vgpr_spill_count: 0
    .wavefront_size: 32
    .workgroup_processor_mode: 1
  - .args:
      - .offset:         0
        .size:           56
        .value_kind:     by_value
    .group_segment_fixed_size: 0
    .kernarg_segment_align: 8
    .kernarg_segment_size: 56
    .language:       OpenCL C
    .language_version:
      - 2
      - 0
    .max_flat_workgroup_size: 256
    .name:           _ZN7rocprim17ROCPRIM_400000_NS6detail17trampoline_kernelINS0_14default_configENS1_27lower_bound_config_selectorIdlEEZNS1_14transform_implILb0ES3_S5_N6thrust23THRUST_200600_302600_NS6detail15normal_iteratorINS8_7pointerIdNS8_11hip_rocprim5par_tENS8_11use_defaultESE_EEEENSA_INSB_IlSD_SE_SE_EEEEZNS1_13binary_searchIS3_S5_NSA_INS8_10device_ptrIdEEEESG_SI_NS1_21lower_bound_search_opENS9_16wrapped_functionINS8_6system6detail7generic6detail18binary_search_lessEbEEEE10hipError_tPvRmT1_T2_T3_mmT4_T5_P12ihipStream_tbEUlRKdE_EESV_SZ_S10_mS11_S14_bEUlT_E_NS1_11comp_targetILNS1_3genE2ELNS1_11target_archE906ELNS1_3gpuE6ELNS1_3repE0EEENS1_30default_config_static_selectorELNS0_4arch9wavefront6targetE0EEEvSY_
    .private_segment_fixed_size: 0
    .sgpr_count:     0
    .sgpr_spill_count: 0
    .symbol:         _ZN7rocprim17ROCPRIM_400000_NS6detail17trampoline_kernelINS0_14default_configENS1_27lower_bound_config_selectorIdlEEZNS1_14transform_implILb0ES3_S5_N6thrust23THRUST_200600_302600_NS6detail15normal_iteratorINS8_7pointerIdNS8_11hip_rocprim5par_tENS8_11use_defaultESE_EEEENSA_INSB_IlSD_SE_SE_EEEEZNS1_13binary_searchIS3_S5_NSA_INS8_10device_ptrIdEEEESG_SI_NS1_21lower_bound_search_opENS9_16wrapped_functionINS8_6system6detail7generic6detail18binary_search_lessEbEEEE10hipError_tPvRmT1_T2_T3_mmT4_T5_P12ihipStream_tbEUlRKdE_EESV_SZ_S10_mS11_S14_bEUlT_E_NS1_11comp_targetILNS1_3genE2ELNS1_11target_archE906ELNS1_3gpuE6ELNS1_3repE0EEENS1_30default_config_static_selectorELNS0_4arch9wavefront6targetE0EEEvSY_.kd
    .uniform_work_group_size: 1
    .uses_dynamic_stack: false
    .vgpr_count:     0
    .vgpr_spill_count: 0
    .wavefront_size: 32
    .workgroup_processor_mode: 1
  - .args:
      - .offset:         0
        .size:           56
        .value_kind:     by_value
    .group_segment_fixed_size: 0
    .kernarg_segment_align: 8
    .kernarg_segment_size: 56
    .language:       OpenCL C
    .language_version:
      - 2
      - 0
    .max_flat_workgroup_size: 128
    .name:           _ZN7rocprim17ROCPRIM_400000_NS6detail17trampoline_kernelINS0_14default_configENS1_27lower_bound_config_selectorIdlEEZNS1_14transform_implILb0ES3_S5_N6thrust23THRUST_200600_302600_NS6detail15normal_iteratorINS8_7pointerIdNS8_11hip_rocprim5par_tENS8_11use_defaultESE_EEEENSA_INSB_IlSD_SE_SE_EEEEZNS1_13binary_searchIS3_S5_NSA_INS8_10device_ptrIdEEEESG_SI_NS1_21lower_bound_search_opENS9_16wrapped_functionINS8_6system6detail7generic6detail18binary_search_lessEbEEEE10hipError_tPvRmT1_T2_T3_mmT4_T5_P12ihipStream_tbEUlRKdE_EESV_SZ_S10_mS11_S14_bEUlT_E_NS1_11comp_targetILNS1_3genE10ELNS1_11target_archE1201ELNS1_3gpuE5ELNS1_3repE0EEENS1_30default_config_static_selectorELNS0_4arch9wavefront6targetE0EEEvSY_
    .private_segment_fixed_size: 0
    .sgpr_count:     0
    .sgpr_spill_count: 0
    .symbol:         _ZN7rocprim17ROCPRIM_400000_NS6detail17trampoline_kernelINS0_14default_configENS1_27lower_bound_config_selectorIdlEEZNS1_14transform_implILb0ES3_S5_N6thrust23THRUST_200600_302600_NS6detail15normal_iteratorINS8_7pointerIdNS8_11hip_rocprim5par_tENS8_11use_defaultESE_EEEENSA_INSB_IlSD_SE_SE_EEEEZNS1_13binary_searchIS3_S5_NSA_INS8_10device_ptrIdEEEESG_SI_NS1_21lower_bound_search_opENS9_16wrapped_functionINS8_6system6detail7generic6detail18binary_search_lessEbEEEE10hipError_tPvRmT1_T2_T3_mmT4_T5_P12ihipStream_tbEUlRKdE_EESV_SZ_S10_mS11_S14_bEUlT_E_NS1_11comp_targetILNS1_3genE10ELNS1_11target_archE1201ELNS1_3gpuE5ELNS1_3repE0EEENS1_30default_config_static_selectorELNS0_4arch9wavefront6targetE0EEEvSY_.kd
    .uniform_work_group_size: 1
    .uses_dynamic_stack: false
    .vgpr_count:     0
    .vgpr_spill_count: 0
    .wavefront_size: 32
    .workgroup_processor_mode: 1
  - .args:
      - .offset:         0
        .size:           56
        .value_kind:     by_value
    .group_segment_fixed_size: 0
    .kernarg_segment_align: 8
    .kernarg_segment_size: 56
    .language:       OpenCL C
    .language_version:
      - 2
      - 0
    .max_flat_workgroup_size: 128
    .name:           _ZN7rocprim17ROCPRIM_400000_NS6detail17trampoline_kernelINS0_14default_configENS1_27lower_bound_config_selectorIdlEEZNS1_14transform_implILb0ES3_S5_N6thrust23THRUST_200600_302600_NS6detail15normal_iteratorINS8_7pointerIdNS8_11hip_rocprim5par_tENS8_11use_defaultESE_EEEENSA_INSB_IlSD_SE_SE_EEEEZNS1_13binary_searchIS3_S5_NSA_INS8_10device_ptrIdEEEESG_SI_NS1_21lower_bound_search_opENS9_16wrapped_functionINS8_6system6detail7generic6detail18binary_search_lessEbEEEE10hipError_tPvRmT1_T2_T3_mmT4_T5_P12ihipStream_tbEUlRKdE_EESV_SZ_S10_mS11_S14_bEUlT_E_NS1_11comp_targetILNS1_3genE10ELNS1_11target_archE1200ELNS1_3gpuE4ELNS1_3repE0EEENS1_30default_config_static_selectorELNS0_4arch9wavefront6targetE0EEEvSY_
    .private_segment_fixed_size: 0
    .sgpr_count:     0
    .sgpr_spill_count: 0
    .symbol:         _ZN7rocprim17ROCPRIM_400000_NS6detail17trampoline_kernelINS0_14default_configENS1_27lower_bound_config_selectorIdlEEZNS1_14transform_implILb0ES3_S5_N6thrust23THRUST_200600_302600_NS6detail15normal_iteratorINS8_7pointerIdNS8_11hip_rocprim5par_tENS8_11use_defaultESE_EEEENSA_INSB_IlSD_SE_SE_EEEEZNS1_13binary_searchIS3_S5_NSA_INS8_10device_ptrIdEEEESG_SI_NS1_21lower_bound_search_opENS9_16wrapped_functionINS8_6system6detail7generic6detail18binary_search_lessEbEEEE10hipError_tPvRmT1_T2_T3_mmT4_T5_P12ihipStream_tbEUlRKdE_EESV_SZ_S10_mS11_S14_bEUlT_E_NS1_11comp_targetILNS1_3genE10ELNS1_11target_archE1200ELNS1_3gpuE4ELNS1_3repE0EEENS1_30default_config_static_selectorELNS0_4arch9wavefront6targetE0EEEvSY_.kd
    .uniform_work_group_size: 1
    .uses_dynamic_stack: false
    .vgpr_count:     0
    .vgpr_spill_count: 0
    .wavefront_size: 32
    .workgroup_processor_mode: 1
  - .args:
      - .offset:         0
        .size:           56
        .value_kind:     by_value
    .group_segment_fixed_size: 0
    .kernarg_segment_align: 8
    .kernarg_segment_size: 56
    .language:       OpenCL C
    .language_version:
      - 2
      - 0
    .max_flat_workgroup_size: 256
    .name:           _ZN7rocprim17ROCPRIM_400000_NS6detail17trampoline_kernelINS0_14default_configENS1_27lower_bound_config_selectorIdlEEZNS1_14transform_implILb0ES3_S5_N6thrust23THRUST_200600_302600_NS6detail15normal_iteratorINS8_7pointerIdNS8_11hip_rocprim5par_tENS8_11use_defaultESE_EEEENSA_INSB_IlSD_SE_SE_EEEEZNS1_13binary_searchIS3_S5_NSA_INS8_10device_ptrIdEEEESG_SI_NS1_21lower_bound_search_opENS9_16wrapped_functionINS8_6system6detail7generic6detail18binary_search_lessEbEEEE10hipError_tPvRmT1_T2_T3_mmT4_T5_P12ihipStream_tbEUlRKdE_EESV_SZ_S10_mS11_S14_bEUlT_E_NS1_11comp_targetILNS1_3genE9ELNS1_11target_archE1100ELNS1_3gpuE3ELNS1_3repE0EEENS1_30default_config_static_selectorELNS0_4arch9wavefront6targetE0EEEvSY_
    .private_segment_fixed_size: 0
    .sgpr_count:     0
    .sgpr_spill_count: 0
    .symbol:         _ZN7rocprim17ROCPRIM_400000_NS6detail17trampoline_kernelINS0_14default_configENS1_27lower_bound_config_selectorIdlEEZNS1_14transform_implILb0ES3_S5_N6thrust23THRUST_200600_302600_NS6detail15normal_iteratorINS8_7pointerIdNS8_11hip_rocprim5par_tENS8_11use_defaultESE_EEEENSA_INSB_IlSD_SE_SE_EEEEZNS1_13binary_searchIS3_S5_NSA_INS8_10device_ptrIdEEEESG_SI_NS1_21lower_bound_search_opENS9_16wrapped_functionINS8_6system6detail7generic6detail18binary_search_lessEbEEEE10hipError_tPvRmT1_T2_T3_mmT4_T5_P12ihipStream_tbEUlRKdE_EESV_SZ_S10_mS11_S14_bEUlT_E_NS1_11comp_targetILNS1_3genE9ELNS1_11target_archE1100ELNS1_3gpuE3ELNS1_3repE0EEENS1_30default_config_static_selectorELNS0_4arch9wavefront6targetE0EEEvSY_.kd
    .uniform_work_group_size: 1
    .uses_dynamic_stack: false
    .vgpr_count:     0
    .vgpr_spill_count: 0
    .wavefront_size: 32
    .workgroup_processor_mode: 1
  - .args:
      - .offset:         0
        .size:           56
        .value_kind:     by_value
      - .offset:         56
        .size:           4
        .value_kind:     hidden_block_count_x
      - .offset:         60
        .size:           4
        .value_kind:     hidden_block_count_y
      - .offset:         64
        .size:           4
        .value_kind:     hidden_block_count_z
      - .offset:         68
        .size:           2
        .value_kind:     hidden_group_size_x
      - .offset:         70
        .size:           2
        .value_kind:     hidden_group_size_y
      - .offset:         72
        .size:           2
        .value_kind:     hidden_group_size_z
      - .offset:         74
        .size:           2
        .value_kind:     hidden_remainder_x
      - .offset:         76
        .size:           2
        .value_kind:     hidden_remainder_y
      - .offset:         78
        .size:           2
        .value_kind:     hidden_remainder_z
      - .offset:         96
        .size:           8
        .value_kind:     hidden_global_offset_x
      - .offset:         104
        .size:           8
        .value_kind:     hidden_global_offset_y
      - .offset:         112
        .size:           8
        .value_kind:     hidden_global_offset_z
      - .offset:         120
        .size:           2
        .value_kind:     hidden_grid_dims
    .group_segment_fixed_size: 0
    .kernarg_segment_align: 8
    .kernarg_segment_size: 312
    .language:       OpenCL C
    .language_version:
      - 2
      - 0
    .max_flat_workgroup_size: 256
    .name:           _ZN7rocprim17ROCPRIM_400000_NS6detail17trampoline_kernelINS0_14default_configENS1_27lower_bound_config_selectorIdlEEZNS1_14transform_implILb0ES3_S5_N6thrust23THRUST_200600_302600_NS6detail15normal_iteratorINS8_7pointerIdNS8_11hip_rocprim5par_tENS8_11use_defaultESE_EEEENSA_INSB_IlSD_SE_SE_EEEEZNS1_13binary_searchIS3_S5_NSA_INS8_10device_ptrIdEEEESG_SI_NS1_21lower_bound_search_opENS9_16wrapped_functionINS8_6system6detail7generic6detail18binary_search_lessEbEEEE10hipError_tPvRmT1_T2_T3_mmT4_T5_P12ihipStream_tbEUlRKdE_EESV_SZ_S10_mS11_S14_bEUlT_E_NS1_11comp_targetILNS1_3genE8ELNS1_11target_archE1030ELNS1_3gpuE2ELNS1_3repE0EEENS1_30default_config_static_selectorELNS0_4arch9wavefront6targetE0EEEvSY_
    .private_segment_fixed_size: 0
    .sgpr_count:     22
    .sgpr_spill_count: 0
    .symbol:         _ZN7rocprim17ROCPRIM_400000_NS6detail17trampoline_kernelINS0_14default_configENS1_27lower_bound_config_selectorIdlEEZNS1_14transform_implILb0ES3_S5_N6thrust23THRUST_200600_302600_NS6detail15normal_iteratorINS8_7pointerIdNS8_11hip_rocprim5par_tENS8_11use_defaultESE_EEEENSA_INSB_IlSD_SE_SE_EEEEZNS1_13binary_searchIS3_S5_NSA_INS8_10device_ptrIdEEEESG_SI_NS1_21lower_bound_search_opENS9_16wrapped_functionINS8_6system6detail7generic6detail18binary_search_lessEbEEEE10hipError_tPvRmT1_T2_T3_mmT4_T5_P12ihipStream_tbEUlRKdE_EESV_SZ_S10_mS11_S14_bEUlT_E_NS1_11comp_targetILNS1_3genE8ELNS1_11target_archE1030ELNS1_3gpuE2ELNS1_3repE0EEENS1_30default_config_static_selectorELNS0_4arch9wavefront6targetE0EEEvSY_.kd
    .uniform_work_group_size: 1
    .uses_dynamic_stack: false
    .vgpr_count:     11
    .vgpr_spill_count: 0
    .wavefront_size: 32
    .workgroup_processor_mode: 1
  - .args:
      - .offset:         0
        .size:           56
        .value_kind:     by_value
    .group_segment_fixed_size: 0
    .kernarg_segment_align: 8
    .kernarg_segment_size: 56
    .language:       OpenCL C
    .language_version:
      - 2
      - 0
    .max_flat_workgroup_size: 256
    .name:           _ZN7rocprim17ROCPRIM_400000_NS6detail17trampoline_kernelINS0_14default_configENS1_27lower_bound_config_selectorIflEEZNS1_14transform_implILb0ES3_S5_N6thrust23THRUST_200600_302600_NS6detail15normal_iteratorINS8_7pointerIfNS8_11hip_rocprim16par_det_nosync_tENS8_11use_defaultESE_EEEENSA_INSB_IlSD_SE_SE_EEEEZNS1_13binary_searchIS3_S5_NSA_INS8_10device_ptrIfEEEESG_SI_NS1_21lower_bound_search_opENS9_16wrapped_functionINS8_6system6detail7generic6detail18binary_search_lessEbEEEE10hipError_tPvRmT1_T2_T3_mmT4_T5_P12ihipStream_tbEUlRKfE_EESV_SZ_S10_mS11_S14_bEUlT_E_NS1_11comp_targetILNS1_3genE0ELNS1_11target_archE4294967295ELNS1_3gpuE0ELNS1_3repE0EEENS1_30default_config_static_selectorELNS0_4arch9wavefront6targetE0EEEvSY_
    .private_segment_fixed_size: 0
    .sgpr_count:     0
    .sgpr_spill_count: 0
    .symbol:         _ZN7rocprim17ROCPRIM_400000_NS6detail17trampoline_kernelINS0_14default_configENS1_27lower_bound_config_selectorIflEEZNS1_14transform_implILb0ES3_S5_N6thrust23THRUST_200600_302600_NS6detail15normal_iteratorINS8_7pointerIfNS8_11hip_rocprim16par_det_nosync_tENS8_11use_defaultESE_EEEENSA_INSB_IlSD_SE_SE_EEEEZNS1_13binary_searchIS3_S5_NSA_INS8_10device_ptrIfEEEESG_SI_NS1_21lower_bound_search_opENS9_16wrapped_functionINS8_6system6detail7generic6detail18binary_search_lessEbEEEE10hipError_tPvRmT1_T2_T3_mmT4_T5_P12ihipStream_tbEUlRKfE_EESV_SZ_S10_mS11_S14_bEUlT_E_NS1_11comp_targetILNS1_3genE0ELNS1_11target_archE4294967295ELNS1_3gpuE0ELNS1_3repE0EEENS1_30default_config_static_selectorELNS0_4arch9wavefront6targetE0EEEvSY_.kd
    .uniform_work_group_size: 1
    .uses_dynamic_stack: false
    .vgpr_count:     0
    .vgpr_spill_count: 0
    .wavefront_size: 32
    .workgroup_processor_mode: 1
  - .args:
      - .offset:         0
        .size:           56
        .value_kind:     by_value
    .group_segment_fixed_size: 0
    .kernarg_segment_align: 8
    .kernarg_segment_size: 56
    .language:       OpenCL C
    .language_version:
      - 2
      - 0
    .max_flat_workgroup_size: 256
    .name:           _ZN7rocprim17ROCPRIM_400000_NS6detail17trampoline_kernelINS0_14default_configENS1_27lower_bound_config_selectorIflEEZNS1_14transform_implILb0ES3_S5_N6thrust23THRUST_200600_302600_NS6detail15normal_iteratorINS8_7pointerIfNS8_11hip_rocprim16par_det_nosync_tENS8_11use_defaultESE_EEEENSA_INSB_IlSD_SE_SE_EEEEZNS1_13binary_searchIS3_S5_NSA_INS8_10device_ptrIfEEEESG_SI_NS1_21lower_bound_search_opENS9_16wrapped_functionINS8_6system6detail7generic6detail18binary_search_lessEbEEEE10hipError_tPvRmT1_T2_T3_mmT4_T5_P12ihipStream_tbEUlRKfE_EESV_SZ_S10_mS11_S14_bEUlT_E_NS1_11comp_targetILNS1_3genE5ELNS1_11target_archE942ELNS1_3gpuE9ELNS1_3repE0EEENS1_30default_config_static_selectorELNS0_4arch9wavefront6targetE0EEEvSY_
    .private_segment_fixed_size: 0
    .sgpr_count:     0
    .sgpr_spill_count: 0
    .symbol:         _ZN7rocprim17ROCPRIM_400000_NS6detail17trampoline_kernelINS0_14default_configENS1_27lower_bound_config_selectorIflEEZNS1_14transform_implILb0ES3_S5_N6thrust23THRUST_200600_302600_NS6detail15normal_iteratorINS8_7pointerIfNS8_11hip_rocprim16par_det_nosync_tENS8_11use_defaultESE_EEEENSA_INSB_IlSD_SE_SE_EEEEZNS1_13binary_searchIS3_S5_NSA_INS8_10device_ptrIfEEEESG_SI_NS1_21lower_bound_search_opENS9_16wrapped_functionINS8_6system6detail7generic6detail18binary_search_lessEbEEEE10hipError_tPvRmT1_T2_T3_mmT4_T5_P12ihipStream_tbEUlRKfE_EESV_SZ_S10_mS11_S14_bEUlT_E_NS1_11comp_targetILNS1_3genE5ELNS1_11target_archE942ELNS1_3gpuE9ELNS1_3repE0EEENS1_30default_config_static_selectorELNS0_4arch9wavefront6targetE0EEEvSY_.kd
    .uniform_work_group_size: 1
    .uses_dynamic_stack: false
    .vgpr_count:     0
    .vgpr_spill_count: 0
    .wavefront_size: 32
    .workgroup_processor_mode: 1
  - .args:
      - .offset:         0
        .size:           56
        .value_kind:     by_value
    .group_segment_fixed_size: 0
    .kernarg_segment_align: 8
    .kernarg_segment_size: 56
    .language:       OpenCL C
    .language_version:
      - 2
      - 0
    .max_flat_workgroup_size: 256
    .name:           _ZN7rocprim17ROCPRIM_400000_NS6detail17trampoline_kernelINS0_14default_configENS1_27lower_bound_config_selectorIflEEZNS1_14transform_implILb0ES3_S5_N6thrust23THRUST_200600_302600_NS6detail15normal_iteratorINS8_7pointerIfNS8_11hip_rocprim16par_det_nosync_tENS8_11use_defaultESE_EEEENSA_INSB_IlSD_SE_SE_EEEEZNS1_13binary_searchIS3_S5_NSA_INS8_10device_ptrIfEEEESG_SI_NS1_21lower_bound_search_opENS9_16wrapped_functionINS8_6system6detail7generic6detail18binary_search_lessEbEEEE10hipError_tPvRmT1_T2_T3_mmT4_T5_P12ihipStream_tbEUlRKfE_EESV_SZ_S10_mS11_S14_bEUlT_E_NS1_11comp_targetILNS1_3genE4ELNS1_11target_archE910ELNS1_3gpuE8ELNS1_3repE0EEENS1_30default_config_static_selectorELNS0_4arch9wavefront6targetE0EEEvSY_
    .private_segment_fixed_size: 0
    .sgpr_count:     0
    .sgpr_spill_count: 0
    .symbol:         _ZN7rocprim17ROCPRIM_400000_NS6detail17trampoline_kernelINS0_14default_configENS1_27lower_bound_config_selectorIflEEZNS1_14transform_implILb0ES3_S5_N6thrust23THRUST_200600_302600_NS6detail15normal_iteratorINS8_7pointerIfNS8_11hip_rocprim16par_det_nosync_tENS8_11use_defaultESE_EEEENSA_INSB_IlSD_SE_SE_EEEEZNS1_13binary_searchIS3_S5_NSA_INS8_10device_ptrIfEEEESG_SI_NS1_21lower_bound_search_opENS9_16wrapped_functionINS8_6system6detail7generic6detail18binary_search_lessEbEEEE10hipError_tPvRmT1_T2_T3_mmT4_T5_P12ihipStream_tbEUlRKfE_EESV_SZ_S10_mS11_S14_bEUlT_E_NS1_11comp_targetILNS1_3genE4ELNS1_11target_archE910ELNS1_3gpuE8ELNS1_3repE0EEENS1_30default_config_static_selectorELNS0_4arch9wavefront6targetE0EEEvSY_.kd
    .uniform_work_group_size: 1
    .uses_dynamic_stack: false
    .vgpr_count:     0
    .vgpr_spill_count: 0
    .wavefront_size: 32
    .workgroup_processor_mode: 1
  - .args:
      - .offset:         0
        .size:           56
        .value_kind:     by_value
    .group_segment_fixed_size: 0
    .kernarg_segment_align: 8
    .kernarg_segment_size: 56
    .language:       OpenCL C
    .language_version:
      - 2
      - 0
    .max_flat_workgroup_size: 256
    .name:           _ZN7rocprim17ROCPRIM_400000_NS6detail17trampoline_kernelINS0_14default_configENS1_27lower_bound_config_selectorIflEEZNS1_14transform_implILb0ES3_S5_N6thrust23THRUST_200600_302600_NS6detail15normal_iteratorINS8_7pointerIfNS8_11hip_rocprim16par_det_nosync_tENS8_11use_defaultESE_EEEENSA_INSB_IlSD_SE_SE_EEEEZNS1_13binary_searchIS3_S5_NSA_INS8_10device_ptrIfEEEESG_SI_NS1_21lower_bound_search_opENS9_16wrapped_functionINS8_6system6detail7generic6detail18binary_search_lessEbEEEE10hipError_tPvRmT1_T2_T3_mmT4_T5_P12ihipStream_tbEUlRKfE_EESV_SZ_S10_mS11_S14_bEUlT_E_NS1_11comp_targetILNS1_3genE3ELNS1_11target_archE908ELNS1_3gpuE7ELNS1_3repE0EEENS1_30default_config_static_selectorELNS0_4arch9wavefront6targetE0EEEvSY_
    .private_segment_fixed_size: 0
    .sgpr_count:     0
    .sgpr_spill_count: 0
    .symbol:         _ZN7rocprim17ROCPRIM_400000_NS6detail17trampoline_kernelINS0_14default_configENS1_27lower_bound_config_selectorIflEEZNS1_14transform_implILb0ES3_S5_N6thrust23THRUST_200600_302600_NS6detail15normal_iteratorINS8_7pointerIfNS8_11hip_rocprim16par_det_nosync_tENS8_11use_defaultESE_EEEENSA_INSB_IlSD_SE_SE_EEEEZNS1_13binary_searchIS3_S5_NSA_INS8_10device_ptrIfEEEESG_SI_NS1_21lower_bound_search_opENS9_16wrapped_functionINS8_6system6detail7generic6detail18binary_search_lessEbEEEE10hipError_tPvRmT1_T2_T3_mmT4_T5_P12ihipStream_tbEUlRKfE_EESV_SZ_S10_mS11_S14_bEUlT_E_NS1_11comp_targetILNS1_3genE3ELNS1_11target_archE908ELNS1_3gpuE7ELNS1_3repE0EEENS1_30default_config_static_selectorELNS0_4arch9wavefront6targetE0EEEvSY_.kd
    .uniform_work_group_size: 1
    .uses_dynamic_stack: false
    .vgpr_count:     0
    .vgpr_spill_count: 0
    .wavefront_size: 32
    .workgroup_processor_mode: 1
  - .args:
      - .offset:         0
        .size:           56
        .value_kind:     by_value
    .group_segment_fixed_size: 0
    .kernarg_segment_align: 8
    .kernarg_segment_size: 56
    .language:       OpenCL C
    .language_version:
      - 2
      - 0
    .max_flat_workgroup_size: 256
    .name:           _ZN7rocprim17ROCPRIM_400000_NS6detail17trampoline_kernelINS0_14default_configENS1_27lower_bound_config_selectorIflEEZNS1_14transform_implILb0ES3_S5_N6thrust23THRUST_200600_302600_NS6detail15normal_iteratorINS8_7pointerIfNS8_11hip_rocprim16par_det_nosync_tENS8_11use_defaultESE_EEEENSA_INSB_IlSD_SE_SE_EEEEZNS1_13binary_searchIS3_S5_NSA_INS8_10device_ptrIfEEEESG_SI_NS1_21lower_bound_search_opENS9_16wrapped_functionINS8_6system6detail7generic6detail18binary_search_lessEbEEEE10hipError_tPvRmT1_T2_T3_mmT4_T5_P12ihipStream_tbEUlRKfE_EESV_SZ_S10_mS11_S14_bEUlT_E_NS1_11comp_targetILNS1_3genE2ELNS1_11target_archE906ELNS1_3gpuE6ELNS1_3repE0EEENS1_30default_config_static_selectorELNS0_4arch9wavefront6targetE0EEEvSY_
    .private_segment_fixed_size: 0
    .sgpr_count:     0
    .sgpr_spill_count: 0
    .symbol:         _ZN7rocprim17ROCPRIM_400000_NS6detail17trampoline_kernelINS0_14default_configENS1_27lower_bound_config_selectorIflEEZNS1_14transform_implILb0ES3_S5_N6thrust23THRUST_200600_302600_NS6detail15normal_iteratorINS8_7pointerIfNS8_11hip_rocprim16par_det_nosync_tENS8_11use_defaultESE_EEEENSA_INSB_IlSD_SE_SE_EEEEZNS1_13binary_searchIS3_S5_NSA_INS8_10device_ptrIfEEEESG_SI_NS1_21lower_bound_search_opENS9_16wrapped_functionINS8_6system6detail7generic6detail18binary_search_lessEbEEEE10hipError_tPvRmT1_T2_T3_mmT4_T5_P12ihipStream_tbEUlRKfE_EESV_SZ_S10_mS11_S14_bEUlT_E_NS1_11comp_targetILNS1_3genE2ELNS1_11target_archE906ELNS1_3gpuE6ELNS1_3repE0EEENS1_30default_config_static_selectorELNS0_4arch9wavefront6targetE0EEEvSY_.kd
    .uniform_work_group_size: 1
    .uses_dynamic_stack: false
    .vgpr_count:     0
    .vgpr_spill_count: 0
    .wavefront_size: 32
    .workgroup_processor_mode: 1
  - .args:
      - .offset:         0
        .size:           56
        .value_kind:     by_value
    .group_segment_fixed_size: 0
    .kernarg_segment_align: 8
    .kernarg_segment_size: 56
    .language:       OpenCL C
    .language_version:
      - 2
      - 0
    .max_flat_workgroup_size: 128
    .name:           _ZN7rocprim17ROCPRIM_400000_NS6detail17trampoline_kernelINS0_14default_configENS1_27lower_bound_config_selectorIflEEZNS1_14transform_implILb0ES3_S5_N6thrust23THRUST_200600_302600_NS6detail15normal_iteratorINS8_7pointerIfNS8_11hip_rocprim16par_det_nosync_tENS8_11use_defaultESE_EEEENSA_INSB_IlSD_SE_SE_EEEEZNS1_13binary_searchIS3_S5_NSA_INS8_10device_ptrIfEEEESG_SI_NS1_21lower_bound_search_opENS9_16wrapped_functionINS8_6system6detail7generic6detail18binary_search_lessEbEEEE10hipError_tPvRmT1_T2_T3_mmT4_T5_P12ihipStream_tbEUlRKfE_EESV_SZ_S10_mS11_S14_bEUlT_E_NS1_11comp_targetILNS1_3genE10ELNS1_11target_archE1201ELNS1_3gpuE5ELNS1_3repE0EEENS1_30default_config_static_selectorELNS0_4arch9wavefront6targetE0EEEvSY_
    .private_segment_fixed_size: 0
    .sgpr_count:     0
    .sgpr_spill_count: 0
    .symbol:         _ZN7rocprim17ROCPRIM_400000_NS6detail17trampoline_kernelINS0_14default_configENS1_27lower_bound_config_selectorIflEEZNS1_14transform_implILb0ES3_S5_N6thrust23THRUST_200600_302600_NS6detail15normal_iteratorINS8_7pointerIfNS8_11hip_rocprim16par_det_nosync_tENS8_11use_defaultESE_EEEENSA_INSB_IlSD_SE_SE_EEEEZNS1_13binary_searchIS3_S5_NSA_INS8_10device_ptrIfEEEESG_SI_NS1_21lower_bound_search_opENS9_16wrapped_functionINS8_6system6detail7generic6detail18binary_search_lessEbEEEE10hipError_tPvRmT1_T2_T3_mmT4_T5_P12ihipStream_tbEUlRKfE_EESV_SZ_S10_mS11_S14_bEUlT_E_NS1_11comp_targetILNS1_3genE10ELNS1_11target_archE1201ELNS1_3gpuE5ELNS1_3repE0EEENS1_30default_config_static_selectorELNS0_4arch9wavefront6targetE0EEEvSY_.kd
    .uniform_work_group_size: 1
    .uses_dynamic_stack: false
    .vgpr_count:     0
    .vgpr_spill_count: 0
    .wavefront_size: 32
    .workgroup_processor_mode: 1
  - .args:
      - .offset:         0
        .size:           56
        .value_kind:     by_value
    .group_segment_fixed_size: 0
    .kernarg_segment_align: 8
    .kernarg_segment_size: 56
    .language:       OpenCL C
    .language_version:
      - 2
      - 0
    .max_flat_workgroup_size: 128
    .name:           _ZN7rocprim17ROCPRIM_400000_NS6detail17trampoline_kernelINS0_14default_configENS1_27lower_bound_config_selectorIflEEZNS1_14transform_implILb0ES3_S5_N6thrust23THRUST_200600_302600_NS6detail15normal_iteratorINS8_7pointerIfNS8_11hip_rocprim16par_det_nosync_tENS8_11use_defaultESE_EEEENSA_INSB_IlSD_SE_SE_EEEEZNS1_13binary_searchIS3_S5_NSA_INS8_10device_ptrIfEEEESG_SI_NS1_21lower_bound_search_opENS9_16wrapped_functionINS8_6system6detail7generic6detail18binary_search_lessEbEEEE10hipError_tPvRmT1_T2_T3_mmT4_T5_P12ihipStream_tbEUlRKfE_EESV_SZ_S10_mS11_S14_bEUlT_E_NS1_11comp_targetILNS1_3genE10ELNS1_11target_archE1200ELNS1_3gpuE4ELNS1_3repE0EEENS1_30default_config_static_selectorELNS0_4arch9wavefront6targetE0EEEvSY_
    .private_segment_fixed_size: 0
    .sgpr_count:     0
    .sgpr_spill_count: 0
    .symbol:         _ZN7rocprim17ROCPRIM_400000_NS6detail17trampoline_kernelINS0_14default_configENS1_27lower_bound_config_selectorIflEEZNS1_14transform_implILb0ES3_S5_N6thrust23THRUST_200600_302600_NS6detail15normal_iteratorINS8_7pointerIfNS8_11hip_rocprim16par_det_nosync_tENS8_11use_defaultESE_EEEENSA_INSB_IlSD_SE_SE_EEEEZNS1_13binary_searchIS3_S5_NSA_INS8_10device_ptrIfEEEESG_SI_NS1_21lower_bound_search_opENS9_16wrapped_functionINS8_6system6detail7generic6detail18binary_search_lessEbEEEE10hipError_tPvRmT1_T2_T3_mmT4_T5_P12ihipStream_tbEUlRKfE_EESV_SZ_S10_mS11_S14_bEUlT_E_NS1_11comp_targetILNS1_3genE10ELNS1_11target_archE1200ELNS1_3gpuE4ELNS1_3repE0EEENS1_30default_config_static_selectorELNS0_4arch9wavefront6targetE0EEEvSY_.kd
    .uniform_work_group_size: 1
    .uses_dynamic_stack: false
    .vgpr_count:     0
    .vgpr_spill_count: 0
    .wavefront_size: 32
    .workgroup_processor_mode: 1
  - .args:
      - .offset:         0
        .size:           56
        .value_kind:     by_value
    .group_segment_fixed_size: 0
    .kernarg_segment_align: 8
    .kernarg_segment_size: 56
    .language:       OpenCL C
    .language_version:
      - 2
      - 0
    .max_flat_workgroup_size: 256
    .name:           _ZN7rocprim17ROCPRIM_400000_NS6detail17trampoline_kernelINS0_14default_configENS1_27lower_bound_config_selectorIflEEZNS1_14transform_implILb0ES3_S5_N6thrust23THRUST_200600_302600_NS6detail15normal_iteratorINS8_7pointerIfNS8_11hip_rocprim16par_det_nosync_tENS8_11use_defaultESE_EEEENSA_INSB_IlSD_SE_SE_EEEEZNS1_13binary_searchIS3_S5_NSA_INS8_10device_ptrIfEEEESG_SI_NS1_21lower_bound_search_opENS9_16wrapped_functionINS8_6system6detail7generic6detail18binary_search_lessEbEEEE10hipError_tPvRmT1_T2_T3_mmT4_T5_P12ihipStream_tbEUlRKfE_EESV_SZ_S10_mS11_S14_bEUlT_E_NS1_11comp_targetILNS1_3genE9ELNS1_11target_archE1100ELNS1_3gpuE3ELNS1_3repE0EEENS1_30default_config_static_selectorELNS0_4arch9wavefront6targetE0EEEvSY_
    .private_segment_fixed_size: 0
    .sgpr_count:     0
    .sgpr_spill_count: 0
    .symbol:         _ZN7rocprim17ROCPRIM_400000_NS6detail17trampoline_kernelINS0_14default_configENS1_27lower_bound_config_selectorIflEEZNS1_14transform_implILb0ES3_S5_N6thrust23THRUST_200600_302600_NS6detail15normal_iteratorINS8_7pointerIfNS8_11hip_rocprim16par_det_nosync_tENS8_11use_defaultESE_EEEENSA_INSB_IlSD_SE_SE_EEEEZNS1_13binary_searchIS3_S5_NSA_INS8_10device_ptrIfEEEESG_SI_NS1_21lower_bound_search_opENS9_16wrapped_functionINS8_6system6detail7generic6detail18binary_search_lessEbEEEE10hipError_tPvRmT1_T2_T3_mmT4_T5_P12ihipStream_tbEUlRKfE_EESV_SZ_S10_mS11_S14_bEUlT_E_NS1_11comp_targetILNS1_3genE9ELNS1_11target_archE1100ELNS1_3gpuE3ELNS1_3repE0EEENS1_30default_config_static_selectorELNS0_4arch9wavefront6targetE0EEEvSY_.kd
    .uniform_work_group_size: 1
    .uses_dynamic_stack: false
    .vgpr_count:     0
    .vgpr_spill_count: 0
    .wavefront_size: 32
    .workgroup_processor_mode: 1
  - .args:
      - .offset:         0
        .size:           56
        .value_kind:     by_value
      - .offset:         56
        .size:           4
        .value_kind:     hidden_block_count_x
      - .offset:         60
        .size:           4
        .value_kind:     hidden_block_count_y
      - .offset:         64
        .size:           4
        .value_kind:     hidden_block_count_z
      - .offset:         68
        .size:           2
        .value_kind:     hidden_group_size_x
      - .offset:         70
        .size:           2
        .value_kind:     hidden_group_size_y
      - .offset:         72
        .size:           2
        .value_kind:     hidden_group_size_z
      - .offset:         74
        .size:           2
        .value_kind:     hidden_remainder_x
      - .offset:         76
        .size:           2
        .value_kind:     hidden_remainder_y
      - .offset:         78
        .size:           2
        .value_kind:     hidden_remainder_z
      - .offset:         96
        .size:           8
        .value_kind:     hidden_global_offset_x
      - .offset:         104
        .size:           8
        .value_kind:     hidden_global_offset_y
      - .offset:         112
        .size:           8
        .value_kind:     hidden_global_offset_z
      - .offset:         120
        .size:           2
        .value_kind:     hidden_grid_dims
    .group_segment_fixed_size: 0
    .kernarg_segment_align: 8
    .kernarg_segment_size: 312
    .language:       OpenCL C
    .language_version:
      - 2
      - 0
    .max_flat_workgroup_size: 256
    .name:           _ZN7rocprim17ROCPRIM_400000_NS6detail17trampoline_kernelINS0_14default_configENS1_27lower_bound_config_selectorIflEEZNS1_14transform_implILb0ES3_S5_N6thrust23THRUST_200600_302600_NS6detail15normal_iteratorINS8_7pointerIfNS8_11hip_rocprim16par_det_nosync_tENS8_11use_defaultESE_EEEENSA_INSB_IlSD_SE_SE_EEEEZNS1_13binary_searchIS3_S5_NSA_INS8_10device_ptrIfEEEESG_SI_NS1_21lower_bound_search_opENS9_16wrapped_functionINS8_6system6detail7generic6detail18binary_search_lessEbEEEE10hipError_tPvRmT1_T2_T3_mmT4_T5_P12ihipStream_tbEUlRKfE_EESV_SZ_S10_mS11_S14_bEUlT_E_NS1_11comp_targetILNS1_3genE8ELNS1_11target_archE1030ELNS1_3gpuE2ELNS1_3repE0EEENS1_30default_config_static_selectorELNS0_4arch9wavefront6targetE0EEEvSY_
    .private_segment_fixed_size: 0
    .sgpr_count:     19
    .sgpr_spill_count: 0
    .symbol:         _ZN7rocprim17ROCPRIM_400000_NS6detail17trampoline_kernelINS0_14default_configENS1_27lower_bound_config_selectorIflEEZNS1_14transform_implILb0ES3_S5_N6thrust23THRUST_200600_302600_NS6detail15normal_iteratorINS8_7pointerIfNS8_11hip_rocprim16par_det_nosync_tENS8_11use_defaultESE_EEEENSA_INSB_IlSD_SE_SE_EEEEZNS1_13binary_searchIS3_S5_NSA_INS8_10device_ptrIfEEEESG_SI_NS1_21lower_bound_search_opENS9_16wrapped_functionINS8_6system6detail7generic6detail18binary_search_lessEbEEEE10hipError_tPvRmT1_T2_T3_mmT4_T5_P12ihipStream_tbEUlRKfE_EESV_SZ_S10_mS11_S14_bEUlT_E_NS1_11comp_targetILNS1_3genE8ELNS1_11target_archE1030ELNS1_3gpuE2ELNS1_3repE0EEENS1_30default_config_static_selectorELNS0_4arch9wavefront6targetE0EEEvSY_.kd
    .uniform_work_group_size: 1
    .uses_dynamic_stack: false
    .vgpr_count:     11
    .vgpr_spill_count: 0
    .wavefront_size: 32
    .workgroup_processor_mode: 1
  - .args:
      - .offset:         0
        .size:           56
        .value_kind:     by_value
    .group_segment_fixed_size: 0
    .kernarg_segment_align: 8
    .kernarg_segment_size: 56
    .language:       OpenCL C
    .language_version:
      - 2
      - 0
    .max_flat_workgroup_size: 256
    .name:           _ZN7rocprim17ROCPRIM_400000_NS6detail17trampoline_kernelINS0_14default_configENS1_27lower_bound_config_selectorIflEEZNS1_14transform_implILb0ES3_S5_N6thrust23THRUST_200600_302600_NS6detail15normal_iteratorINS8_7pointerIfNS8_11hip_rocprim9par_det_tENS8_11use_defaultESE_EEEENSA_INSB_IlSD_SE_SE_EEEEZNS1_13binary_searchIS3_S5_NSA_INS8_10device_ptrIfEEEESG_SI_NS1_21lower_bound_search_opENS9_16wrapped_functionINS8_6system6detail7generic6detail18binary_search_lessEbEEEE10hipError_tPvRmT1_T2_T3_mmT4_T5_P12ihipStream_tbEUlRKfE_EESV_SZ_S10_mS11_S14_bEUlT_E_NS1_11comp_targetILNS1_3genE0ELNS1_11target_archE4294967295ELNS1_3gpuE0ELNS1_3repE0EEENS1_30default_config_static_selectorELNS0_4arch9wavefront6targetE0EEEvSY_
    .private_segment_fixed_size: 0
    .sgpr_count:     0
    .sgpr_spill_count: 0
    .symbol:         _ZN7rocprim17ROCPRIM_400000_NS6detail17trampoline_kernelINS0_14default_configENS1_27lower_bound_config_selectorIflEEZNS1_14transform_implILb0ES3_S5_N6thrust23THRUST_200600_302600_NS6detail15normal_iteratorINS8_7pointerIfNS8_11hip_rocprim9par_det_tENS8_11use_defaultESE_EEEENSA_INSB_IlSD_SE_SE_EEEEZNS1_13binary_searchIS3_S5_NSA_INS8_10device_ptrIfEEEESG_SI_NS1_21lower_bound_search_opENS9_16wrapped_functionINS8_6system6detail7generic6detail18binary_search_lessEbEEEE10hipError_tPvRmT1_T2_T3_mmT4_T5_P12ihipStream_tbEUlRKfE_EESV_SZ_S10_mS11_S14_bEUlT_E_NS1_11comp_targetILNS1_3genE0ELNS1_11target_archE4294967295ELNS1_3gpuE0ELNS1_3repE0EEENS1_30default_config_static_selectorELNS0_4arch9wavefront6targetE0EEEvSY_.kd
    .uniform_work_group_size: 1
    .uses_dynamic_stack: false
    .vgpr_count:     0
    .vgpr_spill_count: 0
    .wavefront_size: 32
    .workgroup_processor_mode: 1
  - .args:
      - .offset:         0
        .size:           56
        .value_kind:     by_value
    .group_segment_fixed_size: 0
    .kernarg_segment_align: 8
    .kernarg_segment_size: 56
    .language:       OpenCL C
    .language_version:
      - 2
      - 0
    .max_flat_workgroup_size: 256
    .name:           _ZN7rocprim17ROCPRIM_400000_NS6detail17trampoline_kernelINS0_14default_configENS1_27lower_bound_config_selectorIflEEZNS1_14transform_implILb0ES3_S5_N6thrust23THRUST_200600_302600_NS6detail15normal_iteratorINS8_7pointerIfNS8_11hip_rocprim9par_det_tENS8_11use_defaultESE_EEEENSA_INSB_IlSD_SE_SE_EEEEZNS1_13binary_searchIS3_S5_NSA_INS8_10device_ptrIfEEEESG_SI_NS1_21lower_bound_search_opENS9_16wrapped_functionINS8_6system6detail7generic6detail18binary_search_lessEbEEEE10hipError_tPvRmT1_T2_T3_mmT4_T5_P12ihipStream_tbEUlRKfE_EESV_SZ_S10_mS11_S14_bEUlT_E_NS1_11comp_targetILNS1_3genE5ELNS1_11target_archE942ELNS1_3gpuE9ELNS1_3repE0EEENS1_30default_config_static_selectorELNS0_4arch9wavefront6targetE0EEEvSY_
    .private_segment_fixed_size: 0
    .sgpr_count:     0
    .sgpr_spill_count: 0
    .symbol:         _ZN7rocprim17ROCPRIM_400000_NS6detail17trampoline_kernelINS0_14default_configENS1_27lower_bound_config_selectorIflEEZNS1_14transform_implILb0ES3_S5_N6thrust23THRUST_200600_302600_NS6detail15normal_iteratorINS8_7pointerIfNS8_11hip_rocprim9par_det_tENS8_11use_defaultESE_EEEENSA_INSB_IlSD_SE_SE_EEEEZNS1_13binary_searchIS3_S5_NSA_INS8_10device_ptrIfEEEESG_SI_NS1_21lower_bound_search_opENS9_16wrapped_functionINS8_6system6detail7generic6detail18binary_search_lessEbEEEE10hipError_tPvRmT1_T2_T3_mmT4_T5_P12ihipStream_tbEUlRKfE_EESV_SZ_S10_mS11_S14_bEUlT_E_NS1_11comp_targetILNS1_3genE5ELNS1_11target_archE942ELNS1_3gpuE9ELNS1_3repE0EEENS1_30default_config_static_selectorELNS0_4arch9wavefront6targetE0EEEvSY_.kd
    .uniform_work_group_size: 1
    .uses_dynamic_stack: false
    .vgpr_count:     0
    .vgpr_spill_count: 0
    .wavefront_size: 32
    .workgroup_processor_mode: 1
  - .args:
      - .offset:         0
        .size:           56
        .value_kind:     by_value
    .group_segment_fixed_size: 0
    .kernarg_segment_align: 8
    .kernarg_segment_size: 56
    .language:       OpenCL C
    .language_version:
      - 2
      - 0
    .max_flat_workgroup_size: 256
    .name:           _ZN7rocprim17ROCPRIM_400000_NS6detail17trampoline_kernelINS0_14default_configENS1_27lower_bound_config_selectorIflEEZNS1_14transform_implILb0ES3_S5_N6thrust23THRUST_200600_302600_NS6detail15normal_iteratorINS8_7pointerIfNS8_11hip_rocprim9par_det_tENS8_11use_defaultESE_EEEENSA_INSB_IlSD_SE_SE_EEEEZNS1_13binary_searchIS3_S5_NSA_INS8_10device_ptrIfEEEESG_SI_NS1_21lower_bound_search_opENS9_16wrapped_functionINS8_6system6detail7generic6detail18binary_search_lessEbEEEE10hipError_tPvRmT1_T2_T3_mmT4_T5_P12ihipStream_tbEUlRKfE_EESV_SZ_S10_mS11_S14_bEUlT_E_NS1_11comp_targetILNS1_3genE4ELNS1_11target_archE910ELNS1_3gpuE8ELNS1_3repE0EEENS1_30default_config_static_selectorELNS0_4arch9wavefront6targetE0EEEvSY_
    .private_segment_fixed_size: 0
    .sgpr_count:     0
    .sgpr_spill_count: 0
    .symbol:         _ZN7rocprim17ROCPRIM_400000_NS6detail17trampoline_kernelINS0_14default_configENS1_27lower_bound_config_selectorIflEEZNS1_14transform_implILb0ES3_S5_N6thrust23THRUST_200600_302600_NS6detail15normal_iteratorINS8_7pointerIfNS8_11hip_rocprim9par_det_tENS8_11use_defaultESE_EEEENSA_INSB_IlSD_SE_SE_EEEEZNS1_13binary_searchIS3_S5_NSA_INS8_10device_ptrIfEEEESG_SI_NS1_21lower_bound_search_opENS9_16wrapped_functionINS8_6system6detail7generic6detail18binary_search_lessEbEEEE10hipError_tPvRmT1_T2_T3_mmT4_T5_P12ihipStream_tbEUlRKfE_EESV_SZ_S10_mS11_S14_bEUlT_E_NS1_11comp_targetILNS1_3genE4ELNS1_11target_archE910ELNS1_3gpuE8ELNS1_3repE0EEENS1_30default_config_static_selectorELNS0_4arch9wavefront6targetE0EEEvSY_.kd
    .uniform_work_group_size: 1
    .uses_dynamic_stack: false
    .vgpr_count:     0
    .vgpr_spill_count: 0
    .wavefront_size: 32
    .workgroup_processor_mode: 1
  - .args:
      - .offset:         0
        .size:           56
        .value_kind:     by_value
    .group_segment_fixed_size: 0
    .kernarg_segment_align: 8
    .kernarg_segment_size: 56
    .language:       OpenCL C
    .language_version:
      - 2
      - 0
    .max_flat_workgroup_size: 256
    .name:           _ZN7rocprim17ROCPRIM_400000_NS6detail17trampoline_kernelINS0_14default_configENS1_27lower_bound_config_selectorIflEEZNS1_14transform_implILb0ES3_S5_N6thrust23THRUST_200600_302600_NS6detail15normal_iteratorINS8_7pointerIfNS8_11hip_rocprim9par_det_tENS8_11use_defaultESE_EEEENSA_INSB_IlSD_SE_SE_EEEEZNS1_13binary_searchIS3_S5_NSA_INS8_10device_ptrIfEEEESG_SI_NS1_21lower_bound_search_opENS9_16wrapped_functionINS8_6system6detail7generic6detail18binary_search_lessEbEEEE10hipError_tPvRmT1_T2_T3_mmT4_T5_P12ihipStream_tbEUlRKfE_EESV_SZ_S10_mS11_S14_bEUlT_E_NS1_11comp_targetILNS1_3genE3ELNS1_11target_archE908ELNS1_3gpuE7ELNS1_3repE0EEENS1_30default_config_static_selectorELNS0_4arch9wavefront6targetE0EEEvSY_
    .private_segment_fixed_size: 0
    .sgpr_count:     0
    .sgpr_spill_count: 0
    .symbol:         _ZN7rocprim17ROCPRIM_400000_NS6detail17trampoline_kernelINS0_14default_configENS1_27lower_bound_config_selectorIflEEZNS1_14transform_implILb0ES3_S5_N6thrust23THRUST_200600_302600_NS6detail15normal_iteratorINS8_7pointerIfNS8_11hip_rocprim9par_det_tENS8_11use_defaultESE_EEEENSA_INSB_IlSD_SE_SE_EEEEZNS1_13binary_searchIS3_S5_NSA_INS8_10device_ptrIfEEEESG_SI_NS1_21lower_bound_search_opENS9_16wrapped_functionINS8_6system6detail7generic6detail18binary_search_lessEbEEEE10hipError_tPvRmT1_T2_T3_mmT4_T5_P12ihipStream_tbEUlRKfE_EESV_SZ_S10_mS11_S14_bEUlT_E_NS1_11comp_targetILNS1_3genE3ELNS1_11target_archE908ELNS1_3gpuE7ELNS1_3repE0EEENS1_30default_config_static_selectorELNS0_4arch9wavefront6targetE0EEEvSY_.kd
    .uniform_work_group_size: 1
    .uses_dynamic_stack: false
    .vgpr_count:     0
    .vgpr_spill_count: 0
    .wavefront_size: 32
    .workgroup_processor_mode: 1
  - .args:
      - .offset:         0
        .size:           56
        .value_kind:     by_value
    .group_segment_fixed_size: 0
    .kernarg_segment_align: 8
    .kernarg_segment_size: 56
    .language:       OpenCL C
    .language_version:
      - 2
      - 0
    .max_flat_workgroup_size: 256
    .name:           _ZN7rocprim17ROCPRIM_400000_NS6detail17trampoline_kernelINS0_14default_configENS1_27lower_bound_config_selectorIflEEZNS1_14transform_implILb0ES3_S5_N6thrust23THRUST_200600_302600_NS6detail15normal_iteratorINS8_7pointerIfNS8_11hip_rocprim9par_det_tENS8_11use_defaultESE_EEEENSA_INSB_IlSD_SE_SE_EEEEZNS1_13binary_searchIS3_S5_NSA_INS8_10device_ptrIfEEEESG_SI_NS1_21lower_bound_search_opENS9_16wrapped_functionINS8_6system6detail7generic6detail18binary_search_lessEbEEEE10hipError_tPvRmT1_T2_T3_mmT4_T5_P12ihipStream_tbEUlRKfE_EESV_SZ_S10_mS11_S14_bEUlT_E_NS1_11comp_targetILNS1_3genE2ELNS1_11target_archE906ELNS1_3gpuE6ELNS1_3repE0EEENS1_30default_config_static_selectorELNS0_4arch9wavefront6targetE0EEEvSY_
    .private_segment_fixed_size: 0
    .sgpr_count:     0
    .sgpr_spill_count: 0
    .symbol:         _ZN7rocprim17ROCPRIM_400000_NS6detail17trampoline_kernelINS0_14default_configENS1_27lower_bound_config_selectorIflEEZNS1_14transform_implILb0ES3_S5_N6thrust23THRUST_200600_302600_NS6detail15normal_iteratorINS8_7pointerIfNS8_11hip_rocprim9par_det_tENS8_11use_defaultESE_EEEENSA_INSB_IlSD_SE_SE_EEEEZNS1_13binary_searchIS3_S5_NSA_INS8_10device_ptrIfEEEESG_SI_NS1_21lower_bound_search_opENS9_16wrapped_functionINS8_6system6detail7generic6detail18binary_search_lessEbEEEE10hipError_tPvRmT1_T2_T3_mmT4_T5_P12ihipStream_tbEUlRKfE_EESV_SZ_S10_mS11_S14_bEUlT_E_NS1_11comp_targetILNS1_3genE2ELNS1_11target_archE906ELNS1_3gpuE6ELNS1_3repE0EEENS1_30default_config_static_selectorELNS0_4arch9wavefront6targetE0EEEvSY_.kd
    .uniform_work_group_size: 1
    .uses_dynamic_stack: false
    .vgpr_count:     0
    .vgpr_spill_count: 0
    .wavefront_size: 32
    .workgroup_processor_mode: 1
  - .args:
      - .offset:         0
        .size:           56
        .value_kind:     by_value
    .group_segment_fixed_size: 0
    .kernarg_segment_align: 8
    .kernarg_segment_size: 56
    .language:       OpenCL C
    .language_version:
      - 2
      - 0
    .max_flat_workgroup_size: 128
    .name:           _ZN7rocprim17ROCPRIM_400000_NS6detail17trampoline_kernelINS0_14default_configENS1_27lower_bound_config_selectorIflEEZNS1_14transform_implILb0ES3_S5_N6thrust23THRUST_200600_302600_NS6detail15normal_iteratorINS8_7pointerIfNS8_11hip_rocprim9par_det_tENS8_11use_defaultESE_EEEENSA_INSB_IlSD_SE_SE_EEEEZNS1_13binary_searchIS3_S5_NSA_INS8_10device_ptrIfEEEESG_SI_NS1_21lower_bound_search_opENS9_16wrapped_functionINS8_6system6detail7generic6detail18binary_search_lessEbEEEE10hipError_tPvRmT1_T2_T3_mmT4_T5_P12ihipStream_tbEUlRKfE_EESV_SZ_S10_mS11_S14_bEUlT_E_NS1_11comp_targetILNS1_3genE10ELNS1_11target_archE1201ELNS1_3gpuE5ELNS1_3repE0EEENS1_30default_config_static_selectorELNS0_4arch9wavefront6targetE0EEEvSY_
    .private_segment_fixed_size: 0
    .sgpr_count:     0
    .sgpr_spill_count: 0
    .symbol:         _ZN7rocprim17ROCPRIM_400000_NS6detail17trampoline_kernelINS0_14default_configENS1_27lower_bound_config_selectorIflEEZNS1_14transform_implILb0ES3_S5_N6thrust23THRUST_200600_302600_NS6detail15normal_iteratorINS8_7pointerIfNS8_11hip_rocprim9par_det_tENS8_11use_defaultESE_EEEENSA_INSB_IlSD_SE_SE_EEEEZNS1_13binary_searchIS3_S5_NSA_INS8_10device_ptrIfEEEESG_SI_NS1_21lower_bound_search_opENS9_16wrapped_functionINS8_6system6detail7generic6detail18binary_search_lessEbEEEE10hipError_tPvRmT1_T2_T3_mmT4_T5_P12ihipStream_tbEUlRKfE_EESV_SZ_S10_mS11_S14_bEUlT_E_NS1_11comp_targetILNS1_3genE10ELNS1_11target_archE1201ELNS1_3gpuE5ELNS1_3repE0EEENS1_30default_config_static_selectorELNS0_4arch9wavefront6targetE0EEEvSY_.kd
    .uniform_work_group_size: 1
    .uses_dynamic_stack: false
    .vgpr_count:     0
    .vgpr_spill_count: 0
    .wavefront_size: 32
    .workgroup_processor_mode: 1
  - .args:
      - .offset:         0
        .size:           56
        .value_kind:     by_value
    .group_segment_fixed_size: 0
    .kernarg_segment_align: 8
    .kernarg_segment_size: 56
    .language:       OpenCL C
    .language_version:
      - 2
      - 0
    .max_flat_workgroup_size: 128
    .name:           _ZN7rocprim17ROCPRIM_400000_NS6detail17trampoline_kernelINS0_14default_configENS1_27lower_bound_config_selectorIflEEZNS1_14transform_implILb0ES3_S5_N6thrust23THRUST_200600_302600_NS6detail15normal_iteratorINS8_7pointerIfNS8_11hip_rocprim9par_det_tENS8_11use_defaultESE_EEEENSA_INSB_IlSD_SE_SE_EEEEZNS1_13binary_searchIS3_S5_NSA_INS8_10device_ptrIfEEEESG_SI_NS1_21lower_bound_search_opENS9_16wrapped_functionINS8_6system6detail7generic6detail18binary_search_lessEbEEEE10hipError_tPvRmT1_T2_T3_mmT4_T5_P12ihipStream_tbEUlRKfE_EESV_SZ_S10_mS11_S14_bEUlT_E_NS1_11comp_targetILNS1_3genE10ELNS1_11target_archE1200ELNS1_3gpuE4ELNS1_3repE0EEENS1_30default_config_static_selectorELNS0_4arch9wavefront6targetE0EEEvSY_
    .private_segment_fixed_size: 0
    .sgpr_count:     0
    .sgpr_spill_count: 0
    .symbol:         _ZN7rocprim17ROCPRIM_400000_NS6detail17trampoline_kernelINS0_14default_configENS1_27lower_bound_config_selectorIflEEZNS1_14transform_implILb0ES3_S5_N6thrust23THRUST_200600_302600_NS6detail15normal_iteratorINS8_7pointerIfNS8_11hip_rocprim9par_det_tENS8_11use_defaultESE_EEEENSA_INSB_IlSD_SE_SE_EEEEZNS1_13binary_searchIS3_S5_NSA_INS8_10device_ptrIfEEEESG_SI_NS1_21lower_bound_search_opENS9_16wrapped_functionINS8_6system6detail7generic6detail18binary_search_lessEbEEEE10hipError_tPvRmT1_T2_T3_mmT4_T5_P12ihipStream_tbEUlRKfE_EESV_SZ_S10_mS11_S14_bEUlT_E_NS1_11comp_targetILNS1_3genE10ELNS1_11target_archE1200ELNS1_3gpuE4ELNS1_3repE0EEENS1_30default_config_static_selectorELNS0_4arch9wavefront6targetE0EEEvSY_.kd
    .uniform_work_group_size: 1
    .uses_dynamic_stack: false
    .vgpr_count:     0
    .vgpr_spill_count: 0
    .wavefront_size: 32
    .workgroup_processor_mode: 1
  - .args:
      - .offset:         0
        .size:           56
        .value_kind:     by_value
    .group_segment_fixed_size: 0
    .kernarg_segment_align: 8
    .kernarg_segment_size: 56
    .language:       OpenCL C
    .language_version:
      - 2
      - 0
    .max_flat_workgroup_size: 256
    .name:           _ZN7rocprim17ROCPRIM_400000_NS6detail17trampoline_kernelINS0_14default_configENS1_27lower_bound_config_selectorIflEEZNS1_14transform_implILb0ES3_S5_N6thrust23THRUST_200600_302600_NS6detail15normal_iteratorINS8_7pointerIfNS8_11hip_rocprim9par_det_tENS8_11use_defaultESE_EEEENSA_INSB_IlSD_SE_SE_EEEEZNS1_13binary_searchIS3_S5_NSA_INS8_10device_ptrIfEEEESG_SI_NS1_21lower_bound_search_opENS9_16wrapped_functionINS8_6system6detail7generic6detail18binary_search_lessEbEEEE10hipError_tPvRmT1_T2_T3_mmT4_T5_P12ihipStream_tbEUlRKfE_EESV_SZ_S10_mS11_S14_bEUlT_E_NS1_11comp_targetILNS1_3genE9ELNS1_11target_archE1100ELNS1_3gpuE3ELNS1_3repE0EEENS1_30default_config_static_selectorELNS0_4arch9wavefront6targetE0EEEvSY_
    .private_segment_fixed_size: 0
    .sgpr_count:     0
    .sgpr_spill_count: 0
    .symbol:         _ZN7rocprim17ROCPRIM_400000_NS6detail17trampoline_kernelINS0_14default_configENS1_27lower_bound_config_selectorIflEEZNS1_14transform_implILb0ES3_S5_N6thrust23THRUST_200600_302600_NS6detail15normal_iteratorINS8_7pointerIfNS8_11hip_rocprim9par_det_tENS8_11use_defaultESE_EEEENSA_INSB_IlSD_SE_SE_EEEEZNS1_13binary_searchIS3_S5_NSA_INS8_10device_ptrIfEEEESG_SI_NS1_21lower_bound_search_opENS9_16wrapped_functionINS8_6system6detail7generic6detail18binary_search_lessEbEEEE10hipError_tPvRmT1_T2_T3_mmT4_T5_P12ihipStream_tbEUlRKfE_EESV_SZ_S10_mS11_S14_bEUlT_E_NS1_11comp_targetILNS1_3genE9ELNS1_11target_archE1100ELNS1_3gpuE3ELNS1_3repE0EEENS1_30default_config_static_selectorELNS0_4arch9wavefront6targetE0EEEvSY_.kd
    .uniform_work_group_size: 1
    .uses_dynamic_stack: false
    .vgpr_count:     0
    .vgpr_spill_count: 0
    .wavefront_size: 32
    .workgroup_processor_mode: 1
  - .args:
      - .offset:         0
        .size:           56
        .value_kind:     by_value
      - .offset:         56
        .size:           4
        .value_kind:     hidden_block_count_x
      - .offset:         60
        .size:           4
        .value_kind:     hidden_block_count_y
      - .offset:         64
        .size:           4
        .value_kind:     hidden_block_count_z
      - .offset:         68
        .size:           2
        .value_kind:     hidden_group_size_x
      - .offset:         70
        .size:           2
        .value_kind:     hidden_group_size_y
      - .offset:         72
        .size:           2
        .value_kind:     hidden_group_size_z
      - .offset:         74
        .size:           2
        .value_kind:     hidden_remainder_x
      - .offset:         76
        .size:           2
        .value_kind:     hidden_remainder_y
      - .offset:         78
        .size:           2
        .value_kind:     hidden_remainder_z
      - .offset:         96
        .size:           8
        .value_kind:     hidden_global_offset_x
      - .offset:         104
        .size:           8
        .value_kind:     hidden_global_offset_y
      - .offset:         112
        .size:           8
        .value_kind:     hidden_global_offset_z
      - .offset:         120
        .size:           2
        .value_kind:     hidden_grid_dims
    .group_segment_fixed_size: 0
    .kernarg_segment_align: 8
    .kernarg_segment_size: 312
    .language:       OpenCL C
    .language_version:
      - 2
      - 0
    .max_flat_workgroup_size: 256
    .name:           _ZN7rocprim17ROCPRIM_400000_NS6detail17trampoline_kernelINS0_14default_configENS1_27lower_bound_config_selectorIflEEZNS1_14transform_implILb0ES3_S5_N6thrust23THRUST_200600_302600_NS6detail15normal_iteratorINS8_7pointerIfNS8_11hip_rocprim9par_det_tENS8_11use_defaultESE_EEEENSA_INSB_IlSD_SE_SE_EEEEZNS1_13binary_searchIS3_S5_NSA_INS8_10device_ptrIfEEEESG_SI_NS1_21lower_bound_search_opENS9_16wrapped_functionINS8_6system6detail7generic6detail18binary_search_lessEbEEEE10hipError_tPvRmT1_T2_T3_mmT4_T5_P12ihipStream_tbEUlRKfE_EESV_SZ_S10_mS11_S14_bEUlT_E_NS1_11comp_targetILNS1_3genE8ELNS1_11target_archE1030ELNS1_3gpuE2ELNS1_3repE0EEENS1_30default_config_static_selectorELNS0_4arch9wavefront6targetE0EEEvSY_
    .private_segment_fixed_size: 0
    .sgpr_count:     19
    .sgpr_spill_count: 0
    .symbol:         _ZN7rocprim17ROCPRIM_400000_NS6detail17trampoline_kernelINS0_14default_configENS1_27lower_bound_config_selectorIflEEZNS1_14transform_implILb0ES3_S5_N6thrust23THRUST_200600_302600_NS6detail15normal_iteratorINS8_7pointerIfNS8_11hip_rocprim9par_det_tENS8_11use_defaultESE_EEEENSA_INSB_IlSD_SE_SE_EEEEZNS1_13binary_searchIS3_S5_NSA_INS8_10device_ptrIfEEEESG_SI_NS1_21lower_bound_search_opENS9_16wrapped_functionINS8_6system6detail7generic6detail18binary_search_lessEbEEEE10hipError_tPvRmT1_T2_T3_mmT4_T5_P12ihipStream_tbEUlRKfE_EESV_SZ_S10_mS11_S14_bEUlT_E_NS1_11comp_targetILNS1_3genE8ELNS1_11target_archE1030ELNS1_3gpuE2ELNS1_3repE0EEENS1_30default_config_static_selectorELNS0_4arch9wavefront6targetE0EEEvSY_.kd
    .uniform_work_group_size: 1
    .uses_dynamic_stack: false
    .vgpr_count:     11
    .vgpr_spill_count: 0
    .wavefront_size: 32
    .workgroup_processor_mode: 1
  - .args:
      - .offset:         0
        .size:           56
        .value_kind:     by_value
    .group_segment_fixed_size: 0
    .kernarg_segment_align: 8
    .kernarg_segment_size: 56
    .language:       OpenCL C
    .language_version:
      - 2
      - 0
    .max_flat_workgroup_size: 256
    .name:           _ZN7rocprim17ROCPRIM_400000_NS6detail17trampoline_kernelINS0_14default_configENS1_27lower_bound_config_selectorIflEEZNS1_14transform_implILb0ES3_S5_N6thrust23THRUST_200600_302600_NS6detail15normal_iteratorINS8_7pointerIfNS8_11hip_rocprim5par_tENS8_11use_defaultESE_EEEENSA_INSB_IlSD_SE_SE_EEEEZNS1_13binary_searchIS3_S5_NSA_INS8_10device_ptrIfEEEESG_SI_NS1_21lower_bound_search_opENS9_16wrapped_functionINS8_6system6detail7generic6detail18binary_search_lessEbEEEE10hipError_tPvRmT1_T2_T3_mmT4_T5_P12ihipStream_tbEUlRKfE_EESV_SZ_S10_mS11_S14_bEUlT_E_NS1_11comp_targetILNS1_3genE0ELNS1_11target_archE4294967295ELNS1_3gpuE0ELNS1_3repE0EEENS1_30default_config_static_selectorELNS0_4arch9wavefront6targetE0EEEvSY_
    .private_segment_fixed_size: 0
    .sgpr_count:     0
    .sgpr_spill_count: 0
    .symbol:         _ZN7rocprim17ROCPRIM_400000_NS6detail17trampoline_kernelINS0_14default_configENS1_27lower_bound_config_selectorIflEEZNS1_14transform_implILb0ES3_S5_N6thrust23THRUST_200600_302600_NS6detail15normal_iteratorINS8_7pointerIfNS8_11hip_rocprim5par_tENS8_11use_defaultESE_EEEENSA_INSB_IlSD_SE_SE_EEEEZNS1_13binary_searchIS3_S5_NSA_INS8_10device_ptrIfEEEESG_SI_NS1_21lower_bound_search_opENS9_16wrapped_functionINS8_6system6detail7generic6detail18binary_search_lessEbEEEE10hipError_tPvRmT1_T2_T3_mmT4_T5_P12ihipStream_tbEUlRKfE_EESV_SZ_S10_mS11_S14_bEUlT_E_NS1_11comp_targetILNS1_3genE0ELNS1_11target_archE4294967295ELNS1_3gpuE0ELNS1_3repE0EEENS1_30default_config_static_selectorELNS0_4arch9wavefront6targetE0EEEvSY_.kd
    .uniform_work_group_size: 1
    .uses_dynamic_stack: false
    .vgpr_count:     0
    .vgpr_spill_count: 0
    .wavefront_size: 32
    .workgroup_processor_mode: 1
  - .args:
      - .offset:         0
        .size:           56
        .value_kind:     by_value
    .group_segment_fixed_size: 0
    .kernarg_segment_align: 8
    .kernarg_segment_size: 56
    .language:       OpenCL C
    .language_version:
      - 2
      - 0
    .max_flat_workgroup_size: 256
    .name:           _ZN7rocprim17ROCPRIM_400000_NS6detail17trampoline_kernelINS0_14default_configENS1_27lower_bound_config_selectorIflEEZNS1_14transform_implILb0ES3_S5_N6thrust23THRUST_200600_302600_NS6detail15normal_iteratorINS8_7pointerIfNS8_11hip_rocprim5par_tENS8_11use_defaultESE_EEEENSA_INSB_IlSD_SE_SE_EEEEZNS1_13binary_searchIS3_S5_NSA_INS8_10device_ptrIfEEEESG_SI_NS1_21lower_bound_search_opENS9_16wrapped_functionINS8_6system6detail7generic6detail18binary_search_lessEbEEEE10hipError_tPvRmT1_T2_T3_mmT4_T5_P12ihipStream_tbEUlRKfE_EESV_SZ_S10_mS11_S14_bEUlT_E_NS1_11comp_targetILNS1_3genE5ELNS1_11target_archE942ELNS1_3gpuE9ELNS1_3repE0EEENS1_30default_config_static_selectorELNS0_4arch9wavefront6targetE0EEEvSY_
    .private_segment_fixed_size: 0
    .sgpr_count:     0
    .sgpr_spill_count: 0
    .symbol:         _ZN7rocprim17ROCPRIM_400000_NS6detail17trampoline_kernelINS0_14default_configENS1_27lower_bound_config_selectorIflEEZNS1_14transform_implILb0ES3_S5_N6thrust23THRUST_200600_302600_NS6detail15normal_iteratorINS8_7pointerIfNS8_11hip_rocprim5par_tENS8_11use_defaultESE_EEEENSA_INSB_IlSD_SE_SE_EEEEZNS1_13binary_searchIS3_S5_NSA_INS8_10device_ptrIfEEEESG_SI_NS1_21lower_bound_search_opENS9_16wrapped_functionINS8_6system6detail7generic6detail18binary_search_lessEbEEEE10hipError_tPvRmT1_T2_T3_mmT4_T5_P12ihipStream_tbEUlRKfE_EESV_SZ_S10_mS11_S14_bEUlT_E_NS1_11comp_targetILNS1_3genE5ELNS1_11target_archE942ELNS1_3gpuE9ELNS1_3repE0EEENS1_30default_config_static_selectorELNS0_4arch9wavefront6targetE0EEEvSY_.kd
    .uniform_work_group_size: 1
    .uses_dynamic_stack: false
    .vgpr_count:     0
    .vgpr_spill_count: 0
    .wavefront_size: 32
    .workgroup_processor_mode: 1
  - .args:
      - .offset:         0
        .size:           56
        .value_kind:     by_value
    .group_segment_fixed_size: 0
    .kernarg_segment_align: 8
    .kernarg_segment_size: 56
    .language:       OpenCL C
    .language_version:
      - 2
      - 0
    .max_flat_workgroup_size: 256
    .name:           _ZN7rocprim17ROCPRIM_400000_NS6detail17trampoline_kernelINS0_14default_configENS1_27lower_bound_config_selectorIflEEZNS1_14transform_implILb0ES3_S5_N6thrust23THRUST_200600_302600_NS6detail15normal_iteratorINS8_7pointerIfNS8_11hip_rocprim5par_tENS8_11use_defaultESE_EEEENSA_INSB_IlSD_SE_SE_EEEEZNS1_13binary_searchIS3_S5_NSA_INS8_10device_ptrIfEEEESG_SI_NS1_21lower_bound_search_opENS9_16wrapped_functionINS8_6system6detail7generic6detail18binary_search_lessEbEEEE10hipError_tPvRmT1_T2_T3_mmT4_T5_P12ihipStream_tbEUlRKfE_EESV_SZ_S10_mS11_S14_bEUlT_E_NS1_11comp_targetILNS1_3genE4ELNS1_11target_archE910ELNS1_3gpuE8ELNS1_3repE0EEENS1_30default_config_static_selectorELNS0_4arch9wavefront6targetE0EEEvSY_
    .private_segment_fixed_size: 0
    .sgpr_count:     0
    .sgpr_spill_count: 0
    .symbol:         _ZN7rocprim17ROCPRIM_400000_NS6detail17trampoline_kernelINS0_14default_configENS1_27lower_bound_config_selectorIflEEZNS1_14transform_implILb0ES3_S5_N6thrust23THRUST_200600_302600_NS6detail15normal_iteratorINS8_7pointerIfNS8_11hip_rocprim5par_tENS8_11use_defaultESE_EEEENSA_INSB_IlSD_SE_SE_EEEEZNS1_13binary_searchIS3_S5_NSA_INS8_10device_ptrIfEEEESG_SI_NS1_21lower_bound_search_opENS9_16wrapped_functionINS8_6system6detail7generic6detail18binary_search_lessEbEEEE10hipError_tPvRmT1_T2_T3_mmT4_T5_P12ihipStream_tbEUlRKfE_EESV_SZ_S10_mS11_S14_bEUlT_E_NS1_11comp_targetILNS1_3genE4ELNS1_11target_archE910ELNS1_3gpuE8ELNS1_3repE0EEENS1_30default_config_static_selectorELNS0_4arch9wavefront6targetE0EEEvSY_.kd
    .uniform_work_group_size: 1
    .uses_dynamic_stack: false
    .vgpr_count:     0
    .vgpr_spill_count: 0
    .wavefront_size: 32
    .workgroup_processor_mode: 1
  - .args:
      - .offset:         0
        .size:           56
        .value_kind:     by_value
    .group_segment_fixed_size: 0
    .kernarg_segment_align: 8
    .kernarg_segment_size: 56
    .language:       OpenCL C
    .language_version:
      - 2
      - 0
    .max_flat_workgroup_size: 256
    .name:           _ZN7rocprim17ROCPRIM_400000_NS6detail17trampoline_kernelINS0_14default_configENS1_27lower_bound_config_selectorIflEEZNS1_14transform_implILb0ES3_S5_N6thrust23THRUST_200600_302600_NS6detail15normal_iteratorINS8_7pointerIfNS8_11hip_rocprim5par_tENS8_11use_defaultESE_EEEENSA_INSB_IlSD_SE_SE_EEEEZNS1_13binary_searchIS3_S5_NSA_INS8_10device_ptrIfEEEESG_SI_NS1_21lower_bound_search_opENS9_16wrapped_functionINS8_6system6detail7generic6detail18binary_search_lessEbEEEE10hipError_tPvRmT1_T2_T3_mmT4_T5_P12ihipStream_tbEUlRKfE_EESV_SZ_S10_mS11_S14_bEUlT_E_NS1_11comp_targetILNS1_3genE3ELNS1_11target_archE908ELNS1_3gpuE7ELNS1_3repE0EEENS1_30default_config_static_selectorELNS0_4arch9wavefront6targetE0EEEvSY_
    .private_segment_fixed_size: 0
    .sgpr_count:     0
    .sgpr_spill_count: 0
    .symbol:         _ZN7rocprim17ROCPRIM_400000_NS6detail17trampoline_kernelINS0_14default_configENS1_27lower_bound_config_selectorIflEEZNS1_14transform_implILb0ES3_S5_N6thrust23THRUST_200600_302600_NS6detail15normal_iteratorINS8_7pointerIfNS8_11hip_rocprim5par_tENS8_11use_defaultESE_EEEENSA_INSB_IlSD_SE_SE_EEEEZNS1_13binary_searchIS3_S5_NSA_INS8_10device_ptrIfEEEESG_SI_NS1_21lower_bound_search_opENS9_16wrapped_functionINS8_6system6detail7generic6detail18binary_search_lessEbEEEE10hipError_tPvRmT1_T2_T3_mmT4_T5_P12ihipStream_tbEUlRKfE_EESV_SZ_S10_mS11_S14_bEUlT_E_NS1_11comp_targetILNS1_3genE3ELNS1_11target_archE908ELNS1_3gpuE7ELNS1_3repE0EEENS1_30default_config_static_selectorELNS0_4arch9wavefront6targetE0EEEvSY_.kd
    .uniform_work_group_size: 1
    .uses_dynamic_stack: false
    .vgpr_count:     0
    .vgpr_spill_count: 0
    .wavefront_size: 32
    .workgroup_processor_mode: 1
  - .args:
      - .offset:         0
        .size:           56
        .value_kind:     by_value
    .group_segment_fixed_size: 0
    .kernarg_segment_align: 8
    .kernarg_segment_size: 56
    .language:       OpenCL C
    .language_version:
      - 2
      - 0
    .max_flat_workgroup_size: 256
    .name:           _ZN7rocprim17ROCPRIM_400000_NS6detail17trampoline_kernelINS0_14default_configENS1_27lower_bound_config_selectorIflEEZNS1_14transform_implILb0ES3_S5_N6thrust23THRUST_200600_302600_NS6detail15normal_iteratorINS8_7pointerIfNS8_11hip_rocprim5par_tENS8_11use_defaultESE_EEEENSA_INSB_IlSD_SE_SE_EEEEZNS1_13binary_searchIS3_S5_NSA_INS8_10device_ptrIfEEEESG_SI_NS1_21lower_bound_search_opENS9_16wrapped_functionINS8_6system6detail7generic6detail18binary_search_lessEbEEEE10hipError_tPvRmT1_T2_T3_mmT4_T5_P12ihipStream_tbEUlRKfE_EESV_SZ_S10_mS11_S14_bEUlT_E_NS1_11comp_targetILNS1_3genE2ELNS1_11target_archE906ELNS1_3gpuE6ELNS1_3repE0EEENS1_30default_config_static_selectorELNS0_4arch9wavefront6targetE0EEEvSY_
    .private_segment_fixed_size: 0
    .sgpr_count:     0
    .sgpr_spill_count: 0
    .symbol:         _ZN7rocprim17ROCPRIM_400000_NS6detail17trampoline_kernelINS0_14default_configENS1_27lower_bound_config_selectorIflEEZNS1_14transform_implILb0ES3_S5_N6thrust23THRUST_200600_302600_NS6detail15normal_iteratorINS8_7pointerIfNS8_11hip_rocprim5par_tENS8_11use_defaultESE_EEEENSA_INSB_IlSD_SE_SE_EEEEZNS1_13binary_searchIS3_S5_NSA_INS8_10device_ptrIfEEEESG_SI_NS1_21lower_bound_search_opENS9_16wrapped_functionINS8_6system6detail7generic6detail18binary_search_lessEbEEEE10hipError_tPvRmT1_T2_T3_mmT4_T5_P12ihipStream_tbEUlRKfE_EESV_SZ_S10_mS11_S14_bEUlT_E_NS1_11comp_targetILNS1_3genE2ELNS1_11target_archE906ELNS1_3gpuE6ELNS1_3repE0EEENS1_30default_config_static_selectorELNS0_4arch9wavefront6targetE0EEEvSY_.kd
    .uniform_work_group_size: 1
    .uses_dynamic_stack: false
    .vgpr_count:     0
    .vgpr_spill_count: 0
    .wavefront_size: 32
    .workgroup_processor_mode: 1
  - .args:
      - .offset:         0
        .size:           56
        .value_kind:     by_value
    .group_segment_fixed_size: 0
    .kernarg_segment_align: 8
    .kernarg_segment_size: 56
    .language:       OpenCL C
    .language_version:
      - 2
      - 0
    .max_flat_workgroup_size: 128
    .name:           _ZN7rocprim17ROCPRIM_400000_NS6detail17trampoline_kernelINS0_14default_configENS1_27lower_bound_config_selectorIflEEZNS1_14transform_implILb0ES3_S5_N6thrust23THRUST_200600_302600_NS6detail15normal_iteratorINS8_7pointerIfNS8_11hip_rocprim5par_tENS8_11use_defaultESE_EEEENSA_INSB_IlSD_SE_SE_EEEEZNS1_13binary_searchIS3_S5_NSA_INS8_10device_ptrIfEEEESG_SI_NS1_21lower_bound_search_opENS9_16wrapped_functionINS8_6system6detail7generic6detail18binary_search_lessEbEEEE10hipError_tPvRmT1_T2_T3_mmT4_T5_P12ihipStream_tbEUlRKfE_EESV_SZ_S10_mS11_S14_bEUlT_E_NS1_11comp_targetILNS1_3genE10ELNS1_11target_archE1201ELNS1_3gpuE5ELNS1_3repE0EEENS1_30default_config_static_selectorELNS0_4arch9wavefront6targetE0EEEvSY_
    .private_segment_fixed_size: 0
    .sgpr_count:     0
    .sgpr_spill_count: 0
    .symbol:         _ZN7rocprim17ROCPRIM_400000_NS6detail17trampoline_kernelINS0_14default_configENS1_27lower_bound_config_selectorIflEEZNS1_14transform_implILb0ES3_S5_N6thrust23THRUST_200600_302600_NS6detail15normal_iteratorINS8_7pointerIfNS8_11hip_rocprim5par_tENS8_11use_defaultESE_EEEENSA_INSB_IlSD_SE_SE_EEEEZNS1_13binary_searchIS3_S5_NSA_INS8_10device_ptrIfEEEESG_SI_NS1_21lower_bound_search_opENS9_16wrapped_functionINS8_6system6detail7generic6detail18binary_search_lessEbEEEE10hipError_tPvRmT1_T2_T3_mmT4_T5_P12ihipStream_tbEUlRKfE_EESV_SZ_S10_mS11_S14_bEUlT_E_NS1_11comp_targetILNS1_3genE10ELNS1_11target_archE1201ELNS1_3gpuE5ELNS1_3repE0EEENS1_30default_config_static_selectorELNS0_4arch9wavefront6targetE0EEEvSY_.kd
    .uniform_work_group_size: 1
    .uses_dynamic_stack: false
    .vgpr_count:     0
    .vgpr_spill_count: 0
    .wavefront_size: 32
    .workgroup_processor_mode: 1
  - .args:
      - .offset:         0
        .size:           56
        .value_kind:     by_value
    .group_segment_fixed_size: 0
    .kernarg_segment_align: 8
    .kernarg_segment_size: 56
    .language:       OpenCL C
    .language_version:
      - 2
      - 0
    .max_flat_workgroup_size: 128
    .name:           _ZN7rocprim17ROCPRIM_400000_NS6detail17trampoline_kernelINS0_14default_configENS1_27lower_bound_config_selectorIflEEZNS1_14transform_implILb0ES3_S5_N6thrust23THRUST_200600_302600_NS6detail15normal_iteratorINS8_7pointerIfNS8_11hip_rocprim5par_tENS8_11use_defaultESE_EEEENSA_INSB_IlSD_SE_SE_EEEEZNS1_13binary_searchIS3_S5_NSA_INS8_10device_ptrIfEEEESG_SI_NS1_21lower_bound_search_opENS9_16wrapped_functionINS8_6system6detail7generic6detail18binary_search_lessEbEEEE10hipError_tPvRmT1_T2_T3_mmT4_T5_P12ihipStream_tbEUlRKfE_EESV_SZ_S10_mS11_S14_bEUlT_E_NS1_11comp_targetILNS1_3genE10ELNS1_11target_archE1200ELNS1_3gpuE4ELNS1_3repE0EEENS1_30default_config_static_selectorELNS0_4arch9wavefront6targetE0EEEvSY_
    .private_segment_fixed_size: 0
    .sgpr_count:     0
    .sgpr_spill_count: 0
    .symbol:         _ZN7rocprim17ROCPRIM_400000_NS6detail17trampoline_kernelINS0_14default_configENS1_27lower_bound_config_selectorIflEEZNS1_14transform_implILb0ES3_S5_N6thrust23THRUST_200600_302600_NS6detail15normal_iteratorINS8_7pointerIfNS8_11hip_rocprim5par_tENS8_11use_defaultESE_EEEENSA_INSB_IlSD_SE_SE_EEEEZNS1_13binary_searchIS3_S5_NSA_INS8_10device_ptrIfEEEESG_SI_NS1_21lower_bound_search_opENS9_16wrapped_functionINS8_6system6detail7generic6detail18binary_search_lessEbEEEE10hipError_tPvRmT1_T2_T3_mmT4_T5_P12ihipStream_tbEUlRKfE_EESV_SZ_S10_mS11_S14_bEUlT_E_NS1_11comp_targetILNS1_3genE10ELNS1_11target_archE1200ELNS1_3gpuE4ELNS1_3repE0EEENS1_30default_config_static_selectorELNS0_4arch9wavefront6targetE0EEEvSY_.kd
    .uniform_work_group_size: 1
    .uses_dynamic_stack: false
    .vgpr_count:     0
    .vgpr_spill_count: 0
    .wavefront_size: 32
    .workgroup_processor_mode: 1
  - .args:
      - .offset:         0
        .size:           56
        .value_kind:     by_value
    .group_segment_fixed_size: 0
    .kernarg_segment_align: 8
    .kernarg_segment_size: 56
    .language:       OpenCL C
    .language_version:
      - 2
      - 0
    .max_flat_workgroup_size: 256
    .name:           _ZN7rocprim17ROCPRIM_400000_NS6detail17trampoline_kernelINS0_14default_configENS1_27lower_bound_config_selectorIflEEZNS1_14transform_implILb0ES3_S5_N6thrust23THRUST_200600_302600_NS6detail15normal_iteratorINS8_7pointerIfNS8_11hip_rocprim5par_tENS8_11use_defaultESE_EEEENSA_INSB_IlSD_SE_SE_EEEEZNS1_13binary_searchIS3_S5_NSA_INS8_10device_ptrIfEEEESG_SI_NS1_21lower_bound_search_opENS9_16wrapped_functionINS8_6system6detail7generic6detail18binary_search_lessEbEEEE10hipError_tPvRmT1_T2_T3_mmT4_T5_P12ihipStream_tbEUlRKfE_EESV_SZ_S10_mS11_S14_bEUlT_E_NS1_11comp_targetILNS1_3genE9ELNS1_11target_archE1100ELNS1_3gpuE3ELNS1_3repE0EEENS1_30default_config_static_selectorELNS0_4arch9wavefront6targetE0EEEvSY_
    .private_segment_fixed_size: 0
    .sgpr_count:     0
    .sgpr_spill_count: 0
    .symbol:         _ZN7rocprim17ROCPRIM_400000_NS6detail17trampoline_kernelINS0_14default_configENS1_27lower_bound_config_selectorIflEEZNS1_14transform_implILb0ES3_S5_N6thrust23THRUST_200600_302600_NS6detail15normal_iteratorINS8_7pointerIfNS8_11hip_rocprim5par_tENS8_11use_defaultESE_EEEENSA_INSB_IlSD_SE_SE_EEEEZNS1_13binary_searchIS3_S5_NSA_INS8_10device_ptrIfEEEESG_SI_NS1_21lower_bound_search_opENS9_16wrapped_functionINS8_6system6detail7generic6detail18binary_search_lessEbEEEE10hipError_tPvRmT1_T2_T3_mmT4_T5_P12ihipStream_tbEUlRKfE_EESV_SZ_S10_mS11_S14_bEUlT_E_NS1_11comp_targetILNS1_3genE9ELNS1_11target_archE1100ELNS1_3gpuE3ELNS1_3repE0EEENS1_30default_config_static_selectorELNS0_4arch9wavefront6targetE0EEEvSY_.kd
    .uniform_work_group_size: 1
    .uses_dynamic_stack: false
    .vgpr_count:     0
    .vgpr_spill_count: 0
    .wavefront_size: 32
    .workgroup_processor_mode: 1
  - .args:
      - .offset:         0
        .size:           56
        .value_kind:     by_value
      - .offset:         56
        .size:           4
        .value_kind:     hidden_block_count_x
      - .offset:         60
        .size:           4
        .value_kind:     hidden_block_count_y
      - .offset:         64
        .size:           4
        .value_kind:     hidden_block_count_z
      - .offset:         68
        .size:           2
        .value_kind:     hidden_group_size_x
      - .offset:         70
        .size:           2
        .value_kind:     hidden_group_size_y
      - .offset:         72
        .size:           2
        .value_kind:     hidden_group_size_z
      - .offset:         74
        .size:           2
        .value_kind:     hidden_remainder_x
      - .offset:         76
        .size:           2
        .value_kind:     hidden_remainder_y
      - .offset:         78
        .size:           2
        .value_kind:     hidden_remainder_z
      - .offset:         96
        .size:           8
        .value_kind:     hidden_global_offset_x
      - .offset:         104
        .size:           8
        .value_kind:     hidden_global_offset_y
      - .offset:         112
        .size:           8
        .value_kind:     hidden_global_offset_z
      - .offset:         120
        .size:           2
        .value_kind:     hidden_grid_dims
    .group_segment_fixed_size: 0
    .kernarg_segment_align: 8
    .kernarg_segment_size: 312
    .language:       OpenCL C
    .language_version:
      - 2
      - 0
    .max_flat_workgroup_size: 256
    .name:           _ZN7rocprim17ROCPRIM_400000_NS6detail17trampoline_kernelINS0_14default_configENS1_27lower_bound_config_selectorIflEEZNS1_14transform_implILb0ES3_S5_N6thrust23THRUST_200600_302600_NS6detail15normal_iteratorINS8_7pointerIfNS8_11hip_rocprim5par_tENS8_11use_defaultESE_EEEENSA_INSB_IlSD_SE_SE_EEEEZNS1_13binary_searchIS3_S5_NSA_INS8_10device_ptrIfEEEESG_SI_NS1_21lower_bound_search_opENS9_16wrapped_functionINS8_6system6detail7generic6detail18binary_search_lessEbEEEE10hipError_tPvRmT1_T2_T3_mmT4_T5_P12ihipStream_tbEUlRKfE_EESV_SZ_S10_mS11_S14_bEUlT_E_NS1_11comp_targetILNS1_3genE8ELNS1_11target_archE1030ELNS1_3gpuE2ELNS1_3repE0EEENS1_30default_config_static_selectorELNS0_4arch9wavefront6targetE0EEEvSY_
    .private_segment_fixed_size: 0
    .sgpr_count:     19
    .sgpr_spill_count: 0
    .symbol:         _ZN7rocprim17ROCPRIM_400000_NS6detail17trampoline_kernelINS0_14default_configENS1_27lower_bound_config_selectorIflEEZNS1_14transform_implILb0ES3_S5_N6thrust23THRUST_200600_302600_NS6detail15normal_iteratorINS8_7pointerIfNS8_11hip_rocprim5par_tENS8_11use_defaultESE_EEEENSA_INSB_IlSD_SE_SE_EEEEZNS1_13binary_searchIS3_S5_NSA_INS8_10device_ptrIfEEEESG_SI_NS1_21lower_bound_search_opENS9_16wrapped_functionINS8_6system6detail7generic6detail18binary_search_lessEbEEEE10hipError_tPvRmT1_T2_T3_mmT4_T5_P12ihipStream_tbEUlRKfE_EESV_SZ_S10_mS11_S14_bEUlT_E_NS1_11comp_targetILNS1_3genE8ELNS1_11target_archE1030ELNS1_3gpuE2ELNS1_3repE0EEENS1_30default_config_static_selectorELNS0_4arch9wavefront6targetE0EEEvSY_.kd
    .uniform_work_group_size: 1
    .uses_dynamic_stack: false
    .vgpr_count:     11
    .vgpr_spill_count: 0
    .wavefront_size: 32
    .workgroup_processor_mode: 1
  - .args:
      - .offset:         0
        .size:           56
        .value_kind:     by_value
    .group_segment_fixed_size: 0
    .kernarg_segment_align: 8
    .kernarg_segment_size: 56
    .language:       OpenCL C
    .language_version:
      - 2
      - 0
    .max_flat_workgroup_size: 128
    .name:           _ZN7rocprim17ROCPRIM_400000_NS6detail17trampoline_kernelINS0_14default_configENS1_27lower_bound_config_selectorIylEEZNS1_14transform_implILb0ES3_S5_N6thrust23THRUST_200600_302600_NS6detail15normal_iteratorINS8_7pointerIyNS8_11hip_rocprim5par_tENS8_11use_defaultESE_EEEENSA_INSB_IlSD_SE_SE_EEEEZNS1_13binary_searchIS3_S5_NSA_INS8_10device_ptrIyEEEESG_SI_NS1_21lower_bound_search_opENS9_16wrapped_functionINS8_6system6detail7generic6detail18binary_search_lessEbEEEE10hipError_tPvRmT1_T2_T3_mmT4_T5_P12ihipStream_tbEUlRKyE_EESV_SZ_S10_mS11_S14_bEUlT_E_NS1_11comp_targetILNS1_3genE0ELNS1_11target_archE4294967295ELNS1_3gpuE0ELNS1_3repE0EEENS1_30default_config_static_selectorELNS0_4arch9wavefront6targetE0EEEvSY_
    .private_segment_fixed_size: 0
    .sgpr_count:     0
    .sgpr_spill_count: 0
    .symbol:         _ZN7rocprim17ROCPRIM_400000_NS6detail17trampoline_kernelINS0_14default_configENS1_27lower_bound_config_selectorIylEEZNS1_14transform_implILb0ES3_S5_N6thrust23THRUST_200600_302600_NS6detail15normal_iteratorINS8_7pointerIyNS8_11hip_rocprim5par_tENS8_11use_defaultESE_EEEENSA_INSB_IlSD_SE_SE_EEEEZNS1_13binary_searchIS3_S5_NSA_INS8_10device_ptrIyEEEESG_SI_NS1_21lower_bound_search_opENS9_16wrapped_functionINS8_6system6detail7generic6detail18binary_search_lessEbEEEE10hipError_tPvRmT1_T2_T3_mmT4_T5_P12ihipStream_tbEUlRKyE_EESV_SZ_S10_mS11_S14_bEUlT_E_NS1_11comp_targetILNS1_3genE0ELNS1_11target_archE4294967295ELNS1_3gpuE0ELNS1_3repE0EEENS1_30default_config_static_selectorELNS0_4arch9wavefront6targetE0EEEvSY_.kd
    .uniform_work_group_size: 1
    .uses_dynamic_stack: false
    .vgpr_count:     0
    .vgpr_spill_count: 0
    .wavefront_size: 32
    .workgroup_processor_mode: 1
  - .args:
      - .offset:         0
        .size:           56
        .value_kind:     by_value
    .group_segment_fixed_size: 0
    .kernarg_segment_align: 8
    .kernarg_segment_size: 56
    .language:       OpenCL C
    .language_version:
      - 2
      - 0
    .max_flat_workgroup_size: 64
    .name:           _ZN7rocprim17ROCPRIM_400000_NS6detail17trampoline_kernelINS0_14default_configENS1_27lower_bound_config_selectorIylEEZNS1_14transform_implILb0ES3_S5_N6thrust23THRUST_200600_302600_NS6detail15normal_iteratorINS8_7pointerIyNS8_11hip_rocprim5par_tENS8_11use_defaultESE_EEEENSA_INSB_IlSD_SE_SE_EEEEZNS1_13binary_searchIS3_S5_NSA_INS8_10device_ptrIyEEEESG_SI_NS1_21lower_bound_search_opENS9_16wrapped_functionINS8_6system6detail7generic6detail18binary_search_lessEbEEEE10hipError_tPvRmT1_T2_T3_mmT4_T5_P12ihipStream_tbEUlRKyE_EESV_SZ_S10_mS11_S14_bEUlT_E_NS1_11comp_targetILNS1_3genE5ELNS1_11target_archE942ELNS1_3gpuE9ELNS1_3repE0EEENS1_30default_config_static_selectorELNS0_4arch9wavefront6targetE0EEEvSY_
    .private_segment_fixed_size: 0
    .sgpr_count:     0
    .sgpr_spill_count: 0
    .symbol:         _ZN7rocprim17ROCPRIM_400000_NS6detail17trampoline_kernelINS0_14default_configENS1_27lower_bound_config_selectorIylEEZNS1_14transform_implILb0ES3_S5_N6thrust23THRUST_200600_302600_NS6detail15normal_iteratorINS8_7pointerIyNS8_11hip_rocprim5par_tENS8_11use_defaultESE_EEEENSA_INSB_IlSD_SE_SE_EEEEZNS1_13binary_searchIS3_S5_NSA_INS8_10device_ptrIyEEEESG_SI_NS1_21lower_bound_search_opENS9_16wrapped_functionINS8_6system6detail7generic6detail18binary_search_lessEbEEEE10hipError_tPvRmT1_T2_T3_mmT4_T5_P12ihipStream_tbEUlRKyE_EESV_SZ_S10_mS11_S14_bEUlT_E_NS1_11comp_targetILNS1_3genE5ELNS1_11target_archE942ELNS1_3gpuE9ELNS1_3repE0EEENS1_30default_config_static_selectorELNS0_4arch9wavefront6targetE0EEEvSY_.kd
    .uniform_work_group_size: 1
    .uses_dynamic_stack: false
    .vgpr_count:     0
    .vgpr_spill_count: 0
    .wavefront_size: 32
    .workgroup_processor_mode: 1
  - .args:
      - .offset:         0
        .size:           56
        .value_kind:     by_value
    .group_segment_fixed_size: 0
    .kernarg_segment_align: 8
    .kernarg_segment_size: 56
    .language:       OpenCL C
    .language_version:
      - 2
      - 0
    .max_flat_workgroup_size: 64
    .name:           _ZN7rocprim17ROCPRIM_400000_NS6detail17trampoline_kernelINS0_14default_configENS1_27lower_bound_config_selectorIylEEZNS1_14transform_implILb0ES3_S5_N6thrust23THRUST_200600_302600_NS6detail15normal_iteratorINS8_7pointerIyNS8_11hip_rocprim5par_tENS8_11use_defaultESE_EEEENSA_INSB_IlSD_SE_SE_EEEEZNS1_13binary_searchIS3_S5_NSA_INS8_10device_ptrIyEEEESG_SI_NS1_21lower_bound_search_opENS9_16wrapped_functionINS8_6system6detail7generic6detail18binary_search_lessEbEEEE10hipError_tPvRmT1_T2_T3_mmT4_T5_P12ihipStream_tbEUlRKyE_EESV_SZ_S10_mS11_S14_bEUlT_E_NS1_11comp_targetILNS1_3genE4ELNS1_11target_archE910ELNS1_3gpuE8ELNS1_3repE0EEENS1_30default_config_static_selectorELNS0_4arch9wavefront6targetE0EEEvSY_
    .private_segment_fixed_size: 0
    .sgpr_count:     0
    .sgpr_spill_count: 0
    .symbol:         _ZN7rocprim17ROCPRIM_400000_NS6detail17trampoline_kernelINS0_14default_configENS1_27lower_bound_config_selectorIylEEZNS1_14transform_implILb0ES3_S5_N6thrust23THRUST_200600_302600_NS6detail15normal_iteratorINS8_7pointerIyNS8_11hip_rocprim5par_tENS8_11use_defaultESE_EEEENSA_INSB_IlSD_SE_SE_EEEEZNS1_13binary_searchIS3_S5_NSA_INS8_10device_ptrIyEEEESG_SI_NS1_21lower_bound_search_opENS9_16wrapped_functionINS8_6system6detail7generic6detail18binary_search_lessEbEEEE10hipError_tPvRmT1_T2_T3_mmT4_T5_P12ihipStream_tbEUlRKyE_EESV_SZ_S10_mS11_S14_bEUlT_E_NS1_11comp_targetILNS1_3genE4ELNS1_11target_archE910ELNS1_3gpuE8ELNS1_3repE0EEENS1_30default_config_static_selectorELNS0_4arch9wavefront6targetE0EEEvSY_.kd
    .uniform_work_group_size: 1
    .uses_dynamic_stack: false
    .vgpr_count:     0
    .vgpr_spill_count: 0
    .wavefront_size: 32
    .workgroup_processor_mode: 1
  - .args:
      - .offset:         0
        .size:           56
        .value_kind:     by_value
    .group_segment_fixed_size: 0
    .kernarg_segment_align: 8
    .kernarg_segment_size: 56
    .language:       OpenCL C
    .language_version:
      - 2
      - 0
    .max_flat_workgroup_size: 128
    .name:           _ZN7rocprim17ROCPRIM_400000_NS6detail17trampoline_kernelINS0_14default_configENS1_27lower_bound_config_selectorIylEEZNS1_14transform_implILb0ES3_S5_N6thrust23THRUST_200600_302600_NS6detail15normal_iteratorINS8_7pointerIyNS8_11hip_rocprim5par_tENS8_11use_defaultESE_EEEENSA_INSB_IlSD_SE_SE_EEEEZNS1_13binary_searchIS3_S5_NSA_INS8_10device_ptrIyEEEESG_SI_NS1_21lower_bound_search_opENS9_16wrapped_functionINS8_6system6detail7generic6detail18binary_search_lessEbEEEE10hipError_tPvRmT1_T2_T3_mmT4_T5_P12ihipStream_tbEUlRKyE_EESV_SZ_S10_mS11_S14_bEUlT_E_NS1_11comp_targetILNS1_3genE3ELNS1_11target_archE908ELNS1_3gpuE7ELNS1_3repE0EEENS1_30default_config_static_selectorELNS0_4arch9wavefront6targetE0EEEvSY_
    .private_segment_fixed_size: 0
    .sgpr_count:     0
    .sgpr_spill_count: 0
    .symbol:         _ZN7rocprim17ROCPRIM_400000_NS6detail17trampoline_kernelINS0_14default_configENS1_27lower_bound_config_selectorIylEEZNS1_14transform_implILb0ES3_S5_N6thrust23THRUST_200600_302600_NS6detail15normal_iteratorINS8_7pointerIyNS8_11hip_rocprim5par_tENS8_11use_defaultESE_EEEENSA_INSB_IlSD_SE_SE_EEEEZNS1_13binary_searchIS3_S5_NSA_INS8_10device_ptrIyEEEESG_SI_NS1_21lower_bound_search_opENS9_16wrapped_functionINS8_6system6detail7generic6detail18binary_search_lessEbEEEE10hipError_tPvRmT1_T2_T3_mmT4_T5_P12ihipStream_tbEUlRKyE_EESV_SZ_S10_mS11_S14_bEUlT_E_NS1_11comp_targetILNS1_3genE3ELNS1_11target_archE908ELNS1_3gpuE7ELNS1_3repE0EEENS1_30default_config_static_selectorELNS0_4arch9wavefront6targetE0EEEvSY_.kd
    .uniform_work_group_size: 1
    .uses_dynamic_stack: false
    .vgpr_count:     0
    .vgpr_spill_count: 0
    .wavefront_size: 32
    .workgroup_processor_mode: 1
  - .args:
      - .offset:         0
        .size:           56
        .value_kind:     by_value
    .group_segment_fixed_size: 0
    .kernarg_segment_align: 8
    .kernarg_segment_size: 56
    .language:       OpenCL C
    .language_version:
      - 2
      - 0
    .max_flat_workgroup_size: 256
    .name:           _ZN7rocprim17ROCPRIM_400000_NS6detail17trampoline_kernelINS0_14default_configENS1_27lower_bound_config_selectorIylEEZNS1_14transform_implILb0ES3_S5_N6thrust23THRUST_200600_302600_NS6detail15normal_iteratorINS8_7pointerIyNS8_11hip_rocprim5par_tENS8_11use_defaultESE_EEEENSA_INSB_IlSD_SE_SE_EEEEZNS1_13binary_searchIS3_S5_NSA_INS8_10device_ptrIyEEEESG_SI_NS1_21lower_bound_search_opENS9_16wrapped_functionINS8_6system6detail7generic6detail18binary_search_lessEbEEEE10hipError_tPvRmT1_T2_T3_mmT4_T5_P12ihipStream_tbEUlRKyE_EESV_SZ_S10_mS11_S14_bEUlT_E_NS1_11comp_targetILNS1_3genE2ELNS1_11target_archE906ELNS1_3gpuE6ELNS1_3repE0EEENS1_30default_config_static_selectorELNS0_4arch9wavefront6targetE0EEEvSY_
    .private_segment_fixed_size: 0
    .sgpr_count:     0
    .sgpr_spill_count: 0
    .symbol:         _ZN7rocprim17ROCPRIM_400000_NS6detail17trampoline_kernelINS0_14default_configENS1_27lower_bound_config_selectorIylEEZNS1_14transform_implILb0ES3_S5_N6thrust23THRUST_200600_302600_NS6detail15normal_iteratorINS8_7pointerIyNS8_11hip_rocprim5par_tENS8_11use_defaultESE_EEEENSA_INSB_IlSD_SE_SE_EEEEZNS1_13binary_searchIS3_S5_NSA_INS8_10device_ptrIyEEEESG_SI_NS1_21lower_bound_search_opENS9_16wrapped_functionINS8_6system6detail7generic6detail18binary_search_lessEbEEEE10hipError_tPvRmT1_T2_T3_mmT4_T5_P12ihipStream_tbEUlRKyE_EESV_SZ_S10_mS11_S14_bEUlT_E_NS1_11comp_targetILNS1_3genE2ELNS1_11target_archE906ELNS1_3gpuE6ELNS1_3repE0EEENS1_30default_config_static_selectorELNS0_4arch9wavefront6targetE0EEEvSY_.kd
    .uniform_work_group_size: 1
    .uses_dynamic_stack: false
    .vgpr_count:     0
    .vgpr_spill_count: 0
    .wavefront_size: 32
    .workgroup_processor_mode: 1
  - .args:
      - .offset:         0
        .size:           56
        .value_kind:     by_value
    .group_segment_fixed_size: 0
    .kernarg_segment_align: 8
    .kernarg_segment_size: 56
    .language:       OpenCL C
    .language_version:
      - 2
      - 0
    .max_flat_workgroup_size: 128
    .name:           _ZN7rocprim17ROCPRIM_400000_NS6detail17trampoline_kernelINS0_14default_configENS1_27lower_bound_config_selectorIylEEZNS1_14transform_implILb0ES3_S5_N6thrust23THRUST_200600_302600_NS6detail15normal_iteratorINS8_7pointerIyNS8_11hip_rocprim5par_tENS8_11use_defaultESE_EEEENSA_INSB_IlSD_SE_SE_EEEEZNS1_13binary_searchIS3_S5_NSA_INS8_10device_ptrIyEEEESG_SI_NS1_21lower_bound_search_opENS9_16wrapped_functionINS8_6system6detail7generic6detail18binary_search_lessEbEEEE10hipError_tPvRmT1_T2_T3_mmT4_T5_P12ihipStream_tbEUlRKyE_EESV_SZ_S10_mS11_S14_bEUlT_E_NS1_11comp_targetILNS1_3genE10ELNS1_11target_archE1201ELNS1_3gpuE5ELNS1_3repE0EEENS1_30default_config_static_selectorELNS0_4arch9wavefront6targetE0EEEvSY_
    .private_segment_fixed_size: 0
    .sgpr_count:     0
    .sgpr_spill_count: 0
    .symbol:         _ZN7rocprim17ROCPRIM_400000_NS6detail17trampoline_kernelINS0_14default_configENS1_27lower_bound_config_selectorIylEEZNS1_14transform_implILb0ES3_S5_N6thrust23THRUST_200600_302600_NS6detail15normal_iteratorINS8_7pointerIyNS8_11hip_rocprim5par_tENS8_11use_defaultESE_EEEENSA_INSB_IlSD_SE_SE_EEEEZNS1_13binary_searchIS3_S5_NSA_INS8_10device_ptrIyEEEESG_SI_NS1_21lower_bound_search_opENS9_16wrapped_functionINS8_6system6detail7generic6detail18binary_search_lessEbEEEE10hipError_tPvRmT1_T2_T3_mmT4_T5_P12ihipStream_tbEUlRKyE_EESV_SZ_S10_mS11_S14_bEUlT_E_NS1_11comp_targetILNS1_3genE10ELNS1_11target_archE1201ELNS1_3gpuE5ELNS1_3repE0EEENS1_30default_config_static_selectorELNS0_4arch9wavefront6targetE0EEEvSY_.kd
    .uniform_work_group_size: 1
    .uses_dynamic_stack: false
    .vgpr_count:     0
    .vgpr_spill_count: 0
    .wavefront_size: 32
    .workgroup_processor_mode: 1
  - .args:
      - .offset:         0
        .size:           56
        .value_kind:     by_value
    .group_segment_fixed_size: 0
    .kernarg_segment_align: 8
    .kernarg_segment_size: 56
    .language:       OpenCL C
    .language_version:
      - 2
      - 0
    .max_flat_workgroup_size: 128
    .name:           _ZN7rocprim17ROCPRIM_400000_NS6detail17trampoline_kernelINS0_14default_configENS1_27lower_bound_config_selectorIylEEZNS1_14transform_implILb0ES3_S5_N6thrust23THRUST_200600_302600_NS6detail15normal_iteratorINS8_7pointerIyNS8_11hip_rocprim5par_tENS8_11use_defaultESE_EEEENSA_INSB_IlSD_SE_SE_EEEEZNS1_13binary_searchIS3_S5_NSA_INS8_10device_ptrIyEEEESG_SI_NS1_21lower_bound_search_opENS9_16wrapped_functionINS8_6system6detail7generic6detail18binary_search_lessEbEEEE10hipError_tPvRmT1_T2_T3_mmT4_T5_P12ihipStream_tbEUlRKyE_EESV_SZ_S10_mS11_S14_bEUlT_E_NS1_11comp_targetILNS1_3genE10ELNS1_11target_archE1200ELNS1_3gpuE4ELNS1_3repE0EEENS1_30default_config_static_selectorELNS0_4arch9wavefront6targetE0EEEvSY_
    .private_segment_fixed_size: 0
    .sgpr_count:     0
    .sgpr_spill_count: 0
    .symbol:         _ZN7rocprim17ROCPRIM_400000_NS6detail17trampoline_kernelINS0_14default_configENS1_27lower_bound_config_selectorIylEEZNS1_14transform_implILb0ES3_S5_N6thrust23THRUST_200600_302600_NS6detail15normal_iteratorINS8_7pointerIyNS8_11hip_rocprim5par_tENS8_11use_defaultESE_EEEENSA_INSB_IlSD_SE_SE_EEEEZNS1_13binary_searchIS3_S5_NSA_INS8_10device_ptrIyEEEESG_SI_NS1_21lower_bound_search_opENS9_16wrapped_functionINS8_6system6detail7generic6detail18binary_search_lessEbEEEE10hipError_tPvRmT1_T2_T3_mmT4_T5_P12ihipStream_tbEUlRKyE_EESV_SZ_S10_mS11_S14_bEUlT_E_NS1_11comp_targetILNS1_3genE10ELNS1_11target_archE1200ELNS1_3gpuE4ELNS1_3repE0EEENS1_30default_config_static_selectorELNS0_4arch9wavefront6targetE0EEEvSY_.kd
    .uniform_work_group_size: 1
    .uses_dynamic_stack: false
    .vgpr_count:     0
    .vgpr_spill_count: 0
    .wavefront_size: 32
    .workgroup_processor_mode: 1
  - .args:
      - .offset:         0
        .size:           56
        .value_kind:     by_value
    .group_segment_fixed_size: 0
    .kernarg_segment_align: 8
    .kernarg_segment_size: 56
    .language:       OpenCL C
    .language_version:
      - 2
      - 0
    .max_flat_workgroup_size: 256
    .name:           _ZN7rocprim17ROCPRIM_400000_NS6detail17trampoline_kernelINS0_14default_configENS1_27lower_bound_config_selectorIylEEZNS1_14transform_implILb0ES3_S5_N6thrust23THRUST_200600_302600_NS6detail15normal_iteratorINS8_7pointerIyNS8_11hip_rocprim5par_tENS8_11use_defaultESE_EEEENSA_INSB_IlSD_SE_SE_EEEEZNS1_13binary_searchIS3_S5_NSA_INS8_10device_ptrIyEEEESG_SI_NS1_21lower_bound_search_opENS9_16wrapped_functionINS8_6system6detail7generic6detail18binary_search_lessEbEEEE10hipError_tPvRmT1_T2_T3_mmT4_T5_P12ihipStream_tbEUlRKyE_EESV_SZ_S10_mS11_S14_bEUlT_E_NS1_11comp_targetILNS1_3genE9ELNS1_11target_archE1100ELNS1_3gpuE3ELNS1_3repE0EEENS1_30default_config_static_selectorELNS0_4arch9wavefront6targetE0EEEvSY_
    .private_segment_fixed_size: 0
    .sgpr_count:     0
    .sgpr_spill_count: 0
    .symbol:         _ZN7rocprim17ROCPRIM_400000_NS6detail17trampoline_kernelINS0_14default_configENS1_27lower_bound_config_selectorIylEEZNS1_14transform_implILb0ES3_S5_N6thrust23THRUST_200600_302600_NS6detail15normal_iteratorINS8_7pointerIyNS8_11hip_rocprim5par_tENS8_11use_defaultESE_EEEENSA_INSB_IlSD_SE_SE_EEEEZNS1_13binary_searchIS3_S5_NSA_INS8_10device_ptrIyEEEESG_SI_NS1_21lower_bound_search_opENS9_16wrapped_functionINS8_6system6detail7generic6detail18binary_search_lessEbEEEE10hipError_tPvRmT1_T2_T3_mmT4_T5_P12ihipStream_tbEUlRKyE_EESV_SZ_S10_mS11_S14_bEUlT_E_NS1_11comp_targetILNS1_3genE9ELNS1_11target_archE1100ELNS1_3gpuE3ELNS1_3repE0EEENS1_30default_config_static_selectorELNS0_4arch9wavefront6targetE0EEEvSY_.kd
    .uniform_work_group_size: 1
    .uses_dynamic_stack: false
    .vgpr_count:     0
    .vgpr_spill_count: 0
    .wavefront_size: 32
    .workgroup_processor_mode: 1
  - .args:
      - .offset:         0
        .size:           56
        .value_kind:     by_value
      - .offset:         56
        .size:           4
        .value_kind:     hidden_block_count_x
      - .offset:         60
        .size:           4
        .value_kind:     hidden_block_count_y
      - .offset:         64
        .size:           4
        .value_kind:     hidden_block_count_z
      - .offset:         68
        .size:           2
        .value_kind:     hidden_group_size_x
      - .offset:         70
        .size:           2
        .value_kind:     hidden_group_size_y
      - .offset:         72
        .size:           2
        .value_kind:     hidden_group_size_z
      - .offset:         74
        .size:           2
        .value_kind:     hidden_remainder_x
      - .offset:         76
        .size:           2
        .value_kind:     hidden_remainder_y
      - .offset:         78
        .size:           2
        .value_kind:     hidden_remainder_z
      - .offset:         96
        .size:           8
        .value_kind:     hidden_global_offset_x
      - .offset:         104
        .size:           8
        .value_kind:     hidden_global_offset_y
      - .offset:         112
        .size:           8
        .value_kind:     hidden_global_offset_z
      - .offset:         120
        .size:           2
        .value_kind:     hidden_grid_dims
    .group_segment_fixed_size: 0
    .kernarg_segment_align: 8
    .kernarg_segment_size: 312
    .language:       OpenCL C
    .language_version:
      - 2
      - 0
    .max_flat_workgroup_size: 256
    .name:           _ZN7rocprim17ROCPRIM_400000_NS6detail17trampoline_kernelINS0_14default_configENS1_27lower_bound_config_selectorIylEEZNS1_14transform_implILb0ES3_S5_N6thrust23THRUST_200600_302600_NS6detail15normal_iteratorINS8_7pointerIyNS8_11hip_rocprim5par_tENS8_11use_defaultESE_EEEENSA_INSB_IlSD_SE_SE_EEEEZNS1_13binary_searchIS3_S5_NSA_INS8_10device_ptrIyEEEESG_SI_NS1_21lower_bound_search_opENS9_16wrapped_functionINS8_6system6detail7generic6detail18binary_search_lessEbEEEE10hipError_tPvRmT1_T2_T3_mmT4_T5_P12ihipStream_tbEUlRKyE_EESV_SZ_S10_mS11_S14_bEUlT_E_NS1_11comp_targetILNS1_3genE8ELNS1_11target_archE1030ELNS1_3gpuE2ELNS1_3repE0EEENS1_30default_config_static_selectorELNS0_4arch9wavefront6targetE0EEEvSY_
    .private_segment_fixed_size: 0
    .sgpr_count:     22
    .sgpr_spill_count: 0
    .symbol:         _ZN7rocprim17ROCPRIM_400000_NS6detail17trampoline_kernelINS0_14default_configENS1_27lower_bound_config_selectorIylEEZNS1_14transform_implILb0ES3_S5_N6thrust23THRUST_200600_302600_NS6detail15normal_iteratorINS8_7pointerIyNS8_11hip_rocprim5par_tENS8_11use_defaultESE_EEEENSA_INSB_IlSD_SE_SE_EEEEZNS1_13binary_searchIS3_S5_NSA_INS8_10device_ptrIyEEEESG_SI_NS1_21lower_bound_search_opENS9_16wrapped_functionINS8_6system6detail7generic6detail18binary_search_lessEbEEEE10hipError_tPvRmT1_T2_T3_mmT4_T5_P12ihipStream_tbEUlRKyE_EESV_SZ_S10_mS11_S14_bEUlT_E_NS1_11comp_targetILNS1_3genE8ELNS1_11target_archE1030ELNS1_3gpuE2ELNS1_3repE0EEENS1_30default_config_static_selectorELNS0_4arch9wavefront6targetE0EEEvSY_.kd
    .uniform_work_group_size: 1
    .uses_dynamic_stack: false
    .vgpr_count:     12
    .vgpr_spill_count: 0
    .wavefront_size: 32
    .workgroup_processor_mode: 1
  - .args:
      - .offset:         0
        .size:           56
        .value_kind:     by_value
    .group_segment_fixed_size: 0
    .kernarg_segment_align: 8
    .kernarg_segment_size: 56
    .language:       OpenCL C
    .language_version:
      - 2
      - 0
    .max_flat_workgroup_size: 256
    .name:           _ZN7rocprim17ROCPRIM_400000_NS6detail17trampoline_kernelINS0_14default_configENS1_27lower_bound_config_selectorIjlEEZNS1_14transform_implILb0ES3_S5_N6thrust23THRUST_200600_302600_NS6detail15normal_iteratorINS8_7pointerIjNS8_11hip_rocprim5par_tENS8_11use_defaultESE_EEEENSA_INSB_IlSD_SE_SE_EEEEZNS1_13binary_searchIS3_S5_NSA_INS8_10device_ptrIjEEEESG_SI_NS1_21lower_bound_search_opENS9_16wrapped_functionINS8_6system6detail7generic6detail18binary_search_lessEbEEEE10hipError_tPvRmT1_T2_T3_mmT4_T5_P12ihipStream_tbEUlRKjE_EESV_SZ_S10_mS11_S14_bEUlT_E_NS1_11comp_targetILNS1_3genE0ELNS1_11target_archE4294967295ELNS1_3gpuE0ELNS1_3repE0EEENS1_30default_config_static_selectorELNS0_4arch9wavefront6targetE0EEEvSY_
    .private_segment_fixed_size: 0
    .sgpr_count:     0
    .sgpr_spill_count: 0
    .symbol:         _ZN7rocprim17ROCPRIM_400000_NS6detail17trampoline_kernelINS0_14default_configENS1_27lower_bound_config_selectorIjlEEZNS1_14transform_implILb0ES3_S5_N6thrust23THRUST_200600_302600_NS6detail15normal_iteratorINS8_7pointerIjNS8_11hip_rocprim5par_tENS8_11use_defaultESE_EEEENSA_INSB_IlSD_SE_SE_EEEEZNS1_13binary_searchIS3_S5_NSA_INS8_10device_ptrIjEEEESG_SI_NS1_21lower_bound_search_opENS9_16wrapped_functionINS8_6system6detail7generic6detail18binary_search_lessEbEEEE10hipError_tPvRmT1_T2_T3_mmT4_T5_P12ihipStream_tbEUlRKjE_EESV_SZ_S10_mS11_S14_bEUlT_E_NS1_11comp_targetILNS1_3genE0ELNS1_11target_archE4294967295ELNS1_3gpuE0ELNS1_3repE0EEENS1_30default_config_static_selectorELNS0_4arch9wavefront6targetE0EEEvSY_.kd
    .uniform_work_group_size: 1
    .uses_dynamic_stack: false
    .vgpr_count:     0
    .vgpr_spill_count: 0
    .wavefront_size: 32
    .workgroup_processor_mode: 1
  - .args:
      - .offset:         0
        .size:           56
        .value_kind:     by_value
    .group_segment_fixed_size: 0
    .kernarg_segment_align: 8
    .kernarg_segment_size: 56
    .language:       OpenCL C
    .language_version:
      - 2
      - 0
    .max_flat_workgroup_size: 256
    .name:           _ZN7rocprim17ROCPRIM_400000_NS6detail17trampoline_kernelINS0_14default_configENS1_27lower_bound_config_selectorIjlEEZNS1_14transform_implILb0ES3_S5_N6thrust23THRUST_200600_302600_NS6detail15normal_iteratorINS8_7pointerIjNS8_11hip_rocprim5par_tENS8_11use_defaultESE_EEEENSA_INSB_IlSD_SE_SE_EEEEZNS1_13binary_searchIS3_S5_NSA_INS8_10device_ptrIjEEEESG_SI_NS1_21lower_bound_search_opENS9_16wrapped_functionINS8_6system6detail7generic6detail18binary_search_lessEbEEEE10hipError_tPvRmT1_T2_T3_mmT4_T5_P12ihipStream_tbEUlRKjE_EESV_SZ_S10_mS11_S14_bEUlT_E_NS1_11comp_targetILNS1_3genE5ELNS1_11target_archE942ELNS1_3gpuE9ELNS1_3repE0EEENS1_30default_config_static_selectorELNS0_4arch9wavefront6targetE0EEEvSY_
    .private_segment_fixed_size: 0
    .sgpr_count:     0
    .sgpr_spill_count: 0
    .symbol:         _ZN7rocprim17ROCPRIM_400000_NS6detail17trampoline_kernelINS0_14default_configENS1_27lower_bound_config_selectorIjlEEZNS1_14transform_implILb0ES3_S5_N6thrust23THRUST_200600_302600_NS6detail15normal_iteratorINS8_7pointerIjNS8_11hip_rocprim5par_tENS8_11use_defaultESE_EEEENSA_INSB_IlSD_SE_SE_EEEEZNS1_13binary_searchIS3_S5_NSA_INS8_10device_ptrIjEEEESG_SI_NS1_21lower_bound_search_opENS9_16wrapped_functionINS8_6system6detail7generic6detail18binary_search_lessEbEEEE10hipError_tPvRmT1_T2_T3_mmT4_T5_P12ihipStream_tbEUlRKjE_EESV_SZ_S10_mS11_S14_bEUlT_E_NS1_11comp_targetILNS1_3genE5ELNS1_11target_archE942ELNS1_3gpuE9ELNS1_3repE0EEENS1_30default_config_static_selectorELNS0_4arch9wavefront6targetE0EEEvSY_.kd
    .uniform_work_group_size: 1
    .uses_dynamic_stack: false
    .vgpr_count:     0
    .vgpr_spill_count: 0
    .wavefront_size: 32
    .workgroup_processor_mode: 1
  - .args:
      - .offset:         0
        .size:           56
        .value_kind:     by_value
    .group_segment_fixed_size: 0
    .kernarg_segment_align: 8
    .kernarg_segment_size: 56
    .language:       OpenCL C
    .language_version:
      - 2
      - 0
    .max_flat_workgroup_size: 256
    .name:           _ZN7rocprim17ROCPRIM_400000_NS6detail17trampoline_kernelINS0_14default_configENS1_27lower_bound_config_selectorIjlEEZNS1_14transform_implILb0ES3_S5_N6thrust23THRUST_200600_302600_NS6detail15normal_iteratorINS8_7pointerIjNS8_11hip_rocprim5par_tENS8_11use_defaultESE_EEEENSA_INSB_IlSD_SE_SE_EEEEZNS1_13binary_searchIS3_S5_NSA_INS8_10device_ptrIjEEEESG_SI_NS1_21lower_bound_search_opENS9_16wrapped_functionINS8_6system6detail7generic6detail18binary_search_lessEbEEEE10hipError_tPvRmT1_T2_T3_mmT4_T5_P12ihipStream_tbEUlRKjE_EESV_SZ_S10_mS11_S14_bEUlT_E_NS1_11comp_targetILNS1_3genE4ELNS1_11target_archE910ELNS1_3gpuE8ELNS1_3repE0EEENS1_30default_config_static_selectorELNS0_4arch9wavefront6targetE0EEEvSY_
    .private_segment_fixed_size: 0
    .sgpr_count:     0
    .sgpr_spill_count: 0
    .symbol:         _ZN7rocprim17ROCPRIM_400000_NS6detail17trampoline_kernelINS0_14default_configENS1_27lower_bound_config_selectorIjlEEZNS1_14transform_implILb0ES3_S5_N6thrust23THRUST_200600_302600_NS6detail15normal_iteratorINS8_7pointerIjNS8_11hip_rocprim5par_tENS8_11use_defaultESE_EEEENSA_INSB_IlSD_SE_SE_EEEEZNS1_13binary_searchIS3_S5_NSA_INS8_10device_ptrIjEEEESG_SI_NS1_21lower_bound_search_opENS9_16wrapped_functionINS8_6system6detail7generic6detail18binary_search_lessEbEEEE10hipError_tPvRmT1_T2_T3_mmT4_T5_P12ihipStream_tbEUlRKjE_EESV_SZ_S10_mS11_S14_bEUlT_E_NS1_11comp_targetILNS1_3genE4ELNS1_11target_archE910ELNS1_3gpuE8ELNS1_3repE0EEENS1_30default_config_static_selectorELNS0_4arch9wavefront6targetE0EEEvSY_.kd
    .uniform_work_group_size: 1
    .uses_dynamic_stack: false
    .vgpr_count:     0
    .vgpr_spill_count: 0
    .wavefront_size: 32
    .workgroup_processor_mode: 1
  - .args:
      - .offset:         0
        .size:           56
        .value_kind:     by_value
    .group_segment_fixed_size: 0
    .kernarg_segment_align: 8
    .kernarg_segment_size: 56
    .language:       OpenCL C
    .language_version:
      - 2
      - 0
    .max_flat_workgroup_size: 256
    .name:           _ZN7rocprim17ROCPRIM_400000_NS6detail17trampoline_kernelINS0_14default_configENS1_27lower_bound_config_selectorIjlEEZNS1_14transform_implILb0ES3_S5_N6thrust23THRUST_200600_302600_NS6detail15normal_iteratorINS8_7pointerIjNS8_11hip_rocprim5par_tENS8_11use_defaultESE_EEEENSA_INSB_IlSD_SE_SE_EEEEZNS1_13binary_searchIS3_S5_NSA_INS8_10device_ptrIjEEEESG_SI_NS1_21lower_bound_search_opENS9_16wrapped_functionINS8_6system6detail7generic6detail18binary_search_lessEbEEEE10hipError_tPvRmT1_T2_T3_mmT4_T5_P12ihipStream_tbEUlRKjE_EESV_SZ_S10_mS11_S14_bEUlT_E_NS1_11comp_targetILNS1_3genE3ELNS1_11target_archE908ELNS1_3gpuE7ELNS1_3repE0EEENS1_30default_config_static_selectorELNS0_4arch9wavefront6targetE0EEEvSY_
    .private_segment_fixed_size: 0
    .sgpr_count:     0
    .sgpr_spill_count: 0
    .symbol:         _ZN7rocprim17ROCPRIM_400000_NS6detail17trampoline_kernelINS0_14default_configENS1_27lower_bound_config_selectorIjlEEZNS1_14transform_implILb0ES3_S5_N6thrust23THRUST_200600_302600_NS6detail15normal_iteratorINS8_7pointerIjNS8_11hip_rocprim5par_tENS8_11use_defaultESE_EEEENSA_INSB_IlSD_SE_SE_EEEEZNS1_13binary_searchIS3_S5_NSA_INS8_10device_ptrIjEEEESG_SI_NS1_21lower_bound_search_opENS9_16wrapped_functionINS8_6system6detail7generic6detail18binary_search_lessEbEEEE10hipError_tPvRmT1_T2_T3_mmT4_T5_P12ihipStream_tbEUlRKjE_EESV_SZ_S10_mS11_S14_bEUlT_E_NS1_11comp_targetILNS1_3genE3ELNS1_11target_archE908ELNS1_3gpuE7ELNS1_3repE0EEENS1_30default_config_static_selectorELNS0_4arch9wavefront6targetE0EEEvSY_.kd
    .uniform_work_group_size: 1
    .uses_dynamic_stack: false
    .vgpr_count:     0
    .vgpr_spill_count: 0
    .wavefront_size: 32
    .workgroup_processor_mode: 1
  - .args:
      - .offset:         0
        .size:           56
        .value_kind:     by_value
    .group_segment_fixed_size: 0
    .kernarg_segment_align: 8
    .kernarg_segment_size: 56
    .language:       OpenCL C
    .language_version:
      - 2
      - 0
    .max_flat_workgroup_size: 256
    .name:           _ZN7rocprim17ROCPRIM_400000_NS6detail17trampoline_kernelINS0_14default_configENS1_27lower_bound_config_selectorIjlEEZNS1_14transform_implILb0ES3_S5_N6thrust23THRUST_200600_302600_NS6detail15normal_iteratorINS8_7pointerIjNS8_11hip_rocprim5par_tENS8_11use_defaultESE_EEEENSA_INSB_IlSD_SE_SE_EEEEZNS1_13binary_searchIS3_S5_NSA_INS8_10device_ptrIjEEEESG_SI_NS1_21lower_bound_search_opENS9_16wrapped_functionINS8_6system6detail7generic6detail18binary_search_lessEbEEEE10hipError_tPvRmT1_T2_T3_mmT4_T5_P12ihipStream_tbEUlRKjE_EESV_SZ_S10_mS11_S14_bEUlT_E_NS1_11comp_targetILNS1_3genE2ELNS1_11target_archE906ELNS1_3gpuE6ELNS1_3repE0EEENS1_30default_config_static_selectorELNS0_4arch9wavefront6targetE0EEEvSY_
    .private_segment_fixed_size: 0
    .sgpr_count:     0
    .sgpr_spill_count: 0
    .symbol:         _ZN7rocprim17ROCPRIM_400000_NS6detail17trampoline_kernelINS0_14default_configENS1_27lower_bound_config_selectorIjlEEZNS1_14transform_implILb0ES3_S5_N6thrust23THRUST_200600_302600_NS6detail15normal_iteratorINS8_7pointerIjNS8_11hip_rocprim5par_tENS8_11use_defaultESE_EEEENSA_INSB_IlSD_SE_SE_EEEEZNS1_13binary_searchIS3_S5_NSA_INS8_10device_ptrIjEEEESG_SI_NS1_21lower_bound_search_opENS9_16wrapped_functionINS8_6system6detail7generic6detail18binary_search_lessEbEEEE10hipError_tPvRmT1_T2_T3_mmT4_T5_P12ihipStream_tbEUlRKjE_EESV_SZ_S10_mS11_S14_bEUlT_E_NS1_11comp_targetILNS1_3genE2ELNS1_11target_archE906ELNS1_3gpuE6ELNS1_3repE0EEENS1_30default_config_static_selectorELNS0_4arch9wavefront6targetE0EEEvSY_.kd
    .uniform_work_group_size: 1
    .uses_dynamic_stack: false
    .vgpr_count:     0
    .vgpr_spill_count: 0
    .wavefront_size: 32
    .workgroup_processor_mode: 1
  - .args:
      - .offset:         0
        .size:           56
        .value_kind:     by_value
    .group_segment_fixed_size: 0
    .kernarg_segment_align: 8
    .kernarg_segment_size: 56
    .language:       OpenCL C
    .language_version:
      - 2
      - 0
    .max_flat_workgroup_size: 128
    .name:           _ZN7rocprim17ROCPRIM_400000_NS6detail17trampoline_kernelINS0_14default_configENS1_27lower_bound_config_selectorIjlEEZNS1_14transform_implILb0ES3_S5_N6thrust23THRUST_200600_302600_NS6detail15normal_iteratorINS8_7pointerIjNS8_11hip_rocprim5par_tENS8_11use_defaultESE_EEEENSA_INSB_IlSD_SE_SE_EEEEZNS1_13binary_searchIS3_S5_NSA_INS8_10device_ptrIjEEEESG_SI_NS1_21lower_bound_search_opENS9_16wrapped_functionINS8_6system6detail7generic6detail18binary_search_lessEbEEEE10hipError_tPvRmT1_T2_T3_mmT4_T5_P12ihipStream_tbEUlRKjE_EESV_SZ_S10_mS11_S14_bEUlT_E_NS1_11comp_targetILNS1_3genE10ELNS1_11target_archE1201ELNS1_3gpuE5ELNS1_3repE0EEENS1_30default_config_static_selectorELNS0_4arch9wavefront6targetE0EEEvSY_
    .private_segment_fixed_size: 0
    .sgpr_count:     0
    .sgpr_spill_count: 0
    .symbol:         _ZN7rocprim17ROCPRIM_400000_NS6detail17trampoline_kernelINS0_14default_configENS1_27lower_bound_config_selectorIjlEEZNS1_14transform_implILb0ES3_S5_N6thrust23THRUST_200600_302600_NS6detail15normal_iteratorINS8_7pointerIjNS8_11hip_rocprim5par_tENS8_11use_defaultESE_EEEENSA_INSB_IlSD_SE_SE_EEEEZNS1_13binary_searchIS3_S5_NSA_INS8_10device_ptrIjEEEESG_SI_NS1_21lower_bound_search_opENS9_16wrapped_functionINS8_6system6detail7generic6detail18binary_search_lessEbEEEE10hipError_tPvRmT1_T2_T3_mmT4_T5_P12ihipStream_tbEUlRKjE_EESV_SZ_S10_mS11_S14_bEUlT_E_NS1_11comp_targetILNS1_3genE10ELNS1_11target_archE1201ELNS1_3gpuE5ELNS1_3repE0EEENS1_30default_config_static_selectorELNS0_4arch9wavefront6targetE0EEEvSY_.kd
    .uniform_work_group_size: 1
    .uses_dynamic_stack: false
    .vgpr_count:     0
    .vgpr_spill_count: 0
    .wavefront_size: 32
    .workgroup_processor_mode: 1
  - .args:
      - .offset:         0
        .size:           56
        .value_kind:     by_value
    .group_segment_fixed_size: 0
    .kernarg_segment_align: 8
    .kernarg_segment_size: 56
    .language:       OpenCL C
    .language_version:
      - 2
      - 0
    .max_flat_workgroup_size: 128
    .name:           _ZN7rocprim17ROCPRIM_400000_NS6detail17trampoline_kernelINS0_14default_configENS1_27lower_bound_config_selectorIjlEEZNS1_14transform_implILb0ES3_S5_N6thrust23THRUST_200600_302600_NS6detail15normal_iteratorINS8_7pointerIjNS8_11hip_rocprim5par_tENS8_11use_defaultESE_EEEENSA_INSB_IlSD_SE_SE_EEEEZNS1_13binary_searchIS3_S5_NSA_INS8_10device_ptrIjEEEESG_SI_NS1_21lower_bound_search_opENS9_16wrapped_functionINS8_6system6detail7generic6detail18binary_search_lessEbEEEE10hipError_tPvRmT1_T2_T3_mmT4_T5_P12ihipStream_tbEUlRKjE_EESV_SZ_S10_mS11_S14_bEUlT_E_NS1_11comp_targetILNS1_3genE10ELNS1_11target_archE1200ELNS1_3gpuE4ELNS1_3repE0EEENS1_30default_config_static_selectorELNS0_4arch9wavefront6targetE0EEEvSY_
    .private_segment_fixed_size: 0
    .sgpr_count:     0
    .sgpr_spill_count: 0
    .symbol:         _ZN7rocprim17ROCPRIM_400000_NS6detail17trampoline_kernelINS0_14default_configENS1_27lower_bound_config_selectorIjlEEZNS1_14transform_implILb0ES3_S5_N6thrust23THRUST_200600_302600_NS6detail15normal_iteratorINS8_7pointerIjNS8_11hip_rocprim5par_tENS8_11use_defaultESE_EEEENSA_INSB_IlSD_SE_SE_EEEEZNS1_13binary_searchIS3_S5_NSA_INS8_10device_ptrIjEEEESG_SI_NS1_21lower_bound_search_opENS9_16wrapped_functionINS8_6system6detail7generic6detail18binary_search_lessEbEEEE10hipError_tPvRmT1_T2_T3_mmT4_T5_P12ihipStream_tbEUlRKjE_EESV_SZ_S10_mS11_S14_bEUlT_E_NS1_11comp_targetILNS1_3genE10ELNS1_11target_archE1200ELNS1_3gpuE4ELNS1_3repE0EEENS1_30default_config_static_selectorELNS0_4arch9wavefront6targetE0EEEvSY_.kd
    .uniform_work_group_size: 1
    .uses_dynamic_stack: false
    .vgpr_count:     0
    .vgpr_spill_count: 0
    .wavefront_size: 32
    .workgroup_processor_mode: 1
  - .args:
      - .offset:         0
        .size:           56
        .value_kind:     by_value
    .group_segment_fixed_size: 0
    .kernarg_segment_align: 8
    .kernarg_segment_size: 56
    .language:       OpenCL C
    .language_version:
      - 2
      - 0
    .max_flat_workgroup_size: 256
    .name:           _ZN7rocprim17ROCPRIM_400000_NS6detail17trampoline_kernelINS0_14default_configENS1_27lower_bound_config_selectorIjlEEZNS1_14transform_implILb0ES3_S5_N6thrust23THRUST_200600_302600_NS6detail15normal_iteratorINS8_7pointerIjNS8_11hip_rocprim5par_tENS8_11use_defaultESE_EEEENSA_INSB_IlSD_SE_SE_EEEEZNS1_13binary_searchIS3_S5_NSA_INS8_10device_ptrIjEEEESG_SI_NS1_21lower_bound_search_opENS9_16wrapped_functionINS8_6system6detail7generic6detail18binary_search_lessEbEEEE10hipError_tPvRmT1_T2_T3_mmT4_T5_P12ihipStream_tbEUlRKjE_EESV_SZ_S10_mS11_S14_bEUlT_E_NS1_11comp_targetILNS1_3genE9ELNS1_11target_archE1100ELNS1_3gpuE3ELNS1_3repE0EEENS1_30default_config_static_selectorELNS0_4arch9wavefront6targetE0EEEvSY_
    .private_segment_fixed_size: 0
    .sgpr_count:     0
    .sgpr_spill_count: 0
    .symbol:         _ZN7rocprim17ROCPRIM_400000_NS6detail17trampoline_kernelINS0_14default_configENS1_27lower_bound_config_selectorIjlEEZNS1_14transform_implILb0ES3_S5_N6thrust23THRUST_200600_302600_NS6detail15normal_iteratorINS8_7pointerIjNS8_11hip_rocprim5par_tENS8_11use_defaultESE_EEEENSA_INSB_IlSD_SE_SE_EEEEZNS1_13binary_searchIS3_S5_NSA_INS8_10device_ptrIjEEEESG_SI_NS1_21lower_bound_search_opENS9_16wrapped_functionINS8_6system6detail7generic6detail18binary_search_lessEbEEEE10hipError_tPvRmT1_T2_T3_mmT4_T5_P12ihipStream_tbEUlRKjE_EESV_SZ_S10_mS11_S14_bEUlT_E_NS1_11comp_targetILNS1_3genE9ELNS1_11target_archE1100ELNS1_3gpuE3ELNS1_3repE0EEENS1_30default_config_static_selectorELNS0_4arch9wavefront6targetE0EEEvSY_.kd
    .uniform_work_group_size: 1
    .uses_dynamic_stack: false
    .vgpr_count:     0
    .vgpr_spill_count: 0
    .wavefront_size: 32
    .workgroup_processor_mode: 1
  - .args:
      - .offset:         0
        .size:           56
        .value_kind:     by_value
      - .offset:         56
        .size:           4
        .value_kind:     hidden_block_count_x
      - .offset:         60
        .size:           4
        .value_kind:     hidden_block_count_y
      - .offset:         64
        .size:           4
        .value_kind:     hidden_block_count_z
      - .offset:         68
        .size:           2
        .value_kind:     hidden_group_size_x
      - .offset:         70
        .size:           2
        .value_kind:     hidden_group_size_y
      - .offset:         72
        .size:           2
        .value_kind:     hidden_group_size_z
      - .offset:         74
        .size:           2
        .value_kind:     hidden_remainder_x
      - .offset:         76
        .size:           2
        .value_kind:     hidden_remainder_y
      - .offset:         78
        .size:           2
        .value_kind:     hidden_remainder_z
      - .offset:         96
        .size:           8
        .value_kind:     hidden_global_offset_x
      - .offset:         104
        .size:           8
        .value_kind:     hidden_global_offset_y
      - .offset:         112
        .size:           8
        .value_kind:     hidden_global_offset_z
      - .offset:         120
        .size:           2
        .value_kind:     hidden_grid_dims
    .group_segment_fixed_size: 0
    .kernarg_segment_align: 8
    .kernarg_segment_size: 312
    .language:       OpenCL C
    .language_version:
      - 2
      - 0
    .max_flat_workgroup_size: 256
    .name:           _ZN7rocprim17ROCPRIM_400000_NS6detail17trampoline_kernelINS0_14default_configENS1_27lower_bound_config_selectorIjlEEZNS1_14transform_implILb0ES3_S5_N6thrust23THRUST_200600_302600_NS6detail15normal_iteratorINS8_7pointerIjNS8_11hip_rocprim5par_tENS8_11use_defaultESE_EEEENSA_INSB_IlSD_SE_SE_EEEEZNS1_13binary_searchIS3_S5_NSA_INS8_10device_ptrIjEEEESG_SI_NS1_21lower_bound_search_opENS9_16wrapped_functionINS8_6system6detail7generic6detail18binary_search_lessEbEEEE10hipError_tPvRmT1_T2_T3_mmT4_T5_P12ihipStream_tbEUlRKjE_EESV_SZ_S10_mS11_S14_bEUlT_E_NS1_11comp_targetILNS1_3genE8ELNS1_11target_archE1030ELNS1_3gpuE2ELNS1_3repE0EEENS1_30default_config_static_selectorELNS0_4arch9wavefront6targetE0EEEvSY_
    .private_segment_fixed_size: 0
    .sgpr_count:     19
    .sgpr_spill_count: 0
    .symbol:         _ZN7rocprim17ROCPRIM_400000_NS6detail17trampoline_kernelINS0_14default_configENS1_27lower_bound_config_selectorIjlEEZNS1_14transform_implILb0ES3_S5_N6thrust23THRUST_200600_302600_NS6detail15normal_iteratorINS8_7pointerIjNS8_11hip_rocprim5par_tENS8_11use_defaultESE_EEEENSA_INSB_IlSD_SE_SE_EEEEZNS1_13binary_searchIS3_S5_NSA_INS8_10device_ptrIjEEEESG_SI_NS1_21lower_bound_search_opENS9_16wrapped_functionINS8_6system6detail7generic6detail18binary_search_lessEbEEEE10hipError_tPvRmT1_T2_T3_mmT4_T5_P12ihipStream_tbEUlRKjE_EESV_SZ_S10_mS11_S14_bEUlT_E_NS1_11comp_targetILNS1_3genE8ELNS1_11target_archE1030ELNS1_3gpuE2ELNS1_3repE0EEENS1_30default_config_static_selectorELNS0_4arch9wavefront6targetE0EEEvSY_.kd
    .uniform_work_group_size: 1
    .uses_dynamic_stack: false
    .vgpr_count:     11
    .vgpr_spill_count: 0
    .wavefront_size: 32
    .workgroup_processor_mode: 1
  - .args:
      - .offset:         0
        .size:           56
        .value_kind:     by_value
    .group_segment_fixed_size: 0
    .kernarg_segment_align: 8
    .kernarg_segment_size: 56
    .language:       OpenCL C
    .language_version:
      - 2
      - 0
    .max_flat_workgroup_size: 256
    .name:           _ZN7rocprim17ROCPRIM_400000_NS6detail17trampoline_kernelINS0_14default_configENS1_27lower_bound_config_selectorItlEEZNS1_14transform_implILb0ES3_S5_N6thrust23THRUST_200600_302600_NS6detail15normal_iteratorINS8_7pointerItNS8_11hip_rocprim5par_tENS8_11use_defaultESE_EEEENSA_INSB_IlSD_SE_SE_EEEEZNS1_13binary_searchIS3_S5_NSA_INS8_10device_ptrItEEEESG_SI_NS1_21lower_bound_search_opENS9_16wrapped_functionINS8_6system6detail7generic6detail18binary_search_lessEbEEEE10hipError_tPvRmT1_T2_T3_mmT4_T5_P12ihipStream_tbEUlRKtE_EESV_SZ_S10_mS11_S14_bEUlT_E_NS1_11comp_targetILNS1_3genE0ELNS1_11target_archE4294967295ELNS1_3gpuE0ELNS1_3repE0EEENS1_30default_config_static_selectorELNS0_4arch9wavefront6targetE0EEEvSY_
    .private_segment_fixed_size: 0
    .sgpr_count:     0
    .sgpr_spill_count: 0
    .symbol:         _ZN7rocprim17ROCPRIM_400000_NS6detail17trampoline_kernelINS0_14default_configENS1_27lower_bound_config_selectorItlEEZNS1_14transform_implILb0ES3_S5_N6thrust23THRUST_200600_302600_NS6detail15normal_iteratorINS8_7pointerItNS8_11hip_rocprim5par_tENS8_11use_defaultESE_EEEENSA_INSB_IlSD_SE_SE_EEEEZNS1_13binary_searchIS3_S5_NSA_INS8_10device_ptrItEEEESG_SI_NS1_21lower_bound_search_opENS9_16wrapped_functionINS8_6system6detail7generic6detail18binary_search_lessEbEEEE10hipError_tPvRmT1_T2_T3_mmT4_T5_P12ihipStream_tbEUlRKtE_EESV_SZ_S10_mS11_S14_bEUlT_E_NS1_11comp_targetILNS1_3genE0ELNS1_11target_archE4294967295ELNS1_3gpuE0ELNS1_3repE0EEENS1_30default_config_static_selectorELNS0_4arch9wavefront6targetE0EEEvSY_.kd
    .uniform_work_group_size: 1
    .uses_dynamic_stack: false
    .vgpr_count:     0
    .vgpr_spill_count: 0
    .wavefront_size: 32
    .workgroup_processor_mode: 1
  - .args:
      - .offset:         0
        .size:           56
        .value_kind:     by_value
    .group_segment_fixed_size: 0
    .kernarg_segment_align: 8
    .kernarg_segment_size: 56
    .language:       OpenCL C
    .language_version:
      - 2
      - 0
    .max_flat_workgroup_size: 256
    .name:           _ZN7rocprim17ROCPRIM_400000_NS6detail17trampoline_kernelINS0_14default_configENS1_27lower_bound_config_selectorItlEEZNS1_14transform_implILb0ES3_S5_N6thrust23THRUST_200600_302600_NS6detail15normal_iteratorINS8_7pointerItNS8_11hip_rocprim5par_tENS8_11use_defaultESE_EEEENSA_INSB_IlSD_SE_SE_EEEEZNS1_13binary_searchIS3_S5_NSA_INS8_10device_ptrItEEEESG_SI_NS1_21lower_bound_search_opENS9_16wrapped_functionINS8_6system6detail7generic6detail18binary_search_lessEbEEEE10hipError_tPvRmT1_T2_T3_mmT4_T5_P12ihipStream_tbEUlRKtE_EESV_SZ_S10_mS11_S14_bEUlT_E_NS1_11comp_targetILNS1_3genE5ELNS1_11target_archE942ELNS1_3gpuE9ELNS1_3repE0EEENS1_30default_config_static_selectorELNS0_4arch9wavefront6targetE0EEEvSY_
    .private_segment_fixed_size: 0
    .sgpr_count:     0
    .sgpr_spill_count: 0
    .symbol:         _ZN7rocprim17ROCPRIM_400000_NS6detail17trampoline_kernelINS0_14default_configENS1_27lower_bound_config_selectorItlEEZNS1_14transform_implILb0ES3_S5_N6thrust23THRUST_200600_302600_NS6detail15normal_iteratorINS8_7pointerItNS8_11hip_rocprim5par_tENS8_11use_defaultESE_EEEENSA_INSB_IlSD_SE_SE_EEEEZNS1_13binary_searchIS3_S5_NSA_INS8_10device_ptrItEEEESG_SI_NS1_21lower_bound_search_opENS9_16wrapped_functionINS8_6system6detail7generic6detail18binary_search_lessEbEEEE10hipError_tPvRmT1_T2_T3_mmT4_T5_P12ihipStream_tbEUlRKtE_EESV_SZ_S10_mS11_S14_bEUlT_E_NS1_11comp_targetILNS1_3genE5ELNS1_11target_archE942ELNS1_3gpuE9ELNS1_3repE0EEENS1_30default_config_static_selectorELNS0_4arch9wavefront6targetE0EEEvSY_.kd
    .uniform_work_group_size: 1
    .uses_dynamic_stack: false
    .vgpr_count:     0
    .vgpr_spill_count: 0
    .wavefront_size: 32
    .workgroup_processor_mode: 1
  - .args:
      - .offset:         0
        .size:           56
        .value_kind:     by_value
    .group_segment_fixed_size: 0
    .kernarg_segment_align: 8
    .kernarg_segment_size: 56
    .language:       OpenCL C
    .language_version:
      - 2
      - 0
    .max_flat_workgroup_size: 256
    .name:           _ZN7rocprim17ROCPRIM_400000_NS6detail17trampoline_kernelINS0_14default_configENS1_27lower_bound_config_selectorItlEEZNS1_14transform_implILb0ES3_S5_N6thrust23THRUST_200600_302600_NS6detail15normal_iteratorINS8_7pointerItNS8_11hip_rocprim5par_tENS8_11use_defaultESE_EEEENSA_INSB_IlSD_SE_SE_EEEEZNS1_13binary_searchIS3_S5_NSA_INS8_10device_ptrItEEEESG_SI_NS1_21lower_bound_search_opENS9_16wrapped_functionINS8_6system6detail7generic6detail18binary_search_lessEbEEEE10hipError_tPvRmT1_T2_T3_mmT4_T5_P12ihipStream_tbEUlRKtE_EESV_SZ_S10_mS11_S14_bEUlT_E_NS1_11comp_targetILNS1_3genE4ELNS1_11target_archE910ELNS1_3gpuE8ELNS1_3repE0EEENS1_30default_config_static_selectorELNS0_4arch9wavefront6targetE0EEEvSY_
    .private_segment_fixed_size: 0
    .sgpr_count:     0
    .sgpr_spill_count: 0
    .symbol:         _ZN7rocprim17ROCPRIM_400000_NS6detail17trampoline_kernelINS0_14default_configENS1_27lower_bound_config_selectorItlEEZNS1_14transform_implILb0ES3_S5_N6thrust23THRUST_200600_302600_NS6detail15normal_iteratorINS8_7pointerItNS8_11hip_rocprim5par_tENS8_11use_defaultESE_EEEENSA_INSB_IlSD_SE_SE_EEEEZNS1_13binary_searchIS3_S5_NSA_INS8_10device_ptrItEEEESG_SI_NS1_21lower_bound_search_opENS9_16wrapped_functionINS8_6system6detail7generic6detail18binary_search_lessEbEEEE10hipError_tPvRmT1_T2_T3_mmT4_T5_P12ihipStream_tbEUlRKtE_EESV_SZ_S10_mS11_S14_bEUlT_E_NS1_11comp_targetILNS1_3genE4ELNS1_11target_archE910ELNS1_3gpuE8ELNS1_3repE0EEENS1_30default_config_static_selectorELNS0_4arch9wavefront6targetE0EEEvSY_.kd
    .uniform_work_group_size: 1
    .uses_dynamic_stack: false
    .vgpr_count:     0
    .vgpr_spill_count: 0
    .wavefront_size: 32
    .workgroup_processor_mode: 1
  - .args:
      - .offset:         0
        .size:           56
        .value_kind:     by_value
    .group_segment_fixed_size: 0
    .kernarg_segment_align: 8
    .kernarg_segment_size: 56
    .language:       OpenCL C
    .language_version:
      - 2
      - 0
    .max_flat_workgroup_size: 256
    .name:           _ZN7rocprim17ROCPRIM_400000_NS6detail17trampoline_kernelINS0_14default_configENS1_27lower_bound_config_selectorItlEEZNS1_14transform_implILb0ES3_S5_N6thrust23THRUST_200600_302600_NS6detail15normal_iteratorINS8_7pointerItNS8_11hip_rocprim5par_tENS8_11use_defaultESE_EEEENSA_INSB_IlSD_SE_SE_EEEEZNS1_13binary_searchIS3_S5_NSA_INS8_10device_ptrItEEEESG_SI_NS1_21lower_bound_search_opENS9_16wrapped_functionINS8_6system6detail7generic6detail18binary_search_lessEbEEEE10hipError_tPvRmT1_T2_T3_mmT4_T5_P12ihipStream_tbEUlRKtE_EESV_SZ_S10_mS11_S14_bEUlT_E_NS1_11comp_targetILNS1_3genE3ELNS1_11target_archE908ELNS1_3gpuE7ELNS1_3repE0EEENS1_30default_config_static_selectorELNS0_4arch9wavefront6targetE0EEEvSY_
    .private_segment_fixed_size: 0
    .sgpr_count:     0
    .sgpr_spill_count: 0
    .symbol:         _ZN7rocprim17ROCPRIM_400000_NS6detail17trampoline_kernelINS0_14default_configENS1_27lower_bound_config_selectorItlEEZNS1_14transform_implILb0ES3_S5_N6thrust23THRUST_200600_302600_NS6detail15normal_iteratorINS8_7pointerItNS8_11hip_rocprim5par_tENS8_11use_defaultESE_EEEENSA_INSB_IlSD_SE_SE_EEEEZNS1_13binary_searchIS3_S5_NSA_INS8_10device_ptrItEEEESG_SI_NS1_21lower_bound_search_opENS9_16wrapped_functionINS8_6system6detail7generic6detail18binary_search_lessEbEEEE10hipError_tPvRmT1_T2_T3_mmT4_T5_P12ihipStream_tbEUlRKtE_EESV_SZ_S10_mS11_S14_bEUlT_E_NS1_11comp_targetILNS1_3genE3ELNS1_11target_archE908ELNS1_3gpuE7ELNS1_3repE0EEENS1_30default_config_static_selectorELNS0_4arch9wavefront6targetE0EEEvSY_.kd
    .uniform_work_group_size: 1
    .uses_dynamic_stack: false
    .vgpr_count:     0
    .vgpr_spill_count: 0
    .wavefront_size: 32
    .workgroup_processor_mode: 1
  - .args:
      - .offset:         0
        .size:           56
        .value_kind:     by_value
    .group_segment_fixed_size: 0
    .kernarg_segment_align: 8
    .kernarg_segment_size: 56
    .language:       OpenCL C
    .language_version:
      - 2
      - 0
    .max_flat_workgroup_size: 256
    .name:           _ZN7rocprim17ROCPRIM_400000_NS6detail17trampoline_kernelINS0_14default_configENS1_27lower_bound_config_selectorItlEEZNS1_14transform_implILb0ES3_S5_N6thrust23THRUST_200600_302600_NS6detail15normal_iteratorINS8_7pointerItNS8_11hip_rocprim5par_tENS8_11use_defaultESE_EEEENSA_INSB_IlSD_SE_SE_EEEEZNS1_13binary_searchIS3_S5_NSA_INS8_10device_ptrItEEEESG_SI_NS1_21lower_bound_search_opENS9_16wrapped_functionINS8_6system6detail7generic6detail18binary_search_lessEbEEEE10hipError_tPvRmT1_T2_T3_mmT4_T5_P12ihipStream_tbEUlRKtE_EESV_SZ_S10_mS11_S14_bEUlT_E_NS1_11comp_targetILNS1_3genE2ELNS1_11target_archE906ELNS1_3gpuE6ELNS1_3repE0EEENS1_30default_config_static_selectorELNS0_4arch9wavefront6targetE0EEEvSY_
    .private_segment_fixed_size: 0
    .sgpr_count:     0
    .sgpr_spill_count: 0
    .symbol:         _ZN7rocprim17ROCPRIM_400000_NS6detail17trampoline_kernelINS0_14default_configENS1_27lower_bound_config_selectorItlEEZNS1_14transform_implILb0ES3_S5_N6thrust23THRUST_200600_302600_NS6detail15normal_iteratorINS8_7pointerItNS8_11hip_rocprim5par_tENS8_11use_defaultESE_EEEENSA_INSB_IlSD_SE_SE_EEEEZNS1_13binary_searchIS3_S5_NSA_INS8_10device_ptrItEEEESG_SI_NS1_21lower_bound_search_opENS9_16wrapped_functionINS8_6system6detail7generic6detail18binary_search_lessEbEEEE10hipError_tPvRmT1_T2_T3_mmT4_T5_P12ihipStream_tbEUlRKtE_EESV_SZ_S10_mS11_S14_bEUlT_E_NS1_11comp_targetILNS1_3genE2ELNS1_11target_archE906ELNS1_3gpuE6ELNS1_3repE0EEENS1_30default_config_static_selectorELNS0_4arch9wavefront6targetE0EEEvSY_.kd
    .uniform_work_group_size: 1
    .uses_dynamic_stack: false
    .vgpr_count:     0
    .vgpr_spill_count: 0
    .wavefront_size: 32
    .workgroup_processor_mode: 1
  - .args:
      - .offset:         0
        .size:           56
        .value_kind:     by_value
    .group_segment_fixed_size: 0
    .kernarg_segment_align: 8
    .kernarg_segment_size: 56
    .language:       OpenCL C
    .language_version:
      - 2
      - 0
    .max_flat_workgroup_size: 256
    .name:           _ZN7rocprim17ROCPRIM_400000_NS6detail17trampoline_kernelINS0_14default_configENS1_27lower_bound_config_selectorItlEEZNS1_14transform_implILb0ES3_S5_N6thrust23THRUST_200600_302600_NS6detail15normal_iteratorINS8_7pointerItNS8_11hip_rocprim5par_tENS8_11use_defaultESE_EEEENSA_INSB_IlSD_SE_SE_EEEEZNS1_13binary_searchIS3_S5_NSA_INS8_10device_ptrItEEEESG_SI_NS1_21lower_bound_search_opENS9_16wrapped_functionINS8_6system6detail7generic6detail18binary_search_lessEbEEEE10hipError_tPvRmT1_T2_T3_mmT4_T5_P12ihipStream_tbEUlRKtE_EESV_SZ_S10_mS11_S14_bEUlT_E_NS1_11comp_targetILNS1_3genE10ELNS1_11target_archE1201ELNS1_3gpuE5ELNS1_3repE0EEENS1_30default_config_static_selectorELNS0_4arch9wavefront6targetE0EEEvSY_
    .private_segment_fixed_size: 0
    .sgpr_count:     0
    .sgpr_spill_count: 0
    .symbol:         _ZN7rocprim17ROCPRIM_400000_NS6detail17trampoline_kernelINS0_14default_configENS1_27lower_bound_config_selectorItlEEZNS1_14transform_implILb0ES3_S5_N6thrust23THRUST_200600_302600_NS6detail15normal_iteratorINS8_7pointerItNS8_11hip_rocprim5par_tENS8_11use_defaultESE_EEEENSA_INSB_IlSD_SE_SE_EEEEZNS1_13binary_searchIS3_S5_NSA_INS8_10device_ptrItEEEESG_SI_NS1_21lower_bound_search_opENS9_16wrapped_functionINS8_6system6detail7generic6detail18binary_search_lessEbEEEE10hipError_tPvRmT1_T2_T3_mmT4_T5_P12ihipStream_tbEUlRKtE_EESV_SZ_S10_mS11_S14_bEUlT_E_NS1_11comp_targetILNS1_3genE10ELNS1_11target_archE1201ELNS1_3gpuE5ELNS1_3repE0EEENS1_30default_config_static_selectorELNS0_4arch9wavefront6targetE0EEEvSY_.kd
    .uniform_work_group_size: 1
    .uses_dynamic_stack: false
    .vgpr_count:     0
    .vgpr_spill_count: 0
    .wavefront_size: 32
    .workgroup_processor_mode: 1
  - .args:
      - .offset:         0
        .size:           56
        .value_kind:     by_value
    .group_segment_fixed_size: 0
    .kernarg_segment_align: 8
    .kernarg_segment_size: 56
    .language:       OpenCL C
    .language_version:
      - 2
      - 0
    .max_flat_workgroup_size: 256
    .name:           _ZN7rocprim17ROCPRIM_400000_NS6detail17trampoline_kernelINS0_14default_configENS1_27lower_bound_config_selectorItlEEZNS1_14transform_implILb0ES3_S5_N6thrust23THRUST_200600_302600_NS6detail15normal_iteratorINS8_7pointerItNS8_11hip_rocprim5par_tENS8_11use_defaultESE_EEEENSA_INSB_IlSD_SE_SE_EEEEZNS1_13binary_searchIS3_S5_NSA_INS8_10device_ptrItEEEESG_SI_NS1_21lower_bound_search_opENS9_16wrapped_functionINS8_6system6detail7generic6detail18binary_search_lessEbEEEE10hipError_tPvRmT1_T2_T3_mmT4_T5_P12ihipStream_tbEUlRKtE_EESV_SZ_S10_mS11_S14_bEUlT_E_NS1_11comp_targetILNS1_3genE10ELNS1_11target_archE1200ELNS1_3gpuE4ELNS1_3repE0EEENS1_30default_config_static_selectorELNS0_4arch9wavefront6targetE0EEEvSY_
    .private_segment_fixed_size: 0
    .sgpr_count:     0
    .sgpr_spill_count: 0
    .symbol:         _ZN7rocprim17ROCPRIM_400000_NS6detail17trampoline_kernelINS0_14default_configENS1_27lower_bound_config_selectorItlEEZNS1_14transform_implILb0ES3_S5_N6thrust23THRUST_200600_302600_NS6detail15normal_iteratorINS8_7pointerItNS8_11hip_rocprim5par_tENS8_11use_defaultESE_EEEENSA_INSB_IlSD_SE_SE_EEEEZNS1_13binary_searchIS3_S5_NSA_INS8_10device_ptrItEEEESG_SI_NS1_21lower_bound_search_opENS9_16wrapped_functionINS8_6system6detail7generic6detail18binary_search_lessEbEEEE10hipError_tPvRmT1_T2_T3_mmT4_T5_P12ihipStream_tbEUlRKtE_EESV_SZ_S10_mS11_S14_bEUlT_E_NS1_11comp_targetILNS1_3genE10ELNS1_11target_archE1200ELNS1_3gpuE4ELNS1_3repE0EEENS1_30default_config_static_selectorELNS0_4arch9wavefront6targetE0EEEvSY_.kd
    .uniform_work_group_size: 1
    .uses_dynamic_stack: false
    .vgpr_count:     0
    .vgpr_spill_count: 0
    .wavefront_size: 32
    .workgroup_processor_mode: 1
  - .args:
      - .offset:         0
        .size:           56
        .value_kind:     by_value
    .group_segment_fixed_size: 0
    .kernarg_segment_align: 8
    .kernarg_segment_size: 56
    .language:       OpenCL C
    .language_version:
      - 2
      - 0
    .max_flat_workgroup_size: 64
    .name:           _ZN7rocprim17ROCPRIM_400000_NS6detail17trampoline_kernelINS0_14default_configENS1_27lower_bound_config_selectorItlEEZNS1_14transform_implILb0ES3_S5_N6thrust23THRUST_200600_302600_NS6detail15normal_iteratorINS8_7pointerItNS8_11hip_rocprim5par_tENS8_11use_defaultESE_EEEENSA_INSB_IlSD_SE_SE_EEEEZNS1_13binary_searchIS3_S5_NSA_INS8_10device_ptrItEEEESG_SI_NS1_21lower_bound_search_opENS9_16wrapped_functionINS8_6system6detail7generic6detail18binary_search_lessEbEEEE10hipError_tPvRmT1_T2_T3_mmT4_T5_P12ihipStream_tbEUlRKtE_EESV_SZ_S10_mS11_S14_bEUlT_E_NS1_11comp_targetILNS1_3genE9ELNS1_11target_archE1100ELNS1_3gpuE3ELNS1_3repE0EEENS1_30default_config_static_selectorELNS0_4arch9wavefront6targetE0EEEvSY_
    .private_segment_fixed_size: 0
    .sgpr_count:     0
    .sgpr_spill_count: 0
    .symbol:         _ZN7rocprim17ROCPRIM_400000_NS6detail17trampoline_kernelINS0_14default_configENS1_27lower_bound_config_selectorItlEEZNS1_14transform_implILb0ES3_S5_N6thrust23THRUST_200600_302600_NS6detail15normal_iteratorINS8_7pointerItNS8_11hip_rocprim5par_tENS8_11use_defaultESE_EEEENSA_INSB_IlSD_SE_SE_EEEEZNS1_13binary_searchIS3_S5_NSA_INS8_10device_ptrItEEEESG_SI_NS1_21lower_bound_search_opENS9_16wrapped_functionINS8_6system6detail7generic6detail18binary_search_lessEbEEEE10hipError_tPvRmT1_T2_T3_mmT4_T5_P12ihipStream_tbEUlRKtE_EESV_SZ_S10_mS11_S14_bEUlT_E_NS1_11comp_targetILNS1_3genE9ELNS1_11target_archE1100ELNS1_3gpuE3ELNS1_3repE0EEENS1_30default_config_static_selectorELNS0_4arch9wavefront6targetE0EEEvSY_.kd
    .uniform_work_group_size: 1
    .uses_dynamic_stack: false
    .vgpr_count:     0
    .vgpr_spill_count: 0
    .wavefront_size: 32
    .workgroup_processor_mode: 1
  - .args:
      - .offset:         0
        .size:           56
        .value_kind:     by_value
      - .offset:         56
        .size:           4
        .value_kind:     hidden_block_count_x
      - .offset:         60
        .size:           4
        .value_kind:     hidden_block_count_y
      - .offset:         64
        .size:           4
        .value_kind:     hidden_block_count_z
      - .offset:         68
        .size:           2
        .value_kind:     hidden_group_size_x
      - .offset:         70
        .size:           2
        .value_kind:     hidden_group_size_y
      - .offset:         72
        .size:           2
        .value_kind:     hidden_group_size_z
      - .offset:         74
        .size:           2
        .value_kind:     hidden_remainder_x
      - .offset:         76
        .size:           2
        .value_kind:     hidden_remainder_y
      - .offset:         78
        .size:           2
        .value_kind:     hidden_remainder_z
      - .offset:         96
        .size:           8
        .value_kind:     hidden_global_offset_x
      - .offset:         104
        .size:           8
        .value_kind:     hidden_global_offset_y
      - .offset:         112
        .size:           8
        .value_kind:     hidden_global_offset_z
      - .offset:         120
        .size:           2
        .value_kind:     hidden_grid_dims
    .group_segment_fixed_size: 0
    .kernarg_segment_align: 8
    .kernarg_segment_size: 312
    .language:       OpenCL C
    .language_version:
      - 2
      - 0
    .max_flat_workgroup_size: 128
    .name:           _ZN7rocprim17ROCPRIM_400000_NS6detail17trampoline_kernelINS0_14default_configENS1_27lower_bound_config_selectorItlEEZNS1_14transform_implILb0ES3_S5_N6thrust23THRUST_200600_302600_NS6detail15normal_iteratorINS8_7pointerItNS8_11hip_rocprim5par_tENS8_11use_defaultESE_EEEENSA_INSB_IlSD_SE_SE_EEEEZNS1_13binary_searchIS3_S5_NSA_INS8_10device_ptrItEEEESG_SI_NS1_21lower_bound_search_opENS9_16wrapped_functionINS8_6system6detail7generic6detail18binary_search_lessEbEEEE10hipError_tPvRmT1_T2_T3_mmT4_T5_P12ihipStream_tbEUlRKtE_EESV_SZ_S10_mS11_S14_bEUlT_E_NS1_11comp_targetILNS1_3genE8ELNS1_11target_archE1030ELNS1_3gpuE2ELNS1_3repE0EEENS1_30default_config_static_selectorELNS0_4arch9wavefront6targetE0EEEvSY_
    .private_segment_fixed_size: 0
    .sgpr_count:     22
    .sgpr_spill_count: 0
    .symbol:         _ZN7rocprim17ROCPRIM_400000_NS6detail17trampoline_kernelINS0_14default_configENS1_27lower_bound_config_selectorItlEEZNS1_14transform_implILb0ES3_S5_N6thrust23THRUST_200600_302600_NS6detail15normal_iteratorINS8_7pointerItNS8_11hip_rocprim5par_tENS8_11use_defaultESE_EEEENSA_INSB_IlSD_SE_SE_EEEEZNS1_13binary_searchIS3_S5_NSA_INS8_10device_ptrItEEEESG_SI_NS1_21lower_bound_search_opENS9_16wrapped_functionINS8_6system6detail7generic6detail18binary_search_lessEbEEEE10hipError_tPvRmT1_T2_T3_mmT4_T5_P12ihipStream_tbEUlRKtE_EESV_SZ_S10_mS11_S14_bEUlT_E_NS1_11comp_targetILNS1_3genE8ELNS1_11target_archE1030ELNS1_3gpuE2ELNS1_3repE0EEENS1_30default_config_static_selectorELNS0_4arch9wavefront6targetE0EEEvSY_.kd
    .uniform_work_group_size: 1
    .uses_dynamic_stack: false
    .vgpr_count:     17
    .vgpr_spill_count: 0
    .wavefront_size: 32
    .workgroup_processor_mode: 1
  - .args:
      - .offset:         0
        .size:           56
        .value_kind:     by_value
    .group_segment_fixed_size: 0
    .kernarg_segment_align: 8
    .kernarg_segment_size: 56
    .language:       OpenCL C
    .language_version:
      - 2
      - 0
    .max_flat_workgroup_size: 128
    .name:           _ZN7rocprim17ROCPRIM_400000_NS6detail17trampoline_kernelINS0_14default_configENS1_27lower_bound_config_selectorIxlEEZNS1_14transform_implILb0ES3_S5_N6thrust23THRUST_200600_302600_NS6detail15normal_iteratorINS8_7pointerIxNS8_11hip_rocprim5par_tENS8_11use_defaultESE_EEEENSA_INSB_IlSD_SE_SE_EEEEZNS1_13binary_searchIS3_S5_NSA_INS8_10device_ptrIxEEEESG_SI_NS1_21lower_bound_search_opENS9_16wrapped_functionINS8_6system6detail7generic6detail18binary_search_lessEbEEEE10hipError_tPvRmT1_T2_T3_mmT4_T5_P12ihipStream_tbEUlRKxE_EESV_SZ_S10_mS11_S14_bEUlT_E_NS1_11comp_targetILNS1_3genE0ELNS1_11target_archE4294967295ELNS1_3gpuE0ELNS1_3repE0EEENS1_30default_config_static_selectorELNS0_4arch9wavefront6targetE0EEEvSY_
    .private_segment_fixed_size: 0
    .sgpr_count:     0
    .sgpr_spill_count: 0
    .symbol:         _ZN7rocprim17ROCPRIM_400000_NS6detail17trampoline_kernelINS0_14default_configENS1_27lower_bound_config_selectorIxlEEZNS1_14transform_implILb0ES3_S5_N6thrust23THRUST_200600_302600_NS6detail15normal_iteratorINS8_7pointerIxNS8_11hip_rocprim5par_tENS8_11use_defaultESE_EEEENSA_INSB_IlSD_SE_SE_EEEEZNS1_13binary_searchIS3_S5_NSA_INS8_10device_ptrIxEEEESG_SI_NS1_21lower_bound_search_opENS9_16wrapped_functionINS8_6system6detail7generic6detail18binary_search_lessEbEEEE10hipError_tPvRmT1_T2_T3_mmT4_T5_P12ihipStream_tbEUlRKxE_EESV_SZ_S10_mS11_S14_bEUlT_E_NS1_11comp_targetILNS1_3genE0ELNS1_11target_archE4294967295ELNS1_3gpuE0ELNS1_3repE0EEENS1_30default_config_static_selectorELNS0_4arch9wavefront6targetE0EEEvSY_.kd
    .uniform_work_group_size: 1
    .uses_dynamic_stack: false
    .vgpr_count:     0
    .vgpr_spill_count: 0
    .wavefront_size: 32
    .workgroup_processor_mode: 1
  - .args:
      - .offset:         0
        .size:           56
        .value_kind:     by_value
    .group_segment_fixed_size: 0
    .kernarg_segment_align: 8
    .kernarg_segment_size: 56
    .language:       OpenCL C
    .language_version:
      - 2
      - 0
    .max_flat_workgroup_size: 64
    .name:           _ZN7rocprim17ROCPRIM_400000_NS6detail17trampoline_kernelINS0_14default_configENS1_27lower_bound_config_selectorIxlEEZNS1_14transform_implILb0ES3_S5_N6thrust23THRUST_200600_302600_NS6detail15normal_iteratorINS8_7pointerIxNS8_11hip_rocprim5par_tENS8_11use_defaultESE_EEEENSA_INSB_IlSD_SE_SE_EEEEZNS1_13binary_searchIS3_S5_NSA_INS8_10device_ptrIxEEEESG_SI_NS1_21lower_bound_search_opENS9_16wrapped_functionINS8_6system6detail7generic6detail18binary_search_lessEbEEEE10hipError_tPvRmT1_T2_T3_mmT4_T5_P12ihipStream_tbEUlRKxE_EESV_SZ_S10_mS11_S14_bEUlT_E_NS1_11comp_targetILNS1_3genE5ELNS1_11target_archE942ELNS1_3gpuE9ELNS1_3repE0EEENS1_30default_config_static_selectorELNS0_4arch9wavefront6targetE0EEEvSY_
    .private_segment_fixed_size: 0
    .sgpr_count:     0
    .sgpr_spill_count: 0
    .symbol:         _ZN7rocprim17ROCPRIM_400000_NS6detail17trampoline_kernelINS0_14default_configENS1_27lower_bound_config_selectorIxlEEZNS1_14transform_implILb0ES3_S5_N6thrust23THRUST_200600_302600_NS6detail15normal_iteratorINS8_7pointerIxNS8_11hip_rocprim5par_tENS8_11use_defaultESE_EEEENSA_INSB_IlSD_SE_SE_EEEEZNS1_13binary_searchIS3_S5_NSA_INS8_10device_ptrIxEEEESG_SI_NS1_21lower_bound_search_opENS9_16wrapped_functionINS8_6system6detail7generic6detail18binary_search_lessEbEEEE10hipError_tPvRmT1_T2_T3_mmT4_T5_P12ihipStream_tbEUlRKxE_EESV_SZ_S10_mS11_S14_bEUlT_E_NS1_11comp_targetILNS1_3genE5ELNS1_11target_archE942ELNS1_3gpuE9ELNS1_3repE0EEENS1_30default_config_static_selectorELNS0_4arch9wavefront6targetE0EEEvSY_.kd
    .uniform_work_group_size: 1
    .uses_dynamic_stack: false
    .vgpr_count:     0
    .vgpr_spill_count: 0
    .wavefront_size: 32
    .workgroup_processor_mode: 1
  - .args:
      - .offset:         0
        .size:           56
        .value_kind:     by_value
    .group_segment_fixed_size: 0
    .kernarg_segment_align: 8
    .kernarg_segment_size: 56
    .language:       OpenCL C
    .language_version:
      - 2
      - 0
    .max_flat_workgroup_size: 64
    .name:           _ZN7rocprim17ROCPRIM_400000_NS6detail17trampoline_kernelINS0_14default_configENS1_27lower_bound_config_selectorIxlEEZNS1_14transform_implILb0ES3_S5_N6thrust23THRUST_200600_302600_NS6detail15normal_iteratorINS8_7pointerIxNS8_11hip_rocprim5par_tENS8_11use_defaultESE_EEEENSA_INSB_IlSD_SE_SE_EEEEZNS1_13binary_searchIS3_S5_NSA_INS8_10device_ptrIxEEEESG_SI_NS1_21lower_bound_search_opENS9_16wrapped_functionINS8_6system6detail7generic6detail18binary_search_lessEbEEEE10hipError_tPvRmT1_T2_T3_mmT4_T5_P12ihipStream_tbEUlRKxE_EESV_SZ_S10_mS11_S14_bEUlT_E_NS1_11comp_targetILNS1_3genE4ELNS1_11target_archE910ELNS1_3gpuE8ELNS1_3repE0EEENS1_30default_config_static_selectorELNS0_4arch9wavefront6targetE0EEEvSY_
    .private_segment_fixed_size: 0
    .sgpr_count:     0
    .sgpr_spill_count: 0
    .symbol:         _ZN7rocprim17ROCPRIM_400000_NS6detail17trampoline_kernelINS0_14default_configENS1_27lower_bound_config_selectorIxlEEZNS1_14transform_implILb0ES3_S5_N6thrust23THRUST_200600_302600_NS6detail15normal_iteratorINS8_7pointerIxNS8_11hip_rocprim5par_tENS8_11use_defaultESE_EEEENSA_INSB_IlSD_SE_SE_EEEEZNS1_13binary_searchIS3_S5_NSA_INS8_10device_ptrIxEEEESG_SI_NS1_21lower_bound_search_opENS9_16wrapped_functionINS8_6system6detail7generic6detail18binary_search_lessEbEEEE10hipError_tPvRmT1_T2_T3_mmT4_T5_P12ihipStream_tbEUlRKxE_EESV_SZ_S10_mS11_S14_bEUlT_E_NS1_11comp_targetILNS1_3genE4ELNS1_11target_archE910ELNS1_3gpuE8ELNS1_3repE0EEENS1_30default_config_static_selectorELNS0_4arch9wavefront6targetE0EEEvSY_.kd
    .uniform_work_group_size: 1
    .uses_dynamic_stack: false
    .vgpr_count:     0
    .vgpr_spill_count: 0
    .wavefront_size: 32
    .workgroup_processor_mode: 1
  - .args:
      - .offset:         0
        .size:           56
        .value_kind:     by_value
    .group_segment_fixed_size: 0
    .kernarg_segment_align: 8
    .kernarg_segment_size: 56
    .language:       OpenCL C
    .language_version:
      - 2
      - 0
    .max_flat_workgroup_size: 128
    .name:           _ZN7rocprim17ROCPRIM_400000_NS6detail17trampoline_kernelINS0_14default_configENS1_27lower_bound_config_selectorIxlEEZNS1_14transform_implILb0ES3_S5_N6thrust23THRUST_200600_302600_NS6detail15normal_iteratorINS8_7pointerIxNS8_11hip_rocprim5par_tENS8_11use_defaultESE_EEEENSA_INSB_IlSD_SE_SE_EEEEZNS1_13binary_searchIS3_S5_NSA_INS8_10device_ptrIxEEEESG_SI_NS1_21lower_bound_search_opENS9_16wrapped_functionINS8_6system6detail7generic6detail18binary_search_lessEbEEEE10hipError_tPvRmT1_T2_T3_mmT4_T5_P12ihipStream_tbEUlRKxE_EESV_SZ_S10_mS11_S14_bEUlT_E_NS1_11comp_targetILNS1_3genE3ELNS1_11target_archE908ELNS1_3gpuE7ELNS1_3repE0EEENS1_30default_config_static_selectorELNS0_4arch9wavefront6targetE0EEEvSY_
    .private_segment_fixed_size: 0
    .sgpr_count:     0
    .sgpr_spill_count: 0
    .symbol:         _ZN7rocprim17ROCPRIM_400000_NS6detail17trampoline_kernelINS0_14default_configENS1_27lower_bound_config_selectorIxlEEZNS1_14transform_implILb0ES3_S5_N6thrust23THRUST_200600_302600_NS6detail15normal_iteratorINS8_7pointerIxNS8_11hip_rocprim5par_tENS8_11use_defaultESE_EEEENSA_INSB_IlSD_SE_SE_EEEEZNS1_13binary_searchIS3_S5_NSA_INS8_10device_ptrIxEEEESG_SI_NS1_21lower_bound_search_opENS9_16wrapped_functionINS8_6system6detail7generic6detail18binary_search_lessEbEEEE10hipError_tPvRmT1_T2_T3_mmT4_T5_P12ihipStream_tbEUlRKxE_EESV_SZ_S10_mS11_S14_bEUlT_E_NS1_11comp_targetILNS1_3genE3ELNS1_11target_archE908ELNS1_3gpuE7ELNS1_3repE0EEENS1_30default_config_static_selectorELNS0_4arch9wavefront6targetE0EEEvSY_.kd
    .uniform_work_group_size: 1
    .uses_dynamic_stack: false
    .vgpr_count:     0
    .vgpr_spill_count: 0
    .wavefront_size: 32
    .workgroup_processor_mode: 1
  - .args:
      - .offset:         0
        .size:           56
        .value_kind:     by_value
    .group_segment_fixed_size: 0
    .kernarg_segment_align: 8
    .kernarg_segment_size: 56
    .language:       OpenCL C
    .language_version:
      - 2
      - 0
    .max_flat_workgroup_size: 256
    .name:           _ZN7rocprim17ROCPRIM_400000_NS6detail17trampoline_kernelINS0_14default_configENS1_27lower_bound_config_selectorIxlEEZNS1_14transform_implILb0ES3_S5_N6thrust23THRUST_200600_302600_NS6detail15normal_iteratorINS8_7pointerIxNS8_11hip_rocprim5par_tENS8_11use_defaultESE_EEEENSA_INSB_IlSD_SE_SE_EEEEZNS1_13binary_searchIS3_S5_NSA_INS8_10device_ptrIxEEEESG_SI_NS1_21lower_bound_search_opENS9_16wrapped_functionINS8_6system6detail7generic6detail18binary_search_lessEbEEEE10hipError_tPvRmT1_T2_T3_mmT4_T5_P12ihipStream_tbEUlRKxE_EESV_SZ_S10_mS11_S14_bEUlT_E_NS1_11comp_targetILNS1_3genE2ELNS1_11target_archE906ELNS1_3gpuE6ELNS1_3repE0EEENS1_30default_config_static_selectorELNS0_4arch9wavefront6targetE0EEEvSY_
    .private_segment_fixed_size: 0
    .sgpr_count:     0
    .sgpr_spill_count: 0
    .symbol:         _ZN7rocprim17ROCPRIM_400000_NS6detail17trampoline_kernelINS0_14default_configENS1_27lower_bound_config_selectorIxlEEZNS1_14transform_implILb0ES3_S5_N6thrust23THRUST_200600_302600_NS6detail15normal_iteratorINS8_7pointerIxNS8_11hip_rocprim5par_tENS8_11use_defaultESE_EEEENSA_INSB_IlSD_SE_SE_EEEEZNS1_13binary_searchIS3_S5_NSA_INS8_10device_ptrIxEEEESG_SI_NS1_21lower_bound_search_opENS9_16wrapped_functionINS8_6system6detail7generic6detail18binary_search_lessEbEEEE10hipError_tPvRmT1_T2_T3_mmT4_T5_P12ihipStream_tbEUlRKxE_EESV_SZ_S10_mS11_S14_bEUlT_E_NS1_11comp_targetILNS1_3genE2ELNS1_11target_archE906ELNS1_3gpuE6ELNS1_3repE0EEENS1_30default_config_static_selectorELNS0_4arch9wavefront6targetE0EEEvSY_.kd
    .uniform_work_group_size: 1
    .uses_dynamic_stack: false
    .vgpr_count:     0
    .vgpr_spill_count: 0
    .wavefront_size: 32
    .workgroup_processor_mode: 1
  - .args:
      - .offset:         0
        .size:           56
        .value_kind:     by_value
    .group_segment_fixed_size: 0
    .kernarg_segment_align: 8
    .kernarg_segment_size: 56
    .language:       OpenCL C
    .language_version:
      - 2
      - 0
    .max_flat_workgroup_size: 128
    .name:           _ZN7rocprim17ROCPRIM_400000_NS6detail17trampoline_kernelINS0_14default_configENS1_27lower_bound_config_selectorIxlEEZNS1_14transform_implILb0ES3_S5_N6thrust23THRUST_200600_302600_NS6detail15normal_iteratorINS8_7pointerIxNS8_11hip_rocprim5par_tENS8_11use_defaultESE_EEEENSA_INSB_IlSD_SE_SE_EEEEZNS1_13binary_searchIS3_S5_NSA_INS8_10device_ptrIxEEEESG_SI_NS1_21lower_bound_search_opENS9_16wrapped_functionINS8_6system6detail7generic6detail18binary_search_lessEbEEEE10hipError_tPvRmT1_T2_T3_mmT4_T5_P12ihipStream_tbEUlRKxE_EESV_SZ_S10_mS11_S14_bEUlT_E_NS1_11comp_targetILNS1_3genE10ELNS1_11target_archE1201ELNS1_3gpuE5ELNS1_3repE0EEENS1_30default_config_static_selectorELNS0_4arch9wavefront6targetE0EEEvSY_
    .private_segment_fixed_size: 0
    .sgpr_count:     0
    .sgpr_spill_count: 0
    .symbol:         _ZN7rocprim17ROCPRIM_400000_NS6detail17trampoline_kernelINS0_14default_configENS1_27lower_bound_config_selectorIxlEEZNS1_14transform_implILb0ES3_S5_N6thrust23THRUST_200600_302600_NS6detail15normal_iteratorINS8_7pointerIxNS8_11hip_rocprim5par_tENS8_11use_defaultESE_EEEENSA_INSB_IlSD_SE_SE_EEEEZNS1_13binary_searchIS3_S5_NSA_INS8_10device_ptrIxEEEESG_SI_NS1_21lower_bound_search_opENS9_16wrapped_functionINS8_6system6detail7generic6detail18binary_search_lessEbEEEE10hipError_tPvRmT1_T2_T3_mmT4_T5_P12ihipStream_tbEUlRKxE_EESV_SZ_S10_mS11_S14_bEUlT_E_NS1_11comp_targetILNS1_3genE10ELNS1_11target_archE1201ELNS1_3gpuE5ELNS1_3repE0EEENS1_30default_config_static_selectorELNS0_4arch9wavefront6targetE0EEEvSY_.kd
    .uniform_work_group_size: 1
    .uses_dynamic_stack: false
    .vgpr_count:     0
    .vgpr_spill_count: 0
    .wavefront_size: 32
    .workgroup_processor_mode: 1
  - .args:
      - .offset:         0
        .size:           56
        .value_kind:     by_value
    .group_segment_fixed_size: 0
    .kernarg_segment_align: 8
    .kernarg_segment_size: 56
    .language:       OpenCL C
    .language_version:
      - 2
      - 0
    .max_flat_workgroup_size: 128
    .name:           _ZN7rocprim17ROCPRIM_400000_NS6detail17trampoline_kernelINS0_14default_configENS1_27lower_bound_config_selectorIxlEEZNS1_14transform_implILb0ES3_S5_N6thrust23THRUST_200600_302600_NS6detail15normal_iteratorINS8_7pointerIxNS8_11hip_rocprim5par_tENS8_11use_defaultESE_EEEENSA_INSB_IlSD_SE_SE_EEEEZNS1_13binary_searchIS3_S5_NSA_INS8_10device_ptrIxEEEESG_SI_NS1_21lower_bound_search_opENS9_16wrapped_functionINS8_6system6detail7generic6detail18binary_search_lessEbEEEE10hipError_tPvRmT1_T2_T3_mmT4_T5_P12ihipStream_tbEUlRKxE_EESV_SZ_S10_mS11_S14_bEUlT_E_NS1_11comp_targetILNS1_3genE10ELNS1_11target_archE1200ELNS1_3gpuE4ELNS1_3repE0EEENS1_30default_config_static_selectorELNS0_4arch9wavefront6targetE0EEEvSY_
    .private_segment_fixed_size: 0
    .sgpr_count:     0
    .sgpr_spill_count: 0
    .symbol:         _ZN7rocprim17ROCPRIM_400000_NS6detail17trampoline_kernelINS0_14default_configENS1_27lower_bound_config_selectorIxlEEZNS1_14transform_implILb0ES3_S5_N6thrust23THRUST_200600_302600_NS6detail15normal_iteratorINS8_7pointerIxNS8_11hip_rocprim5par_tENS8_11use_defaultESE_EEEENSA_INSB_IlSD_SE_SE_EEEEZNS1_13binary_searchIS3_S5_NSA_INS8_10device_ptrIxEEEESG_SI_NS1_21lower_bound_search_opENS9_16wrapped_functionINS8_6system6detail7generic6detail18binary_search_lessEbEEEE10hipError_tPvRmT1_T2_T3_mmT4_T5_P12ihipStream_tbEUlRKxE_EESV_SZ_S10_mS11_S14_bEUlT_E_NS1_11comp_targetILNS1_3genE10ELNS1_11target_archE1200ELNS1_3gpuE4ELNS1_3repE0EEENS1_30default_config_static_selectorELNS0_4arch9wavefront6targetE0EEEvSY_.kd
    .uniform_work_group_size: 1
    .uses_dynamic_stack: false
    .vgpr_count:     0
    .vgpr_spill_count: 0
    .wavefront_size: 32
    .workgroup_processor_mode: 1
  - .args:
      - .offset:         0
        .size:           56
        .value_kind:     by_value
    .group_segment_fixed_size: 0
    .kernarg_segment_align: 8
    .kernarg_segment_size: 56
    .language:       OpenCL C
    .language_version:
      - 2
      - 0
    .max_flat_workgroup_size: 256
    .name:           _ZN7rocprim17ROCPRIM_400000_NS6detail17trampoline_kernelINS0_14default_configENS1_27lower_bound_config_selectorIxlEEZNS1_14transform_implILb0ES3_S5_N6thrust23THRUST_200600_302600_NS6detail15normal_iteratorINS8_7pointerIxNS8_11hip_rocprim5par_tENS8_11use_defaultESE_EEEENSA_INSB_IlSD_SE_SE_EEEEZNS1_13binary_searchIS3_S5_NSA_INS8_10device_ptrIxEEEESG_SI_NS1_21lower_bound_search_opENS9_16wrapped_functionINS8_6system6detail7generic6detail18binary_search_lessEbEEEE10hipError_tPvRmT1_T2_T3_mmT4_T5_P12ihipStream_tbEUlRKxE_EESV_SZ_S10_mS11_S14_bEUlT_E_NS1_11comp_targetILNS1_3genE9ELNS1_11target_archE1100ELNS1_3gpuE3ELNS1_3repE0EEENS1_30default_config_static_selectorELNS0_4arch9wavefront6targetE0EEEvSY_
    .private_segment_fixed_size: 0
    .sgpr_count:     0
    .sgpr_spill_count: 0
    .symbol:         _ZN7rocprim17ROCPRIM_400000_NS6detail17trampoline_kernelINS0_14default_configENS1_27lower_bound_config_selectorIxlEEZNS1_14transform_implILb0ES3_S5_N6thrust23THRUST_200600_302600_NS6detail15normal_iteratorINS8_7pointerIxNS8_11hip_rocprim5par_tENS8_11use_defaultESE_EEEENSA_INSB_IlSD_SE_SE_EEEEZNS1_13binary_searchIS3_S5_NSA_INS8_10device_ptrIxEEEESG_SI_NS1_21lower_bound_search_opENS9_16wrapped_functionINS8_6system6detail7generic6detail18binary_search_lessEbEEEE10hipError_tPvRmT1_T2_T3_mmT4_T5_P12ihipStream_tbEUlRKxE_EESV_SZ_S10_mS11_S14_bEUlT_E_NS1_11comp_targetILNS1_3genE9ELNS1_11target_archE1100ELNS1_3gpuE3ELNS1_3repE0EEENS1_30default_config_static_selectorELNS0_4arch9wavefront6targetE0EEEvSY_.kd
    .uniform_work_group_size: 1
    .uses_dynamic_stack: false
    .vgpr_count:     0
    .vgpr_spill_count: 0
    .wavefront_size: 32
    .workgroup_processor_mode: 1
  - .args:
      - .offset:         0
        .size:           56
        .value_kind:     by_value
      - .offset:         56
        .size:           4
        .value_kind:     hidden_block_count_x
      - .offset:         60
        .size:           4
        .value_kind:     hidden_block_count_y
      - .offset:         64
        .size:           4
        .value_kind:     hidden_block_count_z
      - .offset:         68
        .size:           2
        .value_kind:     hidden_group_size_x
      - .offset:         70
        .size:           2
        .value_kind:     hidden_group_size_y
      - .offset:         72
        .size:           2
        .value_kind:     hidden_group_size_z
      - .offset:         74
        .size:           2
        .value_kind:     hidden_remainder_x
      - .offset:         76
        .size:           2
        .value_kind:     hidden_remainder_y
      - .offset:         78
        .size:           2
        .value_kind:     hidden_remainder_z
      - .offset:         96
        .size:           8
        .value_kind:     hidden_global_offset_x
      - .offset:         104
        .size:           8
        .value_kind:     hidden_global_offset_y
      - .offset:         112
        .size:           8
        .value_kind:     hidden_global_offset_z
      - .offset:         120
        .size:           2
        .value_kind:     hidden_grid_dims
    .group_segment_fixed_size: 0
    .kernarg_segment_align: 8
    .kernarg_segment_size: 312
    .language:       OpenCL C
    .language_version:
      - 2
      - 0
    .max_flat_workgroup_size: 256
    .name:           _ZN7rocprim17ROCPRIM_400000_NS6detail17trampoline_kernelINS0_14default_configENS1_27lower_bound_config_selectorIxlEEZNS1_14transform_implILb0ES3_S5_N6thrust23THRUST_200600_302600_NS6detail15normal_iteratorINS8_7pointerIxNS8_11hip_rocprim5par_tENS8_11use_defaultESE_EEEENSA_INSB_IlSD_SE_SE_EEEEZNS1_13binary_searchIS3_S5_NSA_INS8_10device_ptrIxEEEESG_SI_NS1_21lower_bound_search_opENS9_16wrapped_functionINS8_6system6detail7generic6detail18binary_search_lessEbEEEE10hipError_tPvRmT1_T2_T3_mmT4_T5_P12ihipStream_tbEUlRKxE_EESV_SZ_S10_mS11_S14_bEUlT_E_NS1_11comp_targetILNS1_3genE8ELNS1_11target_archE1030ELNS1_3gpuE2ELNS1_3repE0EEENS1_30default_config_static_selectorELNS0_4arch9wavefront6targetE0EEEvSY_
    .private_segment_fixed_size: 0
    .sgpr_count:     22
    .sgpr_spill_count: 0
    .symbol:         _ZN7rocprim17ROCPRIM_400000_NS6detail17trampoline_kernelINS0_14default_configENS1_27lower_bound_config_selectorIxlEEZNS1_14transform_implILb0ES3_S5_N6thrust23THRUST_200600_302600_NS6detail15normal_iteratorINS8_7pointerIxNS8_11hip_rocprim5par_tENS8_11use_defaultESE_EEEENSA_INSB_IlSD_SE_SE_EEEEZNS1_13binary_searchIS3_S5_NSA_INS8_10device_ptrIxEEEESG_SI_NS1_21lower_bound_search_opENS9_16wrapped_functionINS8_6system6detail7generic6detail18binary_search_lessEbEEEE10hipError_tPvRmT1_T2_T3_mmT4_T5_P12ihipStream_tbEUlRKxE_EESV_SZ_S10_mS11_S14_bEUlT_E_NS1_11comp_targetILNS1_3genE8ELNS1_11target_archE1030ELNS1_3gpuE2ELNS1_3repE0EEENS1_30default_config_static_selectorELNS0_4arch9wavefront6targetE0EEEvSY_.kd
    .uniform_work_group_size: 1
    .uses_dynamic_stack: false
    .vgpr_count:     12
    .vgpr_spill_count: 0
    .wavefront_size: 32
    .workgroup_processor_mode: 1
  - .args:
      - .offset:         0
        .size:           56
        .value_kind:     by_value
    .group_segment_fixed_size: 0
    .kernarg_segment_align: 8
    .kernarg_segment_size: 56
    .language:       OpenCL C
    .language_version:
      - 2
      - 0
    .max_flat_workgroup_size: 256
    .name:           _ZN7rocprim17ROCPRIM_400000_NS6detail17trampoline_kernelINS0_14default_configENS1_27lower_bound_config_selectorIilEEZNS1_14transform_implILb0ES3_S5_N6thrust23THRUST_200600_302600_NS6detail15normal_iteratorINS8_7pointerIiNS8_11hip_rocprim12par_nosync_tENS8_11use_defaultESE_EEEENSA_INSB_IlSD_SE_SE_EEEEZNS1_13binary_searchIS3_S5_NSA_INS8_10device_ptrIiEEEESG_SI_NS1_21lower_bound_search_opENS9_16wrapped_functionINS8_6system6detail7generic6detail18binary_search_lessEbEEEE10hipError_tPvRmT1_T2_T3_mmT4_T5_P12ihipStream_tbEUlRKiE_EESV_SZ_S10_mS11_S14_bEUlT_E_NS1_11comp_targetILNS1_3genE0ELNS1_11target_archE4294967295ELNS1_3gpuE0ELNS1_3repE0EEENS1_30default_config_static_selectorELNS0_4arch9wavefront6targetE0EEEvSY_
    .private_segment_fixed_size: 0
    .sgpr_count:     0
    .sgpr_spill_count: 0
    .symbol:         _ZN7rocprim17ROCPRIM_400000_NS6detail17trampoline_kernelINS0_14default_configENS1_27lower_bound_config_selectorIilEEZNS1_14transform_implILb0ES3_S5_N6thrust23THRUST_200600_302600_NS6detail15normal_iteratorINS8_7pointerIiNS8_11hip_rocprim12par_nosync_tENS8_11use_defaultESE_EEEENSA_INSB_IlSD_SE_SE_EEEEZNS1_13binary_searchIS3_S5_NSA_INS8_10device_ptrIiEEEESG_SI_NS1_21lower_bound_search_opENS9_16wrapped_functionINS8_6system6detail7generic6detail18binary_search_lessEbEEEE10hipError_tPvRmT1_T2_T3_mmT4_T5_P12ihipStream_tbEUlRKiE_EESV_SZ_S10_mS11_S14_bEUlT_E_NS1_11comp_targetILNS1_3genE0ELNS1_11target_archE4294967295ELNS1_3gpuE0ELNS1_3repE0EEENS1_30default_config_static_selectorELNS0_4arch9wavefront6targetE0EEEvSY_.kd
    .uniform_work_group_size: 1
    .uses_dynamic_stack: false
    .vgpr_count:     0
    .vgpr_spill_count: 0
    .wavefront_size: 32
    .workgroup_processor_mode: 1
  - .args:
      - .offset:         0
        .size:           56
        .value_kind:     by_value
    .group_segment_fixed_size: 0
    .kernarg_segment_align: 8
    .kernarg_segment_size: 56
    .language:       OpenCL C
    .language_version:
      - 2
      - 0
    .max_flat_workgroup_size: 256
    .name:           _ZN7rocprim17ROCPRIM_400000_NS6detail17trampoline_kernelINS0_14default_configENS1_27lower_bound_config_selectorIilEEZNS1_14transform_implILb0ES3_S5_N6thrust23THRUST_200600_302600_NS6detail15normal_iteratorINS8_7pointerIiNS8_11hip_rocprim12par_nosync_tENS8_11use_defaultESE_EEEENSA_INSB_IlSD_SE_SE_EEEEZNS1_13binary_searchIS3_S5_NSA_INS8_10device_ptrIiEEEESG_SI_NS1_21lower_bound_search_opENS9_16wrapped_functionINS8_6system6detail7generic6detail18binary_search_lessEbEEEE10hipError_tPvRmT1_T2_T3_mmT4_T5_P12ihipStream_tbEUlRKiE_EESV_SZ_S10_mS11_S14_bEUlT_E_NS1_11comp_targetILNS1_3genE5ELNS1_11target_archE942ELNS1_3gpuE9ELNS1_3repE0EEENS1_30default_config_static_selectorELNS0_4arch9wavefront6targetE0EEEvSY_
    .private_segment_fixed_size: 0
    .sgpr_count:     0
    .sgpr_spill_count: 0
    .symbol:         _ZN7rocprim17ROCPRIM_400000_NS6detail17trampoline_kernelINS0_14default_configENS1_27lower_bound_config_selectorIilEEZNS1_14transform_implILb0ES3_S5_N6thrust23THRUST_200600_302600_NS6detail15normal_iteratorINS8_7pointerIiNS8_11hip_rocprim12par_nosync_tENS8_11use_defaultESE_EEEENSA_INSB_IlSD_SE_SE_EEEEZNS1_13binary_searchIS3_S5_NSA_INS8_10device_ptrIiEEEESG_SI_NS1_21lower_bound_search_opENS9_16wrapped_functionINS8_6system6detail7generic6detail18binary_search_lessEbEEEE10hipError_tPvRmT1_T2_T3_mmT4_T5_P12ihipStream_tbEUlRKiE_EESV_SZ_S10_mS11_S14_bEUlT_E_NS1_11comp_targetILNS1_3genE5ELNS1_11target_archE942ELNS1_3gpuE9ELNS1_3repE0EEENS1_30default_config_static_selectorELNS0_4arch9wavefront6targetE0EEEvSY_.kd
    .uniform_work_group_size: 1
    .uses_dynamic_stack: false
    .vgpr_count:     0
    .vgpr_spill_count: 0
    .wavefront_size: 32
    .workgroup_processor_mode: 1
  - .args:
      - .offset:         0
        .size:           56
        .value_kind:     by_value
    .group_segment_fixed_size: 0
    .kernarg_segment_align: 8
    .kernarg_segment_size: 56
    .language:       OpenCL C
    .language_version:
      - 2
      - 0
    .max_flat_workgroup_size: 256
    .name:           _ZN7rocprim17ROCPRIM_400000_NS6detail17trampoline_kernelINS0_14default_configENS1_27lower_bound_config_selectorIilEEZNS1_14transform_implILb0ES3_S5_N6thrust23THRUST_200600_302600_NS6detail15normal_iteratorINS8_7pointerIiNS8_11hip_rocprim12par_nosync_tENS8_11use_defaultESE_EEEENSA_INSB_IlSD_SE_SE_EEEEZNS1_13binary_searchIS3_S5_NSA_INS8_10device_ptrIiEEEESG_SI_NS1_21lower_bound_search_opENS9_16wrapped_functionINS8_6system6detail7generic6detail18binary_search_lessEbEEEE10hipError_tPvRmT1_T2_T3_mmT4_T5_P12ihipStream_tbEUlRKiE_EESV_SZ_S10_mS11_S14_bEUlT_E_NS1_11comp_targetILNS1_3genE4ELNS1_11target_archE910ELNS1_3gpuE8ELNS1_3repE0EEENS1_30default_config_static_selectorELNS0_4arch9wavefront6targetE0EEEvSY_
    .private_segment_fixed_size: 0
    .sgpr_count:     0
    .sgpr_spill_count: 0
    .symbol:         _ZN7rocprim17ROCPRIM_400000_NS6detail17trampoline_kernelINS0_14default_configENS1_27lower_bound_config_selectorIilEEZNS1_14transform_implILb0ES3_S5_N6thrust23THRUST_200600_302600_NS6detail15normal_iteratorINS8_7pointerIiNS8_11hip_rocprim12par_nosync_tENS8_11use_defaultESE_EEEENSA_INSB_IlSD_SE_SE_EEEEZNS1_13binary_searchIS3_S5_NSA_INS8_10device_ptrIiEEEESG_SI_NS1_21lower_bound_search_opENS9_16wrapped_functionINS8_6system6detail7generic6detail18binary_search_lessEbEEEE10hipError_tPvRmT1_T2_T3_mmT4_T5_P12ihipStream_tbEUlRKiE_EESV_SZ_S10_mS11_S14_bEUlT_E_NS1_11comp_targetILNS1_3genE4ELNS1_11target_archE910ELNS1_3gpuE8ELNS1_3repE0EEENS1_30default_config_static_selectorELNS0_4arch9wavefront6targetE0EEEvSY_.kd
    .uniform_work_group_size: 1
    .uses_dynamic_stack: false
    .vgpr_count:     0
    .vgpr_spill_count: 0
    .wavefront_size: 32
    .workgroup_processor_mode: 1
  - .args:
      - .offset:         0
        .size:           56
        .value_kind:     by_value
    .group_segment_fixed_size: 0
    .kernarg_segment_align: 8
    .kernarg_segment_size: 56
    .language:       OpenCL C
    .language_version:
      - 2
      - 0
    .max_flat_workgroup_size: 256
    .name:           _ZN7rocprim17ROCPRIM_400000_NS6detail17trampoline_kernelINS0_14default_configENS1_27lower_bound_config_selectorIilEEZNS1_14transform_implILb0ES3_S5_N6thrust23THRUST_200600_302600_NS6detail15normal_iteratorINS8_7pointerIiNS8_11hip_rocprim12par_nosync_tENS8_11use_defaultESE_EEEENSA_INSB_IlSD_SE_SE_EEEEZNS1_13binary_searchIS3_S5_NSA_INS8_10device_ptrIiEEEESG_SI_NS1_21lower_bound_search_opENS9_16wrapped_functionINS8_6system6detail7generic6detail18binary_search_lessEbEEEE10hipError_tPvRmT1_T2_T3_mmT4_T5_P12ihipStream_tbEUlRKiE_EESV_SZ_S10_mS11_S14_bEUlT_E_NS1_11comp_targetILNS1_3genE3ELNS1_11target_archE908ELNS1_3gpuE7ELNS1_3repE0EEENS1_30default_config_static_selectorELNS0_4arch9wavefront6targetE0EEEvSY_
    .private_segment_fixed_size: 0
    .sgpr_count:     0
    .sgpr_spill_count: 0
    .symbol:         _ZN7rocprim17ROCPRIM_400000_NS6detail17trampoline_kernelINS0_14default_configENS1_27lower_bound_config_selectorIilEEZNS1_14transform_implILb0ES3_S5_N6thrust23THRUST_200600_302600_NS6detail15normal_iteratorINS8_7pointerIiNS8_11hip_rocprim12par_nosync_tENS8_11use_defaultESE_EEEENSA_INSB_IlSD_SE_SE_EEEEZNS1_13binary_searchIS3_S5_NSA_INS8_10device_ptrIiEEEESG_SI_NS1_21lower_bound_search_opENS9_16wrapped_functionINS8_6system6detail7generic6detail18binary_search_lessEbEEEE10hipError_tPvRmT1_T2_T3_mmT4_T5_P12ihipStream_tbEUlRKiE_EESV_SZ_S10_mS11_S14_bEUlT_E_NS1_11comp_targetILNS1_3genE3ELNS1_11target_archE908ELNS1_3gpuE7ELNS1_3repE0EEENS1_30default_config_static_selectorELNS0_4arch9wavefront6targetE0EEEvSY_.kd
    .uniform_work_group_size: 1
    .uses_dynamic_stack: false
    .vgpr_count:     0
    .vgpr_spill_count: 0
    .wavefront_size: 32
    .workgroup_processor_mode: 1
  - .args:
      - .offset:         0
        .size:           56
        .value_kind:     by_value
    .group_segment_fixed_size: 0
    .kernarg_segment_align: 8
    .kernarg_segment_size: 56
    .language:       OpenCL C
    .language_version:
      - 2
      - 0
    .max_flat_workgroup_size: 256
    .name:           _ZN7rocprim17ROCPRIM_400000_NS6detail17trampoline_kernelINS0_14default_configENS1_27lower_bound_config_selectorIilEEZNS1_14transform_implILb0ES3_S5_N6thrust23THRUST_200600_302600_NS6detail15normal_iteratorINS8_7pointerIiNS8_11hip_rocprim12par_nosync_tENS8_11use_defaultESE_EEEENSA_INSB_IlSD_SE_SE_EEEEZNS1_13binary_searchIS3_S5_NSA_INS8_10device_ptrIiEEEESG_SI_NS1_21lower_bound_search_opENS9_16wrapped_functionINS8_6system6detail7generic6detail18binary_search_lessEbEEEE10hipError_tPvRmT1_T2_T3_mmT4_T5_P12ihipStream_tbEUlRKiE_EESV_SZ_S10_mS11_S14_bEUlT_E_NS1_11comp_targetILNS1_3genE2ELNS1_11target_archE906ELNS1_3gpuE6ELNS1_3repE0EEENS1_30default_config_static_selectorELNS0_4arch9wavefront6targetE0EEEvSY_
    .private_segment_fixed_size: 0
    .sgpr_count:     0
    .sgpr_spill_count: 0
    .symbol:         _ZN7rocprim17ROCPRIM_400000_NS6detail17trampoline_kernelINS0_14default_configENS1_27lower_bound_config_selectorIilEEZNS1_14transform_implILb0ES3_S5_N6thrust23THRUST_200600_302600_NS6detail15normal_iteratorINS8_7pointerIiNS8_11hip_rocprim12par_nosync_tENS8_11use_defaultESE_EEEENSA_INSB_IlSD_SE_SE_EEEEZNS1_13binary_searchIS3_S5_NSA_INS8_10device_ptrIiEEEESG_SI_NS1_21lower_bound_search_opENS9_16wrapped_functionINS8_6system6detail7generic6detail18binary_search_lessEbEEEE10hipError_tPvRmT1_T2_T3_mmT4_T5_P12ihipStream_tbEUlRKiE_EESV_SZ_S10_mS11_S14_bEUlT_E_NS1_11comp_targetILNS1_3genE2ELNS1_11target_archE906ELNS1_3gpuE6ELNS1_3repE0EEENS1_30default_config_static_selectorELNS0_4arch9wavefront6targetE0EEEvSY_.kd
    .uniform_work_group_size: 1
    .uses_dynamic_stack: false
    .vgpr_count:     0
    .vgpr_spill_count: 0
    .wavefront_size: 32
    .workgroup_processor_mode: 1
  - .args:
      - .offset:         0
        .size:           56
        .value_kind:     by_value
    .group_segment_fixed_size: 0
    .kernarg_segment_align: 8
    .kernarg_segment_size: 56
    .language:       OpenCL C
    .language_version:
      - 2
      - 0
    .max_flat_workgroup_size: 128
    .name:           _ZN7rocprim17ROCPRIM_400000_NS6detail17trampoline_kernelINS0_14default_configENS1_27lower_bound_config_selectorIilEEZNS1_14transform_implILb0ES3_S5_N6thrust23THRUST_200600_302600_NS6detail15normal_iteratorINS8_7pointerIiNS8_11hip_rocprim12par_nosync_tENS8_11use_defaultESE_EEEENSA_INSB_IlSD_SE_SE_EEEEZNS1_13binary_searchIS3_S5_NSA_INS8_10device_ptrIiEEEESG_SI_NS1_21lower_bound_search_opENS9_16wrapped_functionINS8_6system6detail7generic6detail18binary_search_lessEbEEEE10hipError_tPvRmT1_T2_T3_mmT4_T5_P12ihipStream_tbEUlRKiE_EESV_SZ_S10_mS11_S14_bEUlT_E_NS1_11comp_targetILNS1_3genE10ELNS1_11target_archE1201ELNS1_3gpuE5ELNS1_3repE0EEENS1_30default_config_static_selectorELNS0_4arch9wavefront6targetE0EEEvSY_
    .private_segment_fixed_size: 0
    .sgpr_count:     0
    .sgpr_spill_count: 0
    .symbol:         _ZN7rocprim17ROCPRIM_400000_NS6detail17trampoline_kernelINS0_14default_configENS1_27lower_bound_config_selectorIilEEZNS1_14transform_implILb0ES3_S5_N6thrust23THRUST_200600_302600_NS6detail15normal_iteratorINS8_7pointerIiNS8_11hip_rocprim12par_nosync_tENS8_11use_defaultESE_EEEENSA_INSB_IlSD_SE_SE_EEEEZNS1_13binary_searchIS3_S5_NSA_INS8_10device_ptrIiEEEESG_SI_NS1_21lower_bound_search_opENS9_16wrapped_functionINS8_6system6detail7generic6detail18binary_search_lessEbEEEE10hipError_tPvRmT1_T2_T3_mmT4_T5_P12ihipStream_tbEUlRKiE_EESV_SZ_S10_mS11_S14_bEUlT_E_NS1_11comp_targetILNS1_3genE10ELNS1_11target_archE1201ELNS1_3gpuE5ELNS1_3repE0EEENS1_30default_config_static_selectorELNS0_4arch9wavefront6targetE0EEEvSY_.kd
    .uniform_work_group_size: 1
    .uses_dynamic_stack: false
    .vgpr_count:     0
    .vgpr_spill_count: 0
    .wavefront_size: 32
    .workgroup_processor_mode: 1
  - .args:
      - .offset:         0
        .size:           56
        .value_kind:     by_value
    .group_segment_fixed_size: 0
    .kernarg_segment_align: 8
    .kernarg_segment_size: 56
    .language:       OpenCL C
    .language_version:
      - 2
      - 0
    .max_flat_workgroup_size: 128
    .name:           _ZN7rocprim17ROCPRIM_400000_NS6detail17trampoline_kernelINS0_14default_configENS1_27lower_bound_config_selectorIilEEZNS1_14transform_implILb0ES3_S5_N6thrust23THRUST_200600_302600_NS6detail15normal_iteratorINS8_7pointerIiNS8_11hip_rocprim12par_nosync_tENS8_11use_defaultESE_EEEENSA_INSB_IlSD_SE_SE_EEEEZNS1_13binary_searchIS3_S5_NSA_INS8_10device_ptrIiEEEESG_SI_NS1_21lower_bound_search_opENS9_16wrapped_functionINS8_6system6detail7generic6detail18binary_search_lessEbEEEE10hipError_tPvRmT1_T2_T3_mmT4_T5_P12ihipStream_tbEUlRKiE_EESV_SZ_S10_mS11_S14_bEUlT_E_NS1_11comp_targetILNS1_3genE10ELNS1_11target_archE1200ELNS1_3gpuE4ELNS1_3repE0EEENS1_30default_config_static_selectorELNS0_4arch9wavefront6targetE0EEEvSY_
    .private_segment_fixed_size: 0
    .sgpr_count:     0
    .sgpr_spill_count: 0
    .symbol:         _ZN7rocprim17ROCPRIM_400000_NS6detail17trampoline_kernelINS0_14default_configENS1_27lower_bound_config_selectorIilEEZNS1_14transform_implILb0ES3_S5_N6thrust23THRUST_200600_302600_NS6detail15normal_iteratorINS8_7pointerIiNS8_11hip_rocprim12par_nosync_tENS8_11use_defaultESE_EEEENSA_INSB_IlSD_SE_SE_EEEEZNS1_13binary_searchIS3_S5_NSA_INS8_10device_ptrIiEEEESG_SI_NS1_21lower_bound_search_opENS9_16wrapped_functionINS8_6system6detail7generic6detail18binary_search_lessEbEEEE10hipError_tPvRmT1_T2_T3_mmT4_T5_P12ihipStream_tbEUlRKiE_EESV_SZ_S10_mS11_S14_bEUlT_E_NS1_11comp_targetILNS1_3genE10ELNS1_11target_archE1200ELNS1_3gpuE4ELNS1_3repE0EEENS1_30default_config_static_selectorELNS0_4arch9wavefront6targetE0EEEvSY_.kd
    .uniform_work_group_size: 1
    .uses_dynamic_stack: false
    .vgpr_count:     0
    .vgpr_spill_count: 0
    .wavefront_size: 32
    .workgroup_processor_mode: 1
  - .args:
      - .offset:         0
        .size:           56
        .value_kind:     by_value
    .group_segment_fixed_size: 0
    .kernarg_segment_align: 8
    .kernarg_segment_size: 56
    .language:       OpenCL C
    .language_version:
      - 2
      - 0
    .max_flat_workgroup_size: 256
    .name:           _ZN7rocprim17ROCPRIM_400000_NS6detail17trampoline_kernelINS0_14default_configENS1_27lower_bound_config_selectorIilEEZNS1_14transform_implILb0ES3_S5_N6thrust23THRUST_200600_302600_NS6detail15normal_iteratorINS8_7pointerIiNS8_11hip_rocprim12par_nosync_tENS8_11use_defaultESE_EEEENSA_INSB_IlSD_SE_SE_EEEEZNS1_13binary_searchIS3_S5_NSA_INS8_10device_ptrIiEEEESG_SI_NS1_21lower_bound_search_opENS9_16wrapped_functionINS8_6system6detail7generic6detail18binary_search_lessEbEEEE10hipError_tPvRmT1_T2_T3_mmT4_T5_P12ihipStream_tbEUlRKiE_EESV_SZ_S10_mS11_S14_bEUlT_E_NS1_11comp_targetILNS1_3genE9ELNS1_11target_archE1100ELNS1_3gpuE3ELNS1_3repE0EEENS1_30default_config_static_selectorELNS0_4arch9wavefront6targetE0EEEvSY_
    .private_segment_fixed_size: 0
    .sgpr_count:     0
    .sgpr_spill_count: 0
    .symbol:         _ZN7rocprim17ROCPRIM_400000_NS6detail17trampoline_kernelINS0_14default_configENS1_27lower_bound_config_selectorIilEEZNS1_14transform_implILb0ES3_S5_N6thrust23THRUST_200600_302600_NS6detail15normal_iteratorINS8_7pointerIiNS8_11hip_rocprim12par_nosync_tENS8_11use_defaultESE_EEEENSA_INSB_IlSD_SE_SE_EEEEZNS1_13binary_searchIS3_S5_NSA_INS8_10device_ptrIiEEEESG_SI_NS1_21lower_bound_search_opENS9_16wrapped_functionINS8_6system6detail7generic6detail18binary_search_lessEbEEEE10hipError_tPvRmT1_T2_T3_mmT4_T5_P12ihipStream_tbEUlRKiE_EESV_SZ_S10_mS11_S14_bEUlT_E_NS1_11comp_targetILNS1_3genE9ELNS1_11target_archE1100ELNS1_3gpuE3ELNS1_3repE0EEENS1_30default_config_static_selectorELNS0_4arch9wavefront6targetE0EEEvSY_.kd
    .uniform_work_group_size: 1
    .uses_dynamic_stack: false
    .vgpr_count:     0
    .vgpr_spill_count: 0
    .wavefront_size: 32
    .workgroup_processor_mode: 1
  - .args:
      - .offset:         0
        .size:           56
        .value_kind:     by_value
      - .offset:         56
        .size:           4
        .value_kind:     hidden_block_count_x
      - .offset:         60
        .size:           4
        .value_kind:     hidden_block_count_y
      - .offset:         64
        .size:           4
        .value_kind:     hidden_block_count_z
      - .offset:         68
        .size:           2
        .value_kind:     hidden_group_size_x
      - .offset:         70
        .size:           2
        .value_kind:     hidden_group_size_y
      - .offset:         72
        .size:           2
        .value_kind:     hidden_group_size_z
      - .offset:         74
        .size:           2
        .value_kind:     hidden_remainder_x
      - .offset:         76
        .size:           2
        .value_kind:     hidden_remainder_y
      - .offset:         78
        .size:           2
        .value_kind:     hidden_remainder_z
      - .offset:         96
        .size:           8
        .value_kind:     hidden_global_offset_x
      - .offset:         104
        .size:           8
        .value_kind:     hidden_global_offset_y
      - .offset:         112
        .size:           8
        .value_kind:     hidden_global_offset_z
      - .offset:         120
        .size:           2
        .value_kind:     hidden_grid_dims
    .group_segment_fixed_size: 0
    .kernarg_segment_align: 8
    .kernarg_segment_size: 312
    .language:       OpenCL C
    .language_version:
      - 2
      - 0
    .max_flat_workgroup_size: 256
    .name:           _ZN7rocprim17ROCPRIM_400000_NS6detail17trampoline_kernelINS0_14default_configENS1_27lower_bound_config_selectorIilEEZNS1_14transform_implILb0ES3_S5_N6thrust23THRUST_200600_302600_NS6detail15normal_iteratorINS8_7pointerIiNS8_11hip_rocprim12par_nosync_tENS8_11use_defaultESE_EEEENSA_INSB_IlSD_SE_SE_EEEEZNS1_13binary_searchIS3_S5_NSA_INS8_10device_ptrIiEEEESG_SI_NS1_21lower_bound_search_opENS9_16wrapped_functionINS8_6system6detail7generic6detail18binary_search_lessEbEEEE10hipError_tPvRmT1_T2_T3_mmT4_T5_P12ihipStream_tbEUlRKiE_EESV_SZ_S10_mS11_S14_bEUlT_E_NS1_11comp_targetILNS1_3genE8ELNS1_11target_archE1030ELNS1_3gpuE2ELNS1_3repE0EEENS1_30default_config_static_selectorELNS0_4arch9wavefront6targetE0EEEvSY_
    .private_segment_fixed_size: 0
    .sgpr_count:     19
    .sgpr_spill_count: 0
    .symbol:         _ZN7rocprim17ROCPRIM_400000_NS6detail17trampoline_kernelINS0_14default_configENS1_27lower_bound_config_selectorIilEEZNS1_14transform_implILb0ES3_S5_N6thrust23THRUST_200600_302600_NS6detail15normal_iteratorINS8_7pointerIiNS8_11hip_rocprim12par_nosync_tENS8_11use_defaultESE_EEEENSA_INSB_IlSD_SE_SE_EEEEZNS1_13binary_searchIS3_S5_NSA_INS8_10device_ptrIiEEEESG_SI_NS1_21lower_bound_search_opENS9_16wrapped_functionINS8_6system6detail7generic6detail18binary_search_lessEbEEEE10hipError_tPvRmT1_T2_T3_mmT4_T5_P12ihipStream_tbEUlRKiE_EESV_SZ_S10_mS11_S14_bEUlT_E_NS1_11comp_targetILNS1_3genE8ELNS1_11target_archE1030ELNS1_3gpuE2ELNS1_3repE0EEENS1_30default_config_static_selectorELNS0_4arch9wavefront6targetE0EEEvSY_.kd
    .uniform_work_group_size: 1
    .uses_dynamic_stack: false
    .vgpr_count:     11
    .vgpr_spill_count: 0
    .wavefront_size: 32
    .workgroup_processor_mode: 1
  - .args:
      - .offset:         0
        .size:           56
        .value_kind:     by_value
    .group_segment_fixed_size: 0
    .kernarg_segment_align: 8
    .kernarg_segment_size: 56
    .language:       OpenCL C
    .language_version:
      - 2
      - 0
    .max_flat_workgroup_size: 256
    .name:           _ZN7rocprim17ROCPRIM_400000_NS6detail17trampoline_kernelINS0_14default_configENS1_27lower_bound_config_selectorIilEEZNS1_14transform_implILb0ES3_S5_N6thrust23THRUST_200600_302600_NS6detail15normal_iteratorINS8_7pointerIiNS8_11hip_rocprim5par_tENS8_11use_defaultESE_EEEENSA_INSB_IlSD_SE_SE_EEEEZNS1_13binary_searchIS3_S5_NSA_INS8_10device_ptrIiEEEESG_SI_NS1_21lower_bound_search_opENS9_16wrapped_functionINS8_6system6detail7generic6detail18binary_search_lessEbEEEE10hipError_tPvRmT1_T2_T3_mmT4_T5_P12ihipStream_tbEUlRKiE_EESV_SZ_S10_mS11_S14_bEUlT_E_NS1_11comp_targetILNS1_3genE0ELNS1_11target_archE4294967295ELNS1_3gpuE0ELNS1_3repE0EEENS1_30default_config_static_selectorELNS0_4arch9wavefront6targetE0EEEvSY_
    .private_segment_fixed_size: 0
    .sgpr_count:     0
    .sgpr_spill_count: 0
    .symbol:         _ZN7rocprim17ROCPRIM_400000_NS6detail17trampoline_kernelINS0_14default_configENS1_27lower_bound_config_selectorIilEEZNS1_14transform_implILb0ES3_S5_N6thrust23THRUST_200600_302600_NS6detail15normal_iteratorINS8_7pointerIiNS8_11hip_rocprim5par_tENS8_11use_defaultESE_EEEENSA_INSB_IlSD_SE_SE_EEEEZNS1_13binary_searchIS3_S5_NSA_INS8_10device_ptrIiEEEESG_SI_NS1_21lower_bound_search_opENS9_16wrapped_functionINS8_6system6detail7generic6detail18binary_search_lessEbEEEE10hipError_tPvRmT1_T2_T3_mmT4_T5_P12ihipStream_tbEUlRKiE_EESV_SZ_S10_mS11_S14_bEUlT_E_NS1_11comp_targetILNS1_3genE0ELNS1_11target_archE4294967295ELNS1_3gpuE0ELNS1_3repE0EEENS1_30default_config_static_selectorELNS0_4arch9wavefront6targetE0EEEvSY_.kd
    .uniform_work_group_size: 1
    .uses_dynamic_stack: false
    .vgpr_count:     0
    .vgpr_spill_count: 0
    .wavefront_size: 32
    .workgroup_processor_mode: 1
  - .args:
      - .offset:         0
        .size:           56
        .value_kind:     by_value
    .group_segment_fixed_size: 0
    .kernarg_segment_align: 8
    .kernarg_segment_size: 56
    .language:       OpenCL C
    .language_version:
      - 2
      - 0
    .max_flat_workgroup_size: 256
    .name:           _ZN7rocprim17ROCPRIM_400000_NS6detail17trampoline_kernelINS0_14default_configENS1_27lower_bound_config_selectorIilEEZNS1_14transform_implILb0ES3_S5_N6thrust23THRUST_200600_302600_NS6detail15normal_iteratorINS8_7pointerIiNS8_11hip_rocprim5par_tENS8_11use_defaultESE_EEEENSA_INSB_IlSD_SE_SE_EEEEZNS1_13binary_searchIS3_S5_NSA_INS8_10device_ptrIiEEEESG_SI_NS1_21lower_bound_search_opENS9_16wrapped_functionINS8_6system6detail7generic6detail18binary_search_lessEbEEEE10hipError_tPvRmT1_T2_T3_mmT4_T5_P12ihipStream_tbEUlRKiE_EESV_SZ_S10_mS11_S14_bEUlT_E_NS1_11comp_targetILNS1_3genE5ELNS1_11target_archE942ELNS1_3gpuE9ELNS1_3repE0EEENS1_30default_config_static_selectorELNS0_4arch9wavefront6targetE0EEEvSY_
    .private_segment_fixed_size: 0
    .sgpr_count:     0
    .sgpr_spill_count: 0
    .symbol:         _ZN7rocprim17ROCPRIM_400000_NS6detail17trampoline_kernelINS0_14default_configENS1_27lower_bound_config_selectorIilEEZNS1_14transform_implILb0ES3_S5_N6thrust23THRUST_200600_302600_NS6detail15normal_iteratorINS8_7pointerIiNS8_11hip_rocprim5par_tENS8_11use_defaultESE_EEEENSA_INSB_IlSD_SE_SE_EEEEZNS1_13binary_searchIS3_S5_NSA_INS8_10device_ptrIiEEEESG_SI_NS1_21lower_bound_search_opENS9_16wrapped_functionINS8_6system6detail7generic6detail18binary_search_lessEbEEEE10hipError_tPvRmT1_T2_T3_mmT4_T5_P12ihipStream_tbEUlRKiE_EESV_SZ_S10_mS11_S14_bEUlT_E_NS1_11comp_targetILNS1_3genE5ELNS1_11target_archE942ELNS1_3gpuE9ELNS1_3repE0EEENS1_30default_config_static_selectorELNS0_4arch9wavefront6targetE0EEEvSY_.kd
    .uniform_work_group_size: 1
    .uses_dynamic_stack: false
    .vgpr_count:     0
    .vgpr_spill_count: 0
    .wavefront_size: 32
    .workgroup_processor_mode: 1
  - .args:
      - .offset:         0
        .size:           56
        .value_kind:     by_value
    .group_segment_fixed_size: 0
    .kernarg_segment_align: 8
    .kernarg_segment_size: 56
    .language:       OpenCL C
    .language_version:
      - 2
      - 0
    .max_flat_workgroup_size: 256
    .name:           _ZN7rocprim17ROCPRIM_400000_NS6detail17trampoline_kernelINS0_14default_configENS1_27lower_bound_config_selectorIilEEZNS1_14transform_implILb0ES3_S5_N6thrust23THRUST_200600_302600_NS6detail15normal_iteratorINS8_7pointerIiNS8_11hip_rocprim5par_tENS8_11use_defaultESE_EEEENSA_INSB_IlSD_SE_SE_EEEEZNS1_13binary_searchIS3_S5_NSA_INS8_10device_ptrIiEEEESG_SI_NS1_21lower_bound_search_opENS9_16wrapped_functionINS8_6system6detail7generic6detail18binary_search_lessEbEEEE10hipError_tPvRmT1_T2_T3_mmT4_T5_P12ihipStream_tbEUlRKiE_EESV_SZ_S10_mS11_S14_bEUlT_E_NS1_11comp_targetILNS1_3genE4ELNS1_11target_archE910ELNS1_3gpuE8ELNS1_3repE0EEENS1_30default_config_static_selectorELNS0_4arch9wavefront6targetE0EEEvSY_
    .private_segment_fixed_size: 0
    .sgpr_count:     0
    .sgpr_spill_count: 0
    .symbol:         _ZN7rocprim17ROCPRIM_400000_NS6detail17trampoline_kernelINS0_14default_configENS1_27lower_bound_config_selectorIilEEZNS1_14transform_implILb0ES3_S5_N6thrust23THRUST_200600_302600_NS6detail15normal_iteratorINS8_7pointerIiNS8_11hip_rocprim5par_tENS8_11use_defaultESE_EEEENSA_INSB_IlSD_SE_SE_EEEEZNS1_13binary_searchIS3_S5_NSA_INS8_10device_ptrIiEEEESG_SI_NS1_21lower_bound_search_opENS9_16wrapped_functionINS8_6system6detail7generic6detail18binary_search_lessEbEEEE10hipError_tPvRmT1_T2_T3_mmT4_T5_P12ihipStream_tbEUlRKiE_EESV_SZ_S10_mS11_S14_bEUlT_E_NS1_11comp_targetILNS1_3genE4ELNS1_11target_archE910ELNS1_3gpuE8ELNS1_3repE0EEENS1_30default_config_static_selectorELNS0_4arch9wavefront6targetE0EEEvSY_.kd
    .uniform_work_group_size: 1
    .uses_dynamic_stack: false
    .vgpr_count:     0
    .vgpr_spill_count: 0
    .wavefront_size: 32
    .workgroup_processor_mode: 1
  - .args:
      - .offset:         0
        .size:           56
        .value_kind:     by_value
    .group_segment_fixed_size: 0
    .kernarg_segment_align: 8
    .kernarg_segment_size: 56
    .language:       OpenCL C
    .language_version:
      - 2
      - 0
    .max_flat_workgroup_size: 256
    .name:           _ZN7rocprim17ROCPRIM_400000_NS6detail17trampoline_kernelINS0_14default_configENS1_27lower_bound_config_selectorIilEEZNS1_14transform_implILb0ES3_S5_N6thrust23THRUST_200600_302600_NS6detail15normal_iteratorINS8_7pointerIiNS8_11hip_rocprim5par_tENS8_11use_defaultESE_EEEENSA_INSB_IlSD_SE_SE_EEEEZNS1_13binary_searchIS3_S5_NSA_INS8_10device_ptrIiEEEESG_SI_NS1_21lower_bound_search_opENS9_16wrapped_functionINS8_6system6detail7generic6detail18binary_search_lessEbEEEE10hipError_tPvRmT1_T2_T3_mmT4_T5_P12ihipStream_tbEUlRKiE_EESV_SZ_S10_mS11_S14_bEUlT_E_NS1_11comp_targetILNS1_3genE3ELNS1_11target_archE908ELNS1_3gpuE7ELNS1_3repE0EEENS1_30default_config_static_selectorELNS0_4arch9wavefront6targetE0EEEvSY_
    .private_segment_fixed_size: 0
    .sgpr_count:     0
    .sgpr_spill_count: 0
    .symbol:         _ZN7rocprim17ROCPRIM_400000_NS6detail17trampoline_kernelINS0_14default_configENS1_27lower_bound_config_selectorIilEEZNS1_14transform_implILb0ES3_S5_N6thrust23THRUST_200600_302600_NS6detail15normal_iteratorINS8_7pointerIiNS8_11hip_rocprim5par_tENS8_11use_defaultESE_EEEENSA_INSB_IlSD_SE_SE_EEEEZNS1_13binary_searchIS3_S5_NSA_INS8_10device_ptrIiEEEESG_SI_NS1_21lower_bound_search_opENS9_16wrapped_functionINS8_6system6detail7generic6detail18binary_search_lessEbEEEE10hipError_tPvRmT1_T2_T3_mmT4_T5_P12ihipStream_tbEUlRKiE_EESV_SZ_S10_mS11_S14_bEUlT_E_NS1_11comp_targetILNS1_3genE3ELNS1_11target_archE908ELNS1_3gpuE7ELNS1_3repE0EEENS1_30default_config_static_selectorELNS0_4arch9wavefront6targetE0EEEvSY_.kd
    .uniform_work_group_size: 1
    .uses_dynamic_stack: false
    .vgpr_count:     0
    .vgpr_spill_count: 0
    .wavefront_size: 32
    .workgroup_processor_mode: 1
  - .args:
      - .offset:         0
        .size:           56
        .value_kind:     by_value
    .group_segment_fixed_size: 0
    .kernarg_segment_align: 8
    .kernarg_segment_size: 56
    .language:       OpenCL C
    .language_version:
      - 2
      - 0
    .max_flat_workgroup_size: 256
    .name:           _ZN7rocprim17ROCPRIM_400000_NS6detail17trampoline_kernelINS0_14default_configENS1_27lower_bound_config_selectorIilEEZNS1_14transform_implILb0ES3_S5_N6thrust23THRUST_200600_302600_NS6detail15normal_iteratorINS8_7pointerIiNS8_11hip_rocprim5par_tENS8_11use_defaultESE_EEEENSA_INSB_IlSD_SE_SE_EEEEZNS1_13binary_searchIS3_S5_NSA_INS8_10device_ptrIiEEEESG_SI_NS1_21lower_bound_search_opENS9_16wrapped_functionINS8_6system6detail7generic6detail18binary_search_lessEbEEEE10hipError_tPvRmT1_T2_T3_mmT4_T5_P12ihipStream_tbEUlRKiE_EESV_SZ_S10_mS11_S14_bEUlT_E_NS1_11comp_targetILNS1_3genE2ELNS1_11target_archE906ELNS1_3gpuE6ELNS1_3repE0EEENS1_30default_config_static_selectorELNS0_4arch9wavefront6targetE0EEEvSY_
    .private_segment_fixed_size: 0
    .sgpr_count:     0
    .sgpr_spill_count: 0
    .symbol:         _ZN7rocprim17ROCPRIM_400000_NS6detail17trampoline_kernelINS0_14default_configENS1_27lower_bound_config_selectorIilEEZNS1_14transform_implILb0ES3_S5_N6thrust23THRUST_200600_302600_NS6detail15normal_iteratorINS8_7pointerIiNS8_11hip_rocprim5par_tENS8_11use_defaultESE_EEEENSA_INSB_IlSD_SE_SE_EEEEZNS1_13binary_searchIS3_S5_NSA_INS8_10device_ptrIiEEEESG_SI_NS1_21lower_bound_search_opENS9_16wrapped_functionINS8_6system6detail7generic6detail18binary_search_lessEbEEEE10hipError_tPvRmT1_T2_T3_mmT4_T5_P12ihipStream_tbEUlRKiE_EESV_SZ_S10_mS11_S14_bEUlT_E_NS1_11comp_targetILNS1_3genE2ELNS1_11target_archE906ELNS1_3gpuE6ELNS1_3repE0EEENS1_30default_config_static_selectorELNS0_4arch9wavefront6targetE0EEEvSY_.kd
    .uniform_work_group_size: 1
    .uses_dynamic_stack: false
    .vgpr_count:     0
    .vgpr_spill_count: 0
    .wavefront_size: 32
    .workgroup_processor_mode: 1
  - .args:
      - .offset:         0
        .size:           56
        .value_kind:     by_value
    .group_segment_fixed_size: 0
    .kernarg_segment_align: 8
    .kernarg_segment_size: 56
    .language:       OpenCL C
    .language_version:
      - 2
      - 0
    .max_flat_workgroup_size: 128
    .name:           _ZN7rocprim17ROCPRIM_400000_NS6detail17trampoline_kernelINS0_14default_configENS1_27lower_bound_config_selectorIilEEZNS1_14transform_implILb0ES3_S5_N6thrust23THRUST_200600_302600_NS6detail15normal_iteratorINS8_7pointerIiNS8_11hip_rocprim5par_tENS8_11use_defaultESE_EEEENSA_INSB_IlSD_SE_SE_EEEEZNS1_13binary_searchIS3_S5_NSA_INS8_10device_ptrIiEEEESG_SI_NS1_21lower_bound_search_opENS9_16wrapped_functionINS8_6system6detail7generic6detail18binary_search_lessEbEEEE10hipError_tPvRmT1_T2_T3_mmT4_T5_P12ihipStream_tbEUlRKiE_EESV_SZ_S10_mS11_S14_bEUlT_E_NS1_11comp_targetILNS1_3genE10ELNS1_11target_archE1201ELNS1_3gpuE5ELNS1_3repE0EEENS1_30default_config_static_selectorELNS0_4arch9wavefront6targetE0EEEvSY_
    .private_segment_fixed_size: 0
    .sgpr_count:     0
    .sgpr_spill_count: 0
    .symbol:         _ZN7rocprim17ROCPRIM_400000_NS6detail17trampoline_kernelINS0_14default_configENS1_27lower_bound_config_selectorIilEEZNS1_14transform_implILb0ES3_S5_N6thrust23THRUST_200600_302600_NS6detail15normal_iteratorINS8_7pointerIiNS8_11hip_rocprim5par_tENS8_11use_defaultESE_EEEENSA_INSB_IlSD_SE_SE_EEEEZNS1_13binary_searchIS3_S5_NSA_INS8_10device_ptrIiEEEESG_SI_NS1_21lower_bound_search_opENS9_16wrapped_functionINS8_6system6detail7generic6detail18binary_search_lessEbEEEE10hipError_tPvRmT1_T2_T3_mmT4_T5_P12ihipStream_tbEUlRKiE_EESV_SZ_S10_mS11_S14_bEUlT_E_NS1_11comp_targetILNS1_3genE10ELNS1_11target_archE1201ELNS1_3gpuE5ELNS1_3repE0EEENS1_30default_config_static_selectorELNS0_4arch9wavefront6targetE0EEEvSY_.kd
    .uniform_work_group_size: 1
    .uses_dynamic_stack: false
    .vgpr_count:     0
    .vgpr_spill_count: 0
    .wavefront_size: 32
    .workgroup_processor_mode: 1
  - .args:
      - .offset:         0
        .size:           56
        .value_kind:     by_value
    .group_segment_fixed_size: 0
    .kernarg_segment_align: 8
    .kernarg_segment_size: 56
    .language:       OpenCL C
    .language_version:
      - 2
      - 0
    .max_flat_workgroup_size: 128
    .name:           _ZN7rocprim17ROCPRIM_400000_NS6detail17trampoline_kernelINS0_14default_configENS1_27lower_bound_config_selectorIilEEZNS1_14transform_implILb0ES3_S5_N6thrust23THRUST_200600_302600_NS6detail15normal_iteratorINS8_7pointerIiNS8_11hip_rocprim5par_tENS8_11use_defaultESE_EEEENSA_INSB_IlSD_SE_SE_EEEEZNS1_13binary_searchIS3_S5_NSA_INS8_10device_ptrIiEEEESG_SI_NS1_21lower_bound_search_opENS9_16wrapped_functionINS8_6system6detail7generic6detail18binary_search_lessEbEEEE10hipError_tPvRmT1_T2_T3_mmT4_T5_P12ihipStream_tbEUlRKiE_EESV_SZ_S10_mS11_S14_bEUlT_E_NS1_11comp_targetILNS1_3genE10ELNS1_11target_archE1200ELNS1_3gpuE4ELNS1_3repE0EEENS1_30default_config_static_selectorELNS0_4arch9wavefront6targetE0EEEvSY_
    .private_segment_fixed_size: 0
    .sgpr_count:     0
    .sgpr_spill_count: 0
    .symbol:         _ZN7rocprim17ROCPRIM_400000_NS6detail17trampoline_kernelINS0_14default_configENS1_27lower_bound_config_selectorIilEEZNS1_14transform_implILb0ES3_S5_N6thrust23THRUST_200600_302600_NS6detail15normal_iteratorINS8_7pointerIiNS8_11hip_rocprim5par_tENS8_11use_defaultESE_EEEENSA_INSB_IlSD_SE_SE_EEEEZNS1_13binary_searchIS3_S5_NSA_INS8_10device_ptrIiEEEESG_SI_NS1_21lower_bound_search_opENS9_16wrapped_functionINS8_6system6detail7generic6detail18binary_search_lessEbEEEE10hipError_tPvRmT1_T2_T3_mmT4_T5_P12ihipStream_tbEUlRKiE_EESV_SZ_S10_mS11_S14_bEUlT_E_NS1_11comp_targetILNS1_3genE10ELNS1_11target_archE1200ELNS1_3gpuE4ELNS1_3repE0EEENS1_30default_config_static_selectorELNS0_4arch9wavefront6targetE0EEEvSY_.kd
    .uniform_work_group_size: 1
    .uses_dynamic_stack: false
    .vgpr_count:     0
    .vgpr_spill_count: 0
    .wavefront_size: 32
    .workgroup_processor_mode: 1
  - .args:
      - .offset:         0
        .size:           56
        .value_kind:     by_value
    .group_segment_fixed_size: 0
    .kernarg_segment_align: 8
    .kernarg_segment_size: 56
    .language:       OpenCL C
    .language_version:
      - 2
      - 0
    .max_flat_workgroup_size: 256
    .name:           _ZN7rocprim17ROCPRIM_400000_NS6detail17trampoline_kernelINS0_14default_configENS1_27lower_bound_config_selectorIilEEZNS1_14transform_implILb0ES3_S5_N6thrust23THRUST_200600_302600_NS6detail15normal_iteratorINS8_7pointerIiNS8_11hip_rocprim5par_tENS8_11use_defaultESE_EEEENSA_INSB_IlSD_SE_SE_EEEEZNS1_13binary_searchIS3_S5_NSA_INS8_10device_ptrIiEEEESG_SI_NS1_21lower_bound_search_opENS9_16wrapped_functionINS8_6system6detail7generic6detail18binary_search_lessEbEEEE10hipError_tPvRmT1_T2_T3_mmT4_T5_P12ihipStream_tbEUlRKiE_EESV_SZ_S10_mS11_S14_bEUlT_E_NS1_11comp_targetILNS1_3genE9ELNS1_11target_archE1100ELNS1_3gpuE3ELNS1_3repE0EEENS1_30default_config_static_selectorELNS0_4arch9wavefront6targetE0EEEvSY_
    .private_segment_fixed_size: 0
    .sgpr_count:     0
    .sgpr_spill_count: 0
    .symbol:         _ZN7rocprim17ROCPRIM_400000_NS6detail17trampoline_kernelINS0_14default_configENS1_27lower_bound_config_selectorIilEEZNS1_14transform_implILb0ES3_S5_N6thrust23THRUST_200600_302600_NS6detail15normal_iteratorINS8_7pointerIiNS8_11hip_rocprim5par_tENS8_11use_defaultESE_EEEENSA_INSB_IlSD_SE_SE_EEEEZNS1_13binary_searchIS3_S5_NSA_INS8_10device_ptrIiEEEESG_SI_NS1_21lower_bound_search_opENS9_16wrapped_functionINS8_6system6detail7generic6detail18binary_search_lessEbEEEE10hipError_tPvRmT1_T2_T3_mmT4_T5_P12ihipStream_tbEUlRKiE_EESV_SZ_S10_mS11_S14_bEUlT_E_NS1_11comp_targetILNS1_3genE9ELNS1_11target_archE1100ELNS1_3gpuE3ELNS1_3repE0EEENS1_30default_config_static_selectorELNS0_4arch9wavefront6targetE0EEEvSY_.kd
    .uniform_work_group_size: 1
    .uses_dynamic_stack: false
    .vgpr_count:     0
    .vgpr_spill_count: 0
    .wavefront_size: 32
    .workgroup_processor_mode: 1
  - .args:
      - .offset:         0
        .size:           56
        .value_kind:     by_value
      - .offset:         56
        .size:           4
        .value_kind:     hidden_block_count_x
      - .offset:         60
        .size:           4
        .value_kind:     hidden_block_count_y
      - .offset:         64
        .size:           4
        .value_kind:     hidden_block_count_z
      - .offset:         68
        .size:           2
        .value_kind:     hidden_group_size_x
      - .offset:         70
        .size:           2
        .value_kind:     hidden_group_size_y
      - .offset:         72
        .size:           2
        .value_kind:     hidden_group_size_z
      - .offset:         74
        .size:           2
        .value_kind:     hidden_remainder_x
      - .offset:         76
        .size:           2
        .value_kind:     hidden_remainder_y
      - .offset:         78
        .size:           2
        .value_kind:     hidden_remainder_z
      - .offset:         96
        .size:           8
        .value_kind:     hidden_global_offset_x
      - .offset:         104
        .size:           8
        .value_kind:     hidden_global_offset_y
      - .offset:         112
        .size:           8
        .value_kind:     hidden_global_offset_z
      - .offset:         120
        .size:           2
        .value_kind:     hidden_grid_dims
    .group_segment_fixed_size: 0
    .kernarg_segment_align: 8
    .kernarg_segment_size: 312
    .language:       OpenCL C
    .language_version:
      - 2
      - 0
    .max_flat_workgroup_size: 256
    .name:           _ZN7rocprim17ROCPRIM_400000_NS6detail17trampoline_kernelINS0_14default_configENS1_27lower_bound_config_selectorIilEEZNS1_14transform_implILb0ES3_S5_N6thrust23THRUST_200600_302600_NS6detail15normal_iteratorINS8_7pointerIiNS8_11hip_rocprim5par_tENS8_11use_defaultESE_EEEENSA_INSB_IlSD_SE_SE_EEEEZNS1_13binary_searchIS3_S5_NSA_INS8_10device_ptrIiEEEESG_SI_NS1_21lower_bound_search_opENS9_16wrapped_functionINS8_6system6detail7generic6detail18binary_search_lessEbEEEE10hipError_tPvRmT1_T2_T3_mmT4_T5_P12ihipStream_tbEUlRKiE_EESV_SZ_S10_mS11_S14_bEUlT_E_NS1_11comp_targetILNS1_3genE8ELNS1_11target_archE1030ELNS1_3gpuE2ELNS1_3repE0EEENS1_30default_config_static_selectorELNS0_4arch9wavefront6targetE0EEEvSY_
    .private_segment_fixed_size: 0
    .sgpr_count:     19
    .sgpr_spill_count: 0
    .symbol:         _ZN7rocprim17ROCPRIM_400000_NS6detail17trampoline_kernelINS0_14default_configENS1_27lower_bound_config_selectorIilEEZNS1_14transform_implILb0ES3_S5_N6thrust23THRUST_200600_302600_NS6detail15normal_iteratorINS8_7pointerIiNS8_11hip_rocprim5par_tENS8_11use_defaultESE_EEEENSA_INSB_IlSD_SE_SE_EEEEZNS1_13binary_searchIS3_S5_NSA_INS8_10device_ptrIiEEEESG_SI_NS1_21lower_bound_search_opENS9_16wrapped_functionINS8_6system6detail7generic6detail18binary_search_lessEbEEEE10hipError_tPvRmT1_T2_T3_mmT4_T5_P12ihipStream_tbEUlRKiE_EESV_SZ_S10_mS11_S14_bEUlT_E_NS1_11comp_targetILNS1_3genE8ELNS1_11target_archE1030ELNS1_3gpuE2ELNS1_3repE0EEENS1_30default_config_static_selectorELNS0_4arch9wavefront6targetE0EEEvSY_.kd
    .uniform_work_group_size: 1
    .uses_dynamic_stack: false
    .vgpr_count:     11
    .vgpr_spill_count: 0
    .wavefront_size: 32
    .workgroup_processor_mode: 1
  - .args:
      - .offset:         0
        .size:           56
        .value_kind:     by_value
    .group_segment_fixed_size: 0
    .kernarg_segment_align: 8
    .kernarg_segment_size: 56
    .language:       OpenCL C
    .language_version:
      - 2
      - 0
    .max_flat_workgroup_size: 256
    .name:           _ZN7rocprim17ROCPRIM_400000_NS6detail17trampoline_kernelINS0_14default_configENS1_27lower_bound_config_selectorIslEEZNS1_14transform_implILb0ES3_S5_N6thrust23THRUST_200600_302600_NS6detail15normal_iteratorINS8_7pointerIsNS8_11hip_rocprim5par_tENS8_11use_defaultESE_EEEENSA_INSB_IlSD_SE_SE_EEEEZNS1_13binary_searchIS3_S5_NSA_INS8_10device_ptrIsEEEESG_SI_NS1_21lower_bound_search_opENS9_16wrapped_functionINS8_6system6detail7generic6detail18binary_search_lessEbEEEE10hipError_tPvRmT1_T2_T3_mmT4_T5_P12ihipStream_tbEUlRKsE_EESV_SZ_S10_mS11_S14_bEUlT_E_NS1_11comp_targetILNS1_3genE0ELNS1_11target_archE4294967295ELNS1_3gpuE0ELNS1_3repE0EEENS1_30default_config_static_selectorELNS0_4arch9wavefront6targetE0EEEvSY_
    .private_segment_fixed_size: 0
    .sgpr_count:     0
    .sgpr_spill_count: 0
    .symbol:         _ZN7rocprim17ROCPRIM_400000_NS6detail17trampoline_kernelINS0_14default_configENS1_27lower_bound_config_selectorIslEEZNS1_14transform_implILb0ES3_S5_N6thrust23THRUST_200600_302600_NS6detail15normal_iteratorINS8_7pointerIsNS8_11hip_rocprim5par_tENS8_11use_defaultESE_EEEENSA_INSB_IlSD_SE_SE_EEEEZNS1_13binary_searchIS3_S5_NSA_INS8_10device_ptrIsEEEESG_SI_NS1_21lower_bound_search_opENS9_16wrapped_functionINS8_6system6detail7generic6detail18binary_search_lessEbEEEE10hipError_tPvRmT1_T2_T3_mmT4_T5_P12ihipStream_tbEUlRKsE_EESV_SZ_S10_mS11_S14_bEUlT_E_NS1_11comp_targetILNS1_3genE0ELNS1_11target_archE4294967295ELNS1_3gpuE0ELNS1_3repE0EEENS1_30default_config_static_selectorELNS0_4arch9wavefront6targetE0EEEvSY_.kd
    .uniform_work_group_size: 1
    .uses_dynamic_stack: false
    .vgpr_count:     0
    .vgpr_spill_count: 0
    .wavefront_size: 32
    .workgroup_processor_mode: 1
  - .args:
      - .offset:         0
        .size:           56
        .value_kind:     by_value
    .group_segment_fixed_size: 0
    .kernarg_segment_align: 8
    .kernarg_segment_size: 56
    .language:       OpenCL C
    .language_version:
      - 2
      - 0
    .max_flat_workgroup_size: 256
    .name:           _ZN7rocprim17ROCPRIM_400000_NS6detail17trampoline_kernelINS0_14default_configENS1_27lower_bound_config_selectorIslEEZNS1_14transform_implILb0ES3_S5_N6thrust23THRUST_200600_302600_NS6detail15normal_iteratorINS8_7pointerIsNS8_11hip_rocprim5par_tENS8_11use_defaultESE_EEEENSA_INSB_IlSD_SE_SE_EEEEZNS1_13binary_searchIS3_S5_NSA_INS8_10device_ptrIsEEEESG_SI_NS1_21lower_bound_search_opENS9_16wrapped_functionINS8_6system6detail7generic6detail18binary_search_lessEbEEEE10hipError_tPvRmT1_T2_T3_mmT4_T5_P12ihipStream_tbEUlRKsE_EESV_SZ_S10_mS11_S14_bEUlT_E_NS1_11comp_targetILNS1_3genE5ELNS1_11target_archE942ELNS1_3gpuE9ELNS1_3repE0EEENS1_30default_config_static_selectorELNS0_4arch9wavefront6targetE0EEEvSY_
    .private_segment_fixed_size: 0
    .sgpr_count:     0
    .sgpr_spill_count: 0
    .symbol:         _ZN7rocprim17ROCPRIM_400000_NS6detail17trampoline_kernelINS0_14default_configENS1_27lower_bound_config_selectorIslEEZNS1_14transform_implILb0ES3_S5_N6thrust23THRUST_200600_302600_NS6detail15normal_iteratorINS8_7pointerIsNS8_11hip_rocprim5par_tENS8_11use_defaultESE_EEEENSA_INSB_IlSD_SE_SE_EEEEZNS1_13binary_searchIS3_S5_NSA_INS8_10device_ptrIsEEEESG_SI_NS1_21lower_bound_search_opENS9_16wrapped_functionINS8_6system6detail7generic6detail18binary_search_lessEbEEEE10hipError_tPvRmT1_T2_T3_mmT4_T5_P12ihipStream_tbEUlRKsE_EESV_SZ_S10_mS11_S14_bEUlT_E_NS1_11comp_targetILNS1_3genE5ELNS1_11target_archE942ELNS1_3gpuE9ELNS1_3repE0EEENS1_30default_config_static_selectorELNS0_4arch9wavefront6targetE0EEEvSY_.kd
    .uniform_work_group_size: 1
    .uses_dynamic_stack: false
    .vgpr_count:     0
    .vgpr_spill_count: 0
    .wavefront_size: 32
    .workgroup_processor_mode: 1
  - .args:
      - .offset:         0
        .size:           56
        .value_kind:     by_value
    .group_segment_fixed_size: 0
    .kernarg_segment_align: 8
    .kernarg_segment_size: 56
    .language:       OpenCL C
    .language_version:
      - 2
      - 0
    .max_flat_workgroup_size: 256
    .name:           _ZN7rocprim17ROCPRIM_400000_NS6detail17trampoline_kernelINS0_14default_configENS1_27lower_bound_config_selectorIslEEZNS1_14transform_implILb0ES3_S5_N6thrust23THRUST_200600_302600_NS6detail15normal_iteratorINS8_7pointerIsNS8_11hip_rocprim5par_tENS8_11use_defaultESE_EEEENSA_INSB_IlSD_SE_SE_EEEEZNS1_13binary_searchIS3_S5_NSA_INS8_10device_ptrIsEEEESG_SI_NS1_21lower_bound_search_opENS9_16wrapped_functionINS8_6system6detail7generic6detail18binary_search_lessEbEEEE10hipError_tPvRmT1_T2_T3_mmT4_T5_P12ihipStream_tbEUlRKsE_EESV_SZ_S10_mS11_S14_bEUlT_E_NS1_11comp_targetILNS1_3genE4ELNS1_11target_archE910ELNS1_3gpuE8ELNS1_3repE0EEENS1_30default_config_static_selectorELNS0_4arch9wavefront6targetE0EEEvSY_
    .private_segment_fixed_size: 0
    .sgpr_count:     0
    .sgpr_spill_count: 0
    .symbol:         _ZN7rocprim17ROCPRIM_400000_NS6detail17trampoline_kernelINS0_14default_configENS1_27lower_bound_config_selectorIslEEZNS1_14transform_implILb0ES3_S5_N6thrust23THRUST_200600_302600_NS6detail15normal_iteratorINS8_7pointerIsNS8_11hip_rocprim5par_tENS8_11use_defaultESE_EEEENSA_INSB_IlSD_SE_SE_EEEEZNS1_13binary_searchIS3_S5_NSA_INS8_10device_ptrIsEEEESG_SI_NS1_21lower_bound_search_opENS9_16wrapped_functionINS8_6system6detail7generic6detail18binary_search_lessEbEEEE10hipError_tPvRmT1_T2_T3_mmT4_T5_P12ihipStream_tbEUlRKsE_EESV_SZ_S10_mS11_S14_bEUlT_E_NS1_11comp_targetILNS1_3genE4ELNS1_11target_archE910ELNS1_3gpuE8ELNS1_3repE0EEENS1_30default_config_static_selectorELNS0_4arch9wavefront6targetE0EEEvSY_.kd
    .uniform_work_group_size: 1
    .uses_dynamic_stack: false
    .vgpr_count:     0
    .vgpr_spill_count: 0
    .wavefront_size: 32
    .workgroup_processor_mode: 1
  - .args:
      - .offset:         0
        .size:           56
        .value_kind:     by_value
    .group_segment_fixed_size: 0
    .kernarg_segment_align: 8
    .kernarg_segment_size: 56
    .language:       OpenCL C
    .language_version:
      - 2
      - 0
    .max_flat_workgroup_size: 256
    .name:           _ZN7rocprim17ROCPRIM_400000_NS6detail17trampoline_kernelINS0_14default_configENS1_27lower_bound_config_selectorIslEEZNS1_14transform_implILb0ES3_S5_N6thrust23THRUST_200600_302600_NS6detail15normal_iteratorINS8_7pointerIsNS8_11hip_rocprim5par_tENS8_11use_defaultESE_EEEENSA_INSB_IlSD_SE_SE_EEEEZNS1_13binary_searchIS3_S5_NSA_INS8_10device_ptrIsEEEESG_SI_NS1_21lower_bound_search_opENS9_16wrapped_functionINS8_6system6detail7generic6detail18binary_search_lessEbEEEE10hipError_tPvRmT1_T2_T3_mmT4_T5_P12ihipStream_tbEUlRKsE_EESV_SZ_S10_mS11_S14_bEUlT_E_NS1_11comp_targetILNS1_3genE3ELNS1_11target_archE908ELNS1_3gpuE7ELNS1_3repE0EEENS1_30default_config_static_selectorELNS0_4arch9wavefront6targetE0EEEvSY_
    .private_segment_fixed_size: 0
    .sgpr_count:     0
    .sgpr_spill_count: 0
    .symbol:         _ZN7rocprim17ROCPRIM_400000_NS6detail17trampoline_kernelINS0_14default_configENS1_27lower_bound_config_selectorIslEEZNS1_14transform_implILb0ES3_S5_N6thrust23THRUST_200600_302600_NS6detail15normal_iteratorINS8_7pointerIsNS8_11hip_rocprim5par_tENS8_11use_defaultESE_EEEENSA_INSB_IlSD_SE_SE_EEEEZNS1_13binary_searchIS3_S5_NSA_INS8_10device_ptrIsEEEESG_SI_NS1_21lower_bound_search_opENS9_16wrapped_functionINS8_6system6detail7generic6detail18binary_search_lessEbEEEE10hipError_tPvRmT1_T2_T3_mmT4_T5_P12ihipStream_tbEUlRKsE_EESV_SZ_S10_mS11_S14_bEUlT_E_NS1_11comp_targetILNS1_3genE3ELNS1_11target_archE908ELNS1_3gpuE7ELNS1_3repE0EEENS1_30default_config_static_selectorELNS0_4arch9wavefront6targetE0EEEvSY_.kd
    .uniform_work_group_size: 1
    .uses_dynamic_stack: false
    .vgpr_count:     0
    .vgpr_spill_count: 0
    .wavefront_size: 32
    .workgroup_processor_mode: 1
  - .args:
      - .offset:         0
        .size:           56
        .value_kind:     by_value
    .group_segment_fixed_size: 0
    .kernarg_segment_align: 8
    .kernarg_segment_size: 56
    .language:       OpenCL C
    .language_version:
      - 2
      - 0
    .max_flat_workgroup_size: 256
    .name:           _ZN7rocprim17ROCPRIM_400000_NS6detail17trampoline_kernelINS0_14default_configENS1_27lower_bound_config_selectorIslEEZNS1_14transform_implILb0ES3_S5_N6thrust23THRUST_200600_302600_NS6detail15normal_iteratorINS8_7pointerIsNS8_11hip_rocprim5par_tENS8_11use_defaultESE_EEEENSA_INSB_IlSD_SE_SE_EEEEZNS1_13binary_searchIS3_S5_NSA_INS8_10device_ptrIsEEEESG_SI_NS1_21lower_bound_search_opENS9_16wrapped_functionINS8_6system6detail7generic6detail18binary_search_lessEbEEEE10hipError_tPvRmT1_T2_T3_mmT4_T5_P12ihipStream_tbEUlRKsE_EESV_SZ_S10_mS11_S14_bEUlT_E_NS1_11comp_targetILNS1_3genE2ELNS1_11target_archE906ELNS1_3gpuE6ELNS1_3repE0EEENS1_30default_config_static_selectorELNS0_4arch9wavefront6targetE0EEEvSY_
    .private_segment_fixed_size: 0
    .sgpr_count:     0
    .sgpr_spill_count: 0
    .symbol:         _ZN7rocprim17ROCPRIM_400000_NS6detail17trampoline_kernelINS0_14default_configENS1_27lower_bound_config_selectorIslEEZNS1_14transform_implILb0ES3_S5_N6thrust23THRUST_200600_302600_NS6detail15normal_iteratorINS8_7pointerIsNS8_11hip_rocprim5par_tENS8_11use_defaultESE_EEEENSA_INSB_IlSD_SE_SE_EEEEZNS1_13binary_searchIS3_S5_NSA_INS8_10device_ptrIsEEEESG_SI_NS1_21lower_bound_search_opENS9_16wrapped_functionINS8_6system6detail7generic6detail18binary_search_lessEbEEEE10hipError_tPvRmT1_T2_T3_mmT4_T5_P12ihipStream_tbEUlRKsE_EESV_SZ_S10_mS11_S14_bEUlT_E_NS1_11comp_targetILNS1_3genE2ELNS1_11target_archE906ELNS1_3gpuE6ELNS1_3repE0EEENS1_30default_config_static_selectorELNS0_4arch9wavefront6targetE0EEEvSY_.kd
    .uniform_work_group_size: 1
    .uses_dynamic_stack: false
    .vgpr_count:     0
    .vgpr_spill_count: 0
    .wavefront_size: 32
    .workgroup_processor_mode: 1
  - .args:
      - .offset:         0
        .size:           56
        .value_kind:     by_value
    .group_segment_fixed_size: 0
    .kernarg_segment_align: 8
    .kernarg_segment_size: 56
    .language:       OpenCL C
    .language_version:
      - 2
      - 0
    .max_flat_workgroup_size: 256
    .name:           _ZN7rocprim17ROCPRIM_400000_NS6detail17trampoline_kernelINS0_14default_configENS1_27lower_bound_config_selectorIslEEZNS1_14transform_implILb0ES3_S5_N6thrust23THRUST_200600_302600_NS6detail15normal_iteratorINS8_7pointerIsNS8_11hip_rocprim5par_tENS8_11use_defaultESE_EEEENSA_INSB_IlSD_SE_SE_EEEEZNS1_13binary_searchIS3_S5_NSA_INS8_10device_ptrIsEEEESG_SI_NS1_21lower_bound_search_opENS9_16wrapped_functionINS8_6system6detail7generic6detail18binary_search_lessEbEEEE10hipError_tPvRmT1_T2_T3_mmT4_T5_P12ihipStream_tbEUlRKsE_EESV_SZ_S10_mS11_S14_bEUlT_E_NS1_11comp_targetILNS1_3genE10ELNS1_11target_archE1201ELNS1_3gpuE5ELNS1_3repE0EEENS1_30default_config_static_selectorELNS0_4arch9wavefront6targetE0EEEvSY_
    .private_segment_fixed_size: 0
    .sgpr_count:     0
    .sgpr_spill_count: 0
    .symbol:         _ZN7rocprim17ROCPRIM_400000_NS6detail17trampoline_kernelINS0_14default_configENS1_27lower_bound_config_selectorIslEEZNS1_14transform_implILb0ES3_S5_N6thrust23THRUST_200600_302600_NS6detail15normal_iteratorINS8_7pointerIsNS8_11hip_rocprim5par_tENS8_11use_defaultESE_EEEENSA_INSB_IlSD_SE_SE_EEEEZNS1_13binary_searchIS3_S5_NSA_INS8_10device_ptrIsEEEESG_SI_NS1_21lower_bound_search_opENS9_16wrapped_functionINS8_6system6detail7generic6detail18binary_search_lessEbEEEE10hipError_tPvRmT1_T2_T3_mmT4_T5_P12ihipStream_tbEUlRKsE_EESV_SZ_S10_mS11_S14_bEUlT_E_NS1_11comp_targetILNS1_3genE10ELNS1_11target_archE1201ELNS1_3gpuE5ELNS1_3repE0EEENS1_30default_config_static_selectorELNS0_4arch9wavefront6targetE0EEEvSY_.kd
    .uniform_work_group_size: 1
    .uses_dynamic_stack: false
    .vgpr_count:     0
    .vgpr_spill_count: 0
    .wavefront_size: 32
    .workgroup_processor_mode: 1
  - .args:
      - .offset:         0
        .size:           56
        .value_kind:     by_value
    .group_segment_fixed_size: 0
    .kernarg_segment_align: 8
    .kernarg_segment_size: 56
    .language:       OpenCL C
    .language_version:
      - 2
      - 0
    .max_flat_workgroup_size: 256
    .name:           _ZN7rocprim17ROCPRIM_400000_NS6detail17trampoline_kernelINS0_14default_configENS1_27lower_bound_config_selectorIslEEZNS1_14transform_implILb0ES3_S5_N6thrust23THRUST_200600_302600_NS6detail15normal_iteratorINS8_7pointerIsNS8_11hip_rocprim5par_tENS8_11use_defaultESE_EEEENSA_INSB_IlSD_SE_SE_EEEEZNS1_13binary_searchIS3_S5_NSA_INS8_10device_ptrIsEEEESG_SI_NS1_21lower_bound_search_opENS9_16wrapped_functionINS8_6system6detail7generic6detail18binary_search_lessEbEEEE10hipError_tPvRmT1_T2_T3_mmT4_T5_P12ihipStream_tbEUlRKsE_EESV_SZ_S10_mS11_S14_bEUlT_E_NS1_11comp_targetILNS1_3genE10ELNS1_11target_archE1200ELNS1_3gpuE4ELNS1_3repE0EEENS1_30default_config_static_selectorELNS0_4arch9wavefront6targetE0EEEvSY_
    .private_segment_fixed_size: 0
    .sgpr_count:     0
    .sgpr_spill_count: 0
    .symbol:         _ZN7rocprim17ROCPRIM_400000_NS6detail17trampoline_kernelINS0_14default_configENS1_27lower_bound_config_selectorIslEEZNS1_14transform_implILb0ES3_S5_N6thrust23THRUST_200600_302600_NS6detail15normal_iteratorINS8_7pointerIsNS8_11hip_rocprim5par_tENS8_11use_defaultESE_EEEENSA_INSB_IlSD_SE_SE_EEEEZNS1_13binary_searchIS3_S5_NSA_INS8_10device_ptrIsEEEESG_SI_NS1_21lower_bound_search_opENS9_16wrapped_functionINS8_6system6detail7generic6detail18binary_search_lessEbEEEE10hipError_tPvRmT1_T2_T3_mmT4_T5_P12ihipStream_tbEUlRKsE_EESV_SZ_S10_mS11_S14_bEUlT_E_NS1_11comp_targetILNS1_3genE10ELNS1_11target_archE1200ELNS1_3gpuE4ELNS1_3repE0EEENS1_30default_config_static_selectorELNS0_4arch9wavefront6targetE0EEEvSY_.kd
    .uniform_work_group_size: 1
    .uses_dynamic_stack: false
    .vgpr_count:     0
    .vgpr_spill_count: 0
    .wavefront_size: 32
    .workgroup_processor_mode: 1
  - .args:
      - .offset:         0
        .size:           56
        .value_kind:     by_value
    .group_segment_fixed_size: 0
    .kernarg_segment_align: 8
    .kernarg_segment_size: 56
    .language:       OpenCL C
    .language_version:
      - 2
      - 0
    .max_flat_workgroup_size: 64
    .name:           _ZN7rocprim17ROCPRIM_400000_NS6detail17trampoline_kernelINS0_14default_configENS1_27lower_bound_config_selectorIslEEZNS1_14transform_implILb0ES3_S5_N6thrust23THRUST_200600_302600_NS6detail15normal_iteratorINS8_7pointerIsNS8_11hip_rocprim5par_tENS8_11use_defaultESE_EEEENSA_INSB_IlSD_SE_SE_EEEEZNS1_13binary_searchIS3_S5_NSA_INS8_10device_ptrIsEEEESG_SI_NS1_21lower_bound_search_opENS9_16wrapped_functionINS8_6system6detail7generic6detail18binary_search_lessEbEEEE10hipError_tPvRmT1_T2_T3_mmT4_T5_P12ihipStream_tbEUlRKsE_EESV_SZ_S10_mS11_S14_bEUlT_E_NS1_11comp_targetILNS1_3genE9ELNS1_11target_archE1100ELNS1_3gpuE3ELNS1_3repE0EEENS1_30default_config_static_selectorELNS0_4arch9wavefront6targetE0EEEvSY_
    .private_segment_fixed_size: 0
    .sgpr_count:     0
    .sgpr_spill_count: 0
    .symbol:         _ZN7rocprim17ROCPRIM_400000_NS6detail17trampoline_kernelINS0_14default_configENS1_27lower_bound_config_selectorIslEEZNS1_14transform_implILb0ES3_S5_N6thrust23THRUST_200600_302600_NS6detail15normal_iteratorINS8_7pointerIsNS8_11hip_rocprim5par_tENS8_11use_defaultESE_EEEENSA_INSB_IlSD_SE_SE_EEEEZNS1_13binary_searchIS3_S5_NSA_INS8_10device_ptrIsEEEESG_SI_NS1_21lower_bound_search_opENS9_16wrapped_functionINS8_6system6detail7generic6detail18binary_search_lessEbEEEE10hipError_tPvRmT1_T2_T3_mmT4_T5_P12ihipStream_tbEUlRKsE_EESV_SZ_S10_mS11_S14_bEUlT_E_NS1_11comp_targetILNS1_3genE9ELNS1_11target_archE1100ELNS1_3gpuE3ELNS1_3repE0EEENS1_30default_config_static_selectorELNS0_4arch9wavefront6targetE0EEEvSY_.kd
    .uniform_work_group_size: 1
    .uses_dynamic_stack: false
    .vgpr_count:     0
    .vgpr_spill_count: 0
    .wavefront_size: 32
    .workgroup_processor_mode: 1
  - .args:
      - .offset:         0
        .size:           56
        .value_kind:     by_value
      - .offset:         56
        .size:           4
        .value_kind:     hidden_block_count_x
      - .offset:         60
        .size:           4
        .value_kind:     hidden_block_count_y
      - .offset:         64
        .size:           4
        .value_kind:     hidden_block_count_z
      - .offset:         68
        .size:           2
        .value_kind:     hidden_group_size_x
      - .offset:         70
        .size:           2
        .value_kind:     hidden_group_size_y
      - .offset:         72
        .size:           2
        .value_kind:     hidden_group_size_z
      - .offset:         74
        .size:           2
        .value_kind:     hidden_remainder_x
      - .offset:         76
        .size:           2
        .value_kind:     hidden_remainder_y
      - .offset:         78
        .size:           2
        .value_kind:     hidden_remainder_z
      - .offset:         96
        .size:           8
        .value_kind:     hidden_global_offset_x
      - .offset:         104
        .size:           8
        .value_kind:     hidden_global_offset_y
      - .offset:         112
        .size:           8
        .value_kind:     hidden_global_offset_z
      - .offset:         120
        .size:           2
        .value_kind:     hidden_grid_dims
    .group_segment_fixed_size: 0
    .kernarg_segment_align: 8
    .kernarg_segment_size: 312
    .language:       OpenCL C
    .language_version:
      - 2
      - 0
    .max_flat_workgroup_size: 128
    .name:           _ZN7rocprim17ROCPRIM_400000_NS6detail17trampoline_kernelINS0_14default_configENS1_27lower_bound_config_selectorIslEEZNS1_14transform_implILb0ES3_S5_N6thrust23THRUST_200600_302600_NS6detail15normal_iteratorINS8_7pointerIsNS8_11hip_rocprim5par_tENS8_11use_defaultESE_EEEENSA_INSB_IlSD_SE_SE_EEEEZNS1_13binary_searchIS3_S5_NSA_INS8_10device_ptrIsEEEESG_SI_NS1_21lower_bound_search_opENS9_16wrapped_functionINS8_6system6detail7generic6detail18binary_search_lessEbEEEE10hipError_tPvRmT1_T2_T3_mmT4_T5_P12ihipStream_tbEUlRKsE_EESV_SZ_S10_mS11_S14_bEUlT_E_NS1_11comp_targetILNS1_3genE8ELNS1_11target_archE1030ELNS1_3gpuE2ELNS1_3repE0EEENS1_30default_config_static_selectorELNS0_4arch9wavefront6targetE0EEEvSY_
    .private_segment_fixed_size: 0
    .sgpr_count:     22
    .sgpr_spill_count: 0
    .symbol:         _ZN7rocprim17ROCPRIM_400000_NS6detail17trampoline_kernelINS0_14default_configENS1_27lower_bound_config_selectorIslEEZNS1_14transform_implILb0ES3_S5_N6thrust23THRUST_200600_302600_NS6detail15normal_iteratorINS8_7pointerIsNS8_11hip_rocprim5par_tENS8_11use_defaultESE_EEEENSA_INSB_IlSD_SE_SE_EEEEZNS1_13binary_searchIS3_S5_NSA_INS8_10device_ptrIsEEEESG_SI_NS1_21lower_bound_search_opENS9_16wrapped_functionINS8_6system6detail7generic6detail18binary_search_lessEbEEEE10hipError_tPvRmT1_T2_T3_mmT4_T5_P12ihipStream_tbEUlRKsE_EESV_SZ_S10_mS11_S14_bEUlT_E_NS1_11comp_targetILNS1_3genE8ELNS1_11target_archE1030ELNS1_3gpuE2ELNS1_3repE0EEENS1_30default_config_static_selectorELNS0_4arch9wavefront6targetE0EEEvSY_.kd
    .uniform_work_group_size: 1
    .uses_dynamic_stack: false
    .vgpr_count:     17
    .vgpr_spill_count: 0
    .wavefront_size: 32
    .workgroup_processor_mode: 1
  - .args:
      - .offset:         0
        .size:           16
        .value_kind:     by_value
      - .offset:         16
        .size:           8
        .value_kind:     by_value
      - .offset:         24
        .size:           8
        .value_kind:     by_value
    .group_segment_fixed_size: 0
    .kernarg_segment_align: 8
    .kernarg_segment_size: 32
    .language:       OpenCL C
    .language_version:
      - 2
      - 0
    .max_flat_workgroup_size: 256
    .name:           _ZN6thrust23THRUST_200600_302600_NS11hip_rocprim14__parallel_for6kernelILj256ENS1_10for_each_fINS0_10device_ptrINS0_5tupleIiiNS0_9null_typeES7_S7_S7_S7_S7_S7_S7_EEEENS0_6detail16wrapped_functionINSA_23allocator_traits_detail24construct1_via_allocatorINS0_16device_allocatorIS8_EEEEvEEEEmLj1EEEvT0_T1_SK_
    .private_segment_fixed_size: 0
    .sgpr_count:     14
    .sgpr_spill_count: 0
    .symbol:         _ZN6thrust23THRUST_200600_302600_NS11hip_rocprim14__parallel_for6kernelILj256ENS1_10for_each_fINS0_10device_ptrINS0_5tupleIiiNS0_9null_typeES7_S7_S7_S7_S7_S7_S7_EEEENS0_6detail16wrapped_functionINSA_23allocator_traits_detail24construct1_via_allocatorINS0_16device_allocatorIS8_EEEEvEEEEmLj1EEEvT0_T1_SK_.kd
    .uniform_work_group_size: 1
    .uses_dynamic_stack: false
    .vgpr_count:     5
    .vgpr_spill_count: 0
    .wavefront_size: 32
    .workgroup_processor_mode: 1
  - .args:
      - .offset:         0
        .size:           16
        .value_kind:     by_value
      - .offset:         16
        .size:           8
        .value_kind:     by_value
      - .offset:         24
        .size:           8
        .value_kind:     by_value
    .group_segment_fixed_size: 0
    .kernarg_segment_align: 8
    .kernarg_segment_size: 32
    .language:       OpenCL C
    .language_version:
      - 2
      - 0
    .max_flat_workgroup_size: 256
    .name:           _ZN6thrust23THRUST_200600_302600_NS11hip_rocprim14__parallel_for6kernelILj256ENS1_10for_each_fINS0_10device_ptrINS0_5tupleIiiNS0_9null_typeES7_S7_S7_S7_S7_S7_S7_EEEENS0_6detail16wrapped_functionINSA_23allocator_traits_detail5gozerEvEEEElLj1EEEvT0_T1_SH_
    .private_segment_fixed_size: 0
    .sgpr_count:     0
    .sgpr_spill_count: 0
    .symbol:         _ZN6thrust23THRUST_200600_302600_NS11hip_rocprim14__parallel_for6kernelILj256ENS1_10for_each_fINS0_10device_ptrINS0_5tupleIiiNS0_9null_typeES7_S7_S7_S7_S7_S7_S7_EEEENS0_6detail16wrapped_functionINSA_23allocator_traits_detail5gozerEvEEEElLj1EEEvT0_T1_SH_.kd
    .uniform_work_group_size: 1
    .uses_dynamic_stack: false
    .vgpr_count:     0
    .vgpr_spill_count: 0
    .wavefront_size: 32
    .workgroup_processor_mode: 1
  - .args:
      - .offset:         0
        .size:           16
        .value_kind:     by_value
      - .offset:         16
        .size:           8
        .value_kind:     by_value
      - .offset:         24
        .size:           8
        .value_kind:     by_value
    .group_segment_fixed_size: 0
    .kernarg_segment_align: 8
    .kernarg_segment_size: 32
    .language:       OpenCL C
    .language_version:
      - 2
      - 0
    .max_flat_workgroup_size: 256
    .name:           _ZN6thrust23THRUST_200600_302600_NS11hip_rocprim14__parallel_for6kernelILj256ENS1_10for_each_fINS0_7pointerINS0_5tupleIiiNS0_9null_typeES7_S7_S7_S7_S7_S7_S7_EENS1_3tagENS0_11use_defaultESA_EENS0_6detail16wrapped_functionINSC_23allocator_traits_detail24construct1_via_allocatorINSC_18no_throw_allocatorINSC_19temporary_allocatorIS8_S9_EEEEEEvEEEEmLj1EEEvT0_T1_SO_
    .private_segment_fixed_size: 0
    .sgpr_count:     14
    .sgpr_spill_count: 0
    .symbol:         _ZN6thrust23THRUST_200600_302600_NS11hip_rocprim14__parallel_for6kernelILj256ENS1_10for_each_fINS0_7pointerINS0_5tupleIiiNS0_9null_typeES7_S7_S7_S7_S7_S7_S7_EENS1_3tagENS0_11use_defaultESA_EENS0_6detail16wrapped_functionINSC_23allocator_traits_detail24construct1_via_allocatorINSC_18no_throw_allocatorINSC_19temporary_allocatorIS8_S9_EEEEEEvEEEEmLj1EEEvT0_T1_SO_.kd
    .uniform_work_group_size: 1
    .uses_dynamic_stack: false
    .vgpr_count:     5
    .vgpr_spill_count: 0
    .wavefront_size: 32
    .workgroup_processor_mode: 1
  - .args:
      - .offset:         0
        .size:           16
        .value_kind:     by_value
      - .offset:         16
        .size:           8
        .value_kind:     by_value
      - .offset:         24
        .size:           8
        .value_kind:     by_value
    .group_segment_fixed_size: 0
    .kernarg_segment_align: 8
    .kernarg_segment_size: 32
    .language:       OpenCL C
    .language_version:
      - 2
      - 0
    .max_flat_workgroup_size: 256
    .name:           _ZN6thrust23THRUST_200600_302600_NS11hip_rocprim14__parallel_for6kernelILj256ENS1_10for_each_fINS0_7pointerINS0_5tupleIiiNS0_9null_typeES7_S7_S7_S7_S7_S7_S7_EENS1_3tagENS0_11use_defaultESA_EENS0_6detail16wrapped_functionINSC_23allocator_traits_detail5gozerEvEEEElLj1EEEvT0_T1_SJ_
    .private_segment_fixed_size: 0
    .sgpr_count:     0
    .sgpr_spill_count: 0
    .symbol:         _ZN6thrust23THRUST_200600_302600_NS11hip_rocprim14__parallel_for6kernelILj256ENS1_10for_each_fINS0_7pointerINS0_5tupleIiiNS0_9null_typeES7_S7_S7_S7_S7_S7_S7_EENS1_3tagENS0_11use_defaultESA_EENS0_6detail16wrapped_functionINSC_23allocator_traits_detail5gozerEvEEEElLj1EEEvT0_T1_SJ_.kd
    .uniform_work_group_size: 1
    .uses_dynamic_stack: false
    .vgpr_count:     0
    .vgpr_spill_count: 0
    .wavefront_size: 32
    .workgroup_processor_mode: 1
  - .args:
      - .offset:         0
        .size:           24
        .value_kind:     by_value
      - .offset:         24
        .size:           8
        .value_kind:     by_value
      - .offset:         32
        .size:           8
        .value_kind:     by_value
    .group_segment_fixed_size: 0
    .kernarg_segment_align: 8
    .kernarg_segment_size: 40
    .language:       OpenCL C
    .language_version:
      - 2
      - 0
    .max_flat_workgroup_size: 256
    .name:           _ZN6thrust23THRUST_200600_302600_NS11hip_rocprim14__parallel_for6kernelILj256ENS1_11__transform17unary_transform_fINS0_7pointerINS0_5tupleIiiNS0_9null_typeES8_S8_S8_S8_S8_S8_S8_EENS1_3tagENS0_11use_defaultESB_EENS0_10device_ptrIS9_EENS4_14no_stencil_tagENS0_8identityIS9_EENS4_21always_true_predicateEEElLj1EEEvT0_T1_SL_
    .private_segment_fixed_size: 0
    .sgpr_count:     14
    .sgpr_spill_count: 0
    .symbol:         _ZN6thrust23THRUST_200600_302600_NS11hip_rocprim14__parallel_for6kernelILj256ENS1_11__transform17unary_transform_fINS0_7pointerINS0_5tupleIiiNS0_9null_typeES8_S8_S8_S8_S8_S8_S8_EENS1_3tagENS0_11use_defaultESB_EENS0_10device_ptrIS9_EENS4_14no_stencil_tagENS0_8identityIS9_EENS4_21always_true_predicateEEElLj1EEEvT0_T1_SL_.kd
    .uniform_work_group_size: 1
    .uses_dynamic_stack: false
    .vgpr_count:     5
    .vgpr_spill_count: 0
    .wavefront_size: 32
    .workgroup_processor_mode: 1
  - .args:
      - .offset:         0
        .size:           16
        .value_kind:     by_value
      - .offset:         16
        .size:           8
        .value_kind:     by_value
      - .offset:         24
        .size:           8
        .value_kind:     by_value
    .group_segment_fixed_size: 0
    .kernarg_segment_align: 8
    .kernarg_segment_size: 32
    .language:       OpenCL C
    .language_version:
      - 2
      - 0
    .max_flat_workgroup_size: 256
    .name:           _ZN6thrust23THRUST_200600_302600_NS11hip_rocprim14__parallel_for6kernelILj256ENS1_20__uninitialized_copy7functorINS0_7pointerINS0_5tupleIiiNS0_9null_typeES8_S8_S8_S8_S8_S8_S8_EENS1_3tagENS0_11use_defaultESB_EESC_EEmLj1EEEvT0_T1_SF_
    .private_segment_fixed_size: 0
    .sgpr_count:     18
    .sgpr_spill_count: 0
    .symbol:         _ZN6thrust23THRUST_200600_302600_NS11hip_rocprim14__parallel_for6kernelILj256ENS1_20__uninitialized_copy7functorINS0_7pointerINS0_5tupleIiiNS0_9null_typeES8_S8_S8_S8_S8_S8_S8_EENS1_3tagENS0_11use_defaultESB_EESC_EEmLj1EEEvT0_T1_SF_.kd
    .uniform_work_group_size: 1
    .uses_dynamic_stack: false
    .vgpr_count:     5
    .vgpr_spill_count: 0
    .wavefront_size: 32
    .workgroup_processor_mode: 1
  - .args:
      - .offset:         0
        .size:           16
        .value_kind:     by_value
      - .offset:         16
        .size:           8
        .value_kind:     by_value
      - .offset:         24
        .size:           8
        .value_kind:     by_value
    .group_segment_fixed_size: 0
    .kernarg_segment_align: 8
    .kernarg_segment_size: 32
    .language:       OpenCL C
    .language_version:
      - 2
      - 0
    .max_flat_workgroup_size: 256
    .name:           _ZN6thrust23THRUST_200600_302600_NS11hip_rocprim14__parallel_for6kernelILj256ENS1_10for_each_fINS0_7pointerINS0_5tupleIiiNS0_9null_typeES7_S7_S7_S7_S7_S7_S7_EENS1_5par_tENS0_11use_defaultESA_EENS0_6detail16wrapped_functionINSC_23allocator_traits_detail24construct1_via_allocatorINSC_18no_throw_allocatorINSC_19temporary_allocatorIS8_S9_EEEEEEvEEEEmLj1EEEvT0_T1_SO_
    .private_segment_fixed_size: 0
    .sgpr_count:     14
    .sgpr_spill_count: 0
    .symbol:         _ZN6thrust23THRUST_200600_302600_NS11hip_rocprim14__parallel_for6kernelILj256ENS1_10for_each_fINS0_7pointerINS0_5tupleIiiNS0_9null_typeES7_S7_S7_S7_S7_S7_S7_EENS1_5par_tENS0_11use_defaultESA_EENS0_6detail16wrapped_functionINSC_23allocator_traits_detail24construct1_via_allocatorINSC_18no_throw_allocatorINSC_19temporary_allocatorIS8_S9_EEEEEEvEEEEmLj1EEEvT0_T1_SO_.kd
    .uniform_work_group_size: 1
    .uses_dynamic_stack: false
    .vgpr_count:     5
    .vgpr_spill_count: 0
    .wavefront_size: 32
    .workgroup_processor_mode: 1
  - .args:
      - .offset:         0
        .size:           16
        .value_kind:     by_value
      - .offset:         16
        .size:           8
        .value_kind:     by_value
      - .offset:         24
        .size:           8
        .value_kind:     by_value
    .group_segment_fixed_size: 0
    .kernarg_segment_align: 8
    .kernarg_segment_size: 32
    .language:       OpenCL C
    .language_version:
      - 2
      - 0
    .max_flat_workgroup_size: 256
    .name:           _ZN6thrust23THRUST_200600_302600_NS11hip_rocprim14__parallel_for6kernelILj256ENS1_10for_each_fINS0_7pointerINS0_5tupleIiiNS0_9null_typeES7_S7_S7_S7_S7_S7_S7_EENS1_5par_tENS0_11use_defaultESA_EENS0_6detail16wrapped_functionINSC_23allocator_traits_detail5gozerEvEEEElLj1EEEvT0_T1_SJ_
    .private_segment_fixed_size: 0
    .sgpr_count:     0
    .sgpr_spill_count: 0
    .symbol:         _ZN6thrust23THRUST_200600_302600_NS11hip_rocprim14__parallel_for6kernelILj256ENS1_10for_each_fINS0_7pointerINS0_5tupleIiiNS0_9null_typeES7_S7_S7_S7_S7_S7_S7_EENS1_5par_tENS0_11use_defaultESA_EENS0_6detail16wrapped_functionINSC_23allocator_traits_detail5gozerEvEEEElLj1EEEvT0_T1_SJ_.kd
    .uniform_work_group_size: 1
    .uses_dynamic_stack: false
    .vgpr_count:     0
    .vgpr_spill_count: 0
    .wavefront_size: 32
    .workgroup_processor_mode: 1
  - .args:
      - .offset:         0
        .size:           24
        .value_kind:     by_value
      - .offset:         24
        .size:           8
        .value_kind:     by_value
      - .offset:         32
        .size:           8
        .value_kind:     by_value
    .group_segment_fixed_size: 0
    .kernarg_segment_align: 8
    .kernarg_segment_size: 40
    .language:       OpenCL C
    .language_version:
      - 2
      - 0
    .max_flat_workgroup_size: 256
    .name:           _ZN6thrust23THRUST_200600_302600_NS11hip_rocprim14__parallel_for6kernelILj256ENS1_11__transform17unary_transform_fINS0_7pointerINS0_5tupleIiiNS0_9null_typeES8_S8_S8_S8_S8_S8_S8_EENS1_5par_tENS0_11use_defaultESB_EENS0_6detail15normal_iteratorISC_EENS4_14no_stencil_tagENS0_8identityIS9_EENS4_21always_true_predicateEEElLj1EEEvT0_T1_SM_
    .private_segment_fixed_size: 0
    .sgpr_count:     14
    .sgpr_spill_count: 0
    .symbol:         _ZN6thrust23THRUST_200600_302600_NS11hip_rocprim14__parallel_for6kernelILj256ENS1_11__transform17unary_transform_fINS0_7pointerINS0_5tupleIiiNS0_9null_typeES8_S8_S8_S8_S8_S8_S8_EENS1_5par_tENS0_11use_defaultESB_EENS0_6detail15normal_iteratorISC_EENS4_14no_stencil_tagENS0_8identityIS9_EENS4_21always_true_predicateEEElLj1EEEvT0_T1_SM_.kd
    .uniform_work_group_size: 1
    .uses_dynamic_stack: false
    .vgpr_count:     5
    .vgpr_spill_count: 0
    .wavefront_size: 32
    .workgroup_processor_mode: 1
  - .args:
      - .offset:         0
        .size:           24
        .value_kind:     by_value
      - .offset:         24
        .size:           8
        .value_kind:     by_value
      - .offset:         32
        .size:           8
        .value_kind:     by_value
    .group_segment_fixed_size: 0
    .kernarg_segment_align: 8
    .kernarg_segment_size: 40
    .language:       OpenCL C
    .language_version:
      - 2
      - 0
    .max_flat_workgroup_size: 256
    .name:           _ZN6thrust23THRUST_200600_302600_NS11hip_rocprim14__parallel_for6kernelILj256ENS1_11__transform17unary_transform_fINS0_7pointerINS0_5tupleIiiNS0_9null_typeES8_S8_S8_S8_S8_S8_S8_EENS1_5par_tENS0_11use_defaultESB_EESC_NS4_14no_stencil_tagENS0_8identityIS9_EENS4_21always_true_predicateEEElLj1EEEvT0_T1_SJ_
    .private_segment_fixed_size: 0
    .sgpr_count:     14
    .sgpr_spill_count: 0
    .symbol:         _ZN6thrust23THRUST_200600_302600_NS11hip_rocprim14__parallel_for6kernelILj256ENS1_11__transform17unary_transform_fINS0_7pointerINS0_5tupleIiiNS0_9null_typeES8_S8_S8_S8_S8_S8_S8_EENS1_5par_tENS0_11use_defaultESB_EESC_NS4_14no_stencil_tagENS0_8identityIS9_EENS4_21always_true_predicateEEElLj1EEEvT0_T1_SJ_.kd
    .uniform_work_group_size: 1
    .uses_dynamic_stack: false
    .vgpr_count:     5
    .vgpr_spill_count: 0
    .wavefront_size: 32
    .workgroup_processor_mode: 1
  - .args:
      - .offset:         0
        .size:           56
        .value_kind:     by_value
    .group_segment_fixed_size: 0
    .kernarg_segment_align: 8
    .kernarg_segment_size: 56
    .language:       OpenCL C
    .language_version:
      - 2
      - 0
    .max_flat_workgroup_size: 128
    .name:           _ZN7rocprim17ROCPRIM_400000_NS6detail17trampoline_kernelINS0_14default_configENS1_27lower_bound_config_selectorIN6thrust23THRUST_200600_302600_NS5tupleIiiNS6_9null_typeES8_S8_S8_S8_S8_S8_S8_EElEEZNS1_14transform_implILb0ES3_SA_NS6_6detail15normal_iteratorINS6_7pointerIS9_NS6_11hip_rocprim5par_tENS6_11use_defaultESH_EEEENSD_INSE_IlSG_SH_SH_EEEEZNS1_13binary_searchIS3_SA_NSD_INS6_10device_ptrIS9_EEEESJ_SL_NS1_21lower_bound_search_opENSC_16wrapped_functionINS6_6system6detail7generic6detail18binary_search_lessEbEEEE10hipError_tPvRmT1_T2_T3_mmT4_T5_P12ihipStream_tbEUlRKS9_E_EESY_S12_S13_mS14_S17_bEUlT_E_NS1_11comp_targetILNS1_3genE0ELNS1_11target_archE4294967295ELNS1_3gpuE0ELNS1_3repE0EEENS1_30default_config_static_selectorELNS0_4arch9wavefront6targetE0EEEvS11_
    .private_segment_fixed_size: 0
    .sgpr_count:     0
    .sgpr_spill_count: 0
    .symbol:         _ZN7rocprim17ROCPRIM_400000_NS6detail17trampoline_kernelINS0_14default_configENS1_27lower_bound_config_selectorIN6thrust23THRUST_200600_302600_NS5tupleIiiNS6_9null_typeES8_S8_S8_S8_S8_S8_S8_EElEEZNS1_14transform_implILb0ES3_SA_NS6_6detail15normal_iteratorINS6_7pointerIS9_NS6_11hip_rocprim5par_tENS6_11use_defaultESH_EEEENSD_INSE_IlSG_SH_SH_EEEEZNS1_13binary_searchIS3_SA_NSD_INS6_10device_ptrIS9_EEEESJ_SL_NS1_21lower_bound_search_opENSC_16wrapped_functionINS6_6system6detail7generic6detail18binary_search_lessEbEEEE10hipError_tPvRmT1_T2_T3_mmT4_T5_P12ihipStream_tbEUlRKS9_E_EESY_S12_S13_mS14_S17_bEUlT_E_NS1_11comp_targetILNS1_3genE0ELNS1_11target_archE4294967295ELNS1_3gpuE0ELNS1_3repE0EEENS1_30default_config_static_selectorELNS0_4arch9wavefront6targetE0EEEvS11_.kd
    .uniform_work_group_size: 1
    .uses_dynamic_stack: false
    .vgpr_count:     0
    .vgpr_spill_count: 0
    .wavefront_size: 32
    .workgroup_processor_mode: 1
  - .args:
      - .offset:         0
        .size:           56
        .value_kind:     by_value
    .group_segment_fixed_size: 0
    .kernarg_segment_align: 8
    .kernarg_segment_size: 56
    .language:       OpenCL C
    .language_version:
      - 2
      - 0
    .max_flat_workgroup_size: 64
    .name:           _ZN7rocprim17ROCPRIM_400000_NS6detail17trampoline_kernelINS0_14default_configENS1_27lower_bound_config_selectorIN6thrust23THRUST_200600_302600_NS5tupleIiiNS6_9null_typeES8_S8_S8_S8_S8_S8_S8_EElEEZNS1_14transform_implILb0ES3_SA_NS6_6detail15normal_iteratorINS6_7pointerIS9_NS6_11hip_rocprim5par_tENS6_11use_defaultESH_EEEENSD_INSE_IlSG_SH_SH_EEEEZNS1_13binary_searchIS3_SA_NSD_INS6_10device_ptrIS9_EEEESJ_SL_NS1_21lower_bound_search_opENSC_16wrapped_functionINS6_6system6detail7generic6detail18binary_search_lessEbEEEE10hipError_tPvRmT1_T2_T3_mmT4_T5_P12ihipStream_tbEUlRKS9_E_EESY_S12_S13_mS14_S17_bEUlT_E_NS1_11comp_targetILNS1_3genE5ELNS1_11target_archE942ELNS1_3gpuE9ELNS1_3repE0EEENS1_30default_config_static_selectorELNS0_4arch9wavefront6targetE0EEEvS11_
    .private_segment_fixed_size: 0
    .sgpr_count:     0
    .sgpr_spill_count: 0
    .symbol:         _ZN7rocprim17ROCPRIM_400000_NS6detail17trampoline_kernelINS0_14default_configENS1_27lower_bound_config_selectorIN6thrust23THRUST_200600_302600_NS5tupleIiiNS6_9null_typeES8_S8_S8_S8_S8_S8_S8_EElEEZNS1_14transform_implILb0ES3_SA_NS6_6detail15normal_iteratorINS6_7pointerIS9_NS6_11hip_rocprim5par_tENS6_11use_defaultESH_EEEENSD_INSE_IlSG_SH_SH_EEEEZNS1_13binary_searchIS3_SA_NSD_INS6_10device_ptrIS9_EEEESJ_SL_NS1_21lower_bound_search_opENSC_16wrapped_functionINS6_6system6detail7generic6detail18binary_search_lessEbEEEE10hipError_tPvRmT1_T2_T3_mmT4_T5_P12ihipStream_tbEUlRKS9_E_EESY_S12_S13_mS14_S17_bEUlT_E_NS1_11comp_targetILNS1_3genE5ELNS1_11target_archE942ELNS1_3gpuE9ELNS1_3repE0EEENS1_30default_config_static_selectorELNS0_4arch9wavefront6targetE0EEEvS11_.kd
    .uniform_work_group_size: 1
    .uses_dynamic_stack: false
    .vgpr_count:     0
    .vgpr_spill_count: 0
    .wavefront_size: 32
    .workgroup_processor_mode: 1
  - .args:
      - .offset:         0
        .size:           56
        .value_kind:     by_value
    .group_segment_fixed_size: 0
    .kernarg_segment_align: 8
    .kernarg_segment_size: 56
    .language:       OpenCL C
    .language_version:
      - 2
      - 0
    .max_flat_workgroup_size: 64
    .name:           _ZN7rocprim17ROCPRIM_400000_NS6detail17trampoline_kernelINS0_14default_configENS1_27lower_bound_config_selectorIN6thrust23THRUST_200600_302600_NS5tupleIiiNS6_9null_typeES8_S8_S8_S8_S8_S8_S8_EElEEZNS1_14transform_implILb0ES3_SA_NS6_6detail15normal_iteratorINS6_7pointerIS9_NS6_11hip_rocprim5par_tENS6_11use_defaultESH_EEEENSD_INSE_IlSG_SH_SH_EEEEZNS1_13binary_searchIS3_SA_NSD_INS6_10device_ptrIS9_EEEESJ_SL_NS1_21lower_bound_search_opENSC_16wrapped_functionINS6_6system6detail7generic6detail18binary_search_lessEbEEEE10hipError_tPvRmT1_T2_T3_mmT4_T5_P12ihipStream_tbEUlRKS9_E_EESY_S12_S13_mS14_S17_bEUlT_E_NS1_11comp_targetILNS1_3genE4ELNS1_11target_archE910ELNS1_3gpuE8ELNS1_3repE0EEENS1_30default_config_static_selectorELNS0_4arch9wavefront6targetE0EEEvS11_
    .private_segment_fixed_size: 0
    .sgpr_count:     0
    .sgpr_spill_count: 0
    .symbol:         _ZN7rocprim17ROCPRIM_400000_NS6detail17trampoline_kernelINS0_14default_configENS1_27lower_bound_config_selectorIN6thrust23THRUST_200600_302600_NS5tupleIiiNS6_9null_typeES8_S8_S8_S8_S8_S8_S8_EElEEZNS1_14transform_implILb0ES3_SA_NS6_6detail15normal_iteratorINS6_7pointerIS9_NS6_11hip_rocprim5par_tENS6_11use_defaultESH_EEEENSD_INSE_IlSG_SH_SH_EEEEZNS1_13binary_searchIS3_SA_NSD_INS6_10device_ptrIS9_EEEESJ_SL_NS1_21lower_bound_search_opENSC_16wrapped_functionINS6_6system6detail7generic6detail18binary_search_lessEbEEEE10hipError_tPvRmT1_T2_T3_mmT4_T5_P12ihipStream_tbEUlRKS9_E_EESY_S12_S13_mS14_S17_bEUlT_E_NS1_11comp_targetILNS1_3genE4ELNS1_11target_archE910ELNS1_3gpuE8ELNS1_3repE0EEENS1_30default_config_static_selectorELNS0_4arch9wavefront6targetE0EEEvS11_.kd
    .uniform_work_group_size: 1
    .uses_dynamic_stack: false
    .vgpr_count:     0
    .vgpr_spill_count: 0
    .wavefront_size: 32
    .workgroup_processor_mode: 1
  - .args:
      - .offset:         0
        .size:           56
        .value_kind:     by_value
    .group_segment_fixed_size: 0
    .kernarg_segment_align: 8
    .kernarg_segment_size: 56
    .language:       OpenCL C
    .language_version:
      - 2
      - 0
    .max_flat_workgroup_size: 128
    .name:           _ZN7rocprim17ROCPRIM_400000_NS6detail17trampoline_kernelINS0_14default_configENS1_27lower_bound_config_selectorIN6thrust23THRUST_200600_302600_NS5tupleIiiNS6_9null_typeES8_S8_S8_S8_S8_S8_S8_EElEEZNS1_14transform_implILb0ES3_SA_NS6_6detail15normal_iteratorINS6_7pointerIS9_NS6_11hip_rocprim5par_tENS6_11use_defaultESH_EEEENSD_INSE_IlSG_SH_SH_EEEEZNS1_13binary_searchIS3_SA_NSD_INS6_10device_ptrIS9_EEEESJ_SL_NS1_21lower_bound_search_opENSC_16wrapped_functionINS6_6system6detail7generic6detail18binary_search_lessEbEEEE10hipError_tPvRmT1_T2_T3_mmT4_T5_P12ihipStream_tbEUlRKS9_E_EESY_S12_S13_mS14_S17_bEUlT_E_NS1_11comp_targetILNS1_3genE3ELNS1_11target_archE908ELNS1_3gpuE7ELNS1_3repE0EEENS1_30default_config_static_selectorELNS0_4arch9wavefront6targetE0EEEvS11_
    .private_segment_fixed_size: 0
    .sgpr_count:     0
    .sgpr_spill_count: 0
    .symbol:         _ZN7rocprim17ROCPRIM_400000_NS6detail17trampoline_kernelINS0_14default_configENS1_27lower_bound_config_selectorIN6thrust23THRUST_200600_302600_NS5tupleIiiNS6_9null_typeES8_S8_S8_S8_S8_S8_S8_EElEEZNS1_14transform_implILb0ES3_SA_NS6_6detail15normal_iteratorINS6_7pointerIS9_NS6_11hip_rocprim5par_tENS6_11use_defaultESH_EEEENSD_INSE_IlSG_SH_SH_EEEEZNS1_13binary_searchIS3_SA_NSD_INS6_10device_ptrIS9_EEEESJ_SL_NS1_21lower_bound_search_opENSC_16wrapped_functionINS6_6system6detail7generic6detail18binary_search_lessEbEEEE10hipError_tPvRmT1_T2_T3_mmT4_T5_P12ihipStream_tbEUlRKS9_E_EESY_S12_S13_mS14_S17_bEUlT_E_NS1_11comp_targetILNS1_3genE3ELNS1_11target_archE908ELNS1_3gpuE7ELNS1_3repE0EEENS1_30default_config_static_selectorELNS0_4arch9wavefront6targetE0EEEvS11_.kd
    .uniform_work_group_size: 1
    .uses_dynamic_stack: false
    .vgpr_count:     0
    .vgpr_spill_count: 0
    .wavefront_size: 32
    .workgroup_processor_mode: 1
  - .args:
      - .offset:         0
        .size:           56
        .value_kind:     by_value
    .group_segment_fixed_size: 0
    .kernarg_segment_align: 8
    .kernarg_segment_size: 56
    .language:       OpenCL C
    .language_version:
      - 2
      - 0
    .max_flat_workgroup_size: 256
    .name:           _ZN7rocprim17ROCPRIM_400000_NS6detail17trampoline_kernelINS0_14default_configENS1_27lower_bound_config_selectorIN6thrust23THRUST_200600_302600_NS5tupleIiiNS6_9null_typeES8_S8_S8_S8_S8_S8_S8_EElEEZNS1_14transform_implILb0ES3_SA_NS6_6detail15normal_iteratorINS6_7pointerIS9_NS6_11hip_rocprim5par_tENS6_11use_defaultESH_EEEENSD_INSE_IlSG_SH_SH_EEEEZNS1_13binary_searchIS3_SA_NSD_INS6_10device_ptrIS9_EEEESJ_SL_NS1_21lower_bound_search_opENSC_16wrapped_functionINS6_6system6detail7generic6detail18binary_search_lessEbEEEE10hipError_tPvRmT1_T2_T3_mmT4_T5_P12ihipStream_tbEUlRKS9_E_EESY_S12_S13_mS14_S17_bEUlT_E_NS1_11comp_targetILNS1_3genE2ELNS1_11target_archE906ELNS1_3gpuE6ELNS1_3repE0EEENS1_30default_config_static_selectorELNS0_4arch9wavefront6targetE0EEEvS11_
    .private_segment_fixed_size: 0
    .sgpr_count:     0
    .sgpr_spill_count: 0
    .symbol:         _ZN7rocprim17ROCPRIM_400000_NS6detail17trampoline_kernelINS0_14default_configENS1_27lower_bound_config_selectorIN6thrust23THRUST_200600_302600_NS5tupleIiiNS6_9null_typeES8_S8_S8_S8_S8_S8_S8_EElEEZNS1_14transform_implILb0ES3_SA_NS6_6detail15normal_iteratorINS6_7pointerIS9_NS6_11hip_rocprim5par_tENS6_11use_defaultESH_EEEENSD_INSE_IlSG_SH_SH_EEEEZNS1_13binary_searchIS3_SA_NSD_INS6_10device_ptrIS9_EEEESJ_SL_NS1_21lower_bound_search_opENSC_16wrapped_functionINS6_6system6detail7generic6detail18binary_search_lessEbEEEE10hipError_tPvRmT1_T2_T3_mmT4_T5_P12ihipStream_tbEUlRKS9_E_EESY_S12_S13_mS14_S17_bEUlT_E_NS1_11comp_targetILNS1_3genE2ELNS1_11target_archE906ELNS1_3gpuE6ELNS1_3repE0EEENS1_30default_config_static_selectorELNS0_4arch9wavefront6targetE0EEEvS11_.kd
    .uniform_work_group_size: 1
    .uses_dynamic_stack: false
    .vgpr_count:     0
    .vgpr_spill_count: 0
    .wavefront_size: 32
    .workgroup_processor_mode: 1
  - .args:
      - .offset:         0
        .size:           56
        .value_kind:     by_value
    .group_segment_fixed_size: 0
    .kernarg_segment_align: 8
    .kernarg_segment_size: 56
    .language:       OpenCL C
    .language_version:
      - 2
      - 0
    .max_flat_workgroup_size: 128
    .name:           _ZN7rocprim17ROCPRIM_400000_NS6detail17trampoline_kernelINS0_14default_configENS1_27lower_bound_config_selectorIN6thrust23THRUST_200600_302600_NS5tupleIiiNS6_9null_typeES8_S8_S8_S8_S8_S8_S8_EElEEZNS1_14transform_implILb0ES3_SA_NS6_6detail15normal_iteratorINS6_7pointerIS9_NS6_11hip_rocprim5par_tENS6_11use_defaultESH_EEEENSD_INSE_IlSG_SH_SH_EEEEZNS1_13binary_searchIS3_SA_NSD_INS6_10device_ptrIS9_EEEESJ_SL_NS1_21lower_bound_search_opENSC_16wrapped_functionINS6_6system6detail7generic6detail18binary_search_lessEbEEEE10hipError_tPvRmT1_T2_T3_mmT4_T5_P12ihipStream_tbEUlRKS9_E_EESY_S12_S13_mS14_S17_bEUlT_E_NS1_11comp_targetILNS1_3genE10ELNS1_11target_archE1201ELNS1_3gpuE5ELNS1_3repE0EEENS1_30default_config_static_selectorELNS0_4arch9wavefront6targetE0EEEvS11_
    .private_segment_fixed_size: 0
    .sgpr_count:     0
    .sgpr_spill_count: 0
    .symbol:         _ZN7rocprim17ROCPRIM_400000_NS6detail17trampoline_kernelINS0_14default_configENS1_27lower_bound_config_selectorIN6thrust23THRUST_200600_302600_NS5tupleIiiNS6_9null_typeES8_S8_S8_S8_S8_S8_S8_EElEEZNS1_14transform_implILb0ES3_SA_NS6_6detail15normal_iteratorINS6_7pointerIS9_NS6_11hip_rocprim5par_tENS6_11use_defaultESH_EEEENSD_INSE_IlSG_SH_SH_EEEEZNS1_13binary_searchIS3_SA_NSD_INS6_10device_ptrIS9_EEEESJ_SL_NS1_21lower_bound_search_opENSC_16wrapped_functionINS6_6system6detail7generic6detail18binary_search_lessEbEEEE10hipError_tPvRmT1_T2_T3_mmT4_T5_P12ihipStream_tbEUlRKS9_E_EESY_S12_S13_mS14_S17_bEUlT_E_NS1_11comp_targetILNS1_3genE10ELNS1_11target_archE1201ELNS1_3gpuE5ELNS1_3repE0EEENS1_30default_config_static_selectorELNS0_4arch9wavefront6targetE0EEEvS11_.kd
    .uniform_work_group_size: 1
    .uses_dynamic_stack: false
    .vgpr_count:     0
    .vgpr_spill_count: 0
    .wavefront_size: 32
    .workgroup_processor_mode: 1
  - .args:
      - .offset:         0
        .size:           56
        .value_kind:     by_value
    .group_segment_fixed_size: 0
    .kernarg_segment_align: 8
    .kernarg_segment_size: 56
    .language:       OpenCL C
    .language_version:
      - 2
      - 0
    .max_flat_workgroup_size: 128
    .name:           _ZN7rocprim17ROCPRIM_400000_NS6detail17trampoline_kernelINS0_14default_configENS1_27lower_bound_config_selectorIN6thrust23THRUST_200600_302600_NS5tupleIiiNS6_9null_typeES8_S8_S8_S8_S8_S8_S8_EElEEZNS1_14transform_implILb0ES3_SA_NS6_6detail15normal_iteratorINS6_7pointerIS9_NS6_11hip_rocprim5par_tENS6_11use_defaultESH_EEEENSD_INSE_IlSG_SH_SH_EEEEZNS1_13binary_searchIS3_SA_NSD_INS6_10device_ptrIS9_EEEESJ_SL_NS1_21lower_bound_search_opENSC_16wrapped_functionINS6_6system6detail7generic6detail18binary_search_lessEbEEEE10hipError_tPvRmT1_T2_T3_mmT4_T5_P12ihipStream_tbEUlRKS9_E_EESY_S12_S13_mS14_S17_bEUlT_E_NS1_11comp_targetILNS1_3genE10ELNS1_11target_archE1200ELNS1_3gpuE4ELNS1_3repE0EEENS1_30default_config_static_selectorELNS0_4arch9wavefront6targetE0EEEvS11_
    .private_segment_fixed_size: 0
    .sgpr_count:     0
    .sgpr_spill_count: 0
    .symbol:         _ZN7rocprim17ROCPRIM_400000_NS6detail17trampoline_kernelINS0_14default_configENS1_27lower_bound_config_selectorIN6thrust23THRUST_200600_302600_NS5tupleIiiNS6_9null_typeES8_S8_S8_S8_S8_S8_S8_EElEEZNS1_14transform_implILb0ES3_SA_NS6_6detail15normal_iteratorINS6_7pointerIS9_NS6_11hip_rocprim5par_tENS6_11use_defaultESH_EEEENSD_INSE_IlSG_SH_SH_EEEEZNS1_13binary_searchIS3_SA_NSD_INS6_10device_ptrIS9_EEEESJ_SL_NS1_21lower_bound_search_opENSC_16wrapped_functionINS6_6system6detail7generic6detail18binary_search_lessEbEEEE10hipError_tPvRmT1_T2_T3_mmT4_T5_P12ihipStream_tbEUlRKS9_E_EESY_S12_S13_mS14_S17_bEUlT_E_NS1_11comp_targetILNS1_3genE10ELNS1_11target_archE1200ELNS1_3gpuE4ELNS1_3repE0EEENS1_30default_config_static_selectorELNS0_4arch9wavefront6targetE0EEEvS11_.kd
    .uniform_work_group_size: 1
    .uses_dynamic_stack: false
    .vgpr_count:     0
    .vgpr_spill_count: 0
    .wavefront_size: 32
    .workgroup_processor_mode: 1
  - .args:
      - .offset:         0
        .size:           56
        .value_kind:     by_value
    .group_segment_fixed_size: 0
    .kernarg_segment_align: 8
    .kernarg_segment_size: 56
    .language:       OpenCL C
    .language_version:
      - 2
      - 0
    .max_flat_workgroup_size: 256
    .name:           _ZN7rocprim17ROCPRIM_400000_NS6detail17trampoline_kernelINS0_14default_configENS1_27lower_bound_config_selectorIN6thrust23THRUST_200600_302600_NS5tupleIiiNS6_9null_typeES8_S8_S8_S8_S8_S8_S8_EElEEZNS1_14transform_implILb0ES3_SA_NS6_6detail15normal_iteratorINS6_7pointerIS9_NS6_11hip_rocprim5par_tENS6_11use_defaultESH_EEEENSD_INSE_IlSG_SH_SH_EEEEZNS1_13binary_searchIS3_SA_NSD_INS6_10device_ptrIS9_EEEESJ_SL_NS1_21lower_bound_search_opENSC_16wrapped_functionINS6_6system6detail7generic6detail18binary_search_lessEbEEEE10hipError_tPvRmT1_T2_T3_mmT4_T5_P12ihipStream_tbEUlRKS9_E_EESY_S12_S13_mS14_S17_bEUlT_E_NS1_11comp_targetILNS1_3genE9ELNS1_11target_archE1100ELNS1_3gpuE3ELNS1_3repE0EEENS1_30default_config_static_selectorELNS0_4arch9wavefront6targetE0EEEvS11_
    .private_segment_fixed_size: 0
    .sgpr_count:     0
    .sgpr_spill_count: 0
    .symbol:         _ZN7rocprim17ROCPRIM_400000_NS6detail17trampoline_kernelINS0_14default_configENS1_27lower_bound_config_selectorIN6thrust23THRUST_200600_302600_NS5tupleIiiNS6_9null_typeES8_S8_S8_S8_S8_S8_S8_EElEEZNS1_14transform_implILb0ES3_SA_NS6_6detail15normal_iteratorINS6_7pointerIS9_NS6_11hip_rocprim5par_tENS6_11use_defaultESH_EEEENSD_INSE_IlSG_SH_SH_EEEEZNS1_13binary_searchIS3_SA_NSD_INS6_10device_ptrIS9_EEEESJ_SL_NS1_21lower_bound_search_opENSC_16wrapped_functionINS6_6system6detail7generic6detail18binary_search_lessEbEEEE10hipError_tPvRmT1_T2_T3_mmT4_T5_P12ihipStream_tbEUlRKS9_E_EESY_S12_S13_mS14_S17_bEUlT_E_NS1_11comp_targetILNS1_3genE9ELNS1_11target_archE1100ELNS1_3gpuE3ELNS1_3repE0EEENS1_30default_config_static_selectorELNS0_4arch9wavefront6targetE0EEEvS11_.kd
    .uniform_work_group_size: 1
    .uses_dynamic_stack: false
    .vgpr_count:     0
    .vgpr_spill_count: 0
    .wavefront_size: 32
    .workgroup_processor_mode: 1
  - .args:
      - .offset:         0
        .size:           56
        .value_kind:     by_value
      - .offset:         56
        .size:           4
        .value_kind:     hidden_block_count_x
      - .offset:         60
        .size:           4
        .value_kind:     hidden_block_count_y
      - .offset:         64
        .size:           4
        .value_kind:     hidden_block_count_z
      - .offset:         68
        .size:           2
        .value_kind:     hidden_group_size_x
      - .offset:         70
        .size:           2
        .value_kind:     hidden_group_size_y
      - .offset:         72
        .size:           2
        .value_kind:     hidden_group_size_z
      - .offset:         74
        .size:           2
        .value_kind:     hidden_remainder_x
      - .offset:         76
        .size:           2
        .value_kind:     hidden_remainder_y
      - .offset:         78
        .size:           2
        .value_kind:     hidden_remainder_z
      - .offset:         96
        .size:           8
        .value_kind:     hidden_global_offset_x
      - .offset:         104
        .size:           8
        .value_kind:     hidden_global_offset_y
      - .offset:         112
        .size:           8
        .value_kind:     hidden_global_offset_z
      - .offset:         120
        .size:           2
        .value_kind:     hidden_grid_dims
    .group_segment_fixed_size: 0
    .kernarg_segment_align: 8
    .kernarg_segment_size: 312
    .language:       OpenCL C
    .language_version:
      - 2
      - 0
    .max_flat_workgroup_size: 256
    .name:           _ZN7rocprim17ROCPRIM_400000_NS6detail17trampoline_kernelINS0_14default_configENS1_27lower_bound_config_selectorIN6thrust23THRUST_200600_302600_NS5tupleIiiNS6_9null_typeES8_S8_S8_S8_S8_S8_S8_EElEEZNS1_14transform_implILb0ES3_SA_NS6_6detail15normal_iteratorINS6_7pointerIS9_NS6_11hip_rocprim5par_tENS6_11use_defaultESH_EEEENSD_INSE_IlSG_SH_SH_EEEEZNS1_13binary_searchIS3_SA_NSD_INS6_10device_ptrIS9_EEEESJ_SL_NS1_21lower_bound_search_opENSC_16wrapped_functionINS6_6system6detail7generic6detail18binary_search_lessEbEEEE10hipError_tPvRmT1_T2_T3_mmT4_T5_P12ihipStream_tbEUlRKS9_E_EESY_S12_S13_mS14_S17_bEUlT_E_NS1_11comp_targetILNS1_3genE8ELNS1_11target_archE1030ELNS1_3gpuE2ELNS1_3repE0EEENS1_30default_config_static_selectorELNS0_4arch9wavefront6targetE0EEEvS11_
    .private_segment_fixed_size: 0
    .sgpr_count:     22
    .sgpr_spill_count: 0
    .symbol:         _ZN7rocprim17ROCPRIM_400000_NS6detail17trampoline_kernelINS0_14default_configENS1_27lower_bound_config_selectorIN6thrust23THRUST_200600_302600_NS5tupleIiiNS6_9null_typeES8_S8_S8_S8_S8_S8_S8_EElEEZNS1_14transform_implILb0ES3_SA_NS6_6detail15normal_iteratorINS6_7pointerIS9_NS6_11hip_rocprim5par_tENS6_11use_defaultESH_EEEENSD_INSE_IlSG_SH_SH_EEEEZNS1_13binary_searchIS3_SA_NSD_INS6_10device_ptrIS9_EEEESJ_SL_NS1_21lower_bound_search_opENSC_16wrapped_functionINS6_6system6detail7generic6detail18binary_search_lessEbEEEE10hipError_tPvRmT1_T2_T3_mmT4_T5_P12ihipStream_tbEUlRKS9_E_EESY_S12_S13_mS14_S17_bEUlT_E_NS1_11comp_targetILNS1_3genE8ELNS1_11target_archE1030ELNS1_3gpuE2ELNS1_3repE0EEENS1_30default_config_static_selectorELNS0_4arch9wavefront6targetE0EEEvS11_.kd
    .uniform_work_group_size: 1
    .uses_dynamic_stack: false
    .vgpr_count:     13
    .vgpr_spill_count: 0
    .wavefront_size: 32
    .workgroup_processor_mode: 1
  - .args:
      - .offset:         0
        .size:           16
        .value_kind:     by_value
      - .offset:         16
        .size:           8
        .value_kind:     by_value
      - .offset:         24
        .size:           8
        .value_kind:     by_value
    .group_segment_fixed_size: 0
    .kernarg_segment_align: 8
    .kernarg_segment_size: 32
    .language:       OpenCL C
    .language_version:
      - 2
      - 0
    .max_flat_workgroup_size: 256
    .name:           _ZN6thrust23THRUST_200600_302600_NS11hip_rocprim14__parallel_for6kernelILj256ENS1_20__uninitialized_copy7functorINS0_7pointerINS0_5tupleIiiNS0_9null_typeES8_S8_S8_S8_S8_S8_S8_EENS1_5par_tENS0_11use_defaultESB_EESC_EEmLj1EEEvT0_T1_SF_
    .private_segment_fixed_size: 0
    .sgpr_count:     18
    .sgpr_spill_count: 0
    .symbol:         _ZN6thrust23THRUST_200600_302600_NS11hip_rocprim14__parallel_for6kernelILj256ENS1_20__uninitialized_copy7functorINS0_7pointerINS0_5tupleIiiNS0_9null_typeES8_S8_S8_S8_S8_S8_S8_EENS1_5par_tENS0_11use_defaultESB_EESC_EEmLj1EEEvT0_T1_SF_.kd
    .uniform_work_group_size: 1
    .uses_dynamic_stack: false
    .vgpr_count:     5
    .vgpr_spill_count: 0
    .wavefront_size: 32
    .workgroup_processor_mode: 1
  - .args:
      - .offset:         0
        .size:           56
        .value_kind:     by_value
    .group_segment_fixed_size: 0
    .kernarg_segment_align: 8
    .kernarg_segment_size: 56
    .language:       OpenCL C
    .language_version:
      - 2
      - 0
    .max_flat_workgroup_size: 64
    .name:           _ZN7rocprim17ROCPRIM_400000_NS6detail17trampoline_kernelINS0_14default_configENS1_27lower_bound_config_selectorIiiEEZNS1_14transform_implILb0ES3_S5_N6thrust23THRUST_200600_302600_NS6detail15normal_iteratorINS8_10device_ptrIiEEEESD_ZNS1_13binary_searchIS3_S5_SD_SD_SD_NS1_21lower_bound_search_opENS9_16wrapped_functionINS0_4lessIvEEbEEEE10hipError_tPvRmT1_T2_T3_mmT4_T5_P12ihipStream_tbEUlRKiE_EESK_SO_SP_mSQ_ST_bEUlT_E_NS1_11comp_targetILNS1_3genE0ELNS1_11target_archE4294967295ELNS1_3gpuE0ELNS1_3repE0EEENS1_30default_config_static_selectorELNS0_4arch9wavefront6targetE0EEEvSN_
    .private_segment_fixed_size: 0
    .sgpr_count:     0
    .sgpr_spill_count: 0
    .symbol:         _ZN7rocprim17ROCPRIM_400000_NS6detail17trampoline_kernelINS0_14default_configENS1_27lower_bound_config_selectorIiiEEZNS1_14transform_implILb0ES3_S5_N6thrust23THRUST_200600_302600_NS6detail15normal_iteratorINS8_10device_ptrIiEEEESD_ZNS1_13binary_searchIS3_S5_SD_SD_SD_NS1_21lower_bound_search_opENS9_16wrapped_functionINS0_4lessIvEEbEEEE10hipError_tPvRmT1_T2_T3_mmT4_T5_P12ihipStream_tbEUlRKiE_EESK_SO_SP_mSQ_ST_bEUlT_E_NS1_11comp_targetILNS1_3genE0ELNS1_11target_archE4294967295ELNS1_3gpuE0ELNS1_3repE0EEENS1_30default_config_static_selectorELNS0_4arch9wavefront6targetE0EEEvSN_.kd
    .uniform_work_group_size: 1
    .uses_dynamic_stack: false
    .vgpr_count:     0
    .vgpr_spill_count: 0
    .wavefront_size: 32
    .workgroup_processor_mode: 1
  - .args:
      - .offset:         0
        .size:           56
        .value_kind:     by_value
    .group_segment_fixed_size: 0
    .kernarg_segment_align: 8
    .kernarg_segment_size: 56
    .language:       OpenCL C
    .language_version:
      - 2
      - 0
    .max_flat_workgroup_size: 256
    .name:           _ZN7rocprim17ROCPRIM_400000_NS6detail17trampoline_kernelINS0_14default_configENS1_27lower_bound_config_selectorIiiEEZNS1_14transform_implILb0ES3_S5_N6thrust23THRUST_200600_302600_NS6detail15normal_iteratorINS8_10device_ptrIiEEEESD_ZNS1_13binary_searchIS3_S5_SD_SD_SD_NS1_21lower_bound_search_opENS9_16wrapped_functionINS0_4lessIvEEbEEEE10hipError_tPvRmT1_T2_T3_mmT4_T5_P12ihipStream_tbEUlRKiE_EESK_SO_SP_mSQ_ST_bEUlT_E_NS1_11comp_targetILNS1_3genE5ELNS1_11target_archE942ELNS1_3gpuE9ELNS1_3repE0EEENS1_30default_config_static_selectorELNS0_4arch9wavefront6targetE0EEEvSN_
    .private_segment_fixed_size: 0
    .sgpr_count:     0
    .sgpr_spill_count: 0
    .symbol:         _ZN7rocprim17ROCPRIM_400000_NS6detail17trampoline_kernelINS0_14default_configENS1_27lower_bound_config_selectorIiiEEZNS1_14transform_implILb0ES3_S5_N6thrust23THRUST_200600_302600_NS6detail15normal_iteratorINS8_10device_ptrIiEEEESD_ZNS1_13binary_searchIS3_S5_SD_SD_SD_NS1_21lower_bound_search_opENS9_16wrapped_functionINS0_4lessIvEEbEEEE10hipError_tPvRmT1_T2_T3_mmT4_T5_P12ihipStream_tbEUlRKiE_EESK_SO_SP_mSQ_ST_bEUlT_E_NS1_11comp_targetILNS1_3genE5ELNS1_11target_archE942ELNS1_3gpuE9ELNS1_3repE0EEENS1_30default_config_static_selectorELNS0_4arch9wavefront6targetE0EEEvSN_.kd
    .uniform_work_group_size: 1
    .uses_dynamic_stack: false
    .vgpr_count:     0
    .vgpr_spill_count: 0
    .wavefront_size: 32
    .workgroup_processor_mode: 1
  - .args:
      - .offset:         0
        .size:           56
        .value_kind:     by_value
    .group_segment_fixed_size: 0
    .kernarg_segment_align: 8
    .kernarg_segment_size: 56
    .language:       OpenCL C
    .language_version:
      - 2
      - 0
    .max_flat_workgroup_size: 256
    .name:           _ZN7rocprim17ROCPRIM_400000_NS6detail17trampoline_kernelINS0_14default_configENS1_27lower_bound_config_selectorIiiEEZNS1_14transform_implILb0ES3_S5_N6thrust23THRUST_200600_302600_NS6detail15normal_iteratorINS8_10device_ptrIiEEEESD_ZNS1_13binary_searchIS3_S5_SD_SD_SD_NS1_21lower_bound_search_opENS9_16wrapped_functionINS0_4lessIvEEbEEEE10hipError_tPvRmT1_T2_T3_mmT4_T5_P12ihipStream_tbEUlRKiE_EESK_SO_SP_mSQ_ST_bEUlT_E_NS1_11comp_targetILNS1_3genE4ELNS1_11target_archE910ELNS1_3gpuE8ELNS1_3repE0EEENS1_30default_config_static_selectorELNS0_4arch9wavefront6targetE0EEEvSN_
    .private_segment_fixed_size: 0
    .sgpr_count:     0
    .sgpr_spill_count: 0
    .symbol:         _ZN7rocprim17ROCPRIM_400000_NS6detail17trampoline_kernelINS0_14default_configENS1_27lower_bound_config_selectorIiiEEZNS1_14transform_implILb0ES3_S5_N6thrust23THRUST_200600_302600_NS6detail15normal_iteratorINS8_10device_ptrIiEEEESD_ZNS1_13binary_searchIS3_S5_SD_SD_SD_NS1_21lower_bound_search_opENS9_16wrapped_functionINS0_4lessIvEEbEEEE10hipError_tPvRmT1_T2_T3_mmT4_T5_P12ihipStream_tbEUlRKiE_EESK_SO_SP_mSQ_ST_bEUlT_E_NS1_11comp_targetILNS1_3genE4ELNS1_11target_archE910ELNS1_3gpuE8ELNS1_3repE0EEENS1_30default_config_static_selectorELNS0_4arch9wavefront6targetE0EEEvSN_.kd
    .uniform_work_group_size: 1
    .uses_dynamic_stack: false
    .vgpr_count:     0
    .vgpr_spill_count: 0
    .wavefront_size: 32
    .workgroup_processor_mode: 1
  - .args:
      - .offset:         0
        .size:           56
        .value_kind:     by_value
    .group_segment_fixed_size: 0
    .kernarg_segment_align: 8
    .kernarg_segment_size: 56
    .language:       OpenCL C
    .language_version:
      - 2
      - 0
    .max_flat_workgroup_size: 64
    .name:           _ZN7rocprim17ROCPRIM_400000_NS6detail17trampoline_kernelINS0_14default_configENS1_27lower_bound_config_selectorIiiEEZNS1_14transform_implILb0ES3_S5_N6thrust23THRUST_200600_302600_NS6detail15normal_iteratorINS8_10device_ptrIiEEEESD_ZNS1_13binary_searchIS3_S5_SD_SD_SD_NS1_21lower_bound_search_opENS9_16wrapped_functionINS0_4lessIvEEbEEEE10hipError_tPvRmT1_T2_T3_mmT4_T5_P12ihipStream_tbEUlRKiE_EESK_SO_SP_mSQ_ST_bEUlT_E_NS1_11comp_targetILNS1_3genE3ELNS1_11target_archE908ELNS1_3gpuE7ELNS1_3repE0EEENS1_30default_config_static_selectorELNS0_4arch9wavefront6targetE0EEEvSN_
    .private_segment_fixed_size: 0
    .sgpr_count:     0
    .sgpr_spill_count: 0
    .symbol:         _ZN7rocprim17ROCPRIM_400000_NS6detail17trampoline_kernelINS0_14default_configENS1_27lower_bound_config_selectorIiiEEZNS1_14transform_implILb0ES3_S5_N6thrust23THRUST_200600_302600_NS6detail15normal_iteratorINS8_10device_ptrIiEEEESD_ZNS1_13binary_searchIS3_S5_SD_SD_SD_NS1_21lower_bound_search_opENS9_16wrapped_functionINS0_4lessIvEEbEEEE10hipError_tPvRmT1_T2_T3_mmT4_T5_P12ihipStream_tbEUlRKiE_EESK_SO_SP_mSQ_ST_bEUlT_E_NS1_11comp_targetILNS1_3genE3ELNS1_11target_archE908ELNS1_3gpuE7ELNS1_3repE0EEENS1_30default_config_static_selectorELNS0_4arch9wavefront6targetE0EEEvSN_.kd
    .uniform_work_group_size: 1
    .uses_dynamic_stack: false
    .vgpr_count:     0
    .vgpr_spill_count: 0
    .wavefront_size: 32
    .workgroup_processor_mode: 1
  - .args:
      - .offset:         0
        .size:           56
        .value_kind:     by_value
    .group_segment_fixed_size: 0
    .kernarg_segment_align: 8
    .kernarg_segment_size: 56
    .language:       OpenCL C
    .language_version:
      - 2
      - 0
    .max_flat_workgroup_size: 256
    .name:           _ZN7rocprim17ROCPRIM_400000_NS6detail17trampoline_kernelINS0_14default_configENS1_27lower_bound_config_selectorIiiEEZNS1_14transform_implILb0ES3_S5_N6thrust23THRUST_200600_302600_NS6detail15normal_iteratorINS8_10device_ptrIiEEEESD_ZNS1_13binary_searchIS3_S5_SD_SD_SD_NS1_21lower_bound_search_opENS9_16wrapped_functionINS0_4lessIvEEbEEEE10hipError_tPvRmT1_T2_T3_mmT4_T5_P12ihipStream_tbEUlRKiE_EESK_SO_SP_mSQ_ST_bEUlT_E_NS1_11comp_targetILNS1_3genE2ELNS1_11target_archE906ELNS1_3gpuE6ELNS1_3repE0EEENS1_30default_config_static_selectorELNS0_4arch9wavefront6targetE0EEEvSN_
    .private_segment_fixed_size: 0
    .sgpr_count:     0
    .sgpr_spill_count: 0
    .symbol:         _ZN7rocprim17ROCPRIM_400000_NS6detail17trampoline_kernelINS0_14default_configENS1_27lower_bound_config_selectorIiiEEZNS1_14transform_implILb0ES3_S5_N6thrust23THRUST_200600_302600_NS6detail15normal_iteratorINS8_10device_ptrIiEEEESD_ZNS1_13binary_searchIS3_S5_SD_SD_SD_NS1_21lower_bound_search_opENS9_16wrapped_functionINS0_4lessIvEEbEEEE10hipError_tPvRmT1_T2_T3_mmT4_T5_P12ihipStream_tbEUlRKiE_EESK_SO_SP_mSQ_ST_bEUlT_E_NS1_11comp_targetILNS1_3genE2ELNS1_11target_archE906ELNS1_3gpuE6ELNS1_3repE0EEENS1_30default_config_static_selectorELNS0_4arch9wavefront6targetE0EEEvSN_.kd
    .uniform_work_group_size: 1
    .uses_dynamic_stack: false
    .vgpr_count:     0
    .vgpr_spill_count: 0
    .wavefront_size: 32
    .workgroup_processor_mode: 1
  - .args:
      - .offset:         0
        .size:           56
        .value_kind:     by_value
    .group_segment_fixed_size: 0
    .kernarg_segment_align: 8
    .kernarg_segment_size: 56
    .language:       OpenCL C
    .language_version:
      - 2
      - 0
    .max_flat_workgroup_size: 128
    .name:           _ZN7rocprim17ROCPRIM_400000_NS6detail17trampoline_kernelINS0_14default_configENS1_27lower_bound_config_selectorIiiEEZNS1_14transform_implILb0ES3_S5_N6thrust23THRUST_200600_302600_NS6detail15normal_iteratorINS8_10device_ptrIiEEEESD_ZNS1_13binary_searchIS3_S5_SD_SD_SD_NS1_21lower_bound_search_opENS9_16wrapped_functionINS0_4lessIvEEbEEEE10hipError_tPvRmT1_T2_T3_mmT4_T5_P12ihipStream_tbEUlRKiE_EESK_SO_SP_mSQ_ST_bEUlT_E_NS1_11comp_targetILNS1_3genE10ELNS1_11target_archE1201ELNS1_3gpuE5ELNS1_3repE0EEENS1_30default_config_static_selectorELNS0_4arch9wavefront6targetE0EEEvSN_
    .private_segment_fixed_size: 0
    .sgpr_count:     0
    .sgpr_spill_count: 0
    .symbol:         _ZN7rocprim17ROCPRIM_400000_NS6detail17trampoline_kernelINS0_14default_configENS1_27lower_bound_config_selectorIiiEEZNS1_14transform_implILb0ES3_S5_N6thrust23THRUST_200600_302600_NS6detail15normal_iteratorINS8_10device_ptrIiEEEESD_ZNS1_13binary_searchIS3_S5_SD_SD_SD_NS1_21lower_bound_search_opENS9_16wrapped_functionINS0_4lessIvEEbEEEE10hipError_tPvRmT1_T2_T3_mmT4_T5_P12ihipStream_tbEUlRKiE_EESK_SO_SP_mSQ_ST_bEUlT_E_NS1_11comp_targetILNS1_3genE10ELNS1_11target_archE1201ELNS1_3gpuE5ELNS1_3repE0EEENS1_30default_config_static_selectorELNS0_4arch9wavefront6targetE0EEEvSN_.kd
    .uniform_work_group_size: 1
    .uses_dynamic_stack: false
    .vgpr_count:     0
    .vgpr_spill_count: 0
    .wavefront_size: 32
    .workgroup_processor_mode: 1
  - .args:
      - .offset:         0
        .size:           56
        .value_kind:     by_value
    .group_segment_fixed_size: 0
    .kernarg_segment_align: 8
    .kernarg_segment_size: 56
    .language:       OpenCL C
    .language_version:
      - 2
      - 0
    .max_flat_workgroup_size: 128
    .name:           _ZN7rocprim17ROCPRIM_400000_NS6detail17trampoline_kernelINS0_14default_configENS1_27lower_bound_config_selectorIiiEEZNS1_14transform_implILb0ES3_S5_N6thrust23THRUST_200600_302600_NS6detail15normal_iteratorINS8_10device_ptrIiEEEESD_ZNS1_13binary_searchIS3_S5_SD_SD_SD_NS1_21lower_bound_search_opENS9_16wrapped_functionINS0_4lessIvEEbEEEE10hipError_tPvRmT1_T2_T3_mmT4_T5_P12ihipStream_tbEUlRKiE_EESK_SO_SP_mSQ_ST_bEUlT_E_NS1_11comp_targetILNS1_3genE10ELNS1_11target_archE1200ELNS1_3gpuE4ELNS1_3repE0EEENS1_30default_config_static_selectorELNS0_4arch9wavefront6targetE0EEEvSN_
    .private_segment_fixed_size: 0
    .sgpr_count:     0
    .sgpr_spill_count: 0
    .symbol:         _ZN7rocprim17ROCPRIM_400000_NS6detail17trampoline_kernelINS0_14default_configENS1_27lower_bound_config_selectorIiiEEZNS1_14transform_implILb0ES3_S5_N6thrust23THRUST_200600_302600_NS6detail15normal_iteratorINS8_10device_ptrIiEEEESD_ZNS1_13binary_searchIS3_S5_SD_SD_SD_NS1_21lower_bound_search_opENS9_16wrapped_functionINS0_4lessIvEEbEEEE10hipError_tPvRmT1_T2_T3_mmT4_T5_P12ihipStream_tbEUlRKiE_EESK_SO_SP_mSQ_ST_bEUlT_E_NS1_11comp_targetILNS1_3genE10ELNS1_11target_archE1200ELNS1_3gpuE4ELNS1_3repE0EEENS1_30default_config_static_selectorELNS0_4arch9wavefront6targetE0EEEvSN_.kd
    .uniform_work_group_size: 1
    .uses_dynamic_stack: false
    .vgpr_count:     0
    .vgpr_spill_count: 0
    .wavefront_size: 32
    .workgroup_processor_mode: 1
  - .args:
      - .offset:         0
        .size:           56
        .value_kind:     by_value
    .group_segment_fixed_size: 0
    .kernarg_segment_align: 8
    .kernarg_segment_size: 56
    .language:       OpenCL C
    .language_version:
      - 2
      - 0
    .max_flat_workgroup_size: 128
    .name:           _ZN7rocprim17ROCPRIM_400000_NS6detail17trampoline_kernelINS0_14default_configENS1_27lower_bound_config_selectorIiiEEZNS1_14transform_implILb0ES3_S5_N6thrust23THRUST_200600_302600_NS6detail15normal_iteratorINS8_10device_ptrIiEEEESD_ZNS1_13binary_searchIS3_S5_SD_SD_SD_NS1_21lower_bound_search_opENS9_16wrapped_functionINS0_4lessIvEEbEEEE10hipError_tPvRmT1_T2_T3_mmT4_T5_P12ihipStream_tbEUlRKiE_EESK_SO_SP_mSQ_ST_bEUlT_E_NS1_11comp_targetILNS1_3genE9ELNS1_11target_archE1100ELNS1_3gpuE3ELNS1_3repE0EEENS1_30default_config_static_selectorELNS0_4arch9wavefront6targetE0EEEvSN_
    .private_segment_fixed_size: 0
    .sgpr_count:     0
    .sgpr_spill_count: 0
    .symbol:         _ZN7rocprim17ROCPRIM_400000_NS6detail17trampoline_kernelINS0_14default_configENS1_27lower_bound_config_selectorIiiEEZNS1_14transform_implILb0ES3_S5_N6thrust23THRUST_200600_302600_NS6detail15normal_iteratorINS8_10device_ptrIiEEEESD_ZNS1_13binary_searchIS3_S5_SD_SD_SD_NS1_21lower_bound_search_opENS9_16wrapped_functionINS0_4lessIvEEbEEEE10hipError_tPvRmT1_T2_T3_mmT4_T5_P12ihipStream_tbEUlRKiE_EESK_SO_SP_mSQ_ST_bEUlT_E_NS1_11comp_targetILNS1_3genE9ELNS1_11target_archE1100ELNS1_3gpuE3ELNS1_3repE0EEENS1_30default_config_static_selectorELNS0_4arch9wavefront6targetE0EEEvSN_.kd
    .uniform_work_group_size: 1
    .uses_dynamic_stack: false
    .vgpr_count:     0
    .vgpr_spill_count: 0
    .wavefront_size: 32
    .workgroup_processor_mode: 1
  - .args:
      - .offset:         0
        .size:           56
        .value_kind:     by_value
      - .offset:         56
        .size:           4
        .value_kind:     hidden_block_count_x
      - .offset:         60
        .size:           4
        .value_kind:     hidden_block_count_y
      - .offset:         64
        .size:           4
        .value_kind:     hidden_block_count_z
      - .offset:         68
        .size:           2
        .value_kind:     hidden_group_size_x
      - .offset:         70
        .size:           2
        .value_kind:     hidden_group_size_y
      - .offset:         72
        .size:           2
        .value_kind:     hidden_group_size_z
      - .offset:         74
        .size:           2
        .value_kind:     hidden_remainder_x
      - .offset:         76
        .size:           2
        .value_kind:     hidden_remainder_y
      - .offset:         78
        .size:           2
        .value_kind:     hidden_remainder_z
      - .offset:         96
        .size:           8
        .value_kind:     hidden_global_offset_x
      - .offset:         104
        .size:           8
        .value_kind:     hidden_global_offset_y
      - .offset:         112
        .size:           8
        .value_kind:     hidden_global_offset_z
      - .offset:         120
        .size:           2
        .value_kind:     hidden_grid_dims
    .group_segment_fixed_size: 0
    .kernarg_segment_align: 8
    .kernarg_segment_size: 312
    .language:       OpenCL C
    .language_version:
      - 2
      - 0
    .max_flat_workgroup_size: 256
    .name:           _ZN7rocprim17ROCPRIM_400000_NS6detail17trampoline_kernelINS0_14default_configENS1_27lower_bound_config_selectorIiiEEZNS1_14transform_implILb0ES3_S5_N6thrust23THRUST_200600_302600_NS6detail15normal_iteratorINS8_10device_ptrIiEEEESD_ZNS1_13binary_searchIS3_S5_SD_SD_SD_NS1_21lower_bound_search_opENS9_16wrapped_functionINS0_4lessIvEEbEEEE10hipError_tPvRmT1_T2_T3_mmT4_T5_P12ihipStream_tbEUlRKiE_EESK_SO_SP_mSQ_ST_bEUlT_E_NS1_11comp_targetILNS1_3genE8ELNS1_11target_archE1030ELNS1_3gpuE2ELNS1_3repE0EEENS1_30default_config_static_selectorELNS0_4arch9wavefront6targetE0EEEvSN_
    .private_segment_fixed_size: 0
    .sgpr_count:     20
    .sgpr_spill_count: 0
    .symbol:         _ZN7rocprim17ROCPRIM_400000_NS6detail17trampoline_kernelINS0_14default_configENS1_27lower_bound_config_selectorIiiEEZNS1_14transform_implILb0ES3_S5_N6thrust23THRUST_200600_302600_NS6detail15normal_iteratorINS8_10device_ptrIiEEEESD_ZNS1_13binary_searchIS3_S5_SD_SD_SD_NS1_21lower_bound_search_opENS9_16wrapped_functionINS0_4lessIvEEbEEEE10hipError_tPvRmT1_T2_T3_mmT4_T5_P12ihipStream_tbEUlRKiE_EESK_SO_SP_mSQ_ST_bEUlT_E_NS1_11comp_targetILNS1_3genE8ELNS1_11target_archE1030ELNS1_3gpuE2ELNS1_3repE0EEENS1_30default_config_static_selectorELNS0_4arch9wavefront6targetE0EEEvSN_.kd
    .uniform_work_group_size: 1
    .uses_dynamic_stack: false
    .vgpr_count:     12
    .vgpr_spill_count: 0
    .wavefront_size: 32
    .workgroup_processor_mode: 1
  - .args:
      - .offset:         0
        .size:           72
        .value_kind:     by_value
    .group_segment_fixed_size: 0
    .kernarg_segment_align: 8
    .kernarg_segment_size: 72
    .language:       OpenCL C
    .language_version:
      - 2
      - 0
    .max_flat_workgroup_size: 128
    .name:           _ZN7rocprim17ROCPRIM_400000_NS6detail17trampoline_kernelINS0_14default_configENS1_22reduce_config_selectorIN6thrust23THRUST_200600_302600_NS5tupleIblNS6_9null_typeES8_S8_S8_S8_S8_S8_S8_EEEEZNS1_11reduce_implILb1ES3_PS9_SC_S9_NS6_11hip_rocprim9__find_if7functorIS9_EEEE10hipError_tPvRmT1_T2_T3_mT4_P12ihipStream_tbEUlT_E0_NS1_11comp_targetILNS1_3genE0ELNS1_11target_archE4294967295ELNS1_3gpuE0ELNS1_3repE0EEENS1_30default_config_static_selectorELNS0_4arch9wavefront6targetE0EEEvSK_
    .private_segment_fixed_size: 0
    .sgpr_count:     0
    .sgpr_spill_count: 0
    .symbol:         _ZN7rocprim17ROCPRIM_400000_NS6detail17trampoline_kernelINS0_14default_configENS1_22reduce_config_selectorIN6thrust23THRUST_200600_302600_NS5tupleIblNS6_9null_typeES8_S8_S8_S8_S8_S8_S8_EEEEZNS1_11reduce_implILb1ES3_PS9_SC_S9_NS6_11hip_rocprim9__find_if7functorIS9_EEEE10hipError_tPvRmT1_T2_T3_mT4_P12ihipStream_tbEUlT_E0_NS1_11comp_targetILNS1_3genE0ELNS1_11target_archE4294967295ELNS1_3gpuE0ELNS1_3repE0EEENS1_30default_config_static_selectorELNS0_4arch9wavefront6targetE0EEEvSK_.kd
    .uniform_work_group_size: 1
    .uses_dynamic_stack: false
    .vgpr_count:     0
    .vgpr_spill_count: 0
    .wavefront_size: 32
    .workgroup_processor_mode: 1
  - .args:
      - .offset:         0
        .size:           72
        .value_kind:     by_value
    .group_segment_fixed_size: 0
    .kernarg_segment_align: 8
    .kernarg_segment_size: 72
    .language:       OpenCL C
    .language_version:
      - 2
      - 0
    .max_flat_workgroup_size: 256
    .name:           _ZN7rocprim17ROCPRIM_400000_NS6detail17trampoline_kernelINS0_14default_configENS1_22reduce_config_selectorIN6thrust23THRUST_200600_302600_NS5tupleIblNS6_9null_typeES8_S8_S8_S8_S8_S8_S8_EEEEZNS1_11reduce_implILb1ES3_PS9_SC_S9_NS6_11hip_rocprim9__find_if7functorIS9_EEEE10hipError_tPvRmT1_T2_T3_mT4_P12ihipStream_tbEUlT_E0_NS1_11comp_targetILNS1_3genE5ELNS1_11target_archE942ELNS1_3gpuE9ELNS1_3repE0EEENS1_30default_config_static_selectorELNS0_4arch9wavefront6targetE0EEEvSK_
    .private_segment_fixed_size: 0
    .sgpr_count:     0
    .sgpr_spill_count: 0
    .symbol:         _ZN7rocprim17ROCPRIM_400000_NS6detail17trampoline_kernelINS0_14default_configENS1_22reduce_config_selectorIN6thrust23THRUST_200600_302600_NS5tupleIblNS6_9null_typeES8_S8_S8_S8_S8_S8_S8_EEEEZNS1_11reduce_implILb1ES3_PS9_SC_S9_NS6_11hip_rocprim9__find_if7functorIS9_EEEE10hipError_tPvRmT1_T2_T3_mT4_P12ihipStream_tbEUlT_E0_NS1_11comp_targetILNS1_3genE5ELNS1_11target_archE942ELNS1_3gpuE9ELNS1_3repE0EEENS1_30default_config_static_selectorELNS0_4arch9wavefront6targetE0EEEvSK_.kd
    .uniform_work_group_size: 1
    .uses_dynamic_stack: false
    .vgpr_count:     0
    .vgpr_spill_count: 0
    .wavefront_size: 32
    .workgroup_processor_mode: 1
  - .args:
      - .offset:         0
        .size:           72
        .value_kind:     by_value
    .group_segment_fixed_size: 0
    .kernarg_segment_align: 8
    .kernarg_segment_size: 72
    .language:       OpenCL C
    .language_version:
      - 2
      - 0
    .max_flat_workgroup_size: 256
    .name:           _ZN7rocprim17ROCPRIM_400000_NS6detail17trampoline_kernelINS0_14default_configENS1_22reduce_config_selectorIN6thrust23THRUST_200600_302600_NS5tupleIblNS6_9null_typeES8_S8_S8_S8_S8_S8_S8_EEEEZNS1_11reduce_implILb1ES3_PS9_SC_S9_NS6_11hip_rocprim9__find_if7functorIS9_EEEE10hipError_tPvRmT1_T2_T3_mT4_P12ihipStream_tbEUlT_E0_NS1_11comp_targetILNS1_3genE4ELNS1_11target_archE910ELNS1_3gpuE8ELNS1_3repE0EEENS1_30default_config_static_selectorELNS0_4arch9wavefront6targetE0EEEvSK_
    .private_segment_fixed_size: 0
    .sgpr_count:     0
    .sgpr_spill_count: 0
    .symbol:         _ZN7rocprim17ROCPRIM_400000_NS6detail17trampoline_kernelINS0_14default_configENS1_22reduce_config_selectorIN6thrust23THRUST_200600_302600_NS5tupleIblNS6_9null_typeES8_S8_S8_S8_S8_S8_S8_EEEEZNS1_11reduce_implILb1ES3_PS9_SC_S9_NS6_11hip_rocprim9__find_if7functorIS9_EEEE10hipError_tPvRmT1_T2_T3_mT4_P12ihipStream_tbEUlT_E0_NS1_11comp_targetILNS1_3genE4ELNS1_11target_archE910ELNS1_3gpuE8ELNS1_3repE0EEENS1_30default_config_static_selectorELNS0_4arch9wavefront6targetE0EEEvSK_.kd
    .uniform_work_group_size: 1
    .uses_dynamic_stack: false
    .vgpr_count:     0
    .vgpr_spill_count: 0
    .wavefront_size: 32
    .workgroup_processor_mode: 1
  - .args:
      - .offset:         0
        .size:           72
        .value_kind:     by_value
    .group_segment_fixed_size: 0
    .kernarg_segment_align: 8
    .kernarg_segment_size: 72
    .language:       OpenCL C
    .language_version:
      - 2
      - 0
    .max_flat_workgroup_size: 128
    .name:           _ZN7rocprim17ROCPRIM_400000_NS6detail17trampoline_kernelINS0_14default_configENS1_22reduce_config_selectorIN6thrust23THRUST_200600_302600_NS5tupleIblNS6_9null_typeES8_S8_S8_S8_S8_S8_S8_EEEEZNS1_11reduce_implILb1ES3_PS9_SC_S9_NS6_11hip_rocprim9__find_if7functorIS9_EEEE10hipError_tPvRmT1_T2_T3_mT4_P12ihipStream_tbEUlT_E0_NS1_11comp_targetILNS1_3genE3ELNS1_11target_archE908ELNS1_3gpuE7ELNS1_3repE0EEENS1_30default_config_static_selectorELNS0_4arch9wavefront6targetE0EEEvSK_
    .private_segment_fixed_size: 0
    .sgpr_count:     0
    .sgpr_spill_count: 0
    .symbol:         _ZN7rocprim17ROCPRIM_400000_NS6detail17trampoline_kernelINS0_14default_configENS1_22reduce_config_selectorIN6thrust23THRUST_200600_302600_NS5tupleIblNS6_9null_typeES8_S8_S8_S8_S8_S8_S8_EEEEZNS1_11reduce_implILb1ES3_PS9_SC_S9_NS6_11hip_rocprim9__find_if7functorIS9_EEEE10hipError_tPvRmT1_T2_T3_mT4_P12ihipStream_tbEUlT_E0_NS1_11comp_targetILNS1_3genE3ELNS1_11target_archE908ELNS1_3gpuE7ELNS1_3repE0EEENS1_30default_config_static_selectorELNS0_4arch9wavefront6targetE0EEEvSK_.kd
    .uniform_work_group_size: 1
    .uses_dynamic_stack: false
    .vgpr_count:     0
    .vgpr_spill_count: 0
    .wavefront_size: 32
    .workgroup_processor_mode: 1
  - .args:
      - .offset:         0
        .size:           72
        .value_kind:     by_value
    .group_segment_fixed_size: 0
    .kernarg_segment_align: 8
    .kernarg_segment_size: 72
    .language:       OpenCL C
    .language_version:
      - 2
      - 0
    .max_flat_workgroup_size: 128
    .name:           _ZN7rocprim17ROCPRIM_400000_NS6detail17trampoline_kernelINS0_14default_configENS1_22reduce_config_selectorIN6thrust23THRUST_200600_302600_NS5tupleIblNS6_9null_typeES8_S8_S8_S8_S8_S8_S8_EEEEZNS1_11reduce_implILb1ES3_PS9_SC_S9_NS6_11hip_rocprim9__find_if7functorIS9_EEEE10hipError_tPvRmT1_T2_T3_mT4_P12ihipStream_tbEUlT_E0_NS1_11comp_targetILNS1_3genE2ELNS1_11target_archE906ELNS1_3gpuE6ELNS1_3repE0EEENS1_30default_config_static_selectorELNS0_4arch9wavefront6targetE0EEEvSK_
    .private_segment_fixed_size: 0
    .sgpr_count:     0
    .sgpr_spill_count: 0
    .symbol:         _ZN7rocprim17ROCPRIM_400000_NS6detail17trampoline_kernelINS0_14default_configENS1_22reduce_config_selectorIN6thrust23THRUST_200600_302600_NS5tupleIblNS6_9null_typeES8_S8_S8_S8_S8_S8_S8_EEEEZNS1_11reduce_implILb1ES3_PS9_SC_S9_NS6_11hip_rocprim9__find_if7functorIS9_EEEE10hipError_tPvRmT1_T2_T3_mT4_P12ihipStream_tbEUlT_E0_NS1_11comp_targetILNS1_3genE2ELNS1_11target_archE906ELNS1_3gpuE6ELNS1_3repE0EEENS1_30default_config_static_selectorELNS0_4arch9wavefront6targetE0EEEvSK_.kd
    .uniform_work_group_size: 1
    .uses_dynamic_stack: false
    .vgpr_count:     0
    .vgpr_spill_count: 0
    .wavefront_size: 32
    .workgroup_processor_mode: 1
  - .args:
      - .offset:         0
        .size:           72
        .value_kind:     by_value
    .group_segment_fixed_size: 0
    .kernarg_segment_align: 8
    .kernarg_segment_size: 72
    .language:       OpenCL C
    .language_version:
      - 2
      - 0
    .max_flat_workgroup_size: 256
    .name:           _ZN7rocprim17ROCPRIM_400000_NS6detail17trampoline_kernelINS0_14default_configENS1_22reduce_config_selectorIN6thrust23THRUST_200600_302600_NS5tupleIblNS6_9null_typeES8_S8_S8_S8_S8_S8_S8_EEEEZNS1_11reduce_implILb1ES3_PS9_SC_S9_NS6_11hip_rocprim9__find_if7functorIS9_EEEE10hipError_tPvRmT1_T2_T3_mT4_P12ihipStream_tbEUlT_E0_NS1_11comp_targetILNS1_3genE10ELNS1_11target_archE1201ELNS1_3gpuE5ELNS1_3repE0EEENS1_30default_config_static_selectorELNS0_4arch9wavefront6targetE0EEEvSK_
    .private_segment_fixed_size: 0
    .sgpr_count:     0
    .sgpr_spill_count: 0
    .symbol:         _ZN7rocprim17ROCPRIM_400000_NS6detail17trampoline_kernelINS0_14default_configENS1_22reduce_config_selectorIN6thrust23THRUST_200600_302600_NS5tupleIblNS6_9null_typeES8_S8_S8_S8_S8_S8_S8_EEEEZNS1_11reduce_implILb1ES3_PS9_SC_S9_NS6_11hip_rocprim9__find_if7functorIS9_EEEE10hipError_tPvRmT1_T2_T3_mT4_P12ihipStream_tbEUlT_E0_NS1_11comp_targetILNS1_3genE10ELNS1_11target_archE1201ELNS1_3gpuE5ELNS1_3repE0EEENS1_30default_config_static_selectorELNS0_4arch9wavefront6targetE0EEEvSK_.kd
    .uniform_work_group_size: 1
    .uses_dynamic_stack: false
    .vgpr_count:     0
    .vgpr_spill_count: 0
    .wavefront_size: 32
    .workgroup_processor_mode: 1
  - .args:
      - .offset:         0
        .size:           72
        .value_kind:     by_value
    .group_segment_fixed_size: 0
    .kernarg_segment_align: 8
    .kernarg_segment_size: 72
    .language:       OpenCL C
    .language_version:
      - 2
      - 0
    .max_flat_workgroup_size: 256
    .name:           _ZN7rocprim17ROCPRIM_400000_NS6detail17trampoline_kernelINS0_14default_configENS1_22reduce_config_selectorIN6thrust23THRUST_200600_302600_NS5tupleIblNS6_9null_typeES8_S8_S8_S8_S8_S8_S8_EEEEZNS1_11reduce_implILb1ES3_PS9_SC_S9_NS6_11hip_rocprim9__find_if7functorIS9_EEEE10hipError_tPvRmT1_T2_T3_mT4_P12ihipStream_tbEUlT_E0_NS1_11comp_targetILNS1_3genE10ELNS1_11target_archE1200ELNS1_3gpuE4ELNS1_3repE0EEENS1_30default_config_static_selectorELNS0_4arch9wavefront6targetE0EEEvSK_
    .private_segment_fixed_size: 0
    .sgpr_count:     0
    .sgpr_spill_count: 0
    .symbol:         _ZN7rocprim17ROCPRIM_400000_NS6detail17trampoline_kernelINS0_14default_configENS1_22reduce_config_selectorIN6thrust23THRUST_200600_302600_NS5tupleIblNS6_9null_typeES8_S8_S8_S8_S8_S8_S8_EEEEZNS1_11reduce_implILb1ES3_PS9_SC_S9_NS6_11hip_rocprim9__find_if7functorIS9_EEEE10hipError_tPvRmT1_T2_T3_mT4_P12ihipStream_tbEUlT_E0_NS1_11comp_targetILNS1_3genE10ELNS1_11target_archE1200ELNS1_3gpuE4ELNS1_3repE0EEENS1_30default_config_static_selectorELNS0_4arch9wavefront6targetE0EEEvSK_.kd
    .uniform_work_group_size: 1
    .uses_dynamic_stack: false
    .vgpr_count:     0
    .vgpr_spill_count: 0
    .wavefront_size: 32
    .workgroup_processor_mode: 1
  - .args:
      - .offset:         0
        .size:           72
        .value_kind:     by_value
    .group_segment_fixed_size: 0
    .kernarg_segment_align: 8
    .kernarg_segment_size: 72
    .language:       OpenCL C
    .language_version:
      - 2
      - 0
    .max_flat_workgroup_size: 256
    .name:           _ZN7rocprim17ROCPRIM_400000_NS6detail17trampoline_kernelINS0_14default_configENS1_22reduce_config_selectorIN6thrust23THRUST_200600_302600_NS5tupleIblNS6_9null_typeES8_S8_S8_S8_S8_S8_S8_EEEEZNS1_11reduce_implILb1ES3_PS9_SC_S9_NS6_11hip_rocprim9__find_if7functorIS9_EEEE10hipError_tPvRmT1_T2_T3_mT4_P12ihipStream_tbEUlT_E0_NS1_11comp_targetILNS1_3genE9ELNS1_11target_archE1100ELNS1_3gpuE3ELNS1_3repE0EEENS1_30default_config_static_selectorELNS0_4arch9wavefront6targetE0EEEvSK_
    .private_segment_fixed_size: 0
    .sgpr_count:     0
    .sgpr_spill_count: 0
    .symbol:         _ZN7rocprim17ROCPRIM_400000_NS6detail17trampoline_kernelINS0_14default_configENS1_22reduce_config_selectorIN6thrust23THRUST_200600_302600_NS5tupleIblNS6_9null_typeES8_S8_S8_S8_S8_S8_S8_EEEEZNS1_11reduce_implILb1ES3_PS9_SC_S9_NS6_11hip_rocprim9__find_if7functorIS9_EEEE10hipError_tPvRmT1_T2_T3_mT4_P12ihipStream_tbEUlT_E0_NS1_11comp_targetILNS1_3genE9ELNS1_11target_archE1100ELNS1_3gpuE3ELNS1_3repE0EEENS1_30default_config_static_selectorELNS0_4arch9wavefront6targetE0EEEvSK_.kd
    .uniform_work_group_size: 1
    .uses_dynamic_stack: false
    .vgpr_count:     0
    .vgpr_spill_count: 0
    .wavefront_size: 32
    .workgroup_processor_mode: 1
  - .args:
      - .offset:         0
        .size:           72
        .value_kind:     by_value
    .group_segment_fixed_size: 256
    .kernarg_segment_align: 8
    .kernarg_segment_size: 72
    .language:       OpenCL C
    .language_version:
      - 2
      - 0
    .max_flat_workgroup_size: 256
    .name:           _ZN7rocprim17ROCPRIM_400000_NS6detail17trampoline_kernelINS0_14default_configENS1_22reduce_config_selectorIN6thrust23THRUST_200600_302600_NS5tupleIblNS6_9null_typeES8_S8_S8_S8_S8_S8_S8_EEEEZNS1_11reduce_implILb1ES3_PS9_SC_S9_NS6_11hip_rocprim9__find_if7functorIS9_EEEE10hipError_tPvRmT1_T2_T3_mT4_P12ihipStream_tbEUlT_E0_NS1_11comp_targetILNS1_3genE8ELNS1_11target_archE1030ELNS1_3gpuE2ELNS1_3repE0EEENS1_30default_config_static_selectorELNS0_4arch9wavefront6targetE0EEEvSK_
    .private_segment_fixed_size: 0
    .sgpr_count:     22
    .sgpr_spill_count: 0
    .symbol:         _ZN7rocprim17ROCPRIM_400000_NS6detail17trampoline_kernelINS0_14default_configENS1_22reduce_config_selectorIN6thrust23THRUST_200600_302600_NS5tupleIblNS6_9null_typeES8_S8_S8_S8_S8_S8_S8_EEEEZNS1_11reduce_implILb1ES3_PS9_SC_S9_NS6_11hip_rocprim9__find_if7functorIS9_EEEE10hipError_tPvRmT1_T2_T3_mT4_P12ihipStream_tbEUlT_E0_NS1_11comp_targetILNS1_3genE8ELNS1_11target_archE1030ELNS1_3gpuE2ELNS1_3repE0EEENS1_30default_config_static_selectorELNS0_4arch9wavefront6targetE0EEEvSK_.kd
    .uniform_work_group_size: 1
    .uses_dynamic_stack: false
    .vgpr_count:     12
    .vgpr_spill_count: 0
    .wavefront_size: 32
    .workgroup_processor_mode: 1
  - .args:
      - .offset:         0
        .size:           56
        .value_kind:     by_value
    .group_segment_fixed_size: 0
    .kernarg_segment_align: 8
    .kernarg_segment_size: 56
    .language:       OpenCL C
    .language_version:
      - 2
      - 0
    .max_flat_workgroup_size: 128
    .name:           _ZN7rocprim17ROCPRIM_400000_NS6detail17trampoline_kernelINS0_14default_configENS1_22reduce_config_selectorIN6thrust23THRUST_200600_302600_NS5tupleIblNS6_9null_typeES8_S8_S8_S8_S8_S8_S8_EEEEZNS1_11reduce_implILb1ES3_PS9_SC_S9_NS6_11hip_rocprim9__find_if7functorIS9_EEEE10hipError_tPvRmT1_T2_T3_mT4_P12ihipStream_tbEUlT_E1_NS1_11comp_targetILNS1_3genE0ELNS1_11target_archE4294967295ELNS1_3gpuE0ELNS1_3repE0EEENS1_30default_config_static_selectorELNS0_4arch9wavefront6targetE0EEEvSK_
    .private_segment_fixed_size: 0
    .sgpr_count:     0
    .sgpr_spill_count: 0
    .symbol:         _ZN7rocprim17ROCPRIM_400000_NS6detail17trampoline_kernelINS0_14default_configENS1_22reduce_config_selectorIN6thrust23THRUST_200600_302600_NS5tupleIblNS6_9null_typeES8_S8_S8_S8_S8_S8_S8_EEEEZNS1_11reduce_implILb1ES3_PS9_SC_S9_NS6_11hip_rocprim9__find_if7functorIS9_EEEE10hipError_tPvRmT1_T2_T3_mT4_P12ihipStream_tbEUlT_E1_NS1_11comp_targetILNS1_3genE0ELNS1_11target_archE4294967295ELNS1_3gpuE0ELNS1_3repE0EEENS1_30default_config_static_selectorELNS0_4arch9wavefront6targetE0EEEvSK_.kd
    .uniform_work_group_size: 1
    .uses_dynamic_stack: false
    .vgpr_count:     0
    .vgpr_spill_count: 0
    .wavefront_size: 32
    .workgroup_processor_mode: 1
  - .args:
      - .offset:         0
        .size:           56
        .value_kind:     by_value
    .group_segment_fixed_size: 0
    .kernarg_segment_align: 8
    .kernarg_segment_size: 56
    .language:       OpenCL C
    .language_version:
      - 2
      - 0
    .max_flat_workgroup_size: 256
    .name:           _ZN7rocprim17ROCPRIM_400000_NS6detail17trampoline_kernelINS0_14default_configENS1_22reduce_config_selectorIN6thrust23THRUST_200600_302600_NS5tupleIblNS6_9null_typeES8_S8_S8_S8_S8_S8_S8_EEEEZNS1_11reduce_implILb1ES3_PS9_SC_S9_NS6_11hip_rocprim9__find_if7functorIS9_EEEE10hipError_tPvRmT1_T2_T3_mT4_P12ihipStream_tbEUlT_E1_NS1_11comp_targetILNS1_3genE5ELNS1_11target_archE942ELNS1_3gpuE9ELNS1_3repE0EEENS1_30default_config_static_selectorELNS0_4arch9wavefront6targetE0EEEvSK_
    .private_segment_fixed_size: 0
    .sgpr_count:     0
    .sgpr_spill_count: 0
    .symbol:         _ZN7rocprim17ROCPRIM_400000_NS6detail17trampoline_kernelINS0_14default_configENS1_22reduce_config_selectorIN6thrust23THRUST_200600_302600_NS5tupleIblNS6_9null_typeES8_S8_S8_S8_S8_S8_S8_EEEEZNS1_11reduce_implILb1ES3_PS9_SC_S9_NS6_11hip_rocprim9__find_if7functorIS9_EEEE10hipError_tPvRmT1_T2_T3_mT4_P12ihipStream_tbEUlT_E1_NS1_11comp_targetILNS1_3genE5ELNS1_11target_archE942ELNS1_3gpuE9ELNS1_3repE0EEENS1_30default_config_static_selectorELNS0_4arch9wavefront6targetE0EEEvSK_.kd
    .uniform_work_group_size: 1
    .uses_dynamic_stack: false
    .vgpr_count:     0
    .vgpr_spill_count: 0
    .wavefront_size: 32
    .workgroup_processor_mode: 1
  - .args:
      - .offset:         0
        .size:           56
        .value_kind:     by_value
    .group_segment_fixed_size: 0
    .kernarg_segment_align: 8
    .kernarg_segment_size: 56
    .language:       OpenCL C
    .language_version:
      - 2
      - 0
    .max_flat_workgroup_size: 256
    .name:           _ZN7rocprim17ROCPRIM_400000_NS6detail17trampoline_kernelINS0_14default_configENS1_22reduce_config_selectorIN6thrust23THRUST_200600_302600_NS5tupleIblNS6_9null_typeES8_S8_S8_S8_S8_S8_S8_EEEEZNS1_11reduce_implILb1ES3_PS9_SC_S9_NS6_11hip_rocprim9__find_if7functorIS9_EEEE10hipError_tPvRmT1_T2_T3_mT4_P12ihipStream_tbEUlT_E1_NS1_11comp_targetILNS1_3genE4ELNS1_11target_archE910ELNS1_3gpuE8ELNS1_3repE0EEENS1_30default_config_static_selectorELNS0_4arch9wavefront6targetE0EEEvSK_
    .private_segment_fixed_size: 0
    .sgpr_count:     0
    .sgpr_spill_count: 0
    .symbol:         _ZN7rocprim17ROCPRIM_400000_NS6detail17trampoline_kernelINS0_14default_configENS1_22reduce_config_selectorIN6thrust23THRUST_200600_302600_NS5tupleIblNS6_9null_typeES8_S8_S8_S8_S8_S8_S8_EEEEZNS1_11reduce_implILb1ES3_PS9_SC_S9_NS6_11hip_rocprim9__find_if7functorIS9_EEEE10hipError_tPvRmT1_T2_T3_mT4_P12ihipStream_tbEUlT_E1_NS1_11comp_targetILNS1_3genE4ELNS1_11target_archE910ELNS1_3gpuE8ELNS1_3repE0EEENS1_30default_config_static_selectorELNS0_4arch9wavefront6targetE0EEEvSK_.kd
    .uniform_work_group_size: 1
    .uses_dynamic_stack: false
    .vgpr_count:     0
    .vgpr_spill_count: 0
    .wavefront_size: 32
    .workgroup_processor_mode: 1
  - .args:
      - .offset:         0
        .size:           56
        .value_kind:     by_value
    .group_segment_fixed_size: 0
    .kernarg_segment_align: 8
    .kernarg_segment_size: 56
    .language:       OpenCL C
    .language_version:
      - 2
      - 0
    .max_flat_workgroup_size: 128
    .name:           _ZN7rocprim17ROCPRIM_400000_NS6detail17trampoline_kernelINS0_14default_configENS1_22reduce_config_selectorIN6thrust23THRUST_200600_302600_NS5tupleIblNS6_9null_typeES8_S8_S8_S8_S8_S8_S8_EEEEZNS1_11reduce_implILb1ES3_PS9_SC_S9_NS6_11hip_rocprim9__find_if7functorIS9_EEEE10hipError_tPvRmT1_T2_T3_mT4_P12ihipStream_tbEUlT_E1_NS1_11comp_targetILNS1_3genE3ELNS1_11target_archE908ELNS1_3gpuE7ELNS1_3repE0EEENS1_30default_config_static_selectorELNS0_4arch9wavefront6targetE0EEEvSK_
    .private_segment_fixed_size: 0
    .sgpr_count:     0
    .sgpr_spill_count: 0
    .symbol:         _ZN7rocprim17ROCPRIM_400000_NS6detail17trampoline_kernelINS0_14default_configENS1_22reduce_config_selectorIN6thrust23THRUST_200600_302600_NS5tupleIblNS6_9null_typeES8_S8_S8_S8_S8_S8_S8_EEEEZNS1_11reduce_implILb1ES3_PS9_SC_S9_NS6_11hip_rocprim9__find_if7functorIS9_EEEE10hipError_tPvRmT1_T2_T3_mT4_P12ihipStream_tbEUlT_E1_NS1_11comp_targetILNS1_3genE3ELNS1_11target_archE908ELNS1_3gpuE7ELNS1_3repE0EEENS1_30default_config_static_selectorELNS0_4arch9wavefront6targetE0EEEvSK_.kd
    .uniform_work_group_size: 1
    .uses_dynamic_stack: false
    .vgpr_count:     0
    .vgpr_spill_count: 0
    .wavefront_size: 32
    .workgroup_processor_mode: 1
  - .args:
      - .offset:         0
        .size:           56
        .value_kind:     by_value
    .group_segment_fixed_size: 0
    .kernarg_segment_align: 8
    .kernarg_segment_size: 56
    .language:       OpenCL C
    .language_version:
      - 2
      - 0
    .max_flat_workgroup_size: 128
    .name:           _ZN7rocprim17ROCPRIM_400000_NS6detail17trampoline_kernelINS0_14default_configENS1_22reduce_config_selectorIN6thrust23THRUST_200600_302600_NS5tupleIblNS6_9null_typeES8_S8_S8_S8_S8_S8_S8_EEEEZNS1_11reduce_implILb1ES3_PS9_SC_S9_NS6_11hip_rocprim9__find_if7functorIS9_EEEE10hipError_tPvRmT1_T2_T3_mT4_P12ihipStream_tbEUlT_E1_NS1_11comp_targetILNS1_3genE2ELNS1_11target_archE906ELNS1_3gpuE6ELNS1_3repE0EEENS1_30default_config_static_selectorELNS0_4arch9wavefront6targetE0EEEvSK_
    .private_segment_fixed_size: 0
    .sgpr_count:     0
    .sgpr_spill_count: 0
    .symbol:         _ZN7rocprim17ROCPRIM_400000_NS6detail17trampoline_kernelINS0_14default_configENS1_22reduce_config_selectorIN6thrust23THRUST_200600_302600_NS5tupleIblNS6_9null_typeES8_S8_S8_S8_S8_S8_S8_EEEEZNS1_11reduce_implILb1ES3_PS9_SC_S9_NS6_11hip_rocprim9__find_if7functorIS9_EEEE10hipError_tPvRmT1_T2_T3_mT4_P12ihipStream_tbEUlT_E1_NS1_11comp_targetILNS1_3genE2ELNS1_11target_archE906ELNS1_3gpuE6ELNS1_3repE0EEENS1_30default_config_static_selectorELNS0_4arch9wavefront6targetE0EEEvSK_.kd
    .uniform_work_group_size: 1
    .uses_dynamic_stack: false
    .vgpr_count:     0
    .vgpr_spill_count: 0
    .wavefront_size: 32
    .workgroup_processor_mode: 1
  - .args:
      - .offset:         0
        .size:           56
        .value_kind:     by_value
    .group_segment_fixed_size: 0
    .kernarg_segment_align: 8
    .kernarg_segment_size: 56
    .language:       OpenCL C
    .language_version:
      - 2
      - 0
    .max_flat_workgroup_size: 256
    .name:           _ZN7rocprim17ROCPRIM_400000_NS6detail17trampoline_kernelINS0_14default_configENS1_22reduce_config_selectorIN6thrust23THRUST_200600_302600_NS5tupleIblNS6_9null_typeES8_S8_S8_S8_S8_S8_S8_EEEEZNS1_11reduce_implILb1ES3_PS9_SC_S9_NS6_11hip_rocprim9__find_if7functorIS9_EEEE10hipError_tPvRmT1_T2_T3_mT4_P12ihipStream_tbEUlT_E1_NS1_11comp_targetILNS1_3genE10ELNS1_11target_archE1201ELNS1_3gpuE5ELNS1_3repE0EEENS1_30default_config_static_selectorELNS0_4arch9wavefront6targetE0EEEvSK_
    .private_segment_fixed_size: 0
    .sgpr_count:     0
    .sgpr_spill_count: 0
    .symbol:         _ZN7rocprim17ROCPRIM_400000_NS6detail17trampoline_kernelINS0_14default_configENS1_22reduce_config_selectorIN6thrust23THRUST_200600_302600_NS5tupleIblNS6_9null_typeES8_S8_S8_S8_S8_S8_S8_EEEEZNS1_11reduce_implILb1ES3_PS9_SC_S9_NS6_11hip_rocprim9__find_if7functorIS9_EEEE10hipError_tPvRmT1_T2_T3_mT4_P12ihipStream_tbEUlT_E1_NS1_11comp_targetILNS1_3genE10ELNS1_11target_archE1201ELNS1_3gpuE5ELNS1_3repE0EEENS1_30default_config_static_selectorELNS0_4arch9wavefront6targetE0EEEvSK_.kd
    .uniform_work_group_size: 1
    .uses_dynamic_stack: false
    .vgpr_count:     0
    .vgpr_spill_count: 0
    .wavefront_size: 32
    .workgroup_processor_mode: 1
  - .args:
      - .offset:         0
        .size:           56
        .value_kind:     by_value
    .group_segment_fixed_size: 0
    .kernarg_segment_align: 8
    .kernarg_segment_size: 56
    .language:       OpenCL C
    .language_version:
      - 2
      - 0
    .max_flat_workgroup_size: 256
    .name:           _ZN7rocprim17ROCPRIM_400000_NS6detail17trampoline_kernelINS0_14default_configENS1_22reduce_config_selectorIN6thrust23THRUST_200600_302600_NS5tupleIblNS6_9null_typeES8_S8_S8_S8_S8_S8_S8_EEEEZNS1_11reduce_implILb1ES3_PS9_SC_S9_NS6_11hip_rocprim9__find_if7functorIS9_EEEE10hipError_tPvRmT1_T2_T3_mT4_P12ihipStream_tbEUlT_E1_NS1_11comp_targetILNS1_3genE10ELNS1_11target_archE1200ELNS1_3gpuE4ELNS1_3repE0EEENS1_30default_config_static_selectorELNS0_4arch9wavefront6targetE0EEEvSK_
    .private_segment_fixed_size: 0
    .sgpr_count:     0
    .sgpr_spill_count: 0
    .symbol:         _ZN7rocprim17ROCPRIM_400000_NS6detail17trampoline_kernelINS0_14default_configENS1_22reduce_config_selectorIN6thrust23THRUST_200600_302600_NS5tupleIblNS6_9null_typeES8_S8_S8_S8_S8_S8_S8_EEEEZNS1_11reduce_implILb1ES3_PS9_SC_S9_NS6_11hip_rocprim9__find_if7functorIS9_EEEE10hipError_tPvRmT1_T2_T3_mT4_P12ihipStream_tbEUlT_E1_NS1_11comp_targetILNS1_3genE10ELNS1_11target_archE1200ELNS1_3gpuE4ELNS1_3repE0EEENS1_30default_config_static_selectorELNS0_4arch9wavefront6targetE0EEEvSK_.kd
    .uniform_work_group_size: 1
    .uses_dynamic_stack: false
    .vgpr_count:     0
    .vgpr_spill_count: 0
    .wavefront_size: 32
    .workgroup_processor_mode: 1
  - .args:
      - .offset:         0
        .size:           56
        .value_kind:     by_value
    .group_segment_fixed_size: 0
    .kernarg_segment_align: 8
    .kernarg_segment_size: 56
    .language:       OpenCL C
    .language_version:
      - 2
      - 0
    .max_flat_workgroup_size: 256
    .name:           _ZN7rocprim17ROCPRIM_400000_NS6detail17trampoline_kernelINS0_14default_configENS1_22reduce_config_selectorIN6thrust23THRUST_200600_302600_NS5tupleIblNS6_9null_typeES8_S8_S8_S8_S8_S8_S8_EEEEZNS1_11reduce_implILb1ES3_PS9_SC_S9_NS6_11hip_rocprim9__find_if7functorIS9_EEEE10hipError_tPvRmT1_T2_T3_mT4_P12ihipStream_tbEUlT_E1_NS1_11comp_targetILNS1_3genE9ELNS1_11target_archE1100ELNS1_3gpuE3ELNS1_3repE0EEENS1_30default_config_static_selectorELNS0_4arch9wavefront6targetE0EEEvSK_
    .private_segment_fixed_size: 0
    .sgpr_count:     0
    .sgpr_spill_count: 0
    .symbol:         _ZN7rocprim17ROCPRIM_400000_NS6detail17trampoline_kernelINS0_14default_configENS1_22reduce_config_selectorIN6thrust23THRUST_200600_302600_NS5tupleIblNS6_9null_typeES8_S8_S8_S8_S8_S8_S8_EEEEZNS1_11reduce_implILb1ES3_PS9_SC_S9_NS6_11hip_rocprim9__find_if7functorIS9_EEEE10hipError_tPvRmT1_T2_T3_mT4_P12ihipStream_tbEUlT_E1_NS1_11comp_targetILNS1_3genE9ELNS1_11target_archE1100ELNS1_3gpuE3ELNS1_3repE0EEENS1_30default_config_static_selectorELNS0_4arch9wavefront6targetE0EEEvSK_.kd
    .uniform_work_group_size: 1
    .uses_dynamic_stack: false
    .vgpr_count:     0
    .vgpr_spill_count: 0
    .wavefront_size: 32
    .workgroup_processor_mode: 1
  - .args:
      - .offset:         0
        .size:           56
        .value_kind:     by_value
    .group_segment_fixed_size: 640
    .kernarg_segment_align: 8
    .kernarg_segment_size: 56
    .language:       OpenCL C
    .language_version:
      - 2
      - 0
    .max_flat_workgroup_size: 256
    .name:           _ZN7rocprim17ROCPRIM_400000_NS6detail17trampoline_kernelINS0_14default_configENS1_22reduce_config_selectorIN6thrust23THRUST_200600_302600_NS5tupleIblNS6_9null_typeES8_S8_S8_S8_S8_S8_S8_EEEEZNS1_11reduce_implILb1ES3_PS9_SC_S9_NS6_11hip_rocprim9__find_if7functorIS9_EEEE10hipError_tPvRmT1_T2_T3_mT4_P12ihipStream_tbEUlT_E1_NS1_11comp_targetILNS1_3genE8ELNS1_11target_archE1030ELNS1_3gpuE2ELNS1_3repE0EEENS1_30default_config_static_selectorELNS0_4arch9wavefront6targetE0EEEvSK_
    .private_segment_fixed_size: 0
    .sgpr_count:     25
    .sgpr_spill_count: 0
    .symbol:         _ZN7rocprim17ROCPRIM_400000_NS6detail17trampoline_kernelINS0_14default_configENS1_22reduce_config_selectorIN6thrust23THRUST_200600_302600_NS5tupleIblNS6_9null_typeES8_S8_S8_S8_S8_S8_S8_EEEEZNS1_11reduce_implILb1ES3_PS9_SC_S9_NS6_11hip_rocprim9__find_if7functorIS9_EEEE10hipError_tPvRmT1_T2_T3_mT4_P12ihipStream_tbEUlT_E1_NS1_11comp_targetILNS1_3genE8ELNS1_11target_archE1030ELNS1_3gpuE2ELNS1_3repE0EEENS1_30default_config_static_selectorELNS0_4arch9wavefront6targetE0EEEvSK_.kd
    .uniform_work_group_size: 1
    .uses_dynamic_stack: false
    .vgpr_count:     29
    .vgpr_spill_count: 0
    .wavefront_size: 32
    .workgroup_processor_mode: 1
  - .args:
      - .offset:         0
        .size:           104
        .value_kind:     by_value
    .group_segment_fixed_size: 0
    .kernarg_segment_align: 8
    .kernarg_segment_size: 104
    .language:       OpenCL C
    .language_version:
      - 2
      - 0
    .max_flat_workgroup_size: 128
    .name:           _ZN7rocprim17ROCPRIM_400000_NS6detail17trampoline_kernelINS0_14default_configENS1_22reduce_config_selectorIN6thrust23THRUST_200600_302600_NS5tupleIblNS6_9null_typeES8_S8_S8_S8_S8_S8_S8_EEEEZNS1_11reduce_implILb1ES3_NS6_12zip_iteratorINS7_INS6_11hip_rocprim26transform_input_iterator_tIbNSD_35transform_pair_of_input_iterators_tIbNS6_6detail15normal_iteratorINS6_10device_ptrIKiEEEESL_NS6_8equal_toIiEEEENSG_9not_fun_tINSD_8identityEEEEENSD_19counting_iterator_tIlEES8_S8_S8_S8_S8_S8_S8_S8_EEEEPS9_S9_NSD_9__find_if7functorIS9_EEEE10hipError_tPvRmT1_T2_T3_mT4_P12ihipStream_tbEUlT_E0_NS1_11comp_targetILNS1_3genE0ELNS1_11target_archE4294967295ELNS1_3gpuE0ELNS1_3repE0EEENS1_30default_config_static_selectorELNS0_4arch9wavefront6targetE0EEEvS14_
    .private_segment_fixed_size: 0
    .sgpr_count:     0
    .sgpr_spill_count: 0
    .symbol:         _ZN7rocprim17ROCPRIM_400000_NS6detail17trampoline_kernelINS0_14default_configENS1_22reduce_config_selectorIN6thrust23THRUST_200600_302600_NS5tupleIblNS6_9null_typeES8_S8_S8_S8_S8_S8_S8_EEEEZNS1_11reduce_implILb1ES3_NS6_12zip_iteratorINS7_INS6_11hip_rocprim26transform_input_iterator_tIbNSD_35transform_pair_of_input_iterators_tIbNS6_6detail15normal_iteratorINS6_10device_ptrIKiEEEESL_NS6_8equal_toIiEEEENSG_9not_fun_tINSD_8identityEEEEENSD_19counting_iterator_tIlEES8_S8_S8_S8_S8_S8_S8_S8_EEEEPS9_S9_NSD_9__find_if7functorIS9_EEEE10hipError_tPvRmT1_T2_T3_mT4_P12ihipStream_tbEUlT_E0_NS1_11comp_targetILNS1_3genE0ELNS1_11target_archE4294967295ELNS1_3gpuE0ELNS1_3repE0EEENS1_30default_config_static_selectorELNS0_4arch9wavefront6targetE0EEEvS14_.kd
    .uniform_work_group_size: 1
    .uses_dynamic_stack: false
    .vgpr_count:     0
    .vgpr_spill_count: 0
    .wavefront_size: 32
    .workgroup_processor_mode: 1
  - .args:
      - .offset:         0
        .size:           104
        .value_kind:     by_value
    .group_segment_fixed_size: 0
    .kernarg_segment_align: 8
    .kernarg_segment_size: 104
    .language:       OpenCL C
    .language_version:
      - 2
      - 0
    .max_flat_workgroup_size: 256
    .name:           _ZN7rocprim17ROCPRIM_400000_NS6detail17trampoline_kernelINS0_14default_configENS1_22reduce_config_selectorIN6thrust23THRUST_200600_302600_NS5tupleIblNS6_9null_typeES8_S8_S8_S8_S8_S8_S8_EEEEZNS1_11reduce_implILb1ES3_NS6_12zip_iteratorINS7_INS6_11hip_rocprim26transform_input_iterator_tIbNSD_35transform_pair_of_input_iterators_tIbNS6_6detail15normal_iteratorINS6_10device_ptrIKiEEEESL_NS6_8equal_toIiEEEENSG_9not_fun_tINSD_8identityEEEEENSD_19counting_iterator_tIlEES8_S8_S8_S8_S8_S8_S8_S8_EEEEPS9_S9_NSD_9__find_if7functorIS9_EEEE10hipError_tPvRmT1_T2_T3_mT4_P12ihipStream_tbEUlT_E0_NS1_11comp_targetILNS1_3genE5ELNS1_11target_archE942ELNS1_3gpuE9ELNS1_3repE0EEENS1_30default_config_static_selectorELNS0_4arch9wavefront6targetE0EEEvS14_
    .private_segment_fixed_size: 0
    .sgpr_count:     0
    .sgpr_spill_count: 0
    .symbol:         _ZN7rocprim17ROCPRIM_400000_NS6detail17trampoline_kernelINS0_14default_configENS1_22reduce_config_selectorIN6thrust23THRUST_200600_302600_NS5tupleIblNS6_9null_typeES8_S8_S8_S8_S8_S8_S8_EEEEZNS1_11reduce_implILb1ES3_NS6_12zip_iteratorINS7_INS6_11hip_rocprim26transform_input_iterator_tIbNSD_35transform_pair_of_input_iterators_tIbNS6_6detail15normal_iteratorINS6_10device_ptrIKiEEEESL_NS6_8equal_toIiEEEENSG_9not_fun_tINSD_8identityEEEEENSD_19counting_iterator_tIlEES8_S8_S8_S8_S8_S8_S8_S8_EEEEPS9_S9_NSD_9__find_if7functorIS9_EEEE10hipError_tPvRmT1_T2_T3_mT4_P12ihipStream_tbEUlT_E0_NS1_11comp_targetILNS1_3genE5ELNS1_11target_archE942ELNS1_3gpuE9ELNS1_3repE0EEENS1_30default_config_static_selectorELNS0_4arch9wavefront6targetE0EEEvS14_.kd
    .uniform_work_group_size: 1
    .uses_dynamic_stack: false
    .vgpr_count:     0
    .vgpr_spill_count: 0
    .wavefront_size: 32
    .workgroup_processor_mode: 1
  - .args:
      - .offset:         0
        .size:           104
        .value_kind:     by_value
    .group_segment_fixed_size: 0
    .kernarg_segment_align: 8
    .kernarg_segment_size: 104
    .language:       OpenCL C
    .language_version:
      - 2
      - 0
    .max_flat_workgroup_size: 256
    .name:           _ZN7rocprim17ROCPRIM_400000_NS6detail17trampoline_kernelINS0_14default_configENS1_22reduce_config_selectorIN6thrust23THRUST_200600_302600_NS5tupleIblNS6_9null_typeES8_S8_S8_S8_S8_S8_S8_EEEEZNS1_11reduce_implILb1ES3_NS6_12zip_iteratorINS7_INS6_11hip_rocprim26transform_input_iterator_tIbNSD_35transform_pair_of_input_iterators_tIbNS6_6detail15normal_iteratorINS6_10device_ptrIKiEEEESL_NS6_8equal_toIiEEEENSG_9not_fun_tINSD_8identityEEEEENSD_19counting_iterator_tIlEES8_S8_S8_S8_S8_S8_S8_S8_EEEEPS9_S9_NSD_9__find_if7functorIS9_EEEE10hipError_tPvRmT1_T2_T3_mT4_P12ihipStream_tbEUlT_E0_NS1_11comp_targetILNS1_3genE4ELNS1_11target_archE910ELNS1_3gpuE8ELNS1_3repE0EEENS1_30default_config_static_selectorELNS0_4arch9wavefront6targetE0EEEvS14_
    .private_segment_fixed_size: 0
    .sgpr_count:     0
    .sgpr_spill_count: 0
    .symbol:         _ZN7rocprim17ROCPRIM_400000_NS6detail17trampoline_kernelINS0_14default_configENS1_22reduce_config_selectorIN6thrust23THRUST_200600_302600_NS5tupleIblNS6_9null_typeES8_S8_S8_S8_S8_S8_S8_EEEEZNS1_11reduce_implILb1ES3_NS6_12zip_iteratorINS7_INS6_11hip_rocprim26transform_input_iterator_tIbNSD_35transform_pair_of_input_iterators_tIbNS6_6detail15normal_iteratorINS6_10device_ptrIKiEEEESL_NS6_8equal_toIiEEEENSG_9not_fun_tINSD_8identityEEEEENSD_19counting_iterator_tIlEES8_S8_S8_S8_S8_S8_S8_S8_EEEEPS9_S9_NSD_9__find_if7functorIS9_EEEE10hipError_tPvRmT1_T2_T3_mT4_P12ihipStream_tbEUlT_E0_NS1_11comp_targetILNS1_3genE4ELNS1_11target_archE910ELNS1_3gpuE8ELNS1_3repE0EEENS1_30default_config_static_selectorELNS0_4arch9wavefront6targetE0EEEvS14_.kd
    .uniform_work_group_size: 1
    .uses_dynamic_stack: false
    .vgpr_count:     0
    .vgpr_spill_count: 0
    .wavefront_size: 32
    .workgroup_processor_mode: 1
  - .args:
      - .offset:         0
        .size:           104
        .value_kind:     by_value
    .group_segment_fixed_size: 0
    .kernarg_segment_align: 8
    .kernarg_segment_size: 104
    .language:       OpenCL C
    .language_version:
      - 2
      - 0
    .max_flat_workgroup_size: 128
    .name:           _ZN7rocprim17ROCPRIM_400000_NS6detail17trampoline_kernelINS0_14default_configENS1_22reduce_config_selectorIN6thrust23THRUST_200600_302600_NS5tupleIblNS6_9null_typeES8_S8_S8_S8_S8_S8_S8_EEEEZNS1_11reduce_implILb1ES3_NS6_12zip_iteratorINS7_INS6_11hip_rocprim26transform_input_iterator_tIbNSD_35transform_pair_of_input_iterators_tIbNS6_6detail15normal_iteratorINS6_10device_ptrIKiEEEESL_NS6_8equal_toIiEEEENSG_9not_fun_tINSD_8identityEEEEENSD_19counting_iterator_tIlEES8_S8_S8_S8_S8_S8_S8_S8_EEEEPS9_S9_NSD_9__find_if7functorIS9_EEEE10hipError_tPvRmT1_T2_T3_mT4_P12ihipStream_tbEUlT_E0_NS1_11comp_targetILNS1_3genE3ELNS1_11target_archE908ELNS1_3gpuE7ELNS1_3repE0EEENS1_30default_config_static_selectorELNS0_4arch9wavefront6targetE0EEEvS14_
    .private_segment_fixed_size: 0
    .sgpr_count:     0
    .sgpr_spill_count: 0
    .symbol:         _ZN7rocprim17ROCPRIM_400000_NS6detail17trampoline_kernelINS0_14default_configENS1_22reduce_config_selectorIN6thrust23THRUST_200600_302600_NS5tupleIblNS6_9null_typeES8_S8_S8_S8_S8_S8_S8_EEEEZNS1_11reduce_implILb1ES3_NS6_12zip_iteratorINS7_INS6_11hip_rocprim26transform_input_iterator_tIbNSD_35transform_pair_of_input_iterators_tIbNS6_6detail15normal_iteratorINS6_10device_ptrIKiEEEESL_NS6_8equal_toIiEEEENSG_9not_fun_tINSD_8identityEEEEENSD_19counting_iterator_tIlEES8_S8_S8_S8_S8_S8_S8_S8_EEEEPS9_S9_NSD_9__find_if7functorIS9_EEEE10hipError_tPvRmT1_T2_T3_mT4_P12ihipStream_tbEUlT_E0_NS1_11comp_targetILNS1_3genE3ELNS1_11target_archE908ELNS1_3gpuE7ELNS1_3repE0EEENS1_30default_config_static_selectorELNS0_4arch9wavefront6targetE0EEEvS14_.kd
    .uniform_work_group_size: 1
    .uses_dynamic_stack: false
    .vgpr_count:     0
    .vgpr_spill_count: 0
    .wavefront_size: 32
    .workgroup_processor_mode: 1
  - .args:
      - .offset:         0
        .size:           104
        .value_kind:     by_value
    .group_segment_fixed_size: 0
    .kernarg_segment_align: 8
    .kernarg_segment_size: 104
    .language:       OpenCL C
    .language_version:
      - 2
      - 0
    .max_flat_workgroup_size: 128
    .name:           _ZN7rocprim17ROCPRIM_400000_NS6detail17trampoline_kernelINS0_14default_configENS1_22reduce_config_selectorIN6thrust23THRUST_200600_302600_NS5tupleIblNS6_9null_typeES8_S8_S8_S8_S8_S8_S8_EEEEZNS1_11reduce_implILb1ES3_NS6_12zip_iteratorINS7_INS6_11hip_rocprim26transform_input_iterator_tIbNSD_35transform_pair_of_input_iterators_tIbNS6_6detail15normal_iteratorINS6_10device_ptrIKiEEEESL_NS6_8equal_toIiEEEENSG_9not_fun_tINSD_8identityEEEEENSD_19counting_iterator_tIlEES8_S8_S8_S8_S8_S8_S8_S8_EEEEPS9_S9_NSD_9__find_if7functorIS9_EEEE10hipError_tPvRmT1_T2_T3_mT4_P12ihipStream_tbEUlT_E0_NS1_11comp_targetILNS1_3genE2ELNS1_11target_archE906ELNS1_3gpuE6ELNS1_3repE0EEENS1_30default_config_static_selectorELNS0_4arch9wavefront6targetE0EEEvS14_
    .private_segment_fixed_size: 0
    .sgpr_count:     0
    .sgpr_spill_count: 0
    .symbol:         _ZN7rocprim17ROCPRIM_400000_NS6detail17trampoline_kernelINS0_14default_configENS1_22reduce_config_selectorIN6thrust23THRUST_200600_302600_NS5tupleIblNS6_9null_typeES8_S8_S8_S8_S8_S8_S8_EEEEZNS1_11reduce_implILb1ES3_NS6_12zip_iteratorINS7_INS6_11hip_rocprim26transform_input_iterator_tIbNSD_35transform_pair_of_input_iterators_tIbNS6_6detail15normal_iteratorINS6_10device_ptrIKiEEEESL_NS6_8equal_toIiEEEENSG_9not_fun_tINSD_8identityEEEEENSD_19counting_iterator_tIlEES8_S8_S8_S8_S8_S8_S8_S8_EEEEPS9_S9_NSD_9__find_if7functorIS9_EEEE10hipError_tPvRmT1_T2_T3_mT4_P12ihipStream_tbEUlT_E0_NS1_11comp_targetILNS1_3genE2ELNS1_11target_archE906ELNS1_3gpuE6ELNS1_3repE0EEENS1_30default_config_static_selectorELNS0_4arch9wavefront6targetE0EEEvS14_.kd
    .uniform_work_group_size: 1
    .uses_dynamic_stack: false
    .vgpr_count:     0
    .vgpr_spill_count: 0
    .wavefront_size: 32
    .workgroup_processor_mode: 1
  - .args:
      - .offset:         0
        .size:           104
        .value_kind:     by_value
    .group_segment_fixed_size: 0
    .kernarg_segment_align: 8
    .kernarg_segment_size: 104
    .language:       OpenCL C
    .language_version:
      - 2
      - 0
    .max_flat_workgroup_size: 256
    .name:           _ZN7rocprim17ROCPRIM_400000_NS6detail17trampoline_kernelINS0_14default_configENS1_22reduce_config_selectorIN6thrust23THRUST_200600_302600_NS5tupleIblNS6_9null_typeES8_S8_S8_S8_S8_S8_S8_EEEEZNS1_11reduce_implILb1ES3_NS6_12zip_iteratorINS7_INS6_11hip_rocprim26transform_input_iterator_tIbNSD_35transform_pair_of_input_iterators_tIbNS6_6detail15normal_iteratorINS6_10device_ptrIKiEEEESL_NS6_8equal_toIiEEEENSG_9not_fun_tINSD_8identityEEEEENSD_19counting_iterator_tIlEES8_S8_S8_S8_S8_S8_S8_S8_EEEEPS9_S9_NSD_9__find_if7functorIS9_EEEE10hipError_tPvRmT1_T2_T3_mT4_P12ihipStream_tbEUlT_E0_NS1_11comp_targetILNS1_3genE10ELNS1_11target_archE1201ELNS1_3gpuE5ELNS1_3repE0EEENS1_30default_config_static_selectorELNS0_4arch9wavefront6targetE0EEEvS14_
    .private_segment_fixed_size: 0
    .sgpr_count:     0
    .sgpr_spill_count: 0
    .symbol:         _ZN7rocprim17ROCPRIM_400000_NS6detail17trampoline_kernelINS0_14default_configENS1_22reduce_config_selectorIN6thrust23THRUST_200600_302600_NS5tupleIblNS6_9null_typeES8_S8_S8_S8_S8_S8_S8_EEEEZNS1_11reduce_implILb1ES3_NS6_12zip_iteratorINS7_INS6_11hip_rocprim26transform_input_iterator_tIbNSD_35transform_pair_of_input_iterators_tIbNS6_6detail15normal_iteratorINS6_10device_ptrIKiEEEESL_NS6_8equal_toIiEEEENSG_9not_fun_tINSD_8identityEEEEENSD_19counting_iterator_tIlEES8_S8_S8_S8_S8_S8_S8_S8_EEEEPS9_S9_NSD_9__find_if7functorIS9_EEEE10hipError_tPvRmT1_T2_T3_mT4_P12ihipStream_tbEUlT_E0_NS1_11comp_targetILNS1_3genE10ELNS1_11target_archE1201ELNS1_3gpuE5ELNS1_3repE0EEENS1_30default_config_static_selectorELNS0_4arch9wavefront6targetE0EEEvS14_.kd
    .uniform_work_group_size: 1
    .uses_dynamic_stack: false
    .vgpr_count:     0
    .vgpr_spill_count: 0
    .wavefront_size: 32
    .workgroup_processor_mode: 1
  - .args:
      - .offset:         0
        .size:           104
        .value_kind:     by_value
    .group_segment_fixed_size: 0
    .kernarg_segment_align: 8
    .kernarg_segment_size: 104
    .language:       OpenCL C
    .language_version:
      - 2
      - 0
    .max_flat_workgroup_size: 256
    .name:           _ZN7rocprim17ROCPRIM_400000_NS6detail17trampoline_kernelINS0_14default_configENS1_22reduce_config_selectorIN6thrust23THRUST_200600_302600_NS5tupleIblNS6_9null_typeES8_S8_S8_S8_S8_S8_S8_EEEEZNS1_11reduce_implILb1ES3_NS6_12zip_iteratorINS7_INS6_11hip_rocprim26transform_input_iterator_tIbNSD_35transform_pair_of_input_iterators_tIbNS6_6detail15normal_iteratorINS6_10device_ptrIKiEEEESL_NS6_8equal_toIiEEEENSG_9not_fun_tINSD_8identityEEEEENSD_19counting_iterator_tIlEES8_S8_S8_S8_S8_S8_S8_S8_EEEEPS9_S9_NSD_9__find_if7functorIS9_EEEE10hipError_tPvRmT1_T2_T3_mT4_P12ihipStream_tbEUlT_E0_NS1_11comp_targetILNS1_3genE10ELNS1_11target_archE1200ELNS1_3gpuE4ELNS1_3repE0EEENS1_30default_config_static_selectorELNS0_4arch9wavefront6targetE0EEEvS14_
    .private_segment_fixed_size: 0
    .sgpr_count:     0
    .sgpr_spill_count: 0
    .symbol:         _ZN7rocprim17ROCPRIM_400000_NS6detail17trampoline_kernelINS0_14default_configENS1_22reduce_config_selectorIN6thrust23THRUST_200600_302600_NS5tupleIblNS6_9null_typeES8_S8_S8_S8_S8_S8_S8_EEEEZNS1_11reduce_implILb1ES3_NS6_12zip_iteratorINS7_INS6_11hip_rocprim26transform_input_iterator_tIbNSD_35transform_pair_of_input_iterators_tIbNS6_6detail15normal_iteratorINS6_10device_ptrIKiEEEESL_NS6_8equal_toIiEEEENSG_9not_fun_tINSD_8identityEEEEENSD_19counting_iterator_tIlEES8_S8_S8_S8_S8_S8_S8_S8_EEEEPS9_S9_NSD_9__find_if7functorIS9_EEEE10hipError_tPvRmT1_T2_T3_mT4_P12ihipStream_tbEUlT_E0_NS1_11comp_targetILNS1_3genE10ELNS1_11target_archE1200ELNS1_3gpuE4ELNS1_3repE0EEENS1_30default_config_static_selectorELNS0_4arch9wavefront6targetE0EEEvS14_.kd
    .uniform_work_group_size: 1
    .uses_dynamic_stack: false
    .vgpr_count:     0
    .vgpr_spill_count: 0
    .wavefront_size: 32
    .workgroup_processor_mode: 1
  - .args:
      - .offset:         0
        .size:           104
        .value_kind:     by_value
    .group_segment_fixed_size: 0
    .kernarg_segment_align: 8
    .kernarg_segment_size: 104
    .language:       OpenCL C
    .language_version:
      - 2
      - 0
    .max_flat_workgroup_size: 256
    .name:           _ZN7rocprim17ROCPRIM_400000_NS6detail17trampoline_kernelINS0_14default_configENS1_22reduce_config_selectorIN6thrust23THRUST_200600_302600_NS5tupleIblNS6_9null_typeES8_S8_S8_S8_S8_S8_S8_EEEEZNS1_11reduce_implILb1ES3_NS6_12zip_iteratorINS7_INS6_11hip_rocprim26transform_input_iterator_tIbNSD_35transform_pair_of_input_iterators_tIbNS6_6detail15normal_iteratorINS6_10device_ptrIKiEEEESL_NS6_8equal_toIiEEEENSG_9not_fun_tINSD_8identityEEEEENSD_19counting_iterator_tIlEES8_S8_S8_S8_S8_S8_S8_S8_EEEEPS9_S9_NSD_9__find_if7functorIS9_EEEE10hipError_tPvRmT1_T2_T3_mT4_P12ihipStream_tbEUlT_E0_NS1_11comp_targetILNS1_3genE9ELNS1_11target_archE1100ELNS1_3gpuE3ELNS1_3repE0EEENS1_30default_config_static_selectorELNS0_4arch9wavefront6targetE0EEEvS14_
    .private_segment_fixed_size: 0
    .sgpr_count:     0
    .sgpr_spill_count: 0
    .symbol:         _ZN7rocprim17ROCPRIM_400000_NS6detail17trampoline_kernelINS0_14default_configENS1_22reduce_config_selectorIN6thrust23THRUST_200600_302600_NS5tupleIblNS6_9null_typeES8_S8_S8_S8_S8_S8_S8_EEEEZNS1_11reduce_implILb1ES3_NS6_12zip_iteratorINS7_INS6_11hip_rocprim26transform_input_iterator_tIbNSD_35transform_pair_of_input_iterators_tIbNS6_6detail15normal_iteratorINS6_10device_ptrIKiEEEESL_NS6_8equal_toIiEEEENSG_9not_fun_tINSD_8identityEEEEENSD_19counting_iterator_tIlEES8_S8_S8_S8_S8_S8_S8_S8_EEEEPS9_S9_NSD_9__find_if7functorIS9_EEEE10hipError_tPvRmT1_T2_T3_mT4_P12ihipStream_tbEUlT_E0_NS1_11comp_targetILNS1_3genE9ELNS1_11target_archE1100ELNS1_3gpuE3ELNS1_3repE0EEENS1_30default_config_static_selectorELNS0_4arch9wavefront6targetE0EEEvS14_.kd
    .uniform_work_group_size: 1
    .uses_dynamic_stack: false
    .vgpr_count:     0
    .vgpr_spill_count: 0
    .wavefront_size: 32
    .workgroup_processor_mode: 1
  - .args:
      - .offset:         0
        .size:           104
        .value_kind:     by_value
    .group_segment_fixed_size: 256
    .kernarg_segment_align: 8
    .kernarg_segment_size: 104
    .language:       OpenCL C
    .language_version:
      - 2
      - 0
    .max_flat_workgroup_size: 256
    .name:           _ZN7rocprim17ROCPRIM_400000_NS6detail17trampoline_kernelINS0_14default_configENS1_22reduce_config_selectorIN6thrust23THRUST_200600_302600_NS5tupleIblNS6_9null_typeES8_S8_S8_S8_S8_S8_S8_EEEEZNS1_11reduce_implILb1ES3_NS6_12zip_iteratorINS7_INS6_11hip_rocprim26transform_input_iterator_tIbNSD_35transform_pair_of_input_iterators_tIbNS6_6detail15normal_iteratorINS6_10device_ptrIKiEEEESL_NS6_8equal_toIiEEEENSG_9not_fun_tINSD_8identityEEEEENSD_19counting_iterator_tIlEES8_S8_S8_S8_S8_S8_S8_S8_EEEEPS9_S9_NSD_9__find_if7functorIS9_EEEE10hipError_tPvRmT1_T2_T3_mT4_P12ihipStream_tbEUlT_E0_NS1_11comp_targetILNS1_3genE8ELNS1_11target_archE1030ELNS1_3gpuE2ELNS1_3repE0EEENS1_30default_config_static_selectorELNS0_4arch9wavefront6targetE0EEEvS14_
    .private_segment_fixed_size: 0
    .sgpr_count:     30
    .sgpr_spill_count: 0
    .symbol:         _ZN7rocprim17ROCPRIM_400000_NS6detail17trampoline_kernelINS0_14default_configENS1_22reduce_config_selectorIN6thrust23THRUST_200600_302600_NS5tupleIblNS6_9null_typeES8_S8_S8_S8_S8_S8_S8_EEEEZNS1_11reduce_implILb1ES3_NS6_12zip_iteratorINS7_INS6_11hip_rocprim26transform_input_iterator_tIbNSD_35transform_pair_of_input_iterators_tIbNS6_6detail15normal_iteratorINS6_10device_ptrIKiEEEESL_NS6_8equal_toIiEEEENSG_9not_fun_tINSD_8identityEEEEENSD_19counting_iterator_tIlEES8_S8_S8_S8_S8_S8_S8_S8_EEEEPS9_S9_NSD_9__find_if7functorIS9_EEEE10hipError_tPvRmT1_T2_T3_mT4_P12ihipStream_tbEUlT_E0_NS1_11comp_targetILNS1_3genE8ELNS1_11target_archE1030ELNS1_3gpuE2ELNS1_3repE0EEENS1_30default_config_static_selectorELNS0_4arch9wavefront6targetE0EEEvS14_.kd
    .uniform_work_group_size: 1
    .uses_dynamic_stack: false
    .vgpr_count:     13
    .vgpr_spill_count: 0
    .wavefront_size: 32
    .workgroup_processor_mode: 1
  - .args:
      - .offset:         0
        .size:           88
        .value_kind:     by_value
    .group_segment_fixed_size: 0
    .kernarg_segment_align: 8
    .kernarg_segment_size: 88
    .language:       OpenCL C
    .language_version:
      - 2
      - 0
    .max_flat_workgroup_size: 128
    .name:           _ZN7rocprim17ROCPRIM_400000_NS6detail17trampoline_kernelINS0_14default_configENS1_22reduce_config_selectorIN6thrust23THRUST_200600_302600_NS5tupleIblNS6_9null_typeES8_S8_S8_S8_S8_S8_S8_EEEEZNS1_11reduce_implILb1ES3_NS6_12zip_iteratorINS7_INS6_11hip_rocprim26transform_input_iterator_tIbNSD_35transform_pair_of_input_iterators_tIbNS6_6detail15normal_iteratorINS6_10device_ptrIKiEEEESL_NS6_8equal_toIiEEEENSG_9not_fun_tINSD_8identityEEEEENSD_19counting_iterator_tIlEES8_S8_S8_S8_S8_S8_S8_S8_EEEEPS9_S9_NSD_9__find_if7functorIS9_EEEE10hipError_tPvRmT1_T2_T3_mT4_P12ihipStream_tbEUlT_E1_NS1_11comp_targetILNS1_3genE0ELNS1_11target_archE4294967295ELNS1_3gpuE0ELNS1_3repE0EEENS1_30default_config_static_selectorELNS0_4arch9wavefront6targetE0EEEvS14_
    .private_segment_fixed_size: 0
    .sgpr_count:     0
    .sgpr_spill_count: 0
    .symbol:         _ZN7rocprim17ROCPRIM_400000_NS6detail17trampoline_kernelINS0_14default_configENS1_22reduce_config_selectorIN6thrust23THRUST_200600_302600_NS5tupleIblNS6_9null_typeES8_S8_S8_S8_S8_S8_S8_EEEEZNS1_11reduce_implILb1ES3_NS6_12zip_iteratorINS7_INS6_11hip_rocprim26transform_input_iterator_tIbNSD_35transform_pair_of_input_iterators_tIbNS6_6detail15normal_iteratorINS6_10device_ptrIKiEEEESL_NS6_8equal_toIiEEEENSG_9not_fun_tINSD_8identityEEEEENSD_19counting_iterator_tIlEES8_S8_S8_S8_S8_S8_S8_S8_EEEEPS9_S9_NSD_9__find_if7functorIS9_EEEE10hipError_tPvRmT1_T2_T3_mT4_P12ihipStream_tbEUlT_E1_NS1_11comp_targetILNS1_3genE0ELNS1_11target_archE4294967295ELNS1_3gpuE0ELNS1_3repE0EEENS1_30default_config_static_selectorELNS0_4arch9wavefront6targetE0EEEvS14_.kd
    .uniform_work_group_size: 1
    .uses_dynamic_stack: false
    .vgpr_count:     0
    .vgpr_spill_count: 0
    .wavefront_size: 32
    .workgroup_processor_mode: 1
  - .args:
      - .offset:         0
        .size:           88
        .value_kind:     by_value
    .group_segment_fixed_size: 0
    .kernarg_segment_align: 8
    .kernarg_segment_size: 88
    .language:       OpenCL C
    .language_version:
      - 2
      - 0
    .max_flat_workgroup_size: 256
    .name:           _ZN7rocprim17ROCPRIM_400000_NS6detail17trampoline_kernelINS0_14default_configENS1_22reduce_config_selectorIN6thrust23THRUST_200600_302600_NS5tupleIblNS6_9null_typeES8_S8_S8_S8_S8_S8_S8_EEEEZNS1_11reduce_implILb1ES3_NS6_12zip_iteratorINS7_INS6_11hip_rocprim26transform_input_iterator_tIbNSD_35transform_pair_of_input_iterators_tIbNS6_6detail15normal_iteratorINS6_10device_ptrIKiEEEESL_NS6_8equal_toIiEEEENSG_9not_fun_tINSD_8identityEEEEENSD_19counting_iterator_tIlEES8_S8_S8_S8_S8_S8_S8_S8_EEEEPS9_S9_NSD_9__find_if7functorIS9_EEEE10hipError_tPvRmT1_T2_T3_mT4_P12ihipStream_tbEUlT_E1_NS1_11comp_targetILNS1_3genE5ELNS1_11target_archE942ELNS1_3gpuE9ELNS1_3repE0EEENS1_30default_config_static_selectorELNS0_4arch9wavefront6targetE0EEEvS14_
    .private_segment_fixed_size: 0
    .sgpr_count:     0
    .sgpr_spill_count: 0
    .symbol:         _ZN7rocprim17ROCPRIM_400000_NS6detail17trampoline_kernelINS0_14default_configENS1_22reduce_config_selectorIN6thrust23THRUST_200600_302600_NS5tupleIblNS6_9null_typeES8_S8_S8_S8_S8_S8_S8_EEEEZNS1_11reduce_implILb1ES3_NS6_12zip_iteratorINS7_INS6_11hip_rocprim26transform_input_iterator_tIbNSD_35transform_pair_of_input_iterators_tIbNS6_6detail15normal_iteratorINS6_10device_ptrIKiEEEESL_NS6_8equal_toIiEEEENSG_9not_fun_tINSD_8identityEEEEENSD_19counting_iterator_tIlEES8_S8_S8_S8_S8_S8_S8_S8_EEEEPS9_S9_NSD_9__find_if7functorIS9_EEEE10hipError_tPvRmT1_T2_T3_mT4_P12ihipStream_tbEUlT_E1_NS1_11comp_targetILNS1_3genE5ELNS1_11target_archE942ELNS1_3gpuE9ELNS1_3repE0EEENS1_30default_config_static_selectorELNS0_4arch9wavefront6targetE0EEEvS14_.kd
    .uniform_work_group_size: 1
    .uses_dynamic_stack: false
    .vgpr_count:     0
    .vgpr_spill_count: 0
    .wavefront_size: 32
    .workgroup_processor_mode: 1
  - .args:
      - .offset:         0
        .size:           88
        .value_kind:     by_value
    .group_segment_fixed_size: 0
    .kernarg_segment_align: 8
    .kernarg_segment_size: 88
    .language:       OpenCL C
    .language_version:
      - 2
      - 0
    .max_flat_workgroup_size: 256
    .name:           _ZN7rocprim17ROCPRIM_400000_NS6detail17trampoline_kernelINS0_14default_configENS1_22reduce_config_selectorIN6thrust23THRUST_200600_302600_NS5tupleIblNS6_9null_typeES8_S8_S8_S8_S8_S8_S8_EEEEZNS1_11reduce_implILb1ES3_NS6_12zip_iteratorINS7_INS6_11hip_rocprim26transform_input_iterator_tIbNSD_35transform_pair_of_input_iterators_tIbNS6_6detail15normal_iteratorINS6_10device_ptrIKiEEEESL_NS6_8equal_toIiEEEENSG_9not_fun_tINSD_8identityEEEEENSD_19counting_iterator_tIlEES8_S8_S8_S8_S8_S8_S8_S8_EEEEPS9_S9_NSD_9__find_if7functorIS9_EEEE10hipError_tPvRmT1_T2_T3_mT4_P12ihipStream_tbEUlT_E1_NS1_11comp_targetILNS1_3genE4ELNS1_11target_archE910ELNS1_3gpuE8ELNS1_3repE0EEENS1_30default_config_static_selectorELNS0_4arch9wavefront6targetE0EEEvS14_
    .private_segment_fixed_size: 0
    .sgpr_count:     0
    .sgpr_spill_count: 0
    .symbol:         _ZN7rocprim17ROCPRIM_400000_NS6detail17trampoline_kernelINS0_14default_configENS1_22reduce_config_selectorIN6thrust23THRUST_200600_302600_NS5tupleIblNS6_9null_typeES8_S8_S8_S8_S8_S8_S8_EEEEZNS1_11reduce_implILb1ES3_NS6_12zip_iteratorINS7_INS6_11hip_rocprim26transform_input_iterator_tIbNSD_35transform_pair_of_input_iterators_tIbNS6_6detail15normal_iteratorINS6_10device_ptrIKiEEEESL_NS6_8equal_toIiEEEENSG_9not_fun_tINSD_8identityEEEEENSD_19counting_iterator_tIlEES8_S8_S8_S8_S8_S8_S8_S8_EEEEPS9_S9_NSD_9__find_if7functorIS9_EEEE10hipError_tPvRmT1_T2_T3_mT4_P12ihipStream_tbEUlT_E1_NS1_11comp_targetILNS1_3genE4ELNS1_11target_archE910ELNS1_3gpuE8ELNS1_3repE0EEENS1_30default_config_static_selectorELNS0_4arch9wavefront6targetE0EEEvS14_.kd
    .uniform_work_group_size: 1
    .uses_dynamic_stack: false
    .vgpr_count:     0
    .vgpr_spill_count: 0
    .wavefront_size: 32
    .workgroup_processor_mode: 1
  - .args:
      - .offset:         0
        .size:           88
        .value_kind:     by_value
    .group_segment_fixed_size: 0
    .kernarg_segment_align: 8
    .kernarg_segment_size: 88
    .language:       OpenCL C
    .language_version:
      - 2
      - 0
    .max_flat_workgroup_size: 128
    .name:           _ZN7rocprim17ROCPRIM_400000_NS6detail17trampoline_kernelINS0_14default_configENS1_22reduce_config_selectorIN6thrust23THRUST_200600_302600_NS5tupleIblNS6_9null_typeES8_S8_S8_S8_S8_S8_S8_EEEEZNS1_11reduce_implILb1ES3_NS6_12zip_iteratorINS7_INS6_11hip_rocprim26transform_input_iterator_tIbNSD_35transform_pair_of_input_iterators_tIbNS6_6detail15normal_iteratorINS6_10device_ptrIKiEEEESL_NS6_8equal_toIiEEEENSG_9not_fun_tINSD_8identityEEEEENSD_19counting_iterator_tIlEES8_S8_S8_S8_S8_S8_S8_S8_EEEEPS9_S9_NSD_9__find_if7functorIS9_EEEE10hipError_tPvRmT1_T2_T3_mT4_P12ihipStream_tbEUlT_E1_NS1_11comp_targetILNS1_3genE3ELNS1_11target_archE908ELNS1_3gpuE7ELNS1_3repE0EEENS1_30default_config_static_selectorELNS0_4arch9wavefront6targetE0EEEvS14_
    .private_segment_fixed_size: 0
    .sgpr_count:     0
    .sgpr_spill_count: 0
    .symbol:         _ZN7rocprim17ROCPRIM_400000_NS6detail17trampoline_kernelINS0_14default_configENS1_22reduce_config_selectorIN6thrust23THRUST_200600_302600_NS5tupleIblNS6_9null_typeES8_S8_S8_S8_S8_S8_S8_EEEEZNS1_11reduce_implILb1ES3_NS6_12zip_iteratorINS7_INS6_11hip_rocprim26transform_input_iterator_tIbNSD_35transform_pair_of_input_iterators_tIbNS6_6detail15normal_iteratorINS6_10device_ptrIKiEEEESL_NS6_8equal_toIiEEEENSG_9not_fun_tINSD_8identityEEEEENSD_19counting_iterator_tIlEES8_S8_S8_S8_S8_S8_S8_S8_EEEEPS9_S9_NSD_9__find_if7functorIS9_EEEE10hipError_tPvRmT1_T2_T3_mT4_P12ihipStream_tbEUlT_E1_NS1_11comp_targetILNS1_3genE3ELNS1_11target_archE908ELNS1_3gpuE7ELNS1_3repE0EEENS1_30default_config_static_selectorELNS0_4arch9wavefront6targetE0EEEvS14_.kd
    .uniform_work_group_size: 1
    .uses_dynamic_stack: false
    .vgpr_count:     0
    .vgpr_spill_count: 0
    .wavefront_size: 32
    .workgroup_processor_mode: 1
  - .args:
      - .offset:         0
        .size:           88
        .value_kind:     by_value
    .group_segment_fixed_size: 0
    .kernarg_segment_align: 8
    .kernarg_segment_size: 88
    .language:       OpenCL C
    .language_version:
      - 2
      - 0
    .max_flat_workgroup_size: 128
    .name:           _ZN7rocprim17ROCPRIM_400000_NS6detail17trampoline_kernelINS0_14default_configENS1_22reduce_config_selectorIN6thrust23THRUST_200600_302600_NS5tupleIblNS6_9null_typeES8_S8_S8_S8_S8_S8_S8_EEEEZNS1_11reduce_implILb1ES3_NS6_12zip_iteratorINS7_INS6_11hip_rocprim26transform_input_iterator_tIbNSD_35transform_pair_of_input_iterators_tIbNS6_6detail15normal_iteratorINS6_10device_ptrIKiEEEESL_NS6_8equal_toIiEEEENSG_9not_fun_tINSD_8identityEEEEENSD_19counting_iterator_tIlEES8_S8_S8_S8_S8_S8_S8_S8_EEEEPS9_S9_NSD_9__find_if7functorIS9_EEEE10hipError_tPvRmT1_T2_T3_mT4_P12ihipStream_tbEUlT_E1_NS1_11comp_targetILNS1_3genE2ELNS1_11target_archE906ELNS1_3gpuE6ELNS1_3repE0EEENS1_30default_config_static_selectorELNS0_4arch9wavefront6targetE0EEEvS14_
    .private_segment_fixed_size: 0
    .sgpr_count:     0
    .sgpr_spill_count: 0
    .symbol:         _ZN7rocprim17ROCPRIM_400000_NS6detail17trampoline_kernelINS0_14default_configENS1_22reduce_config_selectorIN6thrust23THRUST_200600_302600_NS5tupleIblNS6_9null_typeES8_S8_S8_S8_S8_S8_S8_EEEEZNS1_11reduce_implILb1ES3_NS6_12zip_iteratorINS7_INS6_11hip_rocprim26transform_input_iterator_tIbNSD_35transform_pair_of_input_iterators_tIbNS6_6detail15normal_iteratorINS6_10device_ptrIKiEEEESL_NS6_8equal_toIiEEEENSG_9not_fun_tINSD_8identityEEEEENSD_19counting_iterator_tIlEES8_S8_S8_S8_S8_S8_S8_S8_EEEEPS9_S9_NSD_9__find_if7functorIS9_EEEE10hipError_tPvRmT1_T2_T3_mT4_P12ihipStream_tbEUlT_E1_NS1_11comp_targetILNS1_3genE2ELNS1_11target_archE906ELNS1_3gpuE6ELNS1_3repE0EEENS1_30default_config_static_selectorELNS0_4arch9wavefront6targetE0EEEvS14_.kd
    .uniform_work_group_size: 1
    .uses_dynamic_stack: false
    .vgpr_count:     0
    .vgpr_spill_count: 0
    .wavefront_size: 32
    .workgroup_processor_mode: 1
  - .args:
      - .offset:         0
        .size:           88
        .value_kind:     by_value
    .group_segment_fixed_size: 0
    .kernarg_segment_align: 8
    .kernarg_segment_size: 88
    .language:       OpenCL C
    .language_version:
      - 2
      - 0
    .max_flat_workgroup_size: 256
    .name:           _ZN7rocprim17ROCPRIM_400000_NS6detail17trampoline_kernelINS0_14default_configENS1_22reduce_config_selectorIN6thrust23THRUST_200600_302600_NS5tupleIblNS6_9null_typeES8_S8_S8_S8_S8_S8_S8_EEEEZNS1_11reduce_implILb1ES3_NS6_12zip_iteratorINS7_INS6_11hip_rocprim26transform_input_iterator_tIbNSD_35transform_pair_of_input_iterators_tIbNS6_6detail15normal_iteratorINS6_10device_ptrIKiEEEESL_NS6_8equal_toIiEEEENSG_9not_fun_tINSD_8identityEEEEENSD_19counting_iterator_tIlEES8_S8_S8_S8_S8_S8_S8_S8_EEEEPS9_S9_NSD_9__find_if7functorIS9_EEEE10hipError_tPvRmT1_T2_T3_mT4_P12ihipStream_tbEUlT_E1_NS1_11comp_targetILNS1_3genE10ELNS1_11target_archE1201ELNS1_3gpuE5ELNS1_3repE0EEENS1_30default_config_static_selectorELNS0_4arch9wavefront6targetE0EEEvS14_
    .private_segment_fixed_size: 0
    .sgpr_count:     0
    .sgpr_spill_count: 0
    .symbol:         _ZN7rocprim17ROCPRIM_400000_NS6detail17trampoline_kernelINS0_14default_configENS1_22reduce_config_selectorIN6thrust23THRUST_200600_302600_NS5tupleIblNS6_9null_typeES8_S8_S8_S8_S8_S8_S8_EEEEZNS1_11reduce_implILb1ES3_NS6_12zip_iteratorINS7_INS6_11hip_rocprim26transform_input_iterator_tIbNSD_35transform_pair_of_input_iterators_tIbNS6_6detail15normal_iteratorINS6_10device_ptrIKiEEEESL_NS6_8equal_toIiEEEENSG_9not_fun_tINSD_8identityEEEEENSD_19counting_iterator_tIlEES8_S8_S8_S8_S8_S8_S8_S8_EEEEPS9_S9_NSD_9__find_if7functorIS9_EEEE10hipError_tPvRmT1_T2_T3_mT4_P12ihipStream_tbEUlT_E1_NS1_11comp_targetILNS1_3genE10ELNS1_11target_archE1201ELNS1_3gpuE5ELNS1_3repE0EEENS1_30default_config_static_selectorELNS0_4arch9wavefront6targetE0EEEvS14_.kd
    .uniform_work_group_size: 1
    .uses_dynamic_stack: false
    .vgpr_count:     0
    .vgpr_spill_count: 0
    .wavefront_size: 32
    .workgroup_processor_mode: 1
  - .args:
      - .offset:         0
        .size:           88
        .value_kind:     by_value
    .group_segment_fixed_size: 0
    .kernarg_segment_align: 8
    .kernarg_segment_size: 88
    .language:       OpenCL C
    .language_version:
      - 2
      - 0
    .max_flat_workgroup_size: 256
    .name:           _ZN7rocprim17ROCPRIM_400000_NS6detail17trampoline_kernelINS0_14default_configENS1_22reduce_config_selectorIN6thrust23THRUST_200600_302600_NS5tupleIblNS6_9null_typeES8_S8_S8_S8_S8_S8_S8_EEEEZNS1_11reduce_implILb1ES3_NS6_12zip_iteratorINS7_INS6_11hip_rocprim26transform_input_iterator_tIbNSD_35transform_pair_of_input_iterators_tIbNS6_6detail15normal_iteratorINS6_10device_ptrIKiEEEESL_NS6_8equal_toIiEEEENSG_9not_fun_tINSD_8identityEEEEENSD_19counting_iterator_tIlEES8_S8_S8_S8_S8_S8_S8_S8_EEEEPS9_S9_NSD_9__find_if7functorIS9_EEEE10hipError_tPvRmT1_T2_T3_mT4_P12ihipStream_tbEUlT_E1_NS1_11comp_targetILNS1_3genE10ELNS1_11target_archE1200ELNS1_3gpuE4ELNS1_3repE0EEENS1_30default_config_static_selectorELNS0_4arch9wavefront6targetE0EEEvS14_
    .private_segment_fixed_size: 0
    .sgpr_count:     0
    .sgpr_spill_count: 0
    .symbol:         _ZN7rocprim17ROCPRIM_400000_NS6detail17trampoline_kernelINS0_14default_configENS1_22reduce_config_selectorIN6thrust23THRUST_200600_302600_NS5tupleIblNS6_9null_typeES8_S8_S8_S8_S8_S8_S8_EEEEZNS1_11reduce_implILb1ES3_NS6_12zip_iteratorINS7_INS6_11hip_rocprim26transform_input_iterator_tIbNSD_35transform_pair_of_input_iterators_tIbNS6_6detail15normal_iteratorINS6_10device_ptrIKiEEEESL_NS6_8equal_toIiEEEENSG_9not_fun_tINSD_8identityEEEEENSD_19counting_iterator_tIlEES8_S8_S8_S8_S8_S8_S8_S8_EEEEPS9_S9_NSD_9__find_if7functorIS9_EEEE10hipError_tPvRmT1_T2_T3_mT4_P12ihipStream_tbEUlT_E1_NS1_11comp_targetILNS1_3genE10ELNS1_11target_archE1200ELNS1_3gpuE4ELNS1_3repE0EEENS1_30default_config_static_selectorELNS0_4arch9wavefront6targetE0EEEvS14_.kd
    .uniform_work_group_size: 1
    .uses_dynamic_stack: false
    .vgpr_count:     0
    .vgpr_spill_count: 0
    .wavefront_size: 32
    .workgroup_processor_mode: 1
  - .args:
      - .offset:         0
        .size:           88
        .value_kind:     by_value
    .group_segment_fixed_size: 0
    .kernarg_segment_align: 8
    .kernarg_segment_size: 88
    .language:       OpenCL C
    .language_version:
      - 2
      - 0
    .max_flat_workgroup_size: 256
    .name:           _ZN7rocprim17ROCPRIM_400000_NS6detail17trampoline_kernelINS0_14default_configENS1_22reduce_config_selectorIN6thrust23THRUST_200600_302600_NS5tupleIblNS6_9null_typeES8_S8_S8_S8_S8_S8_S8_EEEEZNS1_11reduce_implILb1ES3_NS6_12zip_iteratorINS7_INS6_11hip_rocprim26transform_input_iterator_tIbNSD_35transform_pair_of_input_iterators_tIbNS6_6detail15normal_iteratorINS6_10device_ptrIKiEEEESL_NS6_8equal_toIiEEEENSG_9not_fun_tINSD_8identityEEEEENSD_19counting_iterator_tIlEES8_S8_S8_S8_S8_S8_S8_S8_EEEEPS9_S9_NSD_9__find_if7functorIS9_EEEE10hipError_tPvRmT1_T2_T3_mT4_P12ihipStream_tbEUlT_E1_NS1_11comp_targetILNS1_3genE9ELNS1_11target_archE1100ELNS1_3gpuE3ELNS1_3repE0EEENS1_30default_config_static_selectorELNS0_4arch9wavefront6targetE0EEEvS14_
    .private_segment_fixed_size: 0
    .sgpr_count:     0
    .sgpr_spill_count: 0
    .symbol:         _ZN7rocprim17ROCPRIM_400000_NS6detail17trampoline_kernelINS0_14default_configENS1_22reduce_config_selectorIN6thrust23THRUST_200600_302600_NS5tupleIblNS6_9null_typeES8_S8_S8_S8_S8_S8_S8_EEEEZNS1_11reduce_implILb1ES3_NS6_12zip_iteratorINS7_INS6_11hip_rocprim26transform_input_iterator_tIbNSD_35transform_pair_of_input_iterators_tIbNS6_6detail15normal_iteratorINS6_10device_ptrIKiEEEESL_NS6_8equal_toIiEEEENSG_9not_fun_tINSD_8identityEEEEENSD_19counting_iterator_tIlEES8_S8_S8_S8_S8_S8_S8_S8_EEEEPS9_S9_NSD_9__find_if7functorIS9_EEEE10hipError_tPvRmT1_T2_T3_mT4_P12ihipStream_tbEUlT_E1_NS1_11comp_targetILNS1_3genE9ELNS1_11target_archE1100ELNS1_3gpuE3ELNS1_3repE0EEENS1_30default_config_static_selectorELNS0_4arch9wavefront6targetE0EEEvS14_.kd
    .uniform_work_group_size: 1
    .uses_dynamic_stack: false
    .vgpr_count:     0
    .vgpr_spill_count: 0
    .wavefront_size: 32
    .workgroup_processor_mode: 1
  - .args:
      - .offset:         0
        .size:           88
        .value_kind:     by_value
    .group_segment_fixed_size: 640
    .kernarg_segment_align: 8
    .kernarg_segment_size: 88
    .language:       OpenCL C
    .language_version:
      - 2
      - 0
    .max_flat_workgroup_size: 256
    .name:           _ZN7rocprim17ROCPRIM_400000_NS6detail17trampoline_kernelINS0_14default_configENS1_22reduce_config_selectorIN6thrust23THRUST_200600_302600_NS5tupleIblNS6_9null_typeES8_S8_S8_S8_S8_S8_S8_EEEEZNS1_11reduce_implILb1ES3_NS6_12zip_iteratorINS7_INS6_11hip_rocprim26transform_input_iterator_tIbNSD_35transform_pair_of_input_iterators_tIbNS6_6detail15normal_iteratorINS6_10device_ptrIKiEEEESL_NS6_8equal_toIiEEEENSG_9not_fun_tINSD_8identityEEEEENSD_19counting_iterator_tIlEES8_S8_S8_S8_S8_S8_S8_S8_EEEEPS9_S9_NSD_9__find_if7functorIS9_EEEE10hipError_tPvRmT1_T2_T3_mT4_P12ihipStream_tbEUlT_E1_NS1_11comp_targetILNS1_3genE8ELNS1_11target_archE1030ELNS1_3gpuE2ELNS1_3repE0EEENS1_30default_config_static_selectorELNS0_4arch9wavefront6targetE0EEEvS14_
    .private_segment_fixed_size: 0
    .sgpr_count:     34
    .sgpr_spill_count: 0
    .symbol:         _ZN7rocprim17ROCPRIM_400000_NS6detail17trampoline_kernelINS0_14default_configENS1_22reduce_config_selectorIN6thrust23THRUST_200600_302600_NS5tupleIblNS6_9null_typeES8_S8_S8_S8_S8_S8_S8_EEEEZNS1_11reduce_implILb1ES3_NS6_12zip_iteratorINS7_INS6_11hip_rocprim26transform_input_iterator_tIbNSD_35transform_pair_of_input_iterators_tIbNS6_6detail15normal_iteratorINS6_10device_ptrIKiEEEESL_NS6_8equal_toIiEEEENSG_9not_fun_tINSD_8identityEEEEENSD_19counting_iterator_tIlEES8_S8_S8_S8_S8_S8_S8_S8_EEEEPS9_S9_NSD_9__find_if7functorIS9_EEEE10hipError_tPvRmT1_T2_T3_mT4_P12ihipStream_tbEUlT_E1_NS1_11comp_targetILNS1_3genE8ELNS1_11target_archE1030ELNS1_3gpuE2ELNS1_3repE0EEENS1_30default_config_static_selectorELNS0_4arch9wavefront6targetE0EEEvS14_.kd
    .uniform_work_group_size: 1
    .uses_dynamic_stack: false
    .vgpr_count:     27
    .vgpr_spill_count: 0
    .wavefront_size: 32
    .workgroup_processor_mode: 1
  - .args:
      - .offset:         0
        .size:           16
        .value_kind:     by_value
      - .offset:         16
        .size:           8
        .value_kind:     by_value
      - .offset:         24
        .size:           8
        .value_kind:     by_value
    .group_segment_fixed_size: 0
    .kernarg_segment_align: 8
    .kernarg_segment_size: 32
    .language:       OpenCL C
    .language_version:
      - 2
      - 0
    .max_flat_workgroup_size: 256
    .name:           _ZN6thrust23THRUST_200600_302600_NS11hip_rocprim14__parallel_for6kernelILj256ENS1_10for_each_fINS0_7pointerINS0_5tupleIblNS0_9null_typeES7_S7_S7_S7_S7_S7_S7_EENS1_3tagENS0_11use_defaultESA_EENS0_6detail16wrapped_functionINSC_23allocator_traits_detail24construct1_via_allocatorINSC_18no_throw_allocatorINSC_19temporary_allocatorIS8_S9_EEEEEEvEEEEmLj1EEEvT0_T1_SO_
    .private_segment_fixed_size: 0
    .sgpr_count:     14
    .sgpr_spill_count: 0
    .symbol:         _ZN6thrust23THRUST_200600_302600_NS11hip_rocprim14__parallel_for6kernelILj256ENS1_10for_each_fINS0_7pointerINS0_5tupleIblNS0_9null_typeES7_S7_S7_S7_S7_S7_S7_EENS1_3tagENS0_11use_defaultESA_EENS0_6detail16wrapped_functionINSC_23allocator_traits_detail24construct1_via_allocatorINSC_18no_throw_allocatorINSC_19temporary_allocatorIS8_S9_EEEEEEvEEEEmLj1EEEvT0_T1_SO_.kd
    .uniform_work_group_size: 1
    .uses_dynamic_stack: false
    .vgpr_count:     5
    .vgpr_spill_count: 0
    .wavefront_size: 32
    .workgroup_processor_mode: 1
  - .args:
      - .offset:         0
        .size:           16
        .value_kind:     by_value
      - .offset:         16
        .size:           8
        .value_kind:     by_value
      - .offset:         24
        .size:           8
        .value_kind:     by_value
    .group_segment_fixed_size: 0
    .kernarg_segment_align: 8
    .kernarg_segment_size: 32
    .language:       OpenCL C
    .language_version:
      - 2
      - 0
    .max_flat_workgroup_size: 256
    .name:           _ZN6thrust23THRUST_200600_302600_NS11hip_rocprim14__parallel_for6kernelILj256ENS1_10for_each_fINS0_7pointerINS0_5tupleIblNS0_9null_typeES7_S7_S7_S7_S7_S7_S7_EENS1_3tagENS0_11use_defaultESA_EENS0_6detail16wrapped_functionINSC_23allocator_traits_detail5gozerEvEEEElLj1EEEvT0_T1_SJ_
    .private_segment_fixed_size: 0
    .sgpr_count:     0
    .sgpr_spill_count: 0
    .symbol:         _ZN6thrust23THRUST_200600_302600_NS11hip_rocprim14__parallel_for6kernelILj256ENS1_10for_each_fINS0_7pointerINS0_5tupleIblNS0_9null_typeES7_S7_S7_S7_S7_S7_S7_EENS1_3tagENS0_11use_defaultESA_EENS0_6detail16wrapped_functionINSC_23allocator_traits_detail5gozerEvEEEElLj1EEEvT0_T1_SJ_.kd
    .uniform_work_group_size: 1
    .uses_dynamic_stack: false
    .vgpr_count:     0
    .vgpr_spill_count: 0
    .wavefront_size: 32
    .workgroup_processor_mode: 1
  - .args:
      - .offset:         0
        .size:           16
        .value_kind:     by_value
      - .offset:         16
        .size:           8
        .value_kind:     by_value
      - .offset:         24
        .size:           8
        .value_kind:     by_value
    .group_segment_fixed_size: 0
    .kernarg_segment_align: 8
    .kernarg_segment_size: 32
    .language:       OpenCL C
    .language_version:
      - 2
      - 0
    .max_flat_workgroup_size: 256
    .name:           _ZN6thrust23THRUST_200600_302600_NS11hip_rocprim14__parallel_for6kernelILj256ENS1_20__uninitialized_copy7functorIPNS0_5tupleIblNS0_9null_typeES7_S7_S7_S7_S7_S7_S7_EENS0_7pointerIS8_NS1_3tagENS0_11use_defaultESC_EEEEmLj1EEEvT0_T1_SG_
    .private_segment_fixed_size: 0
    .sgpr_count:     18
    .sgpr_spill_count: 0
    .symbol:         _ZN6thrust23THRUST_200600_302600_NS11hip_rocprim14__parallel_for6kernelILj256ENS1_20__uninitialized_copy7functorIPNS0_5tupleIblNS0_9null_typeES7_S7_S7_S7_S7_S7_S7_EENS0_7pointerIS8_NS1_3tagENS0_11use_defaultESC_EEEEmLj1EEEvT0_T1_SG_.kd
    .uniform_work_group_size: 1
    .uses_dynamic_stack: false
    .vgpr_count:     6
    .vgpr_spill_count: 0
    .wavefront_size: 32
    .workgroup_processor_mode: 1
  - .args:
      - .offset:         0
        .size:           56
        .value_kind:     by_value
    .group_segment_fixed_size: 0
    .kernarg_segment_align: 8
    .kernarg_segment_size: 56
    .language:       OpenCL C
    .language_version:
      - 2
      - 0
    .max_flat_workgroup_size: 256
    .name:           _ZN7rocprim17ROCPRIM_400000_NS6detail17trampoline_kernelINS0_14default_configENS1_27lower_bound_config_selectorIN6thrust23THRUST_200600_302600_NS5tupleIiiNS6_9null_typeES8_S8_S8_S8_S8_S8_S8_EEiEEZNS1_14transform_implILb0ES3_SA_NS6_6detail15normal_iteratorINS6_10device_ptrIS9_EEEENSD_INSE_IiEEEEZNS1_13binary_searchIS3_SA_SG_SG_SI_NS1_21lower_bound_search_opENSC_16wrapped_functionINS0_4lessIvEEbEEEE10hipError_tPvRmT1_T2_T3_mmT4_T5_P12ihipStream_tbEUlRKS9_E_EESP_ST_SU_mSV_SY_bEUlT_E_NS1_11comp_targetILNS1_3genE0ELNS1_11target_archE4294967295ELNS1_3gpuE0ELNS1_3repE0EEENS1_30default_config_static_selectorELNS0_4arch9wavefront6targetE0EEEvSS_
    .private_segment_fixed_size: 0
    .sgpr_count:     0
    .sgpr_spill_count: 0
    .symbol:         _ZN7rocprim17ROCPRIM_400000_NS6detail17trampoline_kernelINS0_14default_configENS1_27lower_bound_config_selectorIN6thrust23THRUST_200600_302600_NS5tupleIiiNS6_9null_typeES8_S8_S8_S8_S8_S8_S8_EEiEEZNS1_14transform_implILb0ES3_SA_NS6_6detail15normal_iteratorINS6_10device_ptrIS9_EEEENSD_INSE_IiEEEEZNS1_13binary_searchIS3_SA_SG_SG_SI_NS1_21lower_bound_search_opENSC_16wrapped_functionINS0_4lessIvEEbEEEE10hipError_tPvRmT1_T2_T3_mmT4_T5_P12ihipStream_tbEUlRKS9_E_EESP_ST_SU_mSV_SY_bEUlT_E_NS1_11comp_targetILNS1_3genE0ELNS1_11target_archE4294967295ELNS1_3gpuE0ELNS1_3repE0EEENS1_30default_config_static_selectorELNS0_4arch9wavefront6targetE0EEEvSS_.kd
    .uniform_work_group_size: 1
    .uses_dynamic_stack: false
    .vgpr_count:     0
    .vgpr_spill_count: 0
    .wavefront_size: 32
    .workgroup_processor_mode: 1
  - .args:
      - .offset:         0
        .size:           56
        .value_kind:     by_value
    .group_segment_fixed_size: 0
    .kernarg_segment_align: 8
    .kernarg_segment_size: 56
    .language:       OpenCL C
    .language_version:
      - 2
      - 0
    .max_flat_workgroup_size: 64
    .name:           _ZN7rocprim17ROCPRIM_400000_NS6detail17trampoline_kernelINS0_14default_configENS1_27lower_bound_config_selectorIN6thrust23THRUST_200600_302600_NS5tupleIiiNS6_9null_typeES8_S8_S8_S8_S8_S8_S8_EEiEEZNS1_14transform_implILb0ES3_SA_NS6_6detail15normal_iteratorINS6_10device_ptrIS9_EEEENSD_INSE_IiEEEEZNS1_13binary_searchIS3_SA_SG_SG_SI_NS1_21lower_bound_search_opENSC_16wrapped_functionINS0_4lessIvEEbEEEE10hipError_tPvRmT1_T2_T3_mmT4_T5_P12ihipStream_tbEUlRKS9_E_EESP_ST_SU_mSV_SY_bEUlT_E_NS1_11comp_targetILNS1_3genE5ELNS1_11target_archE942ELNS1_3gpuE9ELNS1_3repE0EEENS1_30default_config_static_selectorELNS0_4arch9wavefront6targetE0EEEvSS_
    .private_segment_fixed_size: 0
    .sgpr_count:     0
    .sgpr_spill_count: 0
    .symbol:         _ZN7rocprim17ROCPRIM_400000_NS6detail17trampoline_kernelINS0_14default_configENS1_27lower_bound_config_selectorIN6thrust23THRUST_200600_302600_NS5tupleIiiNS6_9null_typeES8_S8_S8_S8_S8_S8_S8_EEiEEZNS1_14transform_implILb0ES3_SA_NS6_6detail15normal_iteratorINS6_10device_ptrIS9_EEEENSD_INSE_IiEEEEZNS1_13binary_searchIS3_SA_SG_SG_SI_NS1_21lower_bound_search_opENSC_16wrapped_functionINS0_4lessIvEEbEEEE10hipError_tPvRmT1_T2_T3_mmT4_T5_P12ihipStream_tbEUlRKS9_E_EESP_ST_SU_mSV_SY_bEUlT_E_NS1_11comp_targetILNS1_3genE5ELNS1_11target_archE942ELNS1_3gpuE9ELNS1_3repE0EEENS1_30default_config_static_selectorELNS0_4arch9wavefront6targetE0EEEvSS_.kd
    .uniform_work_group_size: 1
    .uses_dynamic_stack: false
    .vgpr_count:     0
    .vgpr_spill_count: 0
    .wavefront_size: 32
    .workgroup_processor_mode: 1
  - .args:
      - .offset:         0
        .size:           56
        .value_kind:     by_value
    .group_segment_fixed_size: 0
    .kernarg_segment_align: 8
    .kernarg_segment_size: 56
    .language:       OpenCL C
    .language_version:
      - 2
      - 0
    .max_flat_workgroup_size: 64
    .name:           _ZN7rocprim17ROCPRIM_400000_NS6detail17trampoline_kernelINS0_14default_configENS1_27lower_bound_config_selectorIN6thrust23THRUST_200600_302600_NS5tupleIiiNS6_9null_typeES8_S8_S8_S8_S8_S8_S8_EEiEEZNS1_14transform_implILb0ES3_SA_NS6_6detail15normal_iteratorINS6_10device_ptrIS9_EEEENSD_INSE_IiEEEEZNS1_13binary_searchIS3_SA_SG_SG_SI_NS1_21lower_bound_search_opENSC_16wrapped_functionINS0_4lessIvEEbEEEE10hipError_tPvRmT1_T2_T3_mmT4_T5_P12ihipStream_tbEUlRKS9_E_EESP_ST_SU_mSV_SY_bEUlT_E_NS1_11comp_targetILNS1_3genE4ELNS1_11target_archE910ELNS1_3gpuE8ELNS1_3repE0EEENS1_30default_config_static_selectorELNS0_4arch9wavefront6targetE0EEEvSS_
    .private_segment_fixed_size: 0
    .sgpr_count:     0
    .sgpr_spill_count: 0
    .symbol:         _ZN7rocprim17ROCPRIM_400000_NS6detail17trampoline_kernelINS0_14default_configENS1_27lower_bound_config_selectorIN6thrust23THRUST_200600_302600_NS5tupleIiiNS6_9null_typeES8_S8_S8_S8_S8_S8_S8_EEiEEZNS1_14transform_implILb0ES3_SA_NS6_6detail15normal_iteratorINS6_10device_ptrIS9_EEEENSD_INSE_IiEEEEZNS1_13binary_searchIS3_SA_SG_SG_SI_NS1_21lower_bound_search_opENSC_16wrapped_functionINS0_4lessIvEEbEEEE10hipError_tPvRmT1_T2_T3_mmT4_T5_P12ihipStream_tbEUlRKS9_E_EESP_ST_SU_mSV_SY_bEUlT_E_NS1_11comp_targetILNS1_3genE4ELNS1_11target_archE910ELNS1_3gpuE8ELNS1_3repE0EEENS1_30default_config_static_selectorELNS0_4arch9wavefront6targetE0EEEvSS_.kd
    .uniform_work_group_size: 1
    .uses_dynamic_stack: false
    .vgpr_count:     0
    .vgpr_spill_count: 0
    .wavefront_size: 32
    .workgroup_processor_mode: 1
  - .args:
      - .offset:         0
        .size:           56
        .value_kind:     by_value
    .group_segment_fixed_size: 0
    .kernarg_segment_align: 8
    .kernarg_segment_size: 56
    .language:       OpenCL C
    .language_version:
      - 2
      - 0
    .max_flat_workgroup_size: 256
    .name:           _ZN7rocprim17ROCPRIM_400000_NS6detail17trampoline_kernelINS0_14default_configENS1_27lower_bound_config_selectorIN6thrust23THRUST_200600_302600_NS5tupleIiiNS6_9null_typeES8_S8_S8_S8_S8_S8_S8_EEiEEZNS1_14transform_implILb0ES3_SA_NS6_6detail15normal_iteratorINS6_10device_ptrIS9_EEEENSD_INSE_IiEEEEZNS1_13binary_searchIS3_SA_SG_SG_SI_NS1_21lower_bound_search_opENSC_16wrapped_functionINS0_4lessIvEEbEEEE10hipError_tPvRmT1_T2_T3_mmT4_T5_P12ihipStream_tbEUlRKS9_E_EESP_ST_SU_mSV_SY_bEUlT_E_NS1_11comp_targetILNS1_3genE3ELNS1_11target_archE908ELNS1_3gpuE7ELNS1_3repE0EEENS1_30default_config_static_selectorELNS0_4arch9wavefront6targetE0EEEvSS_
    .private_segment_fixed_size: 0
    .sgpr_count:     0
    .sgpr_spill_count: 0
    .symbol:         _ZN7rocprim17ROCPRIM_400000_NS6detail17trampoline_kernelINS0_14default_configENS1_27lower_bound_config_selectorIN6thrust23THRUST_200600_302600_NS5tupleIiiNS6_9null_typeES8_S8_S8_S8_S8_S8_S8_EEiEEZNS1_14transform_implILb0ES3_SA_NS6_6detail15normal_iteratorINS6_10device_ptrIS9_EEEENSD_INSE_IiEEEEZNS1_13binary_searchIS3_SA_SG_SG_SI_NS1_21lower_bound_search_opENSC_16wrapped_functionINS0_4lessIvEEbEEEE10hipError_tPvRmT1_T2_T3_mmT4_T5_P12ihipStream_tbEUlRKS9_E_EESP_ST_SU_mSV_SY_bEUlT_E_NS1_11comp_targetILNS1_3genE3ELNS1_11target_archE908ELNS1_3gpuE7ELNS1_3repE0EEENS1_30default_config_static_selectorELNS0_4arch9wavefront6targetE0EEEvSS_.kd
    .uniform_work_group_size: 1
    .uses_dynamic_stack: false
    .vgpr_count:     0
    .vgpr_spill_count: 0
    .wavefront_size: 32
    .workgroup_processor_mode: 1
  - .args:
      - .offset:         0
        .size:           56
        .value_kind:     by_value
    .group_segment_fixed_size: 0
    .kernarg_segment_align: 8
    .kernarg_segment_size: 56
    .language:       OpenCL C
    .language_version:
      - 2
      - 0
    .max_flat_workgroup_size: 256
    .name:           _ZN7rocprim17ROCPRIM_400000_NS6detail17trampoline_kernelINS0_14default_configENS1_27lower_bound_config_selectorIN6thrust23THRUST_200600_302600_NS5tupleIiiNS6_9null_typeES8_S8_S8_S8_S8_S8_S8_EEiEEZNS1_14transform_implILb0ES3_SA_NS6_6detail15normal_iteratorINS6_10device_ptrIS9_EEEENSD_INSE_IiEEEEZNS1_13binary_searchIS3_SA_SG_SG_SI_NS1_21lower_bound_search_opENSC_16wrapped_functionINS0_4lessIvEEbEEEE10hipError_tPvRmT1_T2_T3_mmT4_T5_P12ihipStream_tbEUlRKS9_E_EESP_ST_SU_mSV_SY_bEUlT_E_NS1_11comp_targetILNS1_3genE2ELNS1_11target_archE906ELNS1_3gpuE6ELNS1_3repE0EEENS1_30default_config_static_selectorELNS0_4arch9wavefront6targetE0EEEvSS_
    .private_segment_fixed_size: 0
    .sgpr_count:     0
    .sgpr_spill_count: 0
    .symbol:         _ZN7rocprim17ROCPRIM_400000_NS6detail17trampoline_kernelINS0_14default_configENS1_27lower_bound_config_selectorIN6thrust23THRUST_200600_302600_NS5tupleIiiNS6_9null_typeES8_S8_S8_S8_S8_S8_S8_EEiEEZNS1_14transform_implILb0ES3_SA_NS6_6detail15normal_iteratorINS6_10device_ptrIS9_EEEENSD_INSE_IiEEEEZNS1_13binary_searchIS3_SA_SG_SG_SI_NS1_21lower_bound_search_opENSC_16wrapped_functionINS0_4lessIvEEbEEEE10hipError_tPvRmT1_T2_T3_mmT4_T5_P12ihipStream_tbEUlRKS9_E_EESP_ST_SU_mSV_SY_bEUlT_E_NS1_11comp_targetILNS1_3genE2ELNS1_11target_archE906ELNS1_3gpuE6ELNS1_3repE0EEENS1_30default_config_static_selectorELNS0_4arch9wavefront6targetE0EEEvSS_.kd
    .uniform_work_group_size: 1
    .uses_dynamic_stack: false
    .vgpr_count:     0
    .vgpr_spill_count: 0
    .wavefront_size: 32
    .workgroup_processor_mode: 1
  - .args:
      - .offset:         0
        .size:           56
        .value_kind:     by_value
    .group_segment_fixed_size: 0
    .kernarg_segment_align: 8
    .kernarg_segment_size: 56
    .language:       OpenCL C
    .language_version:
      - 2
      - 0
    .max_flat_workgroup_size: 128
    .name:           _ZN7rocprim17ROCPRIM_400000_NS6detail17trampoline_kernelINS0_14default_configENS1_27lower_bound_config_selectorIN6thrust23THRUST_200600_302600_NS5tupleIiiNS6_9null_typeES8_S8_S8_S8_S8_S8_S8_EEiEEZNS1_14transform_implILb0ES3_SA_NS6_6detail15normal_iteratorINS6_10device_ptrIS9_EEEENSD_INSE_IiEEEEZNS1_13binary_searchIS3_SA_SG_SG_SI_NS1_21lower_bound_search_opENSC_16wrapped_functionINS0_4lessIvEEbEEEE10hipError_tPvRmT1_T2_T3_mmT4_T5_P12ihipStream_tbEUlRKS9_E_EESP_ST_SU_mSV_SY_bEUlT_E_NS1_11comp_targetILNS1_3genE10ELNS1_11target_archE1201ELNS1_3gpuE5ELNS1_3repE0EEENS1_30default_config_static_selectorELNS0_4arch9wavefront6targetE0EEEvSS_
    .private_segment_fixed_size: 0
    .sgpr_count:     0
    .sgpr_spill_count: 0
    .symbol:         _ZN7rocprim17ROCPRIM_400000_NS6detail17trampoline_kernelINS0_14default_configENS1_27lower_bound_config_selectorIN6thrust23THRUST_200600_302600_NS5tupleIiiNS6_9null_typeES8_S8_S8_S8_S8_S8_S8_EEiEEZNS1_14transform_implILb0ES3_SA_NS6_6detail15normal_iteratorINS6_10device_ptrIS9_EEEENSD_INSE_IiEEEEZNS1_13binary_searchIS3_SA_SG_SG_SI_NS1_21lower_bound_search_opENSC_16wrapped_functionINS0_4lessIvEEbEEEE10hipError_tPvRmT1_T2_T3_mmT4_T5_P12ihipStream_tbEUlRKS9_E_EESP_ST_SU_mSV_SY_bEUlT_E_NS1_11comp_targetILNS1_3genE10ELNS1_11target_archE1201ELNS1_3gpuE5ELNS1_3repE0EEENS1_30default_config_static_selectorELNS0_4arch9wavefront6targetE0EEEvSS_.kd
    .uniform_work_group_size: 1
    .uses_dynamic_stack: false
    .vgpr_count:     0
    .vgpr_spill_count: 0
    .wavefront_size: 32
    .workgroup_processor_mode: 1
  - .args:
      - .offset:         0
        .size:           56
        .value_kind:     by_value
    .group_segment_fixed_size: 0
    .kernarg_segment_align: 8
    .kernarg_segment_size: 56
    .language:       OpenCL C
    .language_version:
      - 2
      - 0
    .max_flat_workgroup_size: 128
    .name:           _ZN7rocprim17ROCPRIM_400000_NS6detail17trampoline_kernelINS0_14default_configENS1_27lower_bound_config_selectorIN6thrust23THRUST_200600_302600_NS5tupleIiiNS6_9null_typeES8_S8_S8_S8_S8_S8_S8_EEiEEZNS1_14transform_implILb0ES3_SA_NS6_6detail15normal_iteratorINS6_10device_ptrIS9_EEEENSD_INSE_IiEEEEZNS1_13binary_searchIS3_SA_SG_SG_SI_NS1_21lower_bound_search_opENSC_16wrapped_functionINS0_4lessIvEEbEEEE10hipError_tPvRmT1_T2_T3_mmT4_T5_P12ihipStream_tbEUlRKS9_E_EESP_ST_SU_mSV_SY_bEUlT_E_NS1_11comp_targetILNS1_3genE10ELNS1_11target_archE1200ELNS1_3gpuE4ELNS1_3repE0EEENS1_30default_config_static_selectorELNS0_4arch9wavefront6targetE0EEEvSS_
    .private_segment_fixed_size: 0
    .sgpr_count:     0
    .sgpr_spill_count: 0
    .symbol:         _ZN7rocprim17ROCPRIM_400000_NS6detail17trampoline_kernelINS0_14default_configENS1_27lower_bound_config_selectorIN6thrust23THRUST_200600_302600_NS5tupleIiiNS6_9null_typeES8_S8_S8_S8_S8_S8_S8_EEiEEZNS1_14transform_implILb0ES3_SA_NS6_6detail15normal_iteratorINS6_10device_ptrIS9_EEEENSD_INSE_IiEEEEZNS1_13binary_searchIS3_SA_SG_SG_SI_NS1_21lower_bound_search_opENSC_16wrapped_functionINS0_4lessIvEEbEEEE10hipError_tPvRmT1_T2_T3_mmT4_T5_P12ihipStream_tbEUlRKS9_E_EESP_ST_SU_mSV_SY_bEUlT_E_NS1_11comp_targetILNS1_3genE10ELNS1_11target_archE1200ELNS1_3gpuE4ELNS1_3repE0EEENS1_30default_config_static_selectorELNS0_4arch9wavefront6targetE0EEEvSS_.kd
    .uniform_work_group_size: 1
    .uses_dynamic_stack: false
    .vgpr_count:     0
    .vgpr_spill_count: 0
    .wavefront_size: 32
    .workgroup_processor_mode: 1
  - .args:
      - .offset:         0
        .size:           56
        .value_kind:     by_value
    .group_segment_fixed_size: 0
    .kernarg_segment_align: 8
    .kernarg_segment_size: 56
    .language:       OpenCL C
    .language_version:
      - 2
      - 0
    .max_flat_workgroup_size: 64
    .name:           _ZN7rocprim17ROCPRIM_400000_NS6detail17trampoline_kernelINS0_14default_configENS1_27lower_bound_config_selectorIN6thrust23THRUST_200600_302600_NS5tupleIiiNS6_9null_typeES8_S8_S8_S8_S8_S8_S8_EEiEEZNS1_14transform_implILb0ES3_SA_NS6_6detail15normal_iteratorINS6_10device_ptrIS9_EEEENSD_INSE_IiEEEEZNS1_13binary_searchIS3_SA_SG_SG_SI_NS1_21lower_bound_search_opENSC_16wrapped_functionINS0_4lessIvEEbEEEE10hipError_tPvRmT1_T2_T3_mmT4_T5_P12ihipStream_tbEUlRKS9_E_EESP_ST_SU_mSV_SY_bEUlT_E_NS1_11comp_targetILNS1_3genE9ELNS1_11target_archE1100ELNS1_3gpuE3ELNS1_3repE0EEENS1_30default_config_static_selectorELNS0_4arch9wavefront6targetE0EEEvSS_
    .private_segment_fixed_size: 0
    .sgpr_count:     0
    .sgpr_spill_count: 0
    .symbol:         _ZN7rocprim17ROCPRIM_400000_NS6detail17trampoline_kernelINS0_14default_configENS1_27lower_bound_config_selectorIN6thrust23THRUST_200600_302600_NS5tupleIiiNS6_9null_typeES8_S8_S8_S8_S8_S8_S8_EEiEEZNS1_14transform_implILb0ES3_SA_NS6_6detail15normal_iteratorINS6_10device_ptrIS9_EEEENSD_INSE_IiEEEEZNS1_13binary_searchIS3_SA_SG_SG_SI_NS1_21lower_bound_search_opENSC_16wrapped_functionINS0_4lessIvEEbEEEE10hipError_tPvRmT1_T2_T3_mmT4_T5_P12ihipStream_tbEUlRKS9_E_EESP_ST_SU_mSV_SY_bEUlT_E_NS1_11comp_targetILNS1_3genE9ELNS1_11target_archE1100ELNS1_3gpuE3ELNS1_3repE0EEENS1_30default_config_static_selectorELNS0_4arch9wavefront6targetE0EEEvSS_.kd
    .uniform_work_group_size: 1
    .uses_dynamic_stack: false
    .vgpr_count:     0
    .vgpr_spill_count: 0
    .wavefront_size: 32
    .workgroup_processor_mode: 1
  - .args:
      - .offset:         0
        .size:           56
        .value_kind:     by_value
      - .offset:         56
        .size:           4
        .value_kind:     hidden_block_count_x
      - .offset:         60
        .size:           4
        .value_kind:     hidden_block_count_y
      - .offset:         64
        .size:           4
        .value_kind:     hidden_block_count_z
      - .offset:         68
        .size:           2
        .value_kind:     hidden_group_size_x
      - .offset:         70
        .size:           2
        .value_kind:     hidden_group_size_y
      - .offset:         72
        .size:           2
        .value_kind:     hidden_group_size_z
      - .offset:         74
        .size:           2
        .value_kind:     hidden_remainder_x
      - .offset:         76
        .size:           2
        .value_kind:     hidden_remainder_y
      - .offset:         78
        .size:           2
        .value_kind:     hidden_remainder_z
      - .offset:         96
        .size:           8
        .value_kind:     hidden_global_offset_x
      - .offset:         104
        .size:           8
        .value_kind:     hidden_global_offset_y
      - .offset:         112
        .size:           8
        .value_kind:     hidden_global_offset_z
      - .offset:         120
        .size:           2
        .value_kind:     hidden_grid_dims
    .group_segment_fixed_size: 0
    .kernarg_segment_align: 8
    .kernarg_segment_size: 312
    .language:       OpenCL C
    .language_version:
      - 2
      - 0
    .max_flat_workgroup_size: 256
    .name:           _ZN7rocprim17ROCPRIM_400000_NS6detail17trampoline_kernelINS0_14default_configENS1_27lower_bound_config_selectorIN6thrust23THRUST_200600_302600_NS5tupleIiiNS6_9null_typeES8_S8_S8_S8_S8_S8_S8_EEiEEZNS1_14transform_implILb0ES3_SA_NS6_6detail15normal_iteratorINS6_10device_ptrIS9_EEEENSD_INSE_IiEEEEZNS1_13binary_searchIS3_SA_SG_SG_SI_NS1_21lower_bound_search_opENSC_16wrapped_functionINS0_4lessIvEEbEEEE10hipError_tPvRmT1_T2_T3_mmT4_T5_P12ihipStream_tbEUlRKS9_E_EESP_ST_SU_mSV_SY_bEUlT_E_NS1_11comp_targetILNS1_3genE8ELNS1_11target_archE1030ELNS1_3gpuE2ELNS1_3repE0EEENS1_30default_config_static_selectorELNS0_4arch9wavefront6targetE0EEEvSS_
    .private_segment_fixed_size: 0
    .sgpr_count:     20
    .sgpr_spill_count: 0
    .symbol:         _ZN7rocprim17ROCPRIM_400000_NS6detail17trampoline_kernelINS0_14default_configENS1_27lower_bound_config_selectorIN6thrust23THRUST_200600_302600_NS5tupleIiiNS6_9null_typeES8_S8_S8_S8_S8_S8_S8_EEiEEZNS1_14transform_implILb0ES3_SA_NS6_6detail15normal_iteratorINS6_10device_ptrIS9_EEEENSD_INSE_IiEEEEZNS1_13binary_searchIS3_SA_SG_SG_SI_NS1_21lower_bound_search_opENSC_16wrapped_functionINS0_4lessIvEEbEEEE10hipError_tPvRmT1_T2_T3_mmT4_T5_P12ihipStream_tbEUlRKS9_E_EESP_ST_SU_mSV_SY_bEUlT_E_NS1_11comp_targetILNS1_3genE8ELNS1_11target_archE1030ELNS1_3gpuE2ELNS1_3repE0EEENS1_30default_config_static_selectorELNS0_4arch9wavefront6targetE0EEEvSS_.kd
    .uniform_work_group_size: 1
    .uses_dynamic_stack: false
    .vgpr_count:     14
    .vgpr_spill_count: 0
    .wavefront_size: 32
    .workgroup_processor_mode: 1
  - .args:
      - .offset:         0
        .size:           16
        .value_kind:     by_value
      - .offset:         16
        .size:           8
        .value_kind:     by_value
      - .offset:         24
        .size:           8
        .value_kind:     by_value
    .group_segment_fixed_size: 0
    .kernarg_segment_align: 8
    .kernarg_segment_size: 32
    .language:       OpenCL C
    .language_version:
      - 2
      - 0
    .max_flat_workgroup_size: 256
    .name:           _ZN6thrust23THRUST_200600_302600_NS11hip_rocprim14__parallel_for6kernelILj256ENS1_20__uninitialized_copy7functorINS0_10device_ptrINS0_5tupleIiiNS0_9null_typeES8_S8_S8_S8_S8_S8_S8_EEEENS0_7pointerIS9_NS1_3tagENS0_11use_defaultESD_EEEEmLj1EEEvT0_T1_SH_
    .private_segment_fixed_size: 0
    .sgpr_count:     18
    .sgpr_spill_count: 0
    .symbol:         _ZN6thrust23THRUST_200600_302600_NS11hip_rocprim14__parallel_for6kernelILj256ENS1_20__uninitialized_copy7functorINS0_10device_ptrINS0_5tupleIiiNS0_9null_typeES8_S8_S8_S8_S8_S8_S8_EEEENS0_7pointerIS9_NS1_3tagENS0_11use_defaultESD_EEEEmLj1EEEvT0_T1_SH_.kd
    .uniform_work_group_size: 1
    .uses_dynamic_stack: false
    .vgpr_count:     5
    .vgpr_spill_count: 0
    .wavefront_size: 32
    .workgroup_processor_mode: 1
  - .args:
      - .offset:         0
        .size:           16
        .value_kind:     by_value
      - .offset:         16
        .size:           8
        .value_kind:     by_value
      - .offset:         24
        .size:           8
        .value_kind:     by_value
    .group_segment_fixed_size: 0
    .kernarg_segment_align: 8
    .kernarg_segment_size: 32
    .language:       OpenCL C
    .language_version:
      - 2
      - 0
    .max_flat_workgroup_size: 256
    .name:           _ZN6thrust23THRUST_200600_302600_NS11hip_rocprim14__parallel_for6kernelILj256ENS1_20__uninitialized_fill7functorINS0_10device_ptrIiEEiEEmLj1EEEvT0_T1_SA_
    .private_segment_fixed_size: 0
    .sgpr_count:     14
    .sgpr_spill_count: 0
    .symbol:         _ZN6thrust23THRUST_200600_302600_NS11hip_rocprim14__parallel_for6kernelILj256ENS1_20__uninitialized_fill7functorINS0_10device_ptrIiEEiEEmLj1EEEvT0_T1_SA_.kd
    .uniform_work_group_size: 1
    .uses_dynamic_stack: false
    .vgpr_count:     4
    .vgpr_spill_count: 0
    .wavefront_size: 32
    .workgroup_processor_mode: 1
  - .args:
      - .offset:         0
        .size:           56
        .value_kind:     by_value
    .group_segment_fixed_size: 0
    .kernarg_segment_align: 8
    .kernarg_segment_size: 56
    .language:       OpenCL C
    .language_version:
      - 2
      - 0
    .max_flat_workgroup_size: 256
    .name:           _ZN7rocprim17ROCPRIM_400000_NS6detail17trampoline_kernelINS0_14default_configENS1_27upper_bound_config_selectorIdlEEZNS1_14transform_implILb0ES3_S5_N6thrust23THRUST_200600_302600_NS6detail15normal_iteratorINS8_7pointerIdNS8_11hip_rocprim5par_tENS8_11use_defaultESE_EEEENSA_INSB_IlSD_SE_SE_EEEEZNS1_13binary_searchIS3_S5_NSA_INS8_10device_ptrIdEEEESG_SI_NS1_21upper_bound_search_opENS9_16wrapped_functionINS8_6system6detail7generic6detail18binary_search_lessEbEEEE10hipError_tPvRmT1_T2_T3_mmT4_T5_P12ihipStream_tbEUlRKdE_EESV_SZ_S10_mS11_S14_bEUlT_E_NS1_11comp_targetILNS1_3genE0ELNS1_11target_archE4294967295ELNS1_3gpuE0ELNS1_3repE0EEENS1_30default_config_static_selectorELNS0_4arch9wavefront6targetE0EEEvSY_
    .private_segment_fixed_size: 0
    .sgpr_count:     0
    .sgpr_spill_count: 0
    .symbol:         _ZN7rocprim17ROCPRIM_400000_NS6detail17trampoline_kernelINS0_14default_configENS1_27upper_bound_config_selectorIdlEEZNS1_14transform_implILb0ES3_S5_N6thrust23THRUST_200600_302600_NS6detail15normal_iteratorINS8_7pointerIdNS8_11hip_rocprim5par_tENS8_11use_defaultESE_EEEENSA_INSB_IlSD_SE_SE_EEEEZNS1_13binary_searchIS3_S5_NSA_INS8_10device_ptrIdEEEESG_SI_NS1_21upper_bound_search_opENS9_16wrapped_functionINS8_6system6detail7generic6detail18binary_search_lessEbEEEE10hipError_tPvRmT1_T2_T3_mmT4_T5_P12ihipStream_tbEUlRKdE_EESV_SZ_S10_mS11_S14_bEUlT_E_NS1_11comp_targetILNS1_3genE0ELNS1_11target_archE4294967295ELNS1_3gpuE0ELNS1_3repE0EEENS1_30default_config_static_selectorELNS0_4arch9wavefront6targetE0EEEvSY_.kd
    .uniform_work_group_size: 1
    .uses_dynamic_stack: false
    .vgpr_count:     0
    .vgpr_spill_count: 0
    .wavefront_size: 32
    .workgroup_processor_mode: 1
  - .args:
      - .offset:         0
        .size:           56
        .value_kind:     by_value
    .group_segment_fixed_size: 0
    .kernarg_segment_align: 8
    .kernarg_segment_size: 56
    .language:       OpenCL C
    .language_version:
      - 2
      - 0
    .max_flat_workgroup_size: 64
    .name:           _ZN7rocprim17ROCPRIM_400000_NS6detail17trampoline_kernelINS0_14default_configENS1_27upper_bound_config_selectorIdlEEZNS1_14transform_implILb0ES3_S5_N6thrust23THRUST_200600_302600_NS6detail15normal_iteratorINS8_7pointerIdNS8_11hip_rocprim5par_tENS8_11use_defaultESE_EEEENSA_INSB_IlSD_SE_SE_EEEEZNS1_13binary_searchIS3_S5_NSA_INS8_10device_ptrIdEEEESG_SI_NS1_21upper_bound_search_opENS9_16wrapped_functionINS8_6system6detail7generic6detail18binary_search_lessEbEEEE10hipError_tPvRmT1_T2_T3_mmT4_T5_P12ihipStream_tbEUlRKdE_EESV_SZ_S10_mS11_S14_bEUlT_E_NS1_11comp_targetILNS1_3genE5ELNS1_11target_archE942ELNS1_3gpuE9ELNS1_3repE0EEENS1_30default_config_static_selectorELNS0_4arch9wavefront6targetE0EEEvSY_
    .private_segment_fixed_size: 0
    .sgpr_count:     0
    .sgpr_spill_count: 0
    .symbol:         _ZN7rocprim17ROCPRIM_400000_NS6detail17trampoline_kernelINS0_14default_configENS1_27upper_bound_config_selectorIdlEEZNS1_14transform_implILb0ES3_S5_N6thrust23THRUST_200600_302600_NS6detail15normal_iteratorINS8_7pointerIdNS8_11hip_rocprim5par_tENS8_11use_defaultESE_EEEENSA_INSB_IlSD_SE_SE_EEEEZNS1_13binary_searchIS3_S5_NSA_INS8_10device_ptrIdEEEESG_SI_NS1_21upper_bound_search_opENS9_16wrapped_functionINS8_6system6detail7generic6detail18binary_search_lessEbEEEE10hipError_tPvRmT1_T2_T3_mmT4_T5_P12ihipStream_tbEUlRKdE_EESV_SZ_S10_mS11_S14_bEUlT_E_NS1_11comp_targetILNS1_3genE5ELNS1_11target_archE942ELNS1_3gpuE9ELNS1_3repE0EEENS1_30default_config_static_selectorELNS0_4arch9wavefront6targetE0EEEvSY_.kd
    .uniform_work_group_size: 1
    .uses_dynamic_stack: false
    .vgpr_count:     0
    .vgpr_spill_count: 0
    .wavefront_size: 32
    .workgroup_processor_mode: 1
  - .args:
      - .offset:         0
        .size:           56
        .value_kind:     by_value
    .group_segment_fixed_size: 0
    .kernarg_segment_align: 8
    .kernarg_segment_size: 56
    .language:       OpenCL C
    .language_version:
      - 2
      - 0
    .max_flat_workgroup_size: 64
    .name:           _ZN7rocprim17ROCPRIM_400000_NS6detail17trampoline_kernelINS0_14default_configENS1_27upper_bound_config_selectorIdlEEZNS1_14transform_implILb0ES3_S5_N6thrust23THRUST_200600_302600_NS6detail15normal_iteratorINS8_7pointerIdNS8_11hip_rocprim5par_tENS8_11use_defaultESE_EEEENSA_INSB_IlSD_SE_SE_EEEEZNS1_13binary_searchIS3_S5_NSA_INS8_10device_ptrIdEEEESG_SI_NS1_21upper_bound_search_opENS9_16wrapped_functionINS8_6system6detail7generic6detail18binary_search_lessEbEEEE10hipError_tPvRmT1_T2_T3_mmT4_T5_P12ihipStream_tbEUlRKdE_EESV_SZ_S10_mS11_S14_bEUlT_E_NS1_11comp_targetILNS1_3genE4ELNS1_11target_archE910ELNS1_3gpuE8ELNS1_3repE0EEENS1_30default_config_static_selectorELNS0_4arch9wavefront6targetE0EEEvSY_
    .private_segment_fixed_size: 0
    .sgpr_count:     0
    .sgpr_spill_count: 0
    .symbol:         _ZN7rocprim17ROCPRIM_400000_NS6detail17trampoline_kernelINS0_14default_configENS1_27upper_bound_config_selectorIdlEEZNS1_14transform_implILb0ES3_S5_N6thrust23THRUST_200600_302600_NS6detail15normal_iteratorINS8_7pointerIdNS8_11hip_rocprim5par_tENS8_11use_defaultESE_EEEENSA_INSB_IlSD_SE_SE_EEEEZNS1_13binary_searchIS3_S5_NSA_INS8_10device_ptrIdEEEESG_SI_NS1_21upper_bound_search_opENS9_16wrapped_functionINS8_6system6detail7generic6detail18binary_search_lessEbEEEE10hipError_tPvRmT1_T2_T3_mmT4_T5_P12ihipStream_tbEUlRKdE_EESV_SZ_S10_mS11_S14_bEUlT_E_NS1_11comp_targetILNS1_3genE4ELNS1_11target_archE910ELNS1_3gpuE8ELNS1_3repE0EEENS1_30default_config_static_selectorELNS0_4arch9wavefront6targetE0EEEvSY_.kd
    .uniform_work_group_size: 1
    .uses_dynamic_stack: false
    .vgpr_count:     0
    .vgpr_spill_count: 0
    .wavefront_size: 32
    .workgroup_processor_mode: 1
  - .args:
      - .offset:         0
        .size:           56
        .value_kind:     by_value
    .group_segment_fixed_size: 0
    .kernarg_segment_align: 8
    .kernarg_segment_size: 56
    .language:       OpenCL C
    .language_version:
      - 2
      - 0
    .max_flat_workgroup_size: 256
    .name:           _ZN7rocprim17ROCPRIM_400000_NS6detail17trampoline_kernelINS0_14default_configENS1_27upper_bound_config_selectorIdlEEZNS1_14transform_implILb0ES3_S5_N6thrust23THRUST_200600_302600_NS6detail15normal_iteratorINS8_7pointerIdNS8_11hip_rocprim5par_tENS8_11use_defaultESE_EEEENSA_INSB_IlSD_SE_SE_EEEEZNS1_13binary_searchIS3_S5_NSA_INS8_10device_ptrIdEEEESG_SI_NS1_21upper_bound_search_opENS9_16wrapped_functionINS8_6system6detail7generic6detail18binary_search_lessEbEEEE10hipError_tPvRmT1_T2_T3_mmT4_T5_P12ihipStream_tbEUlRKdE_EESV_SZ_S10_mS11_S14_bEUlT_E_NS1_11comp_targetILNS1_3genE3ELNS1_11target_archE908ELNS1_3gpuE7ELNS1_3repE0EEENS1_30default_config_static_selectorELNS0_4arch9wavefront6targetE0EEEvSY_
    .private_segment_fixed_size: 0
    .sgpr_count:     0
    .sgpr_spill_count: 0
    .symbol:         _ZN7rocprim17ROCPRIM_400000_NS6detail17trampoline_kernelINS0_14default_configENS1_27upper_bound_config_selectorIdlEEZNS1_14transform_implILb0ES3_S5_N6thrust23THRUST_200600_302600_NS6detail15normal_iteratorINS8_7pointerIdNS8_11hip_rocprim5par_tENS8_11use_defaultESE_EEEENSA_INSB_IlSD_SE_SE_EEEEZNS1_13binary_searchIS3_S5_NSA_INS8_10device_ptrIdEEEESG_SI_NS1_21upper_bound_search_opENS9_16wrapped_functionINS8_6system6detail7generic6detail18binary_search_lessEbEEEE10hipError_tPvRmT1_T2_T3_mmT4_T5_P12ihipStream_tbEUlRKdE_EESV_SZ_S10_mS11_S14_bEUlT_E_NS1_11comp_targetILNS1_3genE3ELNS1_11target_archE908ELNS1_3gpuE7ELNS1_3repE0EEENS1_30default_config_static_selectorELNS0_4arch9wavefront6targetE0EEEvSY_.kd
    .uniform_work_group_size: 1
    .uses_dynamic_stack: false
    .vgpr_count:     0
    .vgpr_spill_count: 0
    .wavefront_size: 32
    .workgroup_processor_mode: 1
  - .args:
      - .offset:         0
        .size:           56
        .value_kind:     by_value
    .group_segment_fixed_size: 0
    .kernarg_segment_align: 8
    .kernarg_segment_size: 56
    .language:       OpenCL C
    .language_version:
      - 2
      - 0
    .max_flat_workgroup_size: 256
    .name:           _ZN7rocprim17ROCPRIM_400000_NS6detail17trampoline_kernelINS0_14default_configENS1_27upper_bound_config_selectorIdlEEZNS1_14transform_implILb0ES3_S5_N6thrust23THRUST_200600_302600_NS6detail15normal_iteratorINS8_7pointerIdNS8_11hip_rocprim5par_tENS8_11use_defaultESE_EEEENSA_INSB_IlSD_SE_SE_EEEEZNS1_13binary_searchIS3_S5_NSA_INS8_10device_ptrIdEEEESG_SI_NS1_21upper_bound_search_opENS9_16wrapped_functionINS8_6system6detail7generic6detail18binary_search_lessEbEEEE10hipError_tPvRmT1_T2_T3_mmT4_T5_P12ihipStream_tbEUlRKdE_EESV_SZ_S10_mS11_S14_bEUlT_E_NS1_11comp_targetILNS1_3genE2ELNS1_11target_archE906ELNS1_3gpuE6ELNS1_3repE0EEENS1_30default_config_static_selectorELNS0_4arch9wavefront6targetE0EEEvSY_
    .private_segment_fixed_size: 0
    .sgpr_count:     0
    .sgpr_spill_count: 0
    .symbol:         _ZN7rocprim17ROCPRIM_400000_NS6detail17trampoline_kernelINS0_14default_configENS1_27upper_bound_config_selectorIdlEEZNS1_14transform_implILb0ES3_S5_N6thrust23THRUST_200600_302600_NS6detail15normal_iteratorINS8_7pointerIdNS8_11hip_rocprim5par_tENS8_11use_defaultESE_EEEENSA_INSB_IlSD_SE_SE_EEEEZNS1_13binary_searchIS3_S5_NSA_INS8_10device_ptrIdEEEESG_SI_NS1_21upper_bound_search_opENS9_16wrapped_functionINS8_6system6detail7generic6detail18binary_search_lessEbEEEE10hipError_tPvRmT1_T2_T3_mmT4_T5_P12ihipStream_tbEUlRKdE_EESV_SZ_S10_mS11_S14_bEUlT_E_NS1_11comp_targetILNS1_3genE2ELNS1_11target_archE906ELNS1_3gpuE6ELNS1_3repE0EEENS1_30default_config_static_selectorELNS0_4arch9wavefront6targetE0EEEvSY_.kd
    .uniform_work_group_size: 1
    .uses_dynamic_stack: false
    .vgpr_count:     0
    .vgpr_spill_count: 0
    .wavefront_size: 32
    .workgroup_processor_mode: 1
  - .args:
      - .offset:         0
        .size:           56
        .value_kind:     by_value
    .group_segment_fixed_size: 0
    .kernarg_segment_align: 8
    .kernarg_segment_size: 56
    .language:       OpenCL C
    .language_version:
      - 2
      - 0
    .max_flat_workgroup_size: 128
    .name:           _ZN7rocprim17ROCPRIM_400000_NS6detail17trampoline_kernelINS0_14default_configENS1_27upper_bound_config_selectorIdlEEZNS1_14transform_implILb0ES3_S5_N6thrust23THRUST_200600_302600_NS6detail15normal_iteratorINS8_7pointerIdNS8_11hip_rocprim5par_tENS8_11use_defaultESE_EEEENSA_INSB_IlSD_SE_SE_EEEEZNS1_13binary_searchIS3_S5_NSA_INS8_10device_ptrIdEEEESG_SI_NS1_21upper_bound_search_opENS9_16wrapped_functionINS8_6system6detail7generic6detail18binary_search_lessEbEEEE10hipError_tPvRmT1_T2_T3_mmT4_T5_P12ihipStream_tbEUlRKdE_EESV_SZ_S10_mS11_S14_bEUlT_E_NS1_11comp_targetILNS1_3genE10ELNS1_11target_archE1201ELNS1_3gpuE5ELNS1_3repE0EEENS1_30default_config_static_selectorELNS0_4arch9wavefront6targetE0EEEvSY_
    .private_segment_fixed_size: 0
    .sgpr_count:     0
    .sgpr_spill_count: 0
    .symbol:         _ZN7rocprim17ROCPRIM_400000_NS6detail17trampoline_kernelINS0_14default_configENS1_27upper_bound_config_selectorIdlEEZNS1_14transform_implILb0ES3_S5_N6thrust23THRUST_200600_302600_NS6detail15normal_iteratorINS8_7pointerIdNS8_11hip_rocprim5par_tENS8_11use_defaultESE_EEEENSA_INSB_IlSD_SE_SE_EEEEZNS1_13binary_searchIS3_S5_NSA_INS8_10device_ptrIdEEEESG_SI_NS1_21upper_bound_search_opENS9_16wrapped_functionINS8_6system6detail7generic6detail18binary_search_lessEbEEEE10hipError_tPvRmT1_T2_T3_mmT4_T5_P12ihipStream_tbEUlRKdE_EESV_SZ_S10_mS11_S14_bEUlT_E_NS1_11comp_targetILNS1_3genE10ELNS1_11target_archE1201ELNS1_3gpuE5ELNS1_3repE0EEENS1_30default_config_static_selectorELNS0_4arch9wavefront6targetE0EEEvSY_.kd
    .uniform_work_group_size: 1
    .uses_dynamic_stack: false
    .vgpr_count:     0
    .vgpr_spill_count: 0
    .wavefront_size: 32
    .workgroup_processor_mode: 1
  - .args:
      - .offset:         0
        .size:           56
        .value_kind:     by_value
    .group_segment_fixed_size: 0
    .kernarg_segment_align: 8
    .kernarg_segment_size: 56
    .language:       OpenCL C
    .language_version:
      - 2
      - 0
    .max_flat_workgroup_size: 128
    .name:           _ZN7rocprim17ROCPRIM_400000_NS6detail17trampoline_kernelINS0_14default_configENS1_27upper_bound_config_selectorIdlEEZNS1_14transform_implILb0ES3_S5_N6thrust23THRUST_200600_302600_NS6detail15normal_iteratorINS8_7pointerIdNS8_11hip_rocprim5par_tENS8_11use_defaultESE_EEEENSA_INSB_IlSD_SE_SE_EEEEZNS1_13binary_searchIS3_S5_NSA_INS8_10device_ptrIdEEEESG_SI_NS1_21upper_bound_search_opENS9_16wrapped_functionINS8_6system6detail7generic6detail18binary_search_lessEbEEEE10hipError_tPvRmT1_T2_T3_mmT4_T5_P12ihipStream_tbEUlRKdE_EESV_SZ_S10_mS11_S14_bEUlT_E_NS1_11comp_targetILNS1_3genE10ELNS1_11target_archE1200ELNS1_3gpuE4ELNS1_3repE0EEENS1_30default_config_static_selectorELNS0_4arch9wavefront6targetE0EEEvSY_
    .private_segment_fixed_size: 0
    .sgpr_count:     0
    .sgpr_spill_count: 0
    .symbol:         _ZN7rocprim17ROCPRIM_400000_NS6detail17trampoline_kernelINS0_14default_configENS1_27upper_bound_config_selectorIdlEEZNS1_14transform_implILb0ES3_S5_N6thrust23THRUST_200600_302600_NS6detail15normal_iteratorINS8_7pointerIdNS8_11hip_rocprim5par_tENS8_11use_defaultESE_EEEENSA_INSB_IlSD_SE_SE_EEEEZNS1_13binary_searchIS3_S5_NSA_INS8_10device_ptrIdEEEESG_SI_NS1_21upper_bound_search_opENS9_16wrapped_functionINS8_6system6detail7generic6detail18binary_search_lessEbEEEE10hipError_tPvRmT1_T2_T3_mmT4_T5_P12ihipStream_tbEUlRKdE_EESV_SZ_S10_mS11_S14_bEUlT_E_NS1_11comp_targetILNS1_3genE10ELNS1_11target_archE1200ELNS1_3gpuE4ELNS1_3repE0EEENS1_30default_config_static_selectorELNS0_4arch9wavefront6targetE0EEEvSY_.kd
    .uniform_work_group_size: 1
    .uses_dynamic_stack: false
    .vgpr_count:     0
    .vgpr_spill_count: 0
    .wavefront_size: 32
    .workgroup_processor_mode: 1
  - .args:
      - .offset:         0
        .size:           56
        .value_kind:     by_value
    .group_segment_fixed_size: 0
    .kernarg_segment_align: 8
    .kernarg_segment_size: 56
    .language:       OpenCL C
    .language_version:
      - 2
      - 0
    .max_flat_workgroup_size: 256
    .name:           _ZN7rocprim17ROCPRIM_400000_NS6detail17trampoline_kernelINS0_14default_configENS1_27upper_bound_config_selectorIdlEEZNS1_14transform_implILb0ES3_S5_N6thrust23THRUST_200600_302600_NS6detail15normal_iteratorINS8_7pointerIdNS8_11hip_rocprim5par_tENS8_11use_defaultESE_EEEENSA_INSB_IlSD_SE_SE_EEEEZNS1_13binary_searchIS3_S5_NSA_INS8_10device_ptrIdEEEESG_SI_NS1_21upper_bound_search_opENS9_16wrapped_functionINS8_6system6detail7generic6detail18binary_search_lessEbEEEE10hipError_tPvRmT1_T2_T3_mmT4_T5_P12ihipStream_tbEUlRKdE_EESV_SZ_S10_mS11_S14_bEUlT_E_NS1_11comp_targetILNS1_3genE9ELNS1_11target_archE1100ELNS1_3gpuE3ELNS1_3repE0EEENS1_30default_config_static_selectorELNS0_4arch9wavefront6targetE0EEEvSY_
    .private_segment_fixed_size: 0
    .sgpr_count:     0
    .sgpr_spill_count: 0
    .symbol:         _ZN7rocprim17ROCPRIM_400000_NS6detail17trampoline_kernelINS0_14default_configENS1_27upper_bound_config_selectorIdlEEZNS1_14transform_implILb0ES3_S5_N6thrust23THRUST_200600_302600_NS6detail15normal_iteratorINS8_7pointerIdNS8_11hip_rocprim5par_tENS8_11use_defaultESE_EEEENSA_INSB_IlSD_SE_SE_EEEEZNS1_13binary_searchIS3_S5_NSA_INS8_10device_ptrIdEEEESG_SI_NS1_21upper_bound_search_opENS9_16wrapped_functionINS8_6system6detail7generic6detail18binary_search_lessEbEEEE10hipError_tPvRmT1_T2_T3_mmT4_T5_P12ihipStream_tbEUlRKdE_EESV_SZ_S10_mS11_S14_bEUlT_E_NS1_11comp_targetILNS1_3genE9ELNS1_11target_archE1100ELNS1_3gpuE3ELNS1_3repE0EEENS1_30default_config_static_selectorELNS0_4arch9wavefront6targetE0EEEvSY_.kd
    .uniform_work_group_size: 1
    .uses_dynamic_stack: false
    .vgpr_count:     0
    .vgpr_spill_count: 0
    .wavefront_size: 32
    .workgroup_processor_mode: 1
  - .args:
      - .offset:         0
        .size:           56
        .value_kind:     by_value
      - .offset:         56
        .size:           4
        .value_kind:     hidden_block_count_x
      - .offset:         60
        .size:           4
        .value_kind:     hidden_block_count_y
      - .offset:         64
        .size:           4
        .value_kind:     hidden_block_count_z
      - .offset:         68
        .size:           2
        .value_kind:     hidden_group_size_x
      - .offset:         70
        .size:           2
        .value_kind:     hidden_group_size_y
      - .offset:         72
        .size:           2
        .value_kind:     hidden_group_size_z
      - .offset:         74
        .size:           2
        .value_kind:     hidden_remainder_x
      - .offset:         76
        .size:           2
        .value_kind:     hidden_remainder_y
      - .offset:         78
        .size:           2
        .value_kind:     hidden_remainder_z
      - .offset:         96
        .size:           8
        .value_kind:     hidden_global_offset_x
      - .offset:         104
        .size:           8
        .value_kind:     hidden_global_offset_y
      - .offset:         112
        .size:           8
        .value_kind:     hidden_global_offset_z
      - .offset:         120
        .size:           2
        .value_kind:     hidden_grid_dims
    .group_segment_fixed_size: 0
    .kernarg_segment_align: 8
    .kernarg_segment_size: 312
    .language:       OpenCL C
    .language_version:
      - 2
      - 0
    .max_flat_workgroup_size: 256
    .name:           _ZN7rocprim17ROCPRIM_400000_NS6detail17trampoline_kernelINS0_14default_configENS1_27upper_bound_config_selectorIdlEEZNS1_14transform_implILb0ES3_S5_N6thrust23THRUST_200600_302600_NS6detail15normal_iteratorINS8_7pointerIdNS8_11hip_rocprim5par_tENS8_11use_defaultESE_EEEENSA_INSB_IlSD_SE_SE_EEEEZNS1_13binary_searchIS3_S5_NSA_INS8_10device_ptrIdEEEESG_SI_NS1_21upper_bound_search_opENS9_16wrapped_functionINS8_6system6detail7generic6detail18binary_search_lessEbEEEE10hipError_tPvRmT1_T2_T3_mmT4_T5_P12ihipStream_tbEUlRKdE_EESV_SZ_S10_mS11_S14_bEUlT_E_NS1_11comp_targetILNS1_3genE8ELNS1_11target_archE1030ELNS1_3gpuE2ELNS1_3repE0EEENS1_30default_config_static_selectorELNS0_4arch9wavefront6targetE0EEEvSY_
    .private_segment_fixed_size: 0
    .sgpr_count:     22
    .sgpr_spill_count: 0
    .symbol:         _ZN7rocprim17ROCPRIM_400000_NS6detail17trampoline_kernelINS0_14default_configENS1_27upper_bound_config_selectorIdlEEZNS1_14transform_implILb0ES3_S5_N6thrust23THRUST_200600_302600_NS6detail15normal_iteratorINS8_7pointerIdNS8_11hip_rocprim5par_tENS8_11use_defaultESE_EEEENSA_INSB_IlSD_SE_SE_EEEEZNS1_13binary_searchIS3_S5_NSA_INS8_10device_ptrIdEEEESG_SI_NS1_21upper_bound_search_opENS9_16wrapped_functionINS8_6system6detail7generic6detail18binary_search_lessEbEEEE10hipError_tPvRmT1_T2_T3_mmT4_T5_P12ihipStream_tbEUlRKdE_EESV_SZ_S10_mS11_S14_bEUlT_E_NS1_11comp_targetILNS1_3genE8ELNS1_11target_archE1030ELNS1_3gpuE2ELNS1_3repE0EEENS1_30default_config_static_selectorELNS0_4arch9wavefront6targetE0EEEvSY_.kd
    .uniform_work_group_size: 1
    .uses_dynamic_stack: false
    .vgpr_count:     11
    .vgpr_spill_count: 0
    .wavefront_size: 32
    .workgroup_processor_mode: 1
  - .args:
      - .offset:         0
        .size:           56
        .value_kind:     by_value
    .group_segment_fixed_size: 0
    .kernarg_segment_align: 8
    .kernarg_segment_size: 56
    .language:       OpenCL C
    .language_version:
      - 2
      - 0
    .max_flat_workgroup_size: 256
    .name:           _ZN7rocprim17ROCPRIM_400000_NS6detail17trampoline_kernelINS0_14default_configENS1_27upper_bound_config_selectorIflEEZNS1_14transform_implILb0ES3_S5_N6thrust23THRUST_200600_302600_NS6detail15normal_iteratorINS8_7pointerIfNS8_11hip_rocprim16par_det_nosync_tENS8_11use_defaultESE_EEEENSA_INSB_IlSD_SE_SE_EEEEZNS1_13binary_searchIS3_S5_NSA_INS8_10device_ptrIfEEEESG_SI_NS1_21upper_bound_search_opENS9_16wrapped_functionINS8_6system6detail7generic6detail18binary_search_lessEbEEEE10hipError_tPvRmT1_T2_T3_mmT4_T5_P12ihipStream_tbEUlRKfE_EESV_SZ_S10_mS11_S14_bEUlT_E_NS1_11comp_targetILNS1_3genE0ELNS1_11target_archE4294967295ELNS1_3gpuE0ELNS1_3repE0EEENS1_30default_config_static_selectorELNS0_4arch9wavefront6targetE0EEEvSY_
    .private_segment_fixed_size: 0
    .sgpr_count:     0
    .sgpr_spill_count: 0
    .symbol:         _ZN7rocprim17ROCPRIM_400000_NS6detail17trampoline_kernelINS0_14default_configENS1_27upper_bound_config_selectorIflEEZNS1_14transform_implILb0ES3_S5_N6thrust23THRUST_200600_302600_NS6detail15normal_iteratorINS8_7pointerIfNS8_11hip_rocprim16par_det_nosync_tENS8_11use_defaultESE_EEEENSA_INSB_IlSD_SE_SE_EEEEZNS1_13binary_searchIS3_S5_NSA_INS8_10device_ptrIfEEEESG_SI_NS1_21upper_bound_search_opENS9_16wrapped_functionINS8_6system6detail7generic6detail18binary_search_lessEbEEEE10hipError_tPvRmT1_T2_T3_mmT4_T5_P12ihipStream_tbEUlRKfE_EESV_SZ_S10_mS11_S14_bEUlT_E_NS1_11comp_targetILNS1_3genE0ELNS1_11target_archE4294967295ELNS1_3gpuE0ELNS1_3repE0EEENS1_30default_config_static_selectorELNS0_4arch9wavefront6targetE0EEEvSY_.kd
    .uniform_work_group_size: 1
    .uses_dynamic_stack: false
    .vgpr_count:     0
    .vgpr_spill_count: 0
    .wavefront_size: 32
    .workgroup_processor_mode: 1
  - .args:
      - .offset:         0
        .size:           56
        .value_kind:     by_value
    .group_segment_fixed_size: 0
    .kernarg_segment_align: 8
    .kernarg_segment_size: 56
    .language:       OpenCL C
    .language_version:
      - 2
      - 0
    .max_flat_workgroup_size: 256
    .name:           _ZN7rocprim17ROCPRIM_400000_NS6detail17trampoline_kernelINS0_14default_configENS1_27upper_bound_config_selectorIflEEZNS1_14transform_implILb0ES3_S5_N6thrust23THRUST_200600_302600_NS6detail15normal_iteratorINS8_7pointerIfNS8_11hip_rocprim16par_det_nosync_tENS8_11use_defaultESE_EEEENSA_INSB_IlSD_SE_SE_EEEEZNS1_13binary_searchIS3_S5_NSA_INS8_10device_ptrIfEEEESG_SI_NS1_21upper_bound_search_opENS9_16wrapped_functionINS8_6system6detail7generic6detail18binary_search_lessEbEEEE10hipError_tPvRmT1_T2_T3_mmT4_T5_P12ihipStream_tbEUlRKfE_EESV_SZ_S10_mS11_S14_bEUlT_E_NS1_11comp_targetILNS1_3genE5ELNS1_11target_archE942ELNS1_3gpuE9ELNS1_3repE0EEENS1_30default_config_static_selectorELNS0_4arch9wavefront6targetE0EEEvSY_
    .private_segment_fixed_size: 0
    .sgpr_count:     0
    .sgpr_spill_count: 0
    .symbol:         _ZN7rocprim17ROCPRIM_400000_NS6detail17trampoline_kernelINS0_14default_configENS1_27upper_bound_config_selectorIflEEZNS1_14transform_implILb0ES3_S5_N6thrust23THRUST_200600_302600_NS6detail15normal_iteratorINS8_7pointerIfNS8_11hip_rocprim16par_det_nosync_tENS8_11use_defaultESE_EEEENSA_INSB_IlSD_SE_SE_EEEEZNS1_13binary_searchIS3_S5_NSA_INS8_10device_ptrIfEEEESG_SI_NS1_21upper_bound_search_opENS9_16wrapped_functionINS8_6system6detail7generic6detail18binary_search_lessEbEEEE10hipError_tPvRmT1_T2_T3_mmT4_T5_P12ihipStream_tbEUlRKfE_EESV_SZ_S10_mS11_S14_bEUlT_E_NS1_11comp_targetILNS1_3genE5ELNS1_11target_archE942ELNS1_3gpuE9ELNS1_3repE0EEENS1_30default_config_static_selectorELNS0_4arch9wavefront6targetE0EEEvSY_.kd
    .uniform_work_group_size: 1
    .uses_dynamic_stack: false
    .vgpr_count:     0
    .vgpr_spill_count: 0
    .wavefront_size: 32
    .workgroup_processor_mode: 1
  - .args:
      - .offset:         0
        .size:           56
        .value_kind:     by_value
    .group_segment_fixed_size: 0
    .kernarg_segment_align: 8
    .kernarg_segment_size: 56
    .language:       OpenCL C
    .language_version:
      - 2
      - 0
    .max_flat_workgroup_size: 256
    .name:           _ZN7rocprim17ROCPRIM_400000_NS6detail17trampoline_kernelINS0_14default_configENS1_27upper_bound_config_selectorIflEEZNS1_14transform_implILb0ES3_S5_N6thrust23THRUST_200600_302600_NS6detail15normal_iteratorINS8_7pointerIfNS8_11hip_rocprim16par_det_nosync_tENS8_11use_defaultESE_EEEENSA_INSB_IlSD_SE_SE_EEEEZNS1_13binary_searchIS3_S5_NSA_INS8_10device_ptrIfEEEESG_SI_NS1_21upper_bound_search_opENS9_16wrapped_functionINS8_6system6detail7generic6detail18binary_search_lessEbEEEE10hipError_tPvRmT1_T2_T3_mmT4_T5_P12ihipStream_tbEUlRKfE_EESV_SZ_S10_mS11_S14_bEUlT_E_NS1_11comp_targetILNS1_3genE4ELNS1_11target_archE910ELNS1_3gpuE8ELNS1_3repE0EEENS1_30default_config_static_selectorELNS0_4arch9wavefront6targetE0EEEvSY_
    .private_segment_fixed_size: 0
    .sgpr_count:     0
    .sgpr_spill_count: 0
    .symbol:         _ZN7rocprim17ROCPRIM_400000_NS6detail17trampoline_kernelINS0_14default_configENS1_27upper_bound_config_selectorIflEEZNS1_14transform_implILb0ES3_S5_N6thrust23THRUST_200600_302600_NS6detail15normal_iteratorINS8_7pointerIfNS8_11hip_rocprim16par_det_nosync_tENS8_11use_defaultESE_EEEENSA_INSB_IlSD_SE_SE_EEEEZNS1_13binary_searchIS3_S5_NSA_INS8_10device_ptrIfEEEESG_SI_NS1_21upper_bound_search_opENS9_16wrapped_functionINS8_6system6detail7generic6detail18binary_search_lessEbEEEE10hipError_tPvRmT1_T2_T3_mmT4_T5_P12ihipStream_tbEUlRKfE_EESV_SZ_S10_mS11_S14_bEUlT_E_NS1_11comp_targetILNS1_3genE4ELNS1_11target_archE910ELNS1_3gpuE8ELNS1_3repE0EEENS1_30default_config_static_selectorELNS0_4arch9wavefront6targetE0EEEvSY_.kd
    .uniform_work_group_size: 1
    .uses_dynamic_stack: false
    .vgpr_count:     0
    .vgpr_spill_count: 0
    .wavefront_size: 32
    .workgroup_processor_mode: 1
  - .args:
      - .offset:         0
        .size:           56
        .value_kind:     by_value
    .group_segment_fixed_size: 0
    .kernarg_segment_align: 8
    .kernarg_segment_size: 56
    .language:       OpenCL C
    .language_version:
      - 2
      - 0
    .max_flat_workgroup_size: 256
    .name:           _ZN7rocprim17ROCPRIM_400000_NS6detail17trampoline_kernelINS0_14default_configENS1_27upper_bound_config_selectorIflEEZNS1_14transform_implILb0ES3_S5_N6thrust23THRUST_200600_302600_NS6detail15normal_iteratorINS8_7pointerIfNS8_11hip_rocprim16par_det_nosync_tENS8_11use_defaultESE_EEEENSA_INSB_IlSD_SE_SE_EEEEZNS1_13binary_searchIS3_S5_NSA_INS8_10device_ptrIfEEEESG_SI_NS1_21upper_bound_search_opENS9_16wrapped_functionINS8_6system6detail7generic6detail18binary_search_lessEbEEEE10hipError_tPvRmT1_T2_T3_mmT4_T5_P12ihipStream_tbEUlRKfE_EESV_SZ_S10_mS11_S14_bEUlT_E_NS1_11comp_targetILNS1_3genE3ELNS1_11target_archE908ELNS1_3gpuE7ELNS1_3repE0EEENS1_30default_config_static_selectorELNS0_4arch9wavefront6targetE0EEEvSY_
    .private_segment_fixed_size: 0
    .sgpr_count:     0
    .sgpr_spill_count: 0
    .symbol:         _ZN7rocprim17ROCPRIM_400000_NS6detail17trampoline_kernelINS0_14default_configENS1_27upper_bound_config_selectorIflEEZNS1_14transform_implILb0ES3_S5_N6thrust23THRUST_200600_302600_NS6detail15normal_iteratorINS8_7pointerIfNS8_11hip_rocprim16par_det_nosync_tENS8_11use_defaultESE_EEEENSA_INSB_IlSD_SE_SE_EEEEZNS1_13binary_searchIS3_S5_NSA_INS8_10device_ptrIfEEEESG_SI_NS1_21upper_bound_search_opENS9_16wrapped_functionINS8_6system6detail7generic6detail18binary_search_lessEbEEEE10hipError_tPvRmT1_T2_T3_mmT4_T5_P12ihipStream_tbEUlRKfE_EESV_SZ_S10_mS11_S14_bEUlT_E_NS1_11comp_targetILNS1_3genE3ELNS1_11target_archE908ELNS1_3gpuE7ELNS1_3repE0EEENS1_30default_config_static_selectorELNS0_4arch9wavefront6targetE0EEEvSY_.kd
    .uniform_work_group_size: 1
    .uses_dynamic_stack: false
    .vgpr_count:     0
    .vgpr_spill_count: 0
    .wavefront_size: 32
    .workgroup_processor_mode: 1
  - .args:
      - .offset:         0
        .size:           56
        .value_kind:     by_value
    .group_segment_fixed_size: 0
    .kernarg_segment_align: 8
    .kernarg_segment_size: 56
    .language:       OpenCL C
    .language_version:
      - 2
      - 0
    .max_flat_workgroup_size: 256
    .name:           _ZN7rocprim17ROCPRIM_400000_NS6detail17trampoline_kernelINS0_14default_configENS1_27upper_bound_config_selectorIflEEZNS1_14transform_implILb0ES3_S5_N6thrust23THRUST_200600_302600_NS6detail15normal_iteratorINS8_7pointerIfNS8_11hip_rocprim16par_det_nosync_tENS8_11use_defaultESE_EEEENSA_INSB_IlSD_SE_SE_EEEEZNS1_13binary_searchIS3_S5_NSA_INS8_10device_ptrIfEEEESG_SI_NS1_21upper_bound_search_opENS9_16wrapped_functionINS8_6system6detail7generic6detail18binary_search_lessEbEEEE10hipError_tPvRmT1_T2_T3_mmT4_T5_P12ihipStream_tbEUlRKfE_EESV_SZ_S10_mS11_S14_bEUlT_E_NS1_11comp_targetILNS1_3genE2ELNS1_11target_archE906ELNS1_3gpuE6ELNS1_3repE0EEENS1_30default_config_static_selectorELNS0_4arch9wavefront6targetE0EEEvSY_
    .private_segment_fixed_size: 0
    .sgpr_count:     0
    .sgpr_spill_count: 0
    .symbol:         _ZN7rocprim17ROCPRIM_400000_NS6detail17trampoline_kernelINS0_14default_configENS1_27upper_bound_config_selectorIflEEZNS1_14transform_implILb0ES3_S5_N6thrust23THRUST_200600_302600_NS6detail15normal_iteratorINS8_7pointerIfNS8_11hip_rocprim16par_det_nosync_tENS8_11use_defaultESE_EEEENSA_INSB_IlSD_SE_SE_EEEEZNS1_13binary_searchIS3_S5_NSA_INS8_10device_ptrIfEEEESG_SI_NS1_21upper_bound_search_opENS9_16wrapped_functionINS8_6system6detail7generic6detail18binary_search_lessEbEEEE10hipError_tPvRmT1_T2_T3_mmT4_T5_P12ihipStream_tbEUlRKfE_EESV_SZ_S10_mS11_S14_bEUlT_E_NS1_11comp_targetILNS1_3genE2ELNS1_11target_archE906ELNS1_3gpuE6ELNS1_3repE0EEENS1_30default_config_static_selectorELNS0_4arch9wavefront6targetE0EEEvSY_.kd
    .uniform_work_group_size: 1
    .uses_dynamic_stack: false
    .vgpr_count:     0
    .vgpr_spill_count: 0
    .wavefront_size: 32
    .workgroup_processor_mode: 1
  - .args:
      - .offset:         0
        .size:           56
        .value_kind:     by_value
    .group_segment_fixed_size: 0
    .kernarg_segment_align: 8
    .kernarg_segment_size: 56
    .language:       OpenCL C
    .language_version:
      - 2
      - 0
    .max_flat_workgroup_size: 128
    .name:           _ZN7rocprim17ROCPRIM_400000_NS6detail17trampoline_kernelINS0_14default_configENS1_27upper_bound_config_selectorIflEEZNS1_14transform_implILb0ES3_S5_N6thrust23THRUST_200600_302600_NS6detail15normal_iteratorINS8_7pointerIfNS8_11hip_rocprim16par_det_nosync_tENS8_11use_defaultESE_EEEENSA_INSB_IlSD_SE_SE_EEEEZNS1_13binary_searchIS3_S5_NSA_INS8_10device_ptrIfEEEESG_SI_NS1_21upper_bound_search_opENS9_16wrapped_functionINS8_6system6detail7generic6detail18binary_search_lessEbEEEE10hipError_tPvRmT1_T2_T3_mmT4_T5_P12ihipStream_tbEUlRKfE_EESV_SZ_S10_mS11_S14_bEUlT_E_NS1_11comp_targetILNS1_3genE10ELNS1_11target_archE1201ELNS1_3gpuE5ELNS1_3repE0EEENS1_30default_config_static_selectorELNS0_4arch9wavefront6targetE0EEEvSY_
    .private_segment_fixed_size: 0
    .sgpr_count:     0
    .sgpr_spill_count: 0
    .symbol:         _ZN7rocprim17ROCPRIM_400000_NS6detail17trampoline_kernelINS0_14default_configENS1_27upper_bound_config_selectorIflEEZNS1_14transform_implILb0ES3_S5_N6thrust23THRUST_200600_302600_NS6detail15normal_iteratorINS8_7pointerIfNS8_11hip_rocprim16par_det_nosync_tENS8_11use_defaultESE_EEEENSA_INSB_IlSD_SE_SE_EEEEZNS1_13binary_searchIS3_S5_NSA_INS8_10device_ptrIfEEEESG_SI_NS1_21upper_bound_search_opENS9_16wrapped_functionINS8_6system6detail7generic6detail18binary_search_lessEbEEEE10hipError_tPvRmT1_T2_T3_mmT4_T5_P12ihipStream_tbEUlRKfE_EESV_SZ_S10_mS11_S14_bEUlT_E_NS1_11comp_targetILNS1_3genE10ELNS1_11target_archE1201ELNS1_3gpuE5ELNS1_3repE0EEENS1_30default_config_static_selectorELNS0_4arch9wavefront6targetE0EEEvSY_.kd
    .uniform_work_group_size: 1
    .uses_dynamic_stack: false
    .vgpr_count:     0
    .vgpr_spill_count: 0
    .wavefront_size: 32
    .workgroup_processor_mode: 1
  - .args:
      - .offset:         0
        .size:           56
        .value_kind:     by_value
    .group_segment_fixed_size: 0
    .kernarg_segment_align: 8
    .kernarg_segment_size: 56
    .language:       OpenCL C
    .language_version:
      - 2
      - 0
    .max_flat_workgroup_size: 128
    .name:           _ZN7rocprim17ROCPRIM_400000_NS6detail17trampoline_kernelINS0_14default_configENS1_27upper_bound_config_selectorIflEEZNS1_14transform_implILb0ES3_S5_N6thrust23THRUST_200600_302600_NS6detail15normal_iteratorINS8_7pointerIfNS8_11hip_rocprim16par_det_nosync_tENS8_11use_defaultESE_EEEENSA_INSB_IlSD_SE_SE_EEEEZNS1_13binary_searchIS3_S5_NSA_INS8_10device_ptrIfEEEESG_SI_NS1_21upper_bound_search_opENS9_16wrapped_functionINS8_6system6detail7generic6detail18binary_search_lessEbEEEE10hipError_tPvRmT1_T2_T3_mmT4_T5_P12ihipStream_tbEUlRKfE_EESV_SZ_S10_mS11_S14_bEUlT_E_NS1_11comp_targetILNS1_3genE10ELNS1_11target_archE1200ELNS1_3gpuE4ELNS1_3repE0EEENS1_30default_config_static_selectorELNS0_4arch9wavefront6targetE0EEEvSY_
    .private_segment_fixed_size: 0
    .sgpr_count:     0
    .sgpr_spill_count: 0
    .symbol:         _ZN7rocprim17ROCPRIM_400000_NS6detail17trampoline_kernelINS0_14default_configENS1_27upper_bound_config_selectorIflEEZNS1_14transform_implILb0ES3_S5_N6thrust23THRUST_200600_302600_NS6detail15normal_iteratorINS8_7pointerIfNS8_11hip_rocprim16par_det_nosync_tENS8_11use_defaultESE_EEEENSA_INSB_IlSD_SE_SE_EEEEZNS1_13binary_searchIS3_S5_NSA_INS8_10device_ptrIfEEEESG_SI_NS1_21upper_bound_search_opENS9_16wrapped_functionINS8_6system6detail7generic6detail18binary_search_lessEbEEEE10hipError_tPvRmT1_T2_T3_mmT4_T5_P12ihipStream_tbEUlRKfE_EESV_SZ_S10_mS11_S14_bEUlT_E_NS1_11comp_targetILNS1_3genE10ELNS1_11target_archE1200ELNS1_3gpuE4ELNS1_3repE0EEENS1_30default_config_static_selectorELNS0_4arch9wavefront6targetE0EEEvSY_.kd
    .uniform_work_group_size: 1
    .uses_dynamic_stack: false
    .vgpr_count:     0
    .vgpr_spill_count: 0
    .wavefront_size: 32
    .workgroup_processor_mode: 1
  - .args:
      - .offset:         0
        .size:           56
        .value_kind:     by_value
    .group_segment_fixed_size: 0
    .kernarg_segment_align: 8
    .kernarg_segment_size: 56
    .language:       OpenCL C
    .language_version:
      - 2
      - 0
    .max_flat_workgroup_size: 256
    .name:           _ZN7rocprim17ROCPRIM_400000_NS6detail17trampoline_kernelINS0_14default_configENS1_27upper_bound_config_selectorIflEEZNS1_14transform_implILb0ES3_S5_N6thrust23THRUST_200600_302600_NS6detail15normal_iteratorINS8_7pointerIfNS8_11hip_rocprim16par_det_nosync_tENS8_11use_defaultESE_EEEENSA_INSB_IlSD_SE_SE_EEEEZNS1_13binary_searchIS3_S5_NSA_INS8_10device_ptrIfEEEESG_SI_NS1_21upper_bound_search_opENS9_16wrapped_functionINS8_6system6detail7generic6detail18binary_search_lessEbEEEE10hipError_tPvRmT1_T2_T3_mmT4_T5_P12ihipStream_tbEUlRKfE_EESV_SZ_S10_mS11_S14_bEUlT_E_NS1_11comp_targetILNS1_3genE9ELNS1_11target_archE1100ELNS1_3gpuE3ELNS1_3repE0EEENS1_30default_config_static_selectorELNS0_4arch9wavefront6targetE0EEEvSY_
    .private_segment_fixed_size: 0
    .sgpr_count:     0
    .sgpr_spill_count: 0
    .symbol:         _ZN7rocprim17ROCPRIM_400000_NS6detail17trampoline_kernelINS0_14default_configENS1_27upper_bound_config_selectorIflEEZNS1_14transform_implILb0ES3_S5_N6thrust23THRUST_200600_302600_NS6detail15normal_iteratorINS8_7pointerIfNS8_11hip_rocprim16par_det_nosync_tENS8_11use_defaultESE_EEEENSA_INSB_IlSD_SE_SE_EEEEZNS1_13binary_searchIS3_S5_NSA_INS8_10device_ptrIfEEEESG_SI_NS1_21upper_bound_search_opENS9_16wrapped_functionINS8_6system6detail7generic6detail18binary_search_lessEbEEEE10hipError_tPvRmT1_T2_T3_mmT4_T5_P12ihipStream_tbEUlRKfE_EESV_SZ_S10_mS11_S14_bEUlT_E_NS1_11comp_targetILNS1_3genE9ELNS1_11target_archE1100ELNS1_3gpuE3ELNS1_3repE0EEENS1_30default_config_static_selectorELNS0_4arch9wavefront6targetE0EEEvSY_.kd
    .uniform_work_group_size: 1
    .uses_dynamic_stack: false
    .vgpr_count:     0
    .vgpr_spill_count: 0
    .wavefront_size: 32
    .workgroup_processor_mode: 1
  - .args:
      - .offset:         0
        .size:           56
        .value_kind:     by_value
      - .offset:         56
        .size:           4
        .value_kind:     hidden_block_count_x
      - .offset:         60
        .size:           4
        .value_kind:     hidden_block_count_y
      - .offset:         64
        .size:           4
        .value_kind:     hidden_block_count_z
      - .offset:         68
        .size:           2
        .value_kind:     hidden_group_size_x
      - .offset:         70
        .size:           2
        .value_kind:     hidden_group_size_y
      - .offset:         72
        .size:           2
        .value_kind:     hidden_group_size_z
      - .offset:         74
        .size:           2
        .value_kind:     hidden_remainder_x
      - .offset:         76
        .size:           2
        .value_kind:     hidden_remainder_y
      - .offset:         78
        .size:           2
        .value_kind:     hidden_remainder_z
      - .offset:         96
        .size:           8
        .value_kind:     hidden_global_offset_x
      - .offset:         104
        .size:           8
        .value_kind:     hidden_global_offset_y
      - .offset:         112
        .size:           8
        .value_kind:     hidden_global_offset_z
      - .offset:         120
        .size:           2
        .value_kind:     hidden_grid_dims
    .group_segment_fixed_size: 0
    .kernarg_segment_align: 8
    .kernarg_segment_size: 312
    .language:       OpenCL C
    .language_version:
      - 2
      - 0
    .max_flat_workgroup_size: 256
    .name:           _ZN7rocprim17ROCPRIM_400000_NS6detail17trampoline_kernelINS0_14default_configENS1_27upper_bound_config_selectorIflEEZNS1_14transform_implILb0ES3_S5_N6thrust23THRUST_200600_302600_NS6detail15normal_iteratorINS8_7pointerIfNS8_11hip_rocprim16par_det_nosync_tENS8_11use_defaultESE_EEEENSA_INSB_IlSD_SE_SE_EEEEZNS1_13binary_searchIS3_S5_NSA_INS8_10device_ptrIfEEEESG_SI_NS1_21upper_bound_search_opENS9_16wrapped_functionINS8_6system6detail7generic6detail18binary_search_lessEbEEEE10hipError_tPvRmT1_T2_T3_mmT4_T5_P12ihipStream_tbEUlRKfE_EESV_SZ_S10_mS11_S14_bEUlT_E_NS1_11comp_targetILNS1_3genE8ELNS1_11target_archE1030ELNS1_3gpuE2ELNS1_3repE0EEENS1_30default_config_static_selectorELNS0_4arch9wavefront6targetE0EEEvSY_
    .private_segment_fixed_size: 0
    .sgpr_count:     19
    .sgpr_spill_count: 0
    .symbol:         _ZN7rocprim17ROCPRIM_400000_NS6detail17trampoline_kernelINS0_14default_configENS1_27upper_bound_config_selectorIflEEZNS1_14transform_implILb0ES3_S5_N6thrust23THRUST_200600_302600_NS6detail15normal_iteratorINS8_7pointerIfNS8_11hip_rocprim16par_det_nosync_tENS8_11use_defaultESE_EEEENSA_INSB_IlSD_SE_SE_EEEEZNS1_13binary_searchIS3_S5_NSA_INS8_10device_ptrIfEEEESG_SI_NS1_21upper_bound_search_opENS9_16wrapped_functionINS8_6system6detail7generic6detail18binary_search_lessEbEEEE10hipError_tPvRmT1_T2_T3_mmT4_T5_P12ihipStream_tbEUlRKfE_EESV_SZ_S10_mS11_S14_bEUlT_E_NS1_11comp_targetILNS1_3genE8ELNS1_11target_archE1030ELNS1_3gpuE2ELNS1_3repE0EEENS1_30default_config_static_selectorELNS0_4arch9wavefront6targetE0EEEvSY_.kd
    .uniform_work_group_size: 1
    .uses_dynamic_stack: false
    .vgpr_count:     11
    .vgpr_spill_count: 0
    .wavefront_size: 32
    .workgroup_processor_mode: 1
  - .args:
      - .offset:         0
        .size:           56
        .value_kind:     by_value
    .group_segment_fixed_size: 0
    .kernarg_segment_align: 8
    .kernarg_segment_size: 56
    .language:       OpenCL C
    .language_version:
      - 2
      - 0
    .max_flat_workgroup_size: 256
    .name:           _ZN7rocprim17ROCPRIM_400000_NS6detail17trampoline_kernelINS0_14default_configENS1_27upper_bound_config_selectorIflEEZNS1_14transform_implILb0ES3_S5_N6thrust23THRUST_200600_302600_NS6detail15normal_iteratorINS8_7pointerIfNS8_11hip_rocprim9par_det_tENS8_11use_defaultESE_EEEENSA_INSB_IlSD_SE_SE_EEEEZNS1_13binary_searchIS3_S5_NSA_INS8_10device_ptrIfEEEESG_SI_NS1_21upper_bound_search_opENS9_16wrapped_functionINS8_6system6detail7generic6detail18binary_search_lessEbEEEE10hipError_tPvRmT1_T2_T3_mmT4_T5_P12ihipStream_tbEUlRKfE_EESV_SZ_S10_mS11_S14_bEUlT_E_NS1_11comp_targetILNS1_3genE0ELNS1_11target_archE4294967295ELNS1_3gpuE0ELNS1_3repE0EEENS1_30default_config_static_selectorELNS0_4arch9wavefront6targetE0EEEvSY_
    .private_segment_fixed_size: 0
    .sgpr_count:     0
    .sgpr_spill_count: 0
    .symbol:         _ZN7rocprim17ROCPRIM_400000_NS6detail17trampoline_kernelINS0_14default_configENS1_27upper_bound_config_selectorIflEEZNS1_14transform_implILb0ES3_S5_N6thrust23THRUST_200600_302600_NS6detail15normal_iteratorINS8_7pointerIfNS8_11hip_rocprim9par_det_tENS8_11use_defaultESE_EEEENSA_INSB_IlSD_SE_SE_EEEEZNS1_13binary_searchIS3_S5_NSA_INS8_10device_ptrIfEEEESG_SI_NS1_21upper_bound_search_opENS9_16wrapped_functionINS8_6system6detail7generic6detail18binary_search_lessEbEEEE10hipError_tPvRmT1_T2_T3_mmT4_T5_P12ihipStream_tbEUlRKfE_EESV_SZ_S10_mS11_S14_bEUlT_E_NS1_11comp_targetILNS1_3genE0ELNS1_11target_archE4294967295ELNS1_3gpuE0ELNS1_3repE0EEENS1_30default_config_static_selectorELNS0_4arch9wavefront6targetE0EEEvSY_.kd
    .uniform_work_group_size: 1
    .uses_dynamic_stack: false
    .vgpr_count:     0
    .vgpr_spill_count: 0
    .wavefront_size: 32
    .workgroup_processor_mode: 1
  - .args:
      - .offset:         0
        .size:           56
        .value_kind:     by_value
    .group_segment_fixed_size: 0
    .kernarg_segment_align: 8
    .kernarg_segment_size: 56
    .language:       OpenCL C
    .language_version:
      - 2
      - 0
    .max_flat_workgroup_size: 256
    .name:           _ZN7rocprim17ROCPRIM_400000_NS6detail17trampoline_kernelINS0_14default_configENS1_27upper_bound_config_selectorIflEEZNS1_14transform_implILb0ES3_S5_N6thrust23THRUST_200600_302600_NS6detail15normal_iteratorINS8_7pointerIfNS8_11hip_rocprim9par_det_tENS8_11use_defaultESE_EEEENSA_INSB_IlSD_SE_SE_EEEEZNS1_13binary_searchIS3_S5_NSA_INS8_10device_ptrIfEEEESG_SI_NS1_21upper_bound_search_opENS9_16wrapped_functionINS8_6system6detail7generic6detail18binary_search_lessEbEEEE10hipError_tPvRmT1_T2_T3_mmT4_T5_P12ihipStream_tbEUlRKfE_EESV_SZ_S10_mS11_S14_bEUlT_E_NS1_11comp_targetILNS1_3genE5ELNS1_11target_archE942ELNS1_3gpuE9ELNS1_3repE0EEENS1_30default_config_static_selectorELNS0_4arch9wavefront6targetE0EEEvSY_
    .private_segment_fixed_size: 0
    .sgpr_count:     0
    .sgpr_spill_count: 0
    .symbol:         _ZN7rocprim17ROCPRIM_400000_NS6detail17trampoline_kernelINS0_14default_configENS1_27upper_bound_config_selectorIflEEZNS1_14transform_implILb0ES3_S5_N6thrust23THRUST_200600_302600_NS6detail15normal_iteratorINS8_7pointerIfNS8_11hip_rocprim9par_det_tENS8_11use_defaultESE_EEEENSA_INSB_IlSD_SE_SE_EEEEZNS1_13binary_searchIS3_S5_NSA_INS8_10device_ptrIfEEEESG_SI_NS1_21upper_bound_search_opENS9_16wrapped_functionINS8_6system6detail7generic6detail18binary_search_lessEbEEEE10hipError_tPvRmT1_T2_T3_mmT4_T5_P12ihipStream_tbEUlRKfE_EESV_SZ_S10_mS11_S14_bEUlT_E_NS1_11comp_targetILNS1_3genE5ELNS1_11target_archE942ELNS1_3gpuE9ELNS1_3repE0EEENS1_30default_config_static_selectorELNS0_4arch9wavefront6targetE0EEEvSY_.kd
    .uniform_work_group_size: 1
    .uses_dynamic_stack: false
    .vgpr_count:     0
    .vgpr_spill_count: 0
    .wavefront_size: 32
    .workgroup_processor_mode: 1
  - .args:
      - .offset:         0
        .size:           56
        .value_kind:     by_value
    .group_segment_fixed_size: 0
    .kernarg_segment_align: 8
    .kernarg_segment_size: 56
    .language:       OpenCL C
    .language_version:
      - 2
      - 0
    .max_flat_workgroup_size: 256
    .name:           _ZN7rocprim17ROCPRIM_400000_NS6detail17trampoline_kernelINS0_14default_configENS1_27upper_bound_config_selectorIflEEZNS1_14transform_implILb0ES3_S5_N6thrust23THRUST_200600_302600_NS6detail15normal_iteratorINS8_7pointerIfNS8_11hip_rocprim9par_det_tENS8_11use_defaultESE_EEEENSA_INSB_IlSD_SE_SE_EEEEZNS1_13binary_searchIS3_S5_NSA_INS8_10device_ptrIfEEEESG_SI_NS1_21upper_bound_search_opENS9_16wrapped_functionINS8_6system6detail7generic6detail18binary_search_lessEbEEEE10hipError_tPvRmT1_T2_T3_mmT4_T5_P12ihipStream_tbEUlRKfE_EESV_SZ_S10_mS11_S14_bEUlT_E_NS1_11comp_targetILNS1_3genE4ELNS1_11target_archE910ELNS1_3gpuE8ELNS1_3repE0EEENS1_30default_config_static_selectorELNS0_4arch9wavefront6targetE0EEEvSY_
    .private_segment_fixed_size: 0
    .sgpr_count:     0
    .sgpr_spill_count: 0
    .symbol:         _ZN7rocprim17ROCPRIM_400000_NS6detail17trampoline_kernelINS0_14default_configENS1_27upper_bound_config_selectorIflEEZNS1_14transform_implILb0ES3_S5_N6thrust23THRUST_200600_302600_NS6detail15normal_iteratorINS8_7pointerIfNS8_11hip_rocprim9par_det_tENS8_11use_defaultESE_EEEENSA_INSB_IlSD_SE_SE_EEEEZNS1_13binary_searchIS3_S5_NSA_INS8_10device_ptrIfEEEESG_SI_NS1_21upper_bound_search_opENS9_16wrapped_functionINS8_6system6detail7generic6detail18binary_search_lessEbEEEE10hipError_tPvRmT1_T2_T3_mmT4_T5_P12ihipStream_tbEUlRKfE_EESV_SZ_S10_mS11_S14_bEUlT_E_NS1_11comp_targetILNS1_3genE4ELNS1_11target_archE910ELNS1_3gpuE8ELNS1_3repE0EEENS1_30default_config_static_selectorELNS0_4arch9wavefront6targetE0EEEvSY_.kd
    .uniform_work_group_size: 1
    .uses_dynamic_stack: false
    .vgpr_count:     0
    .vgpr_spill_count: 0
    .wavefront_size: 32
    .workgroup_processor_mode: 1
  - .args:
      - .offset:         0
        .size:           56
        .value_kind:     by_value
    .group_segment_fixed_size: 0
    .kernarg_segment_align: 8
    .kernarg_segment_size: 56
    .language:       OpenCL C
    .language_version:
      - 2
      - 0
    .max_flat_workgroup_size: 256
    .name:           _ZN7rocprim17ROCPRIM_400000_NS6detail17trampoline_kernelINS0_14default_configENS1_27upper_bound_config_selectorIflEEZNS1_14transform_implILb0ES3_S5_N6thrust23THRUST_200600_302600_NS6detail15normal_iteratorINS8_7pointerIfNS8_11hip_rocprim9par_det_tENS8_11use_defaultESE_EEEENSA_INSB_IlSD_SE_SE_EEEEZNS1_13binary_searchIS3_S5_NSA_INS8_10device_ptrIfEEEESG_SI_NS1_21upper_bound_search_opENS9_16wrapped_functionINS8_6system6detail7generic6detail18binary_search_lessEbEEEE10hipError_tPvRmT1_T2_T3_mmT4_T5_P12ihipStream_tbEUlRKfE_EESV_SZ_S10_mS11_S14_bEUlT_E_NS1_11comp_targetILNS1_3genE3ELNS1_11target_archE908ELNS1_3gpuE7ELNS1_3repE0EEENS1_30default_config_static_selectorELNS0_4arch9wavefront6targetE0EEEvSY_
    .private_segment_fixed_size: 0
    .sgpr_count:     0
    .sgpr_spill_count: 0
    .symbol:         _ZN7rocprim17ROCPRIM_400000_NS6detail17trampoline_kernelINS0_14default_configENS1_27upper_bound_config_selectorIflEEZNS1_14transform_implILb0ES3_S5_N6thrust23THRUST_200600_302600_NS6detail15normal_iteratorINS8_7pointerIfNS8_11hip_rocprim9par_det_tENS8_11use_defaultESE_EEEENSA_INSB_IlSD_SE_SE_EEEEZNS1_13binary_searchIS3_S5_NSA_INS8_10device_ptrIfEEEESG_SI_NS1_21upper_bound_search_opENS9_16wrapped_functionINS8_6system6detail7generic6detail18binary_search_lessEbEEEE10hipError_tPvRmT1_T2_T3_mmT4_T5_P12ihipStream_tbEUlRKfE_EESV_SZ_S10_mS11_S14_bEUlT_E_NS1_11comp_targetILNS1_3genE3ELNS1_11target_archE908ELNS1_3gpuE7ELNS1_3repE0EEENS1_30default_config_static_selectorELNS0_4arch9wavefront6targetE0EEEvSY_.kd
    .uniform_work_group_size: 1
    .uses_dynamic_stack: false
    .vgpr_count:     0
    .vgpr_spill_count: 0
    .wavefront_size: 32
    .workgroup_processor_mode: 1
  - .args:
      - .offset:         0
        .size:           56
        .value_kind:     by_value
    .group_segment_fixed_size: 0
    .kernarg_segment_align: 8
    .kernarg_segment_size: 56
    .language:       OpenCL C
    .language_version:
      - 2
      - 0
    .max_flat_workgroup_size: 256
    .name:           _ZN7rocprim17ROCPRIM_400000_NS6detail17trampoline_kernelINS0_14default_configENS1_27upper_bound_config_selectorIflEEZNS1_14transform_implILb0ES3_S5_N6thrust23THRUST_200600_302600_NS6detail15normal_iteratorINS8_7pointerIfNS8_11hip_rocprim9par_det_tENS8_11use_defaultESE_EEEENSA_INSB_IlSD_SE_SE_EEEEZNS1_13binary_searchIS3_S5_NSA_INS8_10device_ptrIfEEEESG_SI_NS1_21upper_bound_search_opENS9_16wrapped_functionINS8_6system6detail7generic6detail18binary_search_lessEbEEEE10hipError_tPvRmT1_T2_T3_mmT4_T5_P12ihipStream_tbEUlRKfE_EESV_SZ_S10_mS11_S14_bEUlT_E_NS1_11comp_targetILNS1_3genE2ELNS1_11target_archE906ELNS1_3gpuE6ELNS1_3repE0EEENS1_30default_config_static_selectorELNS0_4arch9wavefront6targetE0EEEvSY_
    .private_segment_fixed_size: 0
    .sgpr_count:     0
    .sgpr_spill_count: 0
    .symbol:         _ZN7rocprim17ROCPRIM_400000_NS6detail17trampoline_kernelINS0_14default_configENS1_27upper_bound_config_selectorIflEEZNS1_14transform_implILb0ES3_S5_N6thrust23THRUST_200600_302600_NS6detail15normal_iteratorINS8_7pointerIfNS8_11hip_rocprim9par_det_tENS8_11use_defaultESE_EEEENSA_INSB_IlSD_SE_SE_EEEEZNS1_13binary_searchIS3_S5_NSA_INS8_10device_ptrIfEEEESG_SI_NS1_21upper_bound_search_opENS9_16wrapped_functionINS8_6system6detail7generic6detail18binary_search_lessEbEEEE10hipError_tPvRmT1_T2_T3_mmT4_T5_P12ihipStream_tbEUlRKfE_EESV_SZ_S10_mS11_S14_bEUlT_E_NS1_11comp_targetILNS1_3genE2ELNS1_11target_archE906ELNS1_3gpuE6ELNS1_3repE0EEENS1_30default_config_static_selectorELNS0_4arch9wavefront6targetE0EEEvSY_.kd
    .uniform_work_group_size: 1
    .uses_dynamic_stack: false
    .vgpr_count:     0
    .vgpr_spill_count: 0
    .wavefront_size: 32
    .workgroup_processor_mode: 1
  - .args:
      - .offset:         0
        .size:           56
        .value_kind:     by_value
    .group_segment_fixed_size: 0
    .kernarg_segment_align: 8
    .kernarg_segment_size: 56
    .language:       OpenCL C
    .language_version:
      - 2
      - 0
    .max_flat_workgroup_size: 128
    .name:           _ZN7rocprim17ROCPRIM_400000_NS6detail17trampoline_kernelINS0_14default_configENS1_27upper_bound_config_selectorIflEEZNS1_14transform_implILb0ES3_S5_N6thrust23THRUST_200600_302600_NS6detail15normal_iteratorINS8_7pointerIfNS8_11hip_rocprim9par_det_tENS8_11use_defaultESE_EEEENSA_INSB_IlSD_SE_SE_EEEEZNS1_13binary_searchIS3_S5_NSA_INS8_10device_ptrIfEEEESG_SI_NS1_21upper_bound_search_opENS9_16wrapped_functionINS8_6system6detail7generic6detail18binary_search_lessEbEEEE10hipError_tPvRmT1_T2_T3_mmT4_T5_P12ihipStream_tbEUlRKfE_EESV_SZ_S10_mS11_S14_bEUlT_E_NS1_11comp_targetILNS1_3genE10ELNS1_11target_archE1201ELNS1_3gpuE5ELNS1_3repE0EEENS1_30default_config_static_selectorELNS0_4arch9wavefront6targetE0EEEvSY_
    .private_segment_fixed_size: 0
    .sgpr_count:     0
    .sgpr_spill_count: 0
    .symbol:         _ZN7rocprim17ROCPRIM_400000_NS6detail17trampoline_kernelINS0_14default_configENS1_27upper_bound_config_selectorIflEEZNS1_14transform_implILb0ES3_S5_N6thrust23THRUST_200600_302600_NS6detail15normal_iteratorINS8_7pointerIfNS8_11hip_rocprim9par_det_tENS8_11use_defaultESE_EEEENSA_INSB_IlSD_SE_SE_EEEEZNS1_13binary_searchIS3_S5_NSA_INS8_10device_ptrIfEEEESG_SI_NS1_21upper_bound_search_opENS9_16wrapped_functionINS8_6system6detail7generic6detail18binary_search_lessEbEEEE10hipError_tPvRmT1_T2_T3_mmT4_T5_P12ihipStream_tbEUlRKfE_EESV_SZ_S10_mS11_S14_bEUlT_E_NS1_11comp_targetILNS1_3genE10ELNS1_11target_archE1201ELNS1_3gpuE5ELNS1_3repE0EEENS1_30default_config_static_selectorELNS0_4arch9wavefront6targetE0EEEvSY_.kd
    .uniform_work_group_size: 1
    .uses_dynamic_stack: false
    .vgpr_count:     0
    .vgpr_spill_count: 0
    .wavefront_size: 32
    .workgroup_processor_mode: 1
  - .args:
      - .offset:         0
        .size:           56
        .value_kind:     by_value
    .group_segment_fixed_size: 0
    .kernarg_segment_align: 8
    .kernarg_segment_size: 56
    .language:       OpenCL C
    .language_version:
      - 2
      - 0
    .max_flat_workgroup_size: 128
    .name:           _ZN7rocprim17ROCPRIM_400000_NS6detail17trampoline_kernelINS0_14default_configENS1_27upper_bound_config_selectorIflEEZNS1_14transform_implILb0ES3_S5_N6thrust23THRUST_200600_302600_NS6detail15normal_iteratorINS8_7pointerIfNS8_11hip_rocprim9par_det_tENS8_11use_defaultESE_EEEENSA_INSB_IlSD_SE_SE_EEEEZNS1_13binary_searchIS3_S5_NSA_INS8_10device_ptrIfEEEESG_SI_NS1_21upper_bound_search_opENS9_16wrapped_functionINS8_6system6detail7generic6detail18binary_search_lessEbEEEE10hipError_tPvRmT1_T2_T3_mmT4_T5_P12ihipStream_tbEUlRKfE_EESV_SZ_S10_mS11_S14_bEUlT_E_NS1_11comp_targetILNS1_3genE10ELNS1_11target_archE1200ELNS1_3gpuE4ELNS1_3repE0EEENS1_30default_config_static_selectorELNS0_4arch9wavefront6targetE0EEEvSY_
    .private_segment_fixed_size: 0
    .sgpr_count:     0
    .sgpr_spill_count: 0
    .symbol:         _ZN7rocprim17ROCPRIM_400000_NS6detail17trampoline_kernelINS0_14default_configENS1_27upper_bound_config_selectorIflEEZNS1_14transform_implILb0ES3_S5_N6thrust23THRUST_200600_302600_NS6detail15normal_iteratorINS8_7pointerIfNS8_11hip_rocprim9par_det_tENS8_11use_defaultESE_EEEENSA_INSB_IlSD_SE_SE_EEEEZNS1_13binary_searchIS3_S5_NSA_INS8_10device_ptrIfEEEESG_SI_NS1_21upper_bound_search_opENS9_16wrapped_functionINS8_6system6detail7generic6detail18binary_search_lessEbEEEE10hipError_tPvRmT1_T2_T3_mmT4_T5_P12ihipStream_tbEUlRKfE_EESV_SZ_S10_mS11_S14_bEUlT_E_NS1_11comp_targetILNS1_3genE10ELNS1_11target_archE1200ELNS1_3gpuE4ELNS1_3repE0EEENS1_30default_config_static_selectorELNS0_4arch9wavefront6targetE0EEEvSY_.kd
    .uniform_work_group_size: 1
    .uses_dynamic_stack: false
    .vgpr_count:     0
    .vgpr_spill_count: 0
    .wavefront_size: 32
    .workgroup_processor_mode: 1
  - .args:
      - .offset:         0
        .size:           56
        .value_kind:     by_value
    .group_segment_fixed_size: 0
    .kernarg_segment_align: 8
    .kernarg_segment_size: 56
    .language:       OpenCL C
    .language_version:
      - 2
      - 0
    .max_flat_workgroup_size: 256
    .name:           _ZN7rocprim17ROCPRIM_400000_NS6detail17trampoline_kernelINS0_14default_configENS1_27upper_bound_config_selectorIflEEZNS1_14transform_implILb0ES3_S5_N6thrust23THRUST_200600_302600_NS6detail15normal_iteratorINS8_7pointerIfNS8_11hip_rocprim9par_det_tENS8_11use_defaultESE_EEEENSA_INSB_IlSD_SE_SE_EEEEZNS1_13binary_searchIS3_S5_NSA_INS8_10device_ptrIfEEEESG_SI_NS1_21upper_bound_search_opENS9_16wrapped_functionINS8_6system6detail7generic6detail18binary_search_lessEbEEEE10hipError_tPvRmT1_T2_T3_mmT4_T5_P12ihipStream_tbEUlRKfE_EESV_SZ_S10_mS11_S14_bEUlT_E_NS1_11comp_targetILNS1_3genE9ELNS1_11target_archE1100ELNS1_3gpuE3ELNS1_3repE0EEENS1_30default_config_static_selectorELNS0_4arch9wavefront6targetE0EEEvSY_
    .private_segment_fixed_size: 0
    .sgpr_count:     0
    .sgpr_spill_count: 0
    .symbol:         _ZN7rocprim17ROCPRIM_400000_NS6detail17trampoline_kernelINS0_14default_configENS1_27upper_bound_config_selectorIflEEZNS1_14transform_implILb0ES3_S5_N6thrust23THRUST_200600_302600_NS6detail15normal_iteratorINS8_7pointerIfNS8_11hip_rocprim9par_det_tENS8_11use_defaultESE_EEEENSA_INSB_IlSD_SE_SE_EEEEZNS1_13binary_searchIS3_S5_NSA_INS8_10device_ptrIfEEEESG_SI_NS1_21upper_bound_search_opENS9_16wrapped_functionINS8_6system6detail7generic6detail18binary_search_lessEbEEEE10hipError_tPvRmT1_T2_T3_mmT4_T5_P12ihipStream_tbEUlRKfE_EESV_SZ_S10_mS11_S14_bEUlT_E_NS1_11comp_targetILNS1_3genE9ELNS1_11target_archE1100ELNS1_3gpuE3ELNS1_3repE0EEENS1_30default_config_static_selectorELNS0_4arch9wavefront6targetE0EEEvSY_.kd
    .uniform_work_group_size: 1
    .uses_dynamic_stack: false
    .vgpr_count:     0
    .vgpr_spill_count: 0
    .wavefront_size: 32
    .workgroup_processor_mode: 1
  - .args:
      - .offset:         0
        .size:           56
        .value_kind:     by_value
      - .offset:         56
        .size:           4
        .value_kind:     hidden_block_count_x
      - .offset:         60
        .size:           4
        .value_kind:     hidden_block_count_y
      - .offset:         64
        .size:           4
        .value_kind:     hidden_block_count_z
      - .offset:         68
        .size:           2
        .value_kind:     hidden_group_size_x
      - .offset:         70
        .size:           2
        .value_kind:     hidden_group_size_y
      - .offset:         72
        .size:           2
        .value_kind:     hidden_group_size_z
      - .offset:         74
        .size:           2
        .value_kind:     hidden_remainder_x
      - .offset:         76
        .size:           2
        .value_kind:     hidden_remainder_y
      - .offset:         78
        .size:           2
        .value_kind:     hidden_remainder_z
      - .offset:         96
        .size:           8
        .value_kind:     hidden_global_offset_x
      - .offset:         104
        .size:           8
        .value_kind:     hidden_global_offset_y
      - .offset:         112
        .size:           8
        .value_kind:     hidden_global_offset_z
      - .offset:         120
        .size:           2
        .value_kind:     hidden_grid_dims
    .group_segment_fixed_size: 0
    .kernarg_segment_align: 8
    .kernarg_segment_size: 312
    .language:       OpenCL C
    .language_version:
      - 2
      - 0
    .max_flat_workgroup_size: 256
    .name:           _ZN7rocprim17ROCPRIM_400000_NS6detail17trampoline_kernelINS0_14default_configENS1_27upper_bound_config_selectorIflEEZNS1_14transform_implILb0ES3_S5_N6thrust23THRUST_200600_302600_NS6detail15normal_iteratorINS8_7pointerIfNS8_11hip_rocprim9par_det_tENS8_11use_defaultESE_EEEENSA_INSB_IlSD_SE_SE_EEEEZNS1_13binary_searchIS3_S5_NSA_INS8_10device_ptrIfEEEESG_SI_NS1_21upper_bound_search_opENS9_16wrapped_functionINS8_6system6detail7generic6detail18binary_search_lessEbEEEE10hipError_tPvRmT1_T2_T3_mmT4_T5_P12ihipStream_tbEUlRKfE_EESV_SZ_S10_mS11_S14_bEUlT_E_NS1_11comp_targetILNS1_3genE8ELNS1_11target_archE1030ELNS1_3gpuE2ELNS1_3repE0EEENS1_30default_config_static_selectorELNS0_4arch9wavefront6targetE0EEEvSY_
    .private_segment_fixed_size: 0
    .sgpr_count:     19
    .sgpr_spill_count: 0
    .symbol:         _ZN7rocprim17ROCPRIM_400000_NS6detail17trampoline_kernelINS0_14default_configENS1_27upper_bound_config_selectorIflEEZNS1_14transform_implILb0ES3_S5_N6thrust23THRUST_200600_302600_NS6detail15normal_iteratorINS8_7pointerIfNS8_11hip_rocprim9par_det_tENS8_11use_defaultESE_EEEENSA_INSB_IlSD_SE_SE_EEEEZNS1_13binary_searchIS3_S5_NSA_INS8_10device_ptrIfEEEESG_SI_NS1_21upper_bound_search_opENS9_16wrapped_functionINS8_6system6detail7generic6detail18binary_search_lessEbEEEE10hipError_tPvRmT1_T2_T3_mmT4_T5_P12ihipStream_tbEUlRKfE_EESV_SZ_S10_mS11_S14_bEUlT_E_NS1_11comp_targetILNS1_3genE8ELNS1_11target_archE1030ELNS1_3gpuE2ELNS1_3repE0EEENS1_30default_config_static_selectorELNS0_4arch9wavefront6targetE0EEEvSY_.kd
    .uniform_work_group_size: 1
    .uses_dynamic_stack: false
    .vgpr_count:     11
    .vgpr_spill_count: 0
    .wavefront_size: 32
    .workgroup_processor_mode: 1
  - .args:
      - .offset:         0
        .size:           56
        .value_kind:     by_value
    .group_segment_fixed_size: 0
    .kernarg_segment_align: 8
    .kernarg_segment_size: 56
    .language:       OpenCL C
    .language_version:
      - 2
      - 0
    .max_flat_workgroup_size: 256
    .name:           _ZN7rocprim17ROCPRIM_400000_NS6detail17trampoline_kernelINS0_14default_configENS1_27upper_bound_config_selectorIflEEZNS1_14transform_implILb0ES3_S5_N6thrust23THRUST_200600_302600_NS6detail15normal_iteratorINS8_7pointerIfNS8_11hip_rocprim5par_tENS8_11use_defaultESE_EEEENSA_INSB_IlSD_SE_SE_EEEEZNS1_13binary_searchIS3_S5_NSA_INS8_10device_ptrIfEEEESG_SI_NS1_21upper_bound_search_opENS9_16wrapped_functionINS8_6system6detail7generic6detail18binary_search_lessEbEEEE10hipError_tPvRmT1_T2_T3_mmT4_T5_P12ihipStream_tbEUlRKfE_EESV_SZ_S10_mS11_S14_bEUlT_E_NS1_11comp_targetILNS1_3genE0ELNS1_11target_archE4294967295ELNS1_3gpuE0ELNS1_3repE0EEENS1_30default_config_static_selectorELNS0_4arch9wavefront6targetE0EEEvSY_
    .private_segment_fixed_size: 0
    .sgpr_count:     0
    .sgpr_spill_count: 0
    .symbol:         _ZN7rocprim17ROCPRIM_400000_NS6detail17trampoline_kernelINS0_14default_configENS1_27upper_bound_config_selectorIflEEZNS1_14transform_implILb0ES3_S5_N6thrust23THRUST_200600_302600_NS6detail15normal_iteratorINS8_7pointerIfNS8_11hip_rocprim5par_tENS8_11use_defaultESE_EEEENSA_INSB_IlSD_SE_SE_EEEEZNS1_13binary_searchIS3_S5_NSA_INS8_10device_ptrIfEEEESG_SI_NS1_21upper_bound_search_opENS9_16wrapped_functionINS8_6system6detail7generic6detail18binary_search_lessEbEEEE10hipError_tPvRmT1_T2_T3_mmT4_T5_P12ihipStream_tbEUlRKfE_EESV_SZ_S10_mS11_S14_bEUlT_E_NS1_11comp_targetILNS1_3genE0ELNS1_11target_archE4294967295ELNS1_3gpuE0ELNS1_3repE0EEENS1_30default_config_static_selectorELNS0_4arch9wavefront6targetE0EEEvSY_.kd
    .uniform_work_group_size: 1
    .uses_dynamic_stack: false
    .vgpr_count:     0
    .vgpr_spill_count: 0
    .wavefront_size: 32
    .workgroup_processor_mode: 1
  - .args:
      - .offset:         0
        .size:           56
        .value_kind:     by_value
    .group_segment_fixed_size: 0
    .kernarg_segment_align: 8
    .kernarg_segment_size: 56
    .language:       OpenCL C
    .language_version:
      - 2
      - 0
    .max_flat_workgroup_size: 256
    .name:           _ZN7rocprim17ROCPRIM_400000_NS6detail17trampoline_kernelINS0_14default_configENS1_27upper_bound_config_selectorIflEEZNS1_14transform_implILb0ES3_S5_N6thrust23THRUST_200600_302600_NS6detail15normal_iteratorINS8_7pointerIfNS8_11hip_rocprim5par_tENS8_11use_defaultESE_EEEENSA_INSB_IlSD_SE_SE_EEEEZNS1_13binary_searchIS3_S5_NSA_INS8_10device_ptrIfEEEESG_SI_NS1_21upper_bound_search_opENS9_16wrapped_functionINS8_6system6detail7generic6detail18binary_search_lessEbEEEE10hipError_tPvRmT1_T2_T3_mmT4_T5_P12ihipStream_tbEUlRKfE_EESV_SZ_S10_mS11_S14_bEUlT_E_NS1_11comp_targetILNS1_3genE5ELNS1_11target_archE942ELNS1_3gpuE9ELNS1_3repE0EEENS1_30default_config_static_selectorELNS0_4arch9wavefront6targetE0EEEvSY_
    .private_segment_fixed_size: 0
    .sgpr_count:     0
    .sgpr_spill_count: 0
    .symbol:         _ZN7rocprim17ROCPRIM_400000_NS6detail17trampoline_kernelINS0_14default_configENS1_27upper_bound_config_selectorIflEEZNS1_14transform_implILb0ES3_S5_N6thrust23THRUST_200600_302600_NS6detail15normal_iteratorINS8_7pointerIfNS8_11hip_rocprim5par_tENS8_11use_defaultESE_EEEENSA_INSB_IlSD_SE_SE_EEEEZNS1_13binary_searchIS3_S5_NSA_INS8_10device_ptrIfEEEESG_SI_NS1_21upper_bound_search_opENS9_16wrapped_functionINS8_6system6detail7generic6detail18binary_search_lessEbEEEE10hipError_tPvRmT1_T2_T3_mmT4_T5_P12ihipStream_tbEUlRKfE_EESV_SZ_S10_mS11_S14_bEUlT_E_NS1_11comp_targetILNS1_3genE5ELNS1_11target_archE942ELNS1_3gpuE9ELNS1_3repE0EEENS1_30default_config_static_selectorELNS0_4arch9wavefront6targetE0EEEvSY_.kd
    .uniform_work_group_size: 1
    .uses_dynamic_stack: false
    .vgpr_count:     0
    .vgpr_spill_count: 0
    .wavefront_size: 32
    .workgroup_processor_mode: 1
  - .args:
      - .offset:         0
        .size:           56
        .value_kind:     by_value
    .group_segment_fixed_size: 0
    .kernarg_segment_align: 8
    .kernarg_segment_size: 56
    .language:       OpenCL C
    .language_version:
      - 2
      - 0
    .max_flat_workgroup_size: 256
    .name:           _ZN7rocprim17ROCPRIM_400000_NS6detail17trampoline_kernelINS0_14default_configENS1_27upper_bound_config_selectorIflEEZNS1_14transform_implILb0ES3_S5_N6thrust23THRUST_200600_302600_NS6detail15normal_iteratorINS8_7pointerIfNS8_11hip_rocprim5par_tENS8_11use_defaultESE_EEEENSA_INSB_IlSD_SE_SE_EEEEZNS1_13binary_searchIS3_S5_NSA_INS8_10device_ptrIfEEEESG_SI_NS1_21upper_bound_search_opENS9_16wrapped_functionINS8_6system6detail7generic6detail18binary_search_lessEbEEEE10hipError_tPvRmT1_T2_T3_mmT4_T5_P12ihipStream_tbEUlRKfE_EESV_SZ_S10_mS11_S14_bEUlT_E_NS1_11comp_targetILNS1_3genE4ELNS1_11target_archE910ELNS1_3gpuE8ELNS1_3repE0EEENS1_30default_config_static_selectorELNS0_4arch9wavefront6targetE0EEEvSY_
    .private_segment_fixed_size: 0
    .sgpr_count:     0
    .sgpr_spill_count: 0
    .symbol:         _ZN7rocprim17ROCPRIM_400000_NS6detail17trampoline_kernelINS0_14default_configENS1_27upper_bound_config_selectorIflEEZNS1_14transform_implILb0ES3_S5_N6thrust23THRUST_200600_302600_NS6detail15normal_iteratorINS8_7pointerIfNS8_11hip_rocprim5par_tENS8_11use_defaultESE_EEEENSA_INSB_IlSD_SE_SE_EEEEZNS1_13binary_searchIS3_S5_NSA_INS8_10device_ptrIfEEEESG_SI_NS1_21upper_bound_search_opENS9_16wrapped_functionINS8_6system6detail7generic6detail18binary_search_lessEbEEEE10hipError_tPvRmT1_T2_T3_mmT4_T5_P12ihipStream_tbEUlRKfE_EESV_SZ_S10_mS11_S14_bEUlT_E_NS1_11comp_targetILNS1_3genE4ELNS1_11target_archE910ELNS1_3gpuE8ELNS1_3repE0EEENS1_30default_config_static_selectorELNS0_4arch9wavefront6targetE0EEEvSY_.kd
    .uniform_work_group_size: 1
    .uses_dynamic_stack: false
    .vgpr_count:     0
    .vgpr_spill_count: 0
    .wavefront_size: 32
    .workgroup_processor_mode: 1
  - .args:
      - .offset:         0
        .size:           56
        .value_kind:     by_value
    .group_segment_fixed_size: 0
    .kernarg_segment_align: 8
    .kernarg_segment_size: 56
    .language:       OpenCL C
    .language_version:
      - 2
      - 0
    .max_flat_workgroup_size: 256
    .name:           _ZN7rocprim17ROCPRIM_400000_NS6detail17trampoline_kernelINS0_14default_configENS1_27upper_bound_config_selectorIflEEZNS1_14transform_implILb0ES3_S5_N6thrust23THRUST_200600_302600_NS6detail15normal_iteratorINS8_7pointerIfNS8_11hip_rocprim5par_tENS8_11use_defaultESE_EEEENSA_INSB_IlSD_SE_SE_EEEEZNS1_13binary_searchIS3_S5_NSA_INS8_10device_ptrIfEEEESG_SI_NS1_21upper_bound_search_opENS9_16wrapped_functionINS8_6system6detail7generic6detail18binary_search_lessEbEEEE10hipError_tPvRmT1_T2_T3_mmT4_T5_P12ihipStream_tbEUlRKfE_EESV_SZ_S10_mS11_S14_bEUlT_E_NS1_11comp_targetILNS1_3genE3ELNS1_11target_archE908ELNS1_3gpuE7ELNS1_3repE0EEENS1_30default_config_static_selectorELNS0_4arch9wavefront6targetE0EEEvSY_
    .private_segment_fixed_size: 0
    .sgpr_count:     0
    .sgpr_spill_count: 0
    .symbol:         _ZN7rocprim17ROCPRIM_400000_NS6detail17trampoline_kernelINS0_14default_configENS1_27upper_bound_config_selectorIflEEZNS1_14transform_implILb0ES3_S5_N6thrust23THRUST_200600_302600_NS6detail15normal_iteratorINS8_7pointerIfNS8_11hip_rocprim5par_tENS8_11use_defaultESE_EEEENSA_INSB_IlSD_SE_SE_EEEEZNS1_13binary_searchIS3_S5_NSA_INS8_10device_ptrIfEEEESG_SI_NS1_21upper_bound_search_opENS9_16wrapped_functionINS8_6system6detail7generic6detail18binary_search_lessEbEEEE10hipError_tPvRmT1_T2_T3_mmT4_T5_P12ihipStream_tbEUlRKfE_EESV_SZ_S10_mS11_S14_bEUlT_E_NS1_11comp_targetILNS1_3genE3ELNS1_11target_archE908ELNS1_3gpuE7ELNS1_3repE0EEENS1_30default_config_static_selectorELNS0_4arch9wavefront6targetE0EEEvSY_.kd
    .uniform_work_group_size: 1
    .uses_dynamic_stack: false
    .vgpr_count:     0
    .vgpr_spill_count: 0
    .wavefront_size: 32
    .workgroup_processor_mode: 1
  - .args:
      - .offset:         0
        .size:           56
        .value_kind:     by_value
    .group_segment_fixed_size: 0
    .kernarg_segment_align: 8
    .kernarg_segment_size: 56
    .language:       OpenCL C
    .language_version:
      - 2
      - 0
    .max_flat_workgroup_size: 256
    .name:           _ZN7rocprim17ROCPRIM_400000_NS6detail17trampoline_kernelINS0_14default_configENS1_27upper_bound_config_selectorIflEEZNS1_14transform_implILb0ES3_S5_N6thrust23THRUST_200600_302600_NS6detail15normal_iteratorINS8_7pointerIfNS8_11hip_rocprim5par_tENS8_11use_defaultESE_EEEENSA_INSB_IlSD_SE_SE_EEEEZNS1_13binary_searchIS3_S5_NSA_INS8_10device_ptrIfEEEESG_SI_NS1_21upper_bound_search_opENS9_16wrapped_functionINS8_6system6detail7generic6detail18binary_search_lessEbEEEE10hipError_tPvRmT1_T2_T3_mmT4_T5_P12ihipStream_tbEUlRKfE_EESV_SZ_S10_mS11_S14_bEUlT_E_NS1_11comp_targetILNS1_3genE2ELNS1_11target_archE906ELNS1_3gpuE6ELNS1_3repE0EEENS1_30default_config_static_selectorELNS0_4arch9wavefront6targetE0EEEvSY_
    .private_segment_fixed_size: 0
    .sgpr_count:     0
    .sgpr_spill_count: 0
    .symbol:         _ZN7rocprim17ROCPRIM_400000_NS6detail17trampoline_kernelINS0_14default_configENS1_27upper_bound_config_selectorIflEEZNS1_14transform_implILb0ES3_S5_N6thrust23THRUST_200600_302600_NS6detail15normal_iteratorINS8_7pointerIfNS8_11hip_rocprim5par_tENS8_11use_defaultESE_EEEENSA_INSB_IlSD_SE_SE_EEEEZNS1_13binary_searchIS3_S5_NSA_INS8_10device_ptrIfEEEESG_SI_NS1_21upper_bound_search_opENS9_16wrapped_functionINS8_6system6detail7generic6detail18binary_search_lessEbEEEE10hipError_tPvRmT1_T2_T3_mmT4_T5_P12ihipStream_tbEUlRKfE_EESV_SZ_S10_mS11_S14_bEUlT_E_NS1_11comp_targetILNS1_3genE2ELNS1_11target_archE906ELNS1_3gpuE6ELNS1_3repE0EEENS1_30default_config_static_selectorELNS0_4arch9wavefront6targetE0EEEvSY_.kd
    .uniform_work_group_size: 1
    .uses_dynamic_stack: false
    .vgpr_count:     0
    .vgpr_spill_count: 0
    .wavefront_size: 32
    .workgroup_processor_mode: 1
  - .args:
      - .offset:         0
        .size:           56
        .value_kind:     by_value
    .group_segment_fixed_size: 0
    .kernarg_segment_align: 8
    .kernarg_segment_size: 56
    .language:       OpenCL C
    .language_version:
      - 2
      - 0
    .max_flat_workgroup_size: 128
    .name:           _ZN7rocprim17ROCPRIM_400000_NS6detail17trampoline_kernelINS0_14default_configENS1_27upper_bound_config_selectorIflEEZNS1_14transform_implILb0ES3_S5_N6thrust23THRUST_200600_302600_NS6detail15normal_iteratorINS8_7pointerIfNS8_11hip_rocprim5par_tENS8_11use_defaultESE_EEEENSA_INSB_IlSD_SE_SE_EEEEZNS1_13binary_searchIS3_S5_NSA_INS8_10device_ptrIfEEEESG_SI_NS1_21upper_bound_search_opENS9_16wrapped_functionINS8_6system6detail7generic6detail18binary_search_lessEbEEEE10hipError_tPvRmT1_T2_T3_mmT4_T5_P12ihipStream_tbEUlRKfE_EESV_SZ_S10_mS11_S14_bEUlT_E_NS1_11comp_targetILNS1_3genE10ELNS1_11target_archE1201ELNS1_3gpuE5ELNS1_3repE0EEENS1_30default_config_static_selectorELNS0_4arch9wavefront6targetE0EEEvSY_
    .private_segment_fixed_size: 0
    .sgpr_count:     0
    .sgpr_spill_count: 0
    .symbol:         _ZN7rocprim17ROCPRIM_400000_NS6detail17trampoline_kernelINS0_14default_configENS1_27upper_bound_config_selectorIflEEZNS1_14transform_implILb0ES3_S5_N6thrust23THRUST_200600_302600_NS6detail15normal_iteratorINS8_7pointerIfNS8_11hip_rocprim5par_tENS8_11use_defaultESE_EEEENSA_INSB_IlSD_SE_SE_EEEEZNS1_13binary_searchIS3_S5_NSA_INS8_10device_ptrIfEEEESG_SI_NS1_21upper_bound_search_opENS9_16wrapped_functionINS8_6system6detail7generic6detail18binary_search_lessEbEEEE10hipError_tPvRmT1_T2_T3_mmT4_T5_P12ihipStream_tbEUlRKfE_EESV_SZ_S10_mS11_S14_bEUlT_E_NS1_11comp_targetILNS1_3genE10ELNS1_11target_archE1201ELNS1_3gpuE5ELNS1_3repE0EEENS1_30default_config_static_selectorELNS0_4arch9wavefront6targetE0EEEvSY_.kd
    .uniform_work_group_size: 1
    .uses_dynamic_stack: false
    .vgpr_count:     0
    .vgpr_spill_count: 0
    .wavefront_size: 32
    .workgroup_processor_mode: 1
  - .args:
      - .offset:         0
        .size:           56
        .value_kind:     by_value
    .group_segment_fixed_size: 0
    .kernarg_segment_align: 8
    .kernarg_segment_size: 56
    .language:       OpenCL C
    .language_version:
      - 2
      - 0
    .max_flat_workgroup_size: 128
    .name:           _ZN7rocprim17ROCPRIM_400000_NS6detail17trampoline_kernelINS0_14default_configENS1_27upper_bound_config_selectorIflEEZNS1_14transform_implILb0ES3_S5_N6thrust23THRUST_200600_302600_NS6detail15normal_iteratorINS8_7pointerIfNS8_11hip_rocprim5par_tENS8_11use_defaultESE_EEEENSA_INSB_IlSD_SE_SE_EEEEZNS1_13binary_searchIS3_S5_NSA_INS8_10device_ptrIfEEEESG_SI_NS1_21upper_bound_search_opENS9_16wrapped_functionINS8_6system6detail7generic6detail18binary_search_lessEbEEEE10hipError_tPvRmT1_T2_T3_mmT4_T5_P12ihipStream_tbEUlRKfE_EESV_SZ_S10_mS11_S14_bEUlT_E_NS1_11comp_targetILNS1_3genE10ELNS1_11target_archE1200ELNS1_3gpuE4ELNS1_3repE0EEENS1_30default_config_static_selectorELNS0_4arch9wavefront6targetE0EEEvSY_
    .private_segment_fixed_size: 0
    .sgpr_count:     0
    .sgpr_spill_count: 0
    .symbol:         _ZN7rocprim17ROCPRIM_400000_NS6detail17trampoline_kernelINS0_14default_configENS1_27upper_bound_config_selectorIflEEZNS1_14transform_implILb0ES3_S5_N6thrust23THRUST_200600_302600_NS6detail15normal_iteratorINS8_7pointerIfNS8_11hip_rocprim5par_tENS8_11use_defaultESE_EEEENSA_INSB_IlSD_SE_SE_EEEEZNS1_13binary_searchIS3_S5_NSA_INS8_10device_ptrIfEEEESG_SI_NS1_21upper_bound_search_opENS9_16wrapped_functionINS8_6system6detail7generic6detail18binary_search_lessEbEEEE10hipError_tPvRmT1_T2_T3_mmT4_T5_P12ihipStream_tbEUlRKfE_EESV_SZ_S10_mS11_S14_bEUlT_E_NS1_11comp_targetILNS1_3genE10ELNS1_11target_archE1200ELNS1_3gpuE4ELNS1_3repE0EEENS1_30default_config_static_selectorELNS0_4arch9wavefront6targetE0EEEvSY_.kd
    .uniform_work_group_size: 1
    .uses_dynamic_stack: false
    .vgpr_count:     0
    .vgpr_spill_count: 0
    .wavefront_size: 32
    .workgroup_processor_mode: 1
  - .args:
      - .offset:         0
        .size:           56
        .value_kind:     by_value
    .group_segment_fixed_size: 0
    .kernarg_segment_align: 8
    .kernarg_segment_size: 56
    .language:       OpenCL C
    .language_version:
      - 2
      - 0
    .max_flat_workgroup_size: 256
    .name:           _ZN7rocprim17ROCPRIM_400000_NS6detail17trampoline_kernelINS0_14default_configENS1_27upper_bound_config_selectorIflEEZNS1_14transform_implILb0ES3_S5_N6thrust23THRUST_200600_302600_NS6detail15normal_iteratorINS8_7pointerIfNS8_11hip_rocprim5par_tENS8_11use_defaultESE_EEEENSA_INSB_IlSD_SE_SE_EEEEZNS1_13binary_searchIS3_S5_NSA_INS8_10device_ptrIfEEEESG_SI_NS1_21upper_bound_search_opENS9_16wrapped_functionINS8_6system6detail7generic6detail18binary_search_lessEbEEEE10hipError_tPvRmT1_T2_T3_mmT4_T5_P12ihipStream_tbEUlRKfE_EESV_SZ_S10_mS11_S14_bEUlT_E_NS1_11comp_targetILNS1_3genE9ELNS1_11target_archE1100ELNS1_3gpuE3ELNS1_3repE0EEENS1_30default_config_static_selectorELNS0_4arch9wavefront6targetE0EEEvSY_
    .private_segment_fixed_size: 0
    .sgpr_count:     0
    .sgpr_spill_count: 0
    .symbol:         _ZN7rocprim17ROCPRIM_400000_NS6detail17trampoline_kernelINS0_14default_configENS1_27upper_bound_config_selectorIflEEZNS1_14transform_implILb0ES3_S5_N6thrust23THRUST_200600_302600_NS6detail15normal_iteratorINS8_7pointerIfNS8_11hip_rocprim5par_tENS8_11use_defaultESE_EEEENSA_INSB_IlSD_SE_SE_EEEEZNS1_13binary_searchIS3_S5_NSA_INS8_10device_ptrIfEEEESG_SI_NS1_21upper_bound_search_opENS9_16wrapped_functionINS8_6system6detail7generic6detail18binary_search_lessEbEEEE10hipError_tPvRmT1_T2_T3_mmT4_T5_P12ihipStream_tbEUlRKfE_EESV_SZ_S10_mS11_S14_bEUlT_E_NS1_11comp_targetILNS1_3genE9ELNS1_11target_archE1100ELNS1_3gpuE3ELNS1_3repE0EEENS1_30default_config_static_selectorELNS0_4arch9wavefront6targetE0EEEvSY_.kd
    .uniform_work_group_size: 1
    .uses_dynamic_stack: false
    .vgpr_count:     0
    .vgpr_spill_count: 0
    .wavefront_size: 32
    .workgroup_processor_mode: 1
  - .args:
      - .offset:         0
        .size:           56
        .value_kind:     by_value
      - .offset:         56
        .size:           4
        .value_kind:     hidden_block_count_x
      - .offset:         60
        .size:           4
        .value_kind:     hidden_block_count_y
      - .offset:         64
        .size:           4
        .value_kind:     hidden_block_count_z
      - .offset:         68
        .size:           2
        .value_kind:     hidden_group_size_x
      - .offset:         70
        .size:           2
        .value_kind:     hidden_group_size_y
      - .offset:         72
        .size:           2
        .value_kind:     hidden_group_size_z
      - .offset:         74
        .size:           2
        .value_kind:     hidden_remainder_x
      - .offset:         76
        .size:           2
        .value_kind:     hidden_remainder_y
      - .offset:         78
        .size:           2
        .value_kind:     hidden_remainder_z
      - .offset:         96
        .size:           8
        .value_kind:     hidden_global_offset_x
      - .offset:         104
        .size:           8
        .value_kind:     hidden_global_offset_y
      - .offset:         112
        .size:           8
        .value_kind:     hidden_global_offset_z
      - .offset:         120
        .size:           2
        .value_kind:     hidden_grid_dims
    .group_segment_fixed_size: 0
    .kernarg_segment_align: 8
    .kernarg_segment_size: 312
    .language:       OpenCL C
    .language_version:
      - 2
      - 0
    .max_flat_workgroup_size: 256
    .name:           _ZN7rocprim17ROCPRIM_400000_NS6detail17trampoline_kernelINS0_14default_configENS1_27upper_bound_config_selectorIflEEZNS1_14transform_implILb0ES3_S5_N6thrust23THRUST_200600_302600_NS6detail15normal_iteratorINS8_7pointerIfNS8_11hip_rocprim5par_tENS8_11use_defaultESE_EEEENSA_INSB_IlSD_SE_SE_EEEEZNS1_13binary_searchIS3_S5_NSA_INS8_10device_ptrIfEEEESG_SI_NS1_21upper_bound_search_opENS9_16wrapped_functionINS8_6system6detail7generic6detail18binary_search_lessEbEEEE10hipError_tPvRmT1_T2_T3_mmT4_T5_P12ihipStream_tbEUlRKfE_EESV_SZ_S10_mS11_S14_bEUlT_E_NS1_11comp_targetILNS1_3genE8ELNS1_11target_archE1030ELNS1_3gpuE2ELNS1_3repE0EEENS1_30default_config_static_selectorELNS0_4arch9wavefront6targetE0EEEvSY_
    .private_segment_fixed_size: 0
    .sgpr_count:     19
    .sgpr_spill_count: 0
    .symbol:         _ZN7rocprim17ROCPRIM_400000_NS6detail17trampoline_kernelINS0_14default_configENS1_27upper_bound_config_selectorIflEEZNS1_14transform_implILb0ES3_S5_N6thrust23THRUST_200600_302600_NS6detail15normal_iteratorINS8_7pointerIfNS8_11hip_rocprim5par_tENS8_11use_defaultESE_EEEENSA_INSB_IlSD_SE_SE_EEEEZNS1_13binary_searchIS3_S5_NSA_INS8_10device_ptrIfEEEESG_SI_NS1_21upper_bound_search_opENS9_16wrapped_functionINS8_6system6detail7generic6detail18binary_search_lessEbEEEE10hipError_tPvRmT1_T2_T3_mmT4_T5_P12ihipStream_tbEUlRKfE_EESV_SZ_S10_mS11_S14_bEUlT_E_NS1_11comp_targetILNS1_3genE8ELNS1_11target_archE1030ELNS1_3gpuE2ELNS1_3repE0EEENS1_30default_config_static_selectorELNS0_4arch9wavefront6targetE0EEEvSY_.kd
    .uniform_work_group_size: 1
    .uses_dynamic_stack: false
    .vgpr_count:     11
    .vgpr_spill_count: 0
    .wavefront_size: 32
    .workgroup_processor_mode: 1
  - .args:
      - .offset:         0
        .size:           56
        .value_kind:     by_value
    .group_segment_fixed_size: 0
    .kernarg_segment_align: 8
    .kernarg_segment_size: 56
    .language:       OpenCL C
    .language_version:
      - 2
      - 0
    .max_flat_workgroup_size: 128
    .name:           _ZN7rocprim17ROCPRIM_400000_NS6detail17trampoline_kernelINS0_14default_configENS1_27upper_bound_config_selectorIylEEZNS1_14transform_implILb0ES3_S5_N6thrust23THRUST_200600_302600_NS6detail15normal_iteratorINS8_7pointerIyNS8_11hip_rocprim5par_tENS8_11use_defaultESE_EEEENSA_INSB_IlSD_SE_SE_EEEEZNS1_13binary_searchIS3_S5_NSA_INS8_10device_ptrIyEEEESG_SI_NS1_21upper_bound_search_opENS9_16wrapped_functionINS8_6system6detail7generic6detail18binary_search_lessEbEEEE10hipError_tPvRmT1_T2_T3_mmT4_T5_P12ihipStream_tbEUlRKyE_EESV_SZ_S10_mS11_S14_bEUlT_E_NS1_11comp_targetILNS1_3genE0ELNS1_11target_archE4294967295ELNS1_3gpuE0ELNS1_3repE0EEENS1_30default_config_static_selectorELNS0_4arch9wavefront6targetE0EEEvSY_
    .private_segment_fixed_size: 0
    .sgpr_count:     0
    .sgpr_spill_count: 0
    .symbol:         _ZN7rocprim17ROCPRIM_400000_NS6detail17trampoline_kernelINS0_14default_configENS1_27upper_bound_config_selectorIylEEZNS1_14transform_implILb0ES3_S5_N6thrust23THRUST_200600_302600_NS6detail15normal_iteratorINS8_7pointerIyNS8_11hip_rocprim5par_tENS8_11use_defaultESE_EEEENSA_INSB_IlSD_SE_SE_EEEEZNS1_13binary_searchIS3_S5_NSA_INS8_10device_ptrIyEEEESG_SI_NS1_21upper_bound_search_opENS9_16wrapped_functionINS8_6system6detail7generic6detail18binary_search_lessEbEEEE10hipError_tPvRmT1_T2_T3_mmT4_T5_P12ihipStream_tbEUlRKyE_EESV_SZ_S10_mS11_S14_bEUlT_E_NS1_11comp_targetILNS1_3genE0ELNS1_11target_archE4294967295ELNS1_3gpuE0ELNS1_3repE0EEENS1_30default_config_static_selectorELNS0_4arch9wavefront6targetE0EEEvSY_.kd
    .uniform_work_group_size: 1
    .uses_dynamic_stack: false
    .vgpr_count:     0
    .vgpr_spill_count: 0
    .wavefront_size: 32
    .workgroup_processor_mode: 1
  - .args:
      - .offset:         0
        .size:           56
        .value_kind:     by_value
    .group_segment_fixed_size: 0
    .kernarg_segment_align: 8
    .kernarg_segment_size: 56
    .language:       OpenCL C
    .language_version:
      - 2
      - 0
    .max_flat_workgroup_size: 64
    .name:           _ZN7rocprim17ROCPRIM_400000_NS6detail17trampoline_kernelINS0_14default_configENS1_27upper_bound_config_selectorIylEEZNS1_14transform_implILb0ES3_S5_N6thrust23THRUST_200600_302600_NS6detail15normal_iteratorINS8_7pointerIyNS8_11hip_rocprim5par_tENS8_11use_defaultESE_EEEENSA_INSB_IlSD_SE_SE_EEEEZNS1_13binary_searchIS3_S5_NSA_INS8_10device_ptrIyEEEESG_SI_NS1_21upper_bound_search_opENS9_16wrapped_functionINS8_6system6detail7generic6detail18binary_search_lessEbEEEE10hipError_tPvRmT1_T2_T3_mmT4_T5_P12ihipStream_tbEUlRKyE_EESV_SZ_S10_mS11_S14_bEUlT_E_NS1_11comp_targetILNS1_3genE5ELNS1_11target_archE942ELNS1_3gpuE9ELNS1_3repE0EEENS1_30default_config_static_selectorELNS0_4arch9wavefront6targetE0EEEvSY_
    .private_segment_fixed_size: 0
    .sgpr_count:     0
    .sgpr_spill_count: 0
    .symbol:         _ZN7rocprim17ROCPRIM_400000_NS6detail17trampoline_kernelINS0_14default_configENS1_27upper_bound_config_selectorIylEEZNS1_14transform_implILb0ES3_S5_N6thrust23THRUST_200600_302600_NS6detail15normal_iteratorINS8_7pointerIyNS8_11hip_rocprim5par_tENS8_11use_defaultESE_EEEENSA_INSB_IlSD_SE_SE_EEEEZNS1_13binary_searchIS3_S5_NSA_INS8_10device_ptrIyEEEESG_SI_NS1_21upper_bound_search_opENS9_16wrapped_functionINS8_6system6detail7generic6detail18binary_search_lessEbEEEE10hipError_tPvRmT1_T2_T3_mmT4_T5_P12ihipStream_tbEUlRKyE_EESV_SZ_S10_mS11_S14_bEUlT_E_NS1_11comp_targetILNS1_3genE5ELNS1_11target_archE942ELNS1_3gpuE9ELNS1_3repE0EEENS1_30default_config_static_selectorELNS0_4arch9wavefront6targetE0EEEvSY_.kd
    .uniform_work_group_size: 1
    .uses_dynamic_stack: false
    .vgpr_count:     0
    .vgpr_spill_count: 0
    .wavefront_size: 32
    .workgroup_processor_mode: 1
  - .args:
      - .offset:         0
        .size:           56
        .value_kind:     by_value
    .group_segment_fixed_size: 0
    .kernarg_segment_align: 8
    .kernarg_segment_size: 56
    .language:       OpenCL C
    .language_version:
      - 2
      - 0
    .max_flat_workgroup_size: 64
    .name:           _ZN7rocprim17ROCPRIM_400000_NS6detail17trampoline_kernelINS0_14default_configENS1_27upper_bound_config_selectorIylEEZNS1_14transform_implILb0ES3_S5_N6thrust23THRUST_200600_302600_NS6detail15normal_iteratorINS8_7pointerIyNS8_11hip_rocprim5par_tENS8_11use_defaultESE_EEEENSA_INSB_IlSD_SE_SE_EEEEZNS1_13binary_searchIS3_S5_NSA_INS8_10device_ptrIyEEEESG_SI_NS1_21upper_bound_search_opENS9_16wrapped_functionINS8_6system6detail7generic6detail18binary_search_lessEbEEEE10hipError_tPvRmT1_T2_T3_mmT4_T5_P12ihipStream_tbEUlRKyE_EESV_SZ_S10_mS11_S14_bEUlT_E_NS1_11comp_targetILNS1_3genE4ELNS1_11target_archE910ELNS1_3gpuE8ELNS1_3repE0EEENS1_30default_config_static_selectorELNS0_4arch9wavefront6targetE0EEEvSY_
    .private_segment_fixed_size: 0
    .sgpr_count:     0
    .sgpr_spill_count: 0
    .symbol:         _ZN7rocprim17ROCPRIM_400000_NS6detail17trampoline_kernelINS0_14default_configENS1_27upper_bound_config_selectorIylEEZNS1_14transform_implILb0ES3_S5_N6thrust23THRUST_200600_302600_NS6detail15normal_iteratorINS8_7pointerIyNS8_11hip_rocprim5par_tENS8_11use_defaultESE_EEEENSA_INSB_IlSD_SE_SE_EEEEZNS1_13binary_searchIS3_S5_NSA_INS8_10device_ptrIyEEEESG_SI_NS1_21upper_bound_search_opENS9_16wrapped_functionINS8_6system6detail7generic6detail18binary_search_lessEbEEEE10hipError_tPvRmT1_T2_T3_mmT4_T5_P12ihipStream_tbEUlRKyE_EESV_SZ_S10_mS11_S14_bEUlT_E_NS1_11comp_targetILNS1_3genE4ELNS1_11target_archE910ELNS1_3gpuE8ELNS1_3repE0EEENS1_30default_config_static_selectorELNS0_4arch9wavefront6targetE0EEEvSY_.kd
    .uniform_work_group_size: 1
    .uses_dynamic_stack: false
    .vgpr_count:     0
    .vgpr_spill_count: 0
    .wavefront_size: 32
    .workgroup_processor_mode: 1
  - .args:
      - .offset:         0
        .size:           56
        .value_kind:     by_value
    .group_segment_fixed_size: 0
    .kernarg_segment_align: 8
    .kernarg_segment_size: 56
    .language:       OpenCL C
    .language_version:
      - 2
      - 0
    .max_flat_workgroup_size: 128
    .name:           _ZN7rocprim17ROCPRIM_400000_NS6detail17trampoline_kernelINS0_14default_configENS1_27upper_bound_config_selectorIylEEZNS1_14transform_implILb0ES3_S5_N6thrust23THRUST_200600_302600_NS6detail15normal_iteratorINS8_7pointerIyNS8_11hip_rocprim5par_tENS8_11use_defaultESE_EEEENSA_INSB_IlSD_SE_SE_EEEEZNS1_13binary_searchIS3_S5_NSA_INS8_10device_ptrIyEEEESG_SI_NS1_21upper_bound_search_opENS9_16wrapped_functionINS8_6system6detail7generic6detail18binary_search_lessEbEEEE10hipError_tPvRmT1_T2_T3_mmT4_T5_P12ihipStream_tbEUlRKyE_EESV_SZ_S10_mS11_S14_bEUlT_E_NS1_11comp_targetILNS1_3genE3ELNS1_11target_archE908ELNS1_3gpuE7ELNS1_3repE0EEENS1_30default_config_static_selectorELNS0_4arch9wavefront6targetE0EEEvSY_
    .private_segment_fixed_size: 0
    .sgpr_count:     0
    .sgpr_spill_count: 0
    .symbol:         _ZN7rocprim17ROCPRIM_400000_NS6detail17trampoline_kernelINS0_14default_configENS1_27upper_bound_config_selectorIylEEZNS1_14transform_implILb0ES3_S5_N6thrust23THRUST_200600_302600_NS6detail15normal_iteratorINS8_7pointerIyNS8_11hip_rocprim5par_tENS8_11use_defaultESE_EEEENSA_INSB_IlSD_SE_SE_EEEEZNS1_13binary_searchIS3_S5_NSA_INS8_10device_ptrIyEEEESG_SI_NS1_21upper_bound_search_opENS9_16wrapped_functionINS8_6system6detail7generic6detail18binary_search_lessEbEEEE10hipError_tPvRmT1_T2_T3_mmT4_T5_P12ihipStream_tbEUlRKyE_EESV_SZ_S10_mS11_S14_bEUlT_E_NS1_11comp_targetILNS1_3genE3ELNS1_11target_archE908ELNS1_3gpuE7ELNS1_3repE0EEENS1_30default_config_static_selectorELNS0_4arch9wavefront6targetE0EEEvSY_.kd
    .uniform_work_group_size: 1
    .uses_dynamic_stack: false
    .vgpr_count:     0
    .vgpr_spill_count: 0
    .wavefront_size: 32
    .workgroup_processor_mode: 1
  - .args:
      - .offset:         0
        .size:           56
        .value_kind:     by_value
    .group_segment_fixed_size: 0
    .kernarg_segment_align: 8
    .kernarg_segment_size: 56
    .language:       OpenCL C
    .language_version:
      - 2
      - 0
    .max_flat_workgroup_size: 256
    .name:           _ZN7rocprim17ROCPRIM_400000_NS6detail17trampoline_kernelINS0_14default_configENS1_27upper_bound_config_selectorIylEEZNS1_14transform_implILb0ES3_S5_N6thrust23THRUST_200600_302600_NS6detail15normal_iteratorINS8_7pointerIyNS8_11hip_rocprim5par_tENS8_11use_defaultESE_EEEENSA_INSB_IlSD_SE_SE_EEEEZNS1_13binary_searchIS3_S5_NSA_INS8_10device_ptrIyEEEESG_SI_NS1_21upper_bound_search_opENS9_16wrapped_functionINS8_6system6detail7generic6detail18binary_search_lessEbEEEE10hipError_tPvRmT1_T2_T3_mmT4_T5_P12ihipStream_tbEUlRKyE_EESV_SZ_S10_mS11_S14_bEUlT_E_NS1_11comp_targetILNS1_3genE2ELNS1_11target_archE906ELNS1_3gpuE6ELNS1_3repE0EEENS1_30default_config_static_selectorELNS0_4arch9wavefront6targetE0EEEvSY_
    .private_segment_fixed_size: 0
    .sgpr_count:     0
    .sgpr_spill_count: 0
    .symbol:         _ZN7rocprim17ROCPRIM_400000_NS6detail17trampoline_kernelINS0_14default_configENS1_27upper_bound_config_selectorIylEEZNS1_14transform_implILb0ES3_S5_N6thrust23THRUST_200600_302600_NS6detail15normal_iteratorINS8_7pointerIyNS8_11hip_rocprim5par_tENS8_11use_defaultESE_EEEENSA_INSB_IlSD_SE_SE_EEEEZNS1_13binary_searchIS3_S5_NSA_INS8_10device_ptrIyEEEESG_SI_NS1_21upper_bound_search_opENS9_16wrapped_functionINS8_6system6detail7generic6detail18binary_search_lessEbEEEE10hipError_tPvRmT1_T2_T3_mmT4_T5_P12ihipStream_tbEUlRKyE_EESV_SZ_S10_mS11_S14_bEUlT_E_NS1_11comp_targetILNS1_3genE2ELNS1_11target_archE906ELNS1_3gpuE6ELNS1_3repE0EEENS1_30default_config_static_selectorELNS0_4arch9wavefront6targetE0EEEvSY_.kd
    .uniform_work_group_size: 1
    .uses_dynamic_stack: false
    .vgpr_count:     0
    .vgpr_spill_count: 0
    .wavefront_size: 32
    .workgroup_processor_mode: 1
  - .args:
      - .offset:         0
        .size:           56
        .value_kind:     by_value
    .group_segment_fixed_size: 0
    .kernarg_segment_align: 8
    .kernarg_segment_size: 56
    .language:       OpenCL C
    .language_version:
      - 2
      - 0
    .max_flat_workgroup_size: 128
    .name:           _ZN7rocprim17ROCPRIM_400000_NS6detail17trampoline_kernelINS0_14default_configENS1_27upper_bound_config_selectorIylEEZNS1_14transform_implILb0ES3_S5_N6thrust23THRUST_200600_302600_NS6detail15normal_iteratorINS8_7pointerIyNS8_11hip_rocprim5par_tENS8_11use_defaultESE_EEEENSA_INSB_IlSD_SE_SE_EEEEZNS1_13binary_searchIS3_S5_NSA_INS8_10device_ptrIyEEEESG_SI_NS1_21upper_bound_search_opENS9_16wrapped_functionINS8_6system6detail7generic6detail18binary_search_lessEbEEEE10hipError_tPvRmT1_T2_T3_mmT4_T5_P12ihipStream_tbEUlRKyE_EESV_SZ_S10_mS11_S14_bEUlT_E_NS1_11comp_targetILNS1_3genE10ELNS1_11target_archE1201ELNS1_3gpuE5ELNS1_3repE0EEENS1_30default_config_static_selectorELNS0_4arch9wavefront6targetE0EEEvSY_
    .private_segment_fixed_size: 0
    .sgpr_count:     0
    .sgpr_spill_count: 0
    .symbol:         _ZN7rocprim17ROCPRIM_400000_NS6detail17trampoline_kernelINS0_14default_configENS1_27upper_bound_config_selectorIylEEZNS1_14transform_implILb0ES3_S5_N6thrust23THRUST_200600_302600_NS6detail15normal_iteratorINS8_7pointerIyNS8_11hip_rocprim5par_tENS8_11use_defaultESE_EEEENSA_INSB_IlSD_SE_SE_EEEEZNS1_13binary_searchIS3_S5_NSA_INS8_10device_ptrIyEEEESG_SI_NS1_21upper_bound_search_opENS9_16wrapped_functionINS8_6system6detail7generic6detail18binary_search_lessEbEEEE10hipError_tPvRmT1_T2_T3_mmT4_T5_P12ihipStream_tbEUlRKyE_EESV_SZ_S10_mS11_S14_bEUlT_E_NS1_11comp_targetILNS1_3genE10ELNS1_11target_archE1201ELNS1_3gpuE5ELNS1_3repE0EEENS1_30default_config_static_selectorELNS0_4arch9wavefront6targetE0EEEvSY_.kd
    .uniform_work_group_size: 1
    .uses_dynamic_stack: false
    .vgpr_count:     0
    .vgpr_spill_count: 0
    .wavefront_size: 32
    .workgroup_processor_mode: 1
  - .args:
      - .offset:         0
        .size:           56
        .value_kind:     by_value
    .group_segment_fixed_size: 0
    .kernarg_segment_align: 8
    .kernarg_segment_size: 56
    .language:       OpenCL C
    .language_version:
      - 2
      - 0
    .max_flat_workgroup_size: 128
    .name:           _ZN7rocprim17ROCPRIM_400000_NS6detail17trampoline_kernelINS0_14default_configENS1_27upper_bound_config_selectorIylEEZNS1_14transform_implILb0ES3_S5_N6thrust23THRUST_200600_302600_NS6detail15normal_iteratorINS8_7pointerIyNS8_11hip_rocprim5par_tENS8_11use_defaultESE_EEEENSA_INSB_IlSD_SE_SE_EEEEZNS1_13binary_searchIS3_S5_NSA_INS8_10device_ptrIyEEEESG_SI_NS1_21upper_bound_search_opENS9_16wrapped_functionINS8_6system6detail7generic6detail18binary_search_lessEbEEEE10hipError_tPvRmT1_T2_T3_mmT4_T5_P12ihipStream_tbEUlRKyE_EESV_SZ_S10_mS11_S14_bEUlT_E_NS1_11comp_targetILNS1_3genE10ELNS1_11target_archE1200ELNS1_3gpuE4ELNS1_3repE0EEENS1_30default_config_static_selectorELNS0_4arch9wavefront6targetE0EEEvSY_
    .private_segment_fixed_size: 0
    .sgpr_count:     0
    .sgpr_spill_count: 0
    .symbol:         _ZN7rocprim17ROCPRIM_400000_NS6detail17trampoline_kernelINS0_14default_configENS1_27upper_bound_config_selectorIylEEZNS1_14transform_implILb0ES3_S5_N6thrust23THRUST_200600_302600_NS6detail15normal_iteratorINS8_7pointerIyNS8_11hip_rocprim5par_tENS8_11use_defaultESE_EEEENSA_INSB_IlSD_SE_SE_EEEEZNS1_13binary_searchIS3_S5_NSA_INS8_10device_ptrIyEEEESG_SI_NS1_21upper_bound_search_opENS9_16wrapped_functionINS8_6system6detail7generic6detail18binary_search_lessEbEEEE10hipError_tPvRmT1_T2_T3_mmT4_T5_P12ihipStream_tbEUlRKyE_EESV_SZ_S10_mS11_S14_bEUlT_E_NS1_11comp_targetILNS1_3genE10ELNS1_11target_archE1200ELNS1_3gpuE4ELNS1_3repE0EEENS1_30default_config_static_selectorELNS0_4arch9wavefront6targetE0EEEvSY_.kd
    .uniform_work_group_size: 1
    .uses_dynamic_stack: false
    .vgpr_count:     0
    .vgpr_spill_count: 0
    .wavefront_size: 32
    .workgroup_processor_mode: 1
  - .args:
      - .offset:         0
        .size:           56
        .value_kind:     by_value
    .group_segment_fixed_size: 0
    .kernarg_segment_align: 8
    .kernarg_segment_size: 56
    .language:       OpenCL C
    .language_version:
      - 2
      - 0
    .max_flat_workgroup_size: 256
    .name:           _ZN7rocprim17ROCPRIM_400000_NS6detail17trampoline_kernelINS0_14default_configENS1_27upper_bound_config_selectorIylEEZNS1_14transform_implILb0ES3_S5_N6thrust23THRUST_200600_302600_NS6detail15normal_iteratorINS8_7pointerIyNS8_11hip_rocprim5par_tENS8_11use_defaultESE_EEEENSA_INSB_IlSD_SE_SE_EEEEZNS1_13binary_searchIS3_S5_NSA_INS8_10device_ptrIyEEEESG_SI_NS1_21upper_bound_search_opENS9_16wrapped_functionINS8_6system6detail7generic6detail18binary_search_lessEbEEEE10hipError_tPvRmT1_T2_T3_mmT4_T5_P12ihipStream_tbEUlRKyE_EESV_SZ_S10_mS11_S14_bEUlT_E_NS1_11comp_targetILNS1_3genE9ELNS1_11target_archE1100ELNS1_3gpuE3ELNS1_3repE0EEENS1_30default_config_static_selectorELNS0_4arch9wavefront6targetE0EEEvSY_
    .private_segment_fixed_size: 0
    .sgpr_count:     0
    .sgpr_spill_count: 0
    .symbol:         _ZN7rocprim17ROCPRIM_400000_NS6detail17trampoline_kernelINS0_14default_configENS1_27upper_bound_config_selectorIylEEZNS1_14transform_implILb0ES3_S5_N6thrust23THRUST_200600_302600_NS6detail15normal_iteratorINS8_7pointerIyNS8_11hip_rocprim5par_tENS8_11use_defaultESE_EEEENSA_INSB_IlSD_SE_SE_EEEEZNS1_13binary_searchIS3_S5_NSA_INS8_10device_ptrIyEEEESG_SI_NS1_21upper_bound_search_opENS9_16wrapped_functionINS8_6system6detail7generic6detail18binary_search_lessEbEEEE10hipError_tPvRmT1_T2_T3_mmT4_T5_P12ihipStream_tbEUlRKyE_EESV_SZ_S10_mS11_S14_bEUlT_E_NS1_11comp_targetILNS1_3genE9ELNS1_11target_archE1100ELNS1_3gpuE3ELNS1_3repE0EEENS1_30default_config_static_selectorELNS0_4arch9wavefront6targetE0EEEvSY_.kd
    .uniform_work_group_size: 1
    .uses_dynamic_stack: false
    .vgpr_count:     0
    .vgpr_spill_count: 0
    .wavefront_size: 32
    .workgroup_processor_mode: 1
  - .args:
      - .offset:         0
        .size:           56
        .value_kind:     by_value
      - .offset:         56
        .size:           4
        .value_kind:     hidden_block_count_x
      - .offset:         60
        .size:           4
        .value_kind:     hidden_block_count_y
      - .offset:         64
        .size:           4
        .value_kind:     hidden_block_count_z
      - .offset:         68
        .size:           2
        .value_kind:     hidden_group_size_x
      - .offset:         70
        .size:           2
        .value_kind:     hidden_group_size_y
      - .offset:         72
        .size:           2
        .value_kind:     hidden_group_size_z
      - .offset:         74
        .size:           2
        .value_kind:     hidden_remainder_x
      - .offset:         76
        .size:           2
        .value_kind:     hidden_remainder_y
      - .offset:         78
        .size:           2
        .value_kind:     hidden_remainder_z
      - .offset:         96
        .size:           8
        .value_kind:     hidden_global_offset_x
      - .offset:         104
        .size:           8
        .value_kind:     hidden_global_offset_y
      - .offset:         112
        .size:           8
        .value_kind:     hidden_global_offset_z
      - .offset:         120
        .size:           2
        .value_kind:     hidden_grid_dims
    .group_segment_fixed_size: 0
    .kernarg_segment_align: 8
    .kernarg_segment_size: 312
    .language:       OpenCL C
    .language_version:
      - 2
      - 0
    .max_flat_workgroup_size: 256
    .name:           _ZN7rocprim17ROCPRIM_400000_NS6detail17trampoline_kernelINS0_14default_configENS1_27upper_bound_config_selectorIylEEZNS1_14transform_implILb0ES3_S5_N6thrust23THRUST_200600_302600_NS6detail15normal_iteratorINS8_7pointerIyNS8_11hip_rocprim5par_tENS8_11use_defaultESE_EEEENSA_INSB_IlSD_SE_SE_EEEEZNS1_13binary_searchIS3_S5_NSA_INS8_10device_ptrIyEEEESG_SI_NS1_21upper_bound_search_opENS9_16wrapped_functionINS8_6system6detail7generic6detail18binary_search_lessEbEEEE10hipError_tPvRmT1_T2_T3_mmT4_T5_P12ihipStream_tbEUlRKyE_EESV_SZ_S10_mS11_S14_bEUlT_E_NS1_11comp_targetILNS1_3genE8ELNS1_11target_archE1030ELNS1_3gpuE2ELNS1_3repE0EEENS1_30default_config_static_selectorELNS0_4arch9wavefront6targetE0EEEvSY_
    .private_segment_fixed_size: 0
    .sgpr_count:     22
    .sgpr_spill_count: 0
    .symbol:         _ZN7rocprim17ROCPRIM_400000_NS6detail17trampoline_kernelINS0_14default_configENS1_27upper_bound_config_selectorIylEEZNS1_14transform_implILb0ES3_S5_N6thrust23THRUST_200600_302600_NS6detail15normal_iteratorINS8_7pointerIyNS8_11hip_rocprim5par_tENS8_11use_defaultESE_EEEENSA_INSB_IlSD_SE_SE_EEEEZNS1_13binary_searchIS3_S5_NSA_INS8_10device_ptrIyEEEESG_SI_NS1_21upper_bound_search_opENS9_16wrapped_functionINS8_6system6detail7generic6detail18binary_search_lessEbEEEE10hipError_tPvRmT1_T2_T3_mmT4_T5_P12ihipStream_tbEUlRKyE_EESV_SZ_S10_mS11_S14_bEUlT_E_NS1_11comp_targetILNS1_3genE8ELNS1_11target_archE1030ELNS1_3gpuE2ELNS1_3repE0EEENS1_30default_config_static_selectorELNS0_4arch9wavefront6targetE0EEEvSY_.kd
    .uniform_work_group_size: 1
    .uses_dynamic_stack: false
    .vgpr_count:     12
    .vgpr_spill_count: 0
    .wavefront_size: 32
    .workgroup_processor_mode: 1
  - .args:
      - .offset:         0
        .size:           56
        .value_kind:     by_value
    .group_segment_fixed_size: 0
    .kernarg_segment_align: 8
    .kernarg_segment_size: 56
    .language:       OpenCL C
    .language_version:
      - 2
      - 0
    .max_flat_workgroup_size: 256
    .name:           _ZN7rocprim17ROCPRIM_400000_NS6detail17trampoline_kernelINS0_14default_configENS1_27upper_bound_config_selectorIjlEEZNS1_14transform_implILb0ES3_S5_N6thrust23THRUST_200600_302600_NS6detail15normal_iteratorINS8_7pointerIjNS8_11hip_rocprim5par_tENS8_11use_defaultESE_EEEENSA_INSB_IlSD_SE_SE_EEEEZNS1_13binary_searchIS3_S5_NSA_INS8_10device_ptrIjEEEESG_SI_NS1_21upper_bound_search_opENS9_16wrapped_functionINS8_6system6detail7generic6detail18binary_search_lessEbEEEE10hipError_tPvRmT1_T2_T3_mmT4_T5_P12ihipStream_tbEUlRKjE_EESV_SZ_S10_mS11_S14_bEUlT_E_NS1_11comp_targetILNS1_3genE0ELNS1_11target_archE4294967295ELNS1_3gpuE0ELNS1_3repE0EEENS1_30default_config_static_selectorELNS0_4arch9wavefront6targetE0EEEvSY_
    .private_segment_fixed_size: 0
    .sgpr_count:     0
    .sgpr_spill_count: 0
    .symbol:         _ZN7rocprim17ROCPRIM_400000_NS6detail17trampoline_kernelINS0_14default_configENS1_27upper_bound_config_selectorIjlEEZNS1_14transform_implILb0ES3_S5_N6thrust23THRUST_200600_302600_NS6detail15normal_iteratorINS8_7pointerIjNS8_11hip_rocprim5par_tENS8_11use_defaultESE_EEEENSA_INSB_IlSD_SE_SE_EEEEZNS1_13binary_searchIS3_S5_NSA_INS8_10device_ptrIjEEEESG_SI_NS1_21upper_bound_search_opENS9_16wrapped_functionINS8_6system6detail7generic6detail18binary_search_lessEbEEEE10hipError_tPvRmT1_T2_T3_mmT4_T5_P12ihipStream_tbEUlRKjE_EESV_SZ_S10_mS11_S14_bEUlT_E_NS1_11comp_targetILNS1_3genE0ELNS1_11target_archE4294967295ELNS1_3gpuE0ELNS1_3repE0EEENS1_30default_config_static_selectorELNS0_4arch9wavefront6targetE0EEEvSY_.kd
    .uniform_work_group_size: 1
    .uses_dynamic_stack: false
    .vgpr_count:     0
    .vgpr_spill_count: 0
    .wavefront_size: 32
    .workgroup_processor_mode: 1
  - .args:
      - .offset:         0
        .size:           56
        .value_kind:     by_value
    .group_segment_fixed_size: 0
    .kernarg_segment_align: 8
    .kernarg_segment_size: 56
    .language:       OpenCL C
    .language_version:
      - 2
      - 0
    .max_flat_workgroup_size: 256
    .name:           _ZN7rocprim17ROCPRIM_400000_NS6detail17trampoline_kernelINS0_14default_configENS1_27upper_bound_config_selectorIjlEEZNS1_14transform_implILb0ES3_S5_N6thrust23THRUST_200600_302600_NS6detail15normal_iteratorINS8_7pointerIjNS8_11hip_rocprim5par_tENS8_11use_defaultESE_EEEENSA_INSB_IlSD_SE_SE_EEEEZNS1_13binary_searchIS3_S5_NSA_INS8_10device_ptrIjEEEESG_SI_NS1_21upper_bound_search_opENS9_16wrapped_functionINS8_6system6detail7generic6detail18binary_search_lessEbEEEE10hipError_tPvRmT1_T2_T3_mmT4_T5_P12ihipStream_tbEUlRKjE_EESV_SZ_S10_mS11_S14_bEUlT_E_NS1_11comp_targetILNS1_3genE5ELNS1_11target_archE942ELNS1_3gpuE9ELNS1_3repE0EEENS1_30default_config_static_selectorELNS0_4arch9wavefront6targetE0EEEvSY_
    .private_segment_fixed_size: 0
    .sgpr_count:     0
    .sgpr_spill_count: 0
    .symbol:         _ZN7rocprim17ROCPRIM_400000_NS6detail17trampoline_kernelINS0_14default_configENS1_27upper_bound_config_selectorIjlEEZNS1_14transform_implILb0ES3_S5_N6thrust23THRUST_200600_302600_NS6detail15normal_iteratorINS8_7pointerIjNS8_11hip_rocprim5par_tENS8_11use_defaultESE_EEEENSA_INSB_IlSD_SE_SE_EEEEZNS1_13binary_searchIS3_S5_NSA_INS8_10device_ptrIjEEEESG_SI_NS1_21upper_bound_search_opENS9_16wrapped_functionINS8_6system6detail7generic6detail18binary_search_lessEbEEEE10hipError_tPvRmT1_T2_T3_mmT4_T5_P12ihipStream_tbEUlRKjE_EESV_SZ_S10_mS11_S14_bEUlT_E_NS1_11comp_targetILNS1_3genE5ELNS1_11target_archE942ELNS1_3gpuE9ELNS1_3repE0EEENS1_30default_config_static_selectorELNS0_4arch9wavefront6targetE0EEEvSY_.kd
    .uniform_work_group_size: 1
    .uses_dynamic_stack: false
    .vgpr_count:     0
    .vgpr_spill_count: 0
    .wavefront_size: 32
    .workgroup_processor_mode: 1
  - .args:
      - .offset:         0
        .size:           56
        .value_kind:     by_value
    .group_segment_fixed_size: 0
    .kernarg_segment_align: 8
    .kernarg_segment_size: 56
    .language:       OpenCL C
    .language_version:
      - 2
      - 0
    .max_flat_workgroup_size: 256
    .name:           _ZN7rocprim17ROCPRIM_400000_NS6detail17trampoline_kernelINS0_14default_configENS1_27upper_bound_config_selectorIjlEEZNS1_14transform_implILb0ES3_S5_N6thrust23THRUST_200600_302600_NS6detail15normal_iteratorINS8_7pointerIjNS8_11hip_rocprim5par_tENS8_11use_defaultESE_EEEENSA_INSB_IlSD_SE_SE_EEEEZNS1_13binary_searchIS3_S5_NSA_INS8_10device_ptrIjEEEESG_SI_NS1_21upper_bound_search_opENS9_16wrapped_functionINS8_6system6detail7generic6detail18binary_search_lessEbEEEE10hipError_tPvRmT1_T2_T3_mmT4_T5_P12ihipStream_tbEUlRKjE_EESV_SZ_S10_mS11_S14_bEUlT_E_NS1_11comp_targetILNS1_3genE4ELNS1_11target_archE910ELNS1_3gpuE8ELNS1_3repE0EEENS1_30default_config_static_selectorELNS0_4arch9wavefront6targetE0EEEvSY_
    .private_segment_fixed_size: 0
    .sgpr_count:     0
    .sgpr_spill_count: 0
    .symbol:         _ZN7rocprim17ROCPRIM_400000_NS6detail17trampoline_kernelINS0_14default_configENS1_27upper_bound_config_selectorIjlEEZNS1_14transform_implILb0ES3_S5_N6thrust23THRUST_200600_302600_NS6detail15normal_iteratorINS8_7pointerIjNS8_11hip_rocprim5par_tENS8_11use_defaultESE_EEEENSA_INSB_IlSD_SE_SE_EEEEZNS1_13binary_searchIS3_S5_NSA_INS8_10device_ptrIjEEEESG_SI_NS1_21upper_bound_search_opENS9_16wrapped_functionINS8_6system6detail7generic6detail18binary_search_lessEbEEEE10hipError_tPvRmT1_T2_T3_mmT4_T5_P12ihipStream_tbEUlRKjE_EESV_SZ_S10_mS11_S14_bEUlT_E_NS1_11comp_targetILNS1_3genE4ELNS1_11target_archE910ELNS1_3gpuE8ELNS1_3repE0EEENS1_30default_config_static_selectorELNS0_4arch9wavefront6targetE0EEEvSY_.kd
    .uniform_work_group_size: 1
    .uses_dynamic_stack: false
    .vgpr_count:     0
    .vgpr_spill_count: 0
    .wavefront_size: 32
    .workgroup_processor_mode: 1
  - .args:
      - .offset:         0
        .size:           56
        .value_kind:     by_value
    .group_segment_fixed_size: 0
    .kernarg_segment_align: 8
    .kernarg_segment_size: 56
    .language:       OpenCL C
    .language_version:
      - 2
      - 0
    .max_flat_workgroup_size: 256
    .name:           _ZN7rocprim17ROCPRIM_400000_NS6detail17trampoline_kernelINS0_14default_configENS1_27upper_bound_config_selectorIjlEEZNS1_14transform_implILb0ES3_S5_N6thrust23THRUST_200600_302600_NS6detail15normal_iteratorINS8_7pointerIjNS8_11hip_rocprim5par_tENS8_11use_defaultESE_EEEENSA_INSB_IlSD_SE_SE_EEEEZNS1_13binary_searchIS3_S5_NSA_INS8_10device_ptrIjEEEESG_SI_NS1_21upper_bound_search_opENS9_16wrapped_functionINS8_6system6detail7generic6detail18binary_search_lessEbEEEE10hipError_tPvRmT1_T2_T3_mmT4_T5_P12ihipStream_tbEUlRKjE_EESV_SZ_S10_mS11_S14_bEUlT_E_NS1_11comp_targetILNS1_3genE3ELNS1_11target_archE908ELNS1_3gpuE7ELNS1_3repE0EEENS1_30default_config_static_selectorELNS0_4arch9wavefront6targetE0EEEvSY_
    .private_segment_fixed_size: 0
    .sgpr_count:     0
    .sgpr_spill_count: 0
    .symbol:         _ZN7rocprim17ROCPRIM_400000_NS6detail17trampoline_kernelINS0_14default_configENS1_27upper_bound_config_selectorIjlEEZNS1_14transform_implILb0ES3_S5_N6thrust23THRUST_200600_302600_NS6detail15normal_iteratorINS8_7pointerIjNS8_11hip_rocprim5par_tENS8_11use_defaultESE_EEEENSA_INSB_IlSD_SE_SE_EEEEZNS1_13binary_searchIS3_S5_NSA_INS8_10device_ptrIjEEEESG_SI_NS1_21upper_bound_search_opENS9_16wrapped_functionINS8_6system6detail7generic6detail18binary_search_lessEbEEEE10hipError_tPvRmT1_T2_T3_mmT4_T5_P12ihipStream_tbEUlRKjE_EESV_SZ_S10_mS11_S14_bEUlT_E_NS1_11comp_targetILNS1_3genE3ELNS1_11target_archE908ELNS1_3gpuE7ELNS1_3repE0EEENS1_30default_config_static_selectorELNS0_4arch9wavefront6targetE0EEEvSY_.kd
    .uniform_work_group_size: 1
    .uses_dynamic_stack: false
    .vgpr_count:     0
    .vgpr_spill_count: 0
    .wavefront_size: 32
    .workgroup_processor_mode: 1
  - .args:
      - .offset:         0
        .size:           56
        .value_kind:     by_value
    .group_segment_fixed_size: 0
    .kernarg_segment_align: 8
    .kernarg_segment_size: 56
    .language:       OpenCL C
    .language_version:
      - 2
      - 0
    .max_flat_workgroup_size: 256
    .name:           _ZN7rocprim17ROCPRIM_400000_NS6detail17trampoline_kernelINS0_14default_configENS1_27upper_bound_config_selectorIjlEEZNS1_14transform_implILb0ES3_S5_N6thrust23THRUST_200600_302600_NS6detail15normal_iteratorINS8_7pointerIjNS8_11hip_rocprim5par_tENS8_11use_defaultESE_EEEENSA_INSB_IlSD_SE_SE_EEEEZNS1_13binary_searchIS3_S5_NSA_INS8_10device_ptrIjEEEESG_SI_NS1_21upper_bound_search_opENS9_16wrapped_functionINS8_6system6detail7generic6detail18binary_search_lessEbEEEE10hipError_tPvRmT1_T2_T3_mmT4_T5_P12ihipStream_tbEUlRKjE_EESV_SZ_S10_mS11_S14_bEUlT_E_NS1_11comp_targetILNS1_3genE2ELNS1_11target_archE906ELNS1_3gpuE6ELNS1_3repE0EEENS1_30default_config_static_selectorELNS0_4arch9wavefront6targetE0EEEvSY_
    .private_segment_fixed_size: 0
    .sgpr_count:     0
    .sgpr_spill_count: 0
    .symbol:         _ZN7rocprim17ROCPRIM_400000_NS6detail17trampoline_kernelINS0_14default_configENS1_27upper_bound_config_selectorIjlEEZNS1_14transform_implILb0ES3_S5_N6thrust23THRUST_200600_302600_NS6detail15normal_iteratorINS8_7pointerIjNS8_11hip_rocprim5par_tENS8_11use_defaultESE_EEEENSA_INSB_IlSD_SE_SE_EEEEZNS1_13binary_searchIS3_S5_NSA_INS8_10device_ptrIjEEEESG_SI_NS1_21upper_bound_search_opENS9_16wrapped_functionINS8_6system6detail7generic6detail18binary_search_lessEbEEEE10hipError_tPvRmT1_T2_T3_mmT4_T5_P12ihipStream_tbEUlRKjE_EESV_SZ_S10_mS11_S14_bEUlT_E_NS1_11comp_targetILNS1_3genE2ELNS1_11target_archE906ELNS1_3gpuE6ELNS1_3repE0EEENS1_30default_config_static_selectorELNS0_4arch9wavefront6targetE0EEEvSY_.kd
    .uniform_work_group_size: 1
    .uses_dynamic_stack: false
    .vgpr_count:     0
    .vgpr_spill_count: 0
    .wavefront_size: 32
    .workgroup_processor_mode: 1
  - .args:
      - .offset:         0
        .size:           56
        .value_kind:     by_value
    .group_segment_fixed_size: 0
    .kernarg_segment_align: 8
    .kernarg_segment_size: 56
    .language:       OpenCL C
    .language_version:
      - 2
      - 0
    .max_flat_workgroup_size: 128
    .name:           _ZN7rocprim17ROCPRIM_400000_NS6detail17trampoline_kernelINS0_14default_configENS1_27upper_bound_config_selectorIjlEEZNS1_14transform_implILb0ES3_S5_N6thrust23THRUST_200600_302600_NS6detail15normal_iteratorINS8_7pointerIjNS8_11hip_rocprim5par_tENS8_11use_defaultESE_EEEENSA_INSB_IlSD_SE_SE_EEEEZNS1_13binary_searchIS3_S5_NSA_INS8_10device_ptrIjEEEESG_SI_NS1_21upper_bound_search_opENS9_16wrapped_functionINS8_6system6detail7generic6detail18binary_search_lessEbEEEE10hipError_tPvRmT1_T2_T3_mmT4_T5_P12ihipStream_tbEUlRKjE_EESV_SZ_S10_mS11_S14_bEUlT_E_NS1_11comp_targetILNS1_3genE10ELNS1_11target_archE1201ELNS1_3gpuE5ELNS1_3repE0EEENS1_30default_config_static_selectorELNS0_4arch9wavefront6targetE0EEEvSY_
    .private_segment_fixed_size: 0
    .sgpr_count:     0
    .sgpr_spill_count: 0
    .symbol:         _ZN7rocprim17ROCPRIM_400000_NS6detail17trampoline_kernelINS0_14default_configENS1_27upper_bound_config_selectorIjlEEZNS1_14transform_implILb0ES3_S5_N6thrust23THRUST_200600_302600_NS6detail15normal_iteratorINS8_7pointerIjNS8_11hip_rocprim5par_tENS8_11use_defaultESE_EEEENSA_INSB_IlSD_SE_SE_EEEEZNS1_13binary_searchIS3_S5_NSA_INS8_10device_ptrIjEEEESG_SI_NS1_21upper_bound_search_opENS9_16wrapped_functionINS8_6system6detail7generic6detail18binary_search_lessEbEEEE10hipError_tPvRmT1_T2_T3_mmT4_T5_P12ihipStream_tbEUlRKjE_EESV_SZ_S10_mS11_S14_bEUlT_E_NS1_11comp_targetILNS1_3genE10ELNS1_11target_archE1201ELNS1_3gpuE5ELNS1_3repE0EEENS1_30default_config_static_selectorELNS0_4arch9wavefront6targetE0EEEvSY_.kd
    .uniform_work_group_size: 1
    .uses_dynamic_stack: false
    .vgpr_count:     0
    .vgpr_spill_count: 0
    .wavefront_size: 32
    .workgroup_processor_mode: 1
  - .args:
      - .offset:         0
        .size:           56
        .value_kind:     by_value
    .group_segment_fixed_size: 0
    .kernarg_segment_align: 8
    .kernarg_segment_size: 56
    .language:       OpenCL C
    .language_version:
      - 2
      - 0
    .max_flat_workgroup_size: 128
    .name:           _ZN7rocprim17ROCPRIM_400000_NS6detail17trampoline_kernelINS0_14default_configENS1_27upper_bound_config_selectorIjlEEZNS1_14transform_implILb0ES3_S5_N6thrust23THRUST_200600_302600_NS6detail15normal_iteratorINS8_7pointerIjNS8_11hip_rocprim5par_tENS8_11use_defaultESE_EEEENSA_INSB_IlSD_SE_SE_EEEEZNS1_13binary_searchIS3_S5_NSA_INS8_10device_ptrIjEEEESG_SI_NS1_21upper_bound_search_opENS9_16wrapped_functionINS8_6system6detail7generic6detail18binary_search_lessEbEEEE10hipError_tPvRmT1_T2_T3_mmT4_T5_P12ihipStream_tbEUlRKjE_EESV_SZ_S10_mS11_S14_bEUlT_E_NS1_11comp_targetILNS1_3genE10ELNS1_11target_archE1200ELNS1_3gpuE4ELNS1_3repE0EEENS1_30default_config_static_selectorELNS0_4arch9wavefront6targetE0EEEvSY_
    .private_segment_fixed_size: 0
    .sgpr_count:     0
    .sgpr_spill_count: 0
    .symbol:         _ZN7rocprim17ROCPRIM_400000_NS6detail17trampoline_kernelINS0_14default_configENS1_27upper_bound_config_selectorIjlEEZNS1_14transform_implILb0ES3_S5_N6thrust23THRUST_200600_302600_NS6detail15normal_iteratorINS8_7pointerIjNS8_11hip_rocprim5par_tENS8_11use_defaultESE_EEEENSA_INSB_IlSD_SE_SE_EEEEZNS1_13binary_searchIS3_S5_NSA_INS8_10device_ptrIjEEEESG_SI_NS1_21upper_bound_search_opENS9_16wrapped_functionINS8_6system6detail7generic6detail18binary_search_lessEbEEEE10hipError_tPvRmT1_T2_T3_mmT4_T5_P12ihipStream_tbEUlRKjE_EESV_SZ_S10_mS11_S14_bEUlT_E_NS1_11comp_targetILNS1_3genE10ELNS1_11target_archE1200ELNS1_3gpuE4ELNS1_3repE0EEENS1_30default_config_static_selectorELNS0_4arch9wavefront6targetE0EEEvSY_.kd
    .uniform_work_group_size: 1
    .uses_dynamic_stack: false
    .vgpr_count:     0
    .vgpr_spill_count: 0
    .wavefront_size: 32
    .workgroup_processor_mode: 1
  - .args:
      - .offset:         0
        .size:           56
        .value_kind:     by_value
    .group_segment_fixed_size: 0
    .kernarg_segment_align: 8
    .kernarg_segment_size: 56
    .language:       OpenCL C
    .language_version:
      - 2
      - 0
    .max_flat_workgroup_size: 256
    .name:           _ZN7rocprim17ROCPRIM_400000_NS6detail17trampoline_kernelINS0_14default_configENS1_27upper_bound_config_selectorIjlEEZNS1_14transform_implILb0ES3_S5_N6thrust23THRUST_200600_302600_NS6detail15normal_iteratorINS8_7pointerIjNS8_11hip_rocprim5par_tENS8_11use_defaultESE_EEEENSA_INSB_IlSD_SE_SE_EEEEZNS1_13binary_searchIS3_S5_NSA_INS8_10device_ptrIjEEEESG_SI_NS1_21upper_bound_search_opENS9_16wrapped_functionINS8_6system6detail7generic6detail18binary_search_lessEbEEEE10hipError_tPvRmT1_T2_T3_mmT4_T5_P12ihipStream_tbEUlRKjE_EESV_SZ_S10_mS11_S14_bEUlT_E_NS1_11comp_targetILNS1_3genE9ELNS1_11target_archE1100ELNS1_3gpuE3ELNS1_3repE0EEENS1_30default_config_static_selectorELNS0_4arch9wavefront6targetE0EEEvSY_
    .private_segment_fixed_size: 0
    .sgpr_count:     0
    .sgpr_spill_count: 0
    .symbol:         _ZN7rocprim17ROCPRIM_400000_NS6detail17trampoline_kernelINS0_14default_configENS1_27upper_bound_config_selectorIjlEEZNS1_14transform_implILb0ES3_S5_N6thrust23THRUST_200600_302600_NS6detail15normal_iteratorINS8_7pointerIjNS8_11hip_rocprim5par_tENS8_11use_defaultESE_EEEENSA_INSB_IlSD_SE_SE_EEEEZNS1_13binary_searchIS3_S5_NSA_INS8_10device_ptrIjEEEESG_SI_NS1_21upper_bound_search_opENS9_16wrapped_functionINS8_6system6detail7generic6detail18binary_search_lessEbEEEE10hipError_tPvRmT1_T2_T3_mmT4_T5_P12ihipStream_tbEUlRKjE_EESV_SZ_S10_mS11_S14_bEUlT_E_NS1_11comp_targetILNS1_3genE9ELNS1_11target_archE1100ELNS1_3gpuE3ELNS1_3repE0EEENS1_30default_config_static_selectorELNS0_4arch9wavefront6targetE0EEEvSY_.kd
    .uniform_work_group_size: 1
    .uses_dynamic_stack: false
    .vgpr_count:     0
    .vgpr_spill_count: 0
    .wavefront_size: 32
    .workgroup_processor_mode: 1
  - .args:
      - .offset:         0
        .size:           56
        .value_kind:     by_value
      - .offset:         56
        .size:           4
        .value_kind:     hidden_block_count_x
      - .offset:         60
        .size:           4
        .value_kind:     hidden_block_count_y
      - .offset:         64
        .size:           4
        .value_kind:     hidden_block_count_z
      - .offset:         68
        .size:           2
        .value_kind:     hidden_group_size_x
      - .offset:         70
        .size:           2
        .value_kind:     hidden_group_size_y
      - .offset:         72
        .size:           2
        .value_kind:     hidden_group_size_z
      - .offset:         74
        .size:           2
        .value_kind:     hidden_remainder_x
      - .offset:         76
        .size:           2
        .value_kind:     hidden_remainder_y
      - .offset:         78
        .size:           2
        .value_kind:     hidden_remainder_z
      - .offset:         96
        .size:           8
        .value_kind:     hidden_global_offset_x
      - .offset:         104
        .size:           8
        .value_kind:     hidden_global_offset_y
      - .offset:         112
        .size:           8
        .value_kind:     hidden_global_offset_z
      - .offset:         120
        .size:           2
        .value_kind:     hidden_grid_dims
    .group_segment_fixed_size: 0
    .kernarg_segment_align: 8
    .kernarg_segment_size: 312
    .language:       OpenCL C
    .language_version:
      - 2
      - 0
    .max_flat_workgroup_size: 256
    .name:           _ZN7rocprim17ROCPRIM_400000_NS6detail17trampoline_kernelINS0_14default_configENS1_27upper_bound_config_selectorIjlEEZNS1_14transform_implILb0ES3_S5_N6thrust23THRUST_200600_302600_NS6detail15normal_iteratorINS8_7pointerIjNS8_11hip_rocprim5par_tENS8_11use_defaultESE_EEEENSA_INSB_IlSD_SE_SE_EEEEZNS1_13binary_searchIS3_S5_NSA_INS8_10device_ptrIjEEEESG_SI_NS1_21upper_bound_search_opENS9_16wrapped_functionINS8_6system6detail7generic6detail18binary_search_lessEbEEEE10hipError_tPvRmT1_T2_T3_mmT4_T5_P12ihipStream_tbEUlRKjE_EESV_SZ_S10_mS11_S14_bEUlT_E_NS1_11comp_targetILNS1_3genE8ELNS1_11target_archE1030ELNS1_3gpuE2ELNS1_3repE0EEENS1_30default_config_static_selectorELNS0_4arch9wavefront6targetE0EEEvSY_
    .private_segment_fixed_size: 0
    .sgpr_count:     19
    .sgpr_spill_count: 0
    .symbol:         _ZN7rocprim17ROCPRIM_400000_NS6detail17trampoline_kernelINS0_14default_configENS1_27upper_bound_config_selectorIjlEEZNS1_14transform_implILb0ES3_S5_N6thrust23THRUST_200600_302600_NS6detail15normal_iteratorINS8_7pointerIjNS8_11hip_rocprim5par_tENS8_11use_defaultESE_EEEENSA_INSB_IlSD_SE_SE_EEEEZNS1_13binary_searchIS3_S5_NSA_INS8_10device_ptrIjEEEESG_SI_NS1_21upper_bound_search_opENS9_16wrapped_functionINS8_6system6detail7generic6detail18binary_search_lessEbEEEE10hipError_tPvRmT1_T2_T3_mmT4_T5_P12ihipStream_tbEUlRKjE_EESV_SZ_S10_mS11_S14_bEUlT_E_NS1_11comp_targetILNS1_3genE8ELNS1_11target_archE1030ELNS1_3gpuE2ELNS1_3repE0EEENS1_30default_config_static_selectorELNS0_4arch9wavefront6targetE0EEEvSY_.kd
    .uniform_work_group_size: 1
    .uses_dynamic_stack: false
    .vgpr_count:     11
    .vgpr_spill_count: 0
    .wavefront_size: 32
    .workgroup_processor_mode: 1
  - .args:
      - .offset:         0
        .size:           56
        .value_kind:     by_value
    .group_segment_fixed_size: 0
    .kernarg_segment_align: 8
    .kernarg_segment_size: 56
    .language:       OpenCL C
    .language_version:
      - 2
      - 0
    .max_flat_workgroup_size: 128
    .name:           _ZN7rocprim17ROCPRIM_400000_NS6detail17trampoline_kernelINS0_14default_configENS1_27upper_bound_config_selectorItlEEZNS1_14transform_implILb0ES3_S5_N6thrust23THRUST_200600_302600_NS6detail15normal_iteratorINS8_7pointerItNS8_11hip_rocprim5par_tENS8_11use_defaultESE_EEEENSA_INSB_IlSD_SE_SE_EEEEZNS1_13binary_searchIS3_S5_NSA_INS8_10device_ptrItEEEESG_SI_NS1_21upper_bound_search_opENS9_16wrapped_functionINS8_6system6detail7generic6detail18binary_search_lessEbEEEE10hipError_tPvRmT1_T2_T3_mmT4_T5_P12ihipStream_tbEUlRKtE_EESV_SZ_S10_mS11_S14_bEUlT_E_NS1_11comp_targetILNS1_3genE0ELNS1_11target_archE4294967295ELNS1_3gpuE0ELNS1_3repE0EEENS1_30default_config_static_selectorELNS0_4arch9wavefront6targetE0EEEvSY_
    .private_segment_fixed_size: 0
    .sgpr_count:     0
    .sgpr_spill_count: 0
    .symbol:         _ZN7rocprim17ROCPRIM_400000_NS6detail17trampoline_kernelINS0_14default_configENS1_27upper_bound_config_selectorItlEEZNS1_14transform_implILb0ES3_S5_N6thrust23THRUST_200600_302600_NS6detail15normal_iteratorINS8_7pointerItNS8_11hip_rocprim5par_tENS8_11use_defaultESE_EEEENSA_INSB_IlSD_SE_SE_EEEEZNS1_13binary_searchIS3_S5_NSA_INS8_10device_ptrItEEEESG_SI_NS1_21upper_bound_search_opENS9_16wrapped_functionINS8_6system6detail7generic6detail18binary_search_lessEbEEEE10hipError_tPvRmT1_T2_T3_mmT4_T5_P12ihipStream_tbEUlRKtE_EESV_SZ_S10_mS11_S14_bEUlT_E_NS1_11comp_targetILNS1_3genE0ELNS1_11target_archE4294967295ELNS1_3gpuE0ELNS1_3repE0EEENS1_30default_config_static_selectorELNS0_4arch9wavefront6targetE0EEEvSY_.kd
    .uniform_work_group_size: 1
    .uses_dynamic_stack: false
    .vgpr_count:     0
    .vgpr_spill_count: 0
    .wavefront_size: 32
    .workgroup_processor_mode: 1
  - .args:
      - .offset:         0
        .size:           56
        .value_kind:     by_value
    .group_segment_fixed_size: 0
    .kernarg_segment_align: 8
    .kernarg_segment_size: 56
    .language:       OpenCL C
    .language_version:
      - 2
      - 0
    .max_flat_workgroup_size: 256
    .name:           _ZN7rocprim17ROCPRIM_400000_NS6detail17trampoline_kernelINS0_14default_configENS1_27upper_bound_config_selectorItlEEZNS1_14transform_implILb0ES3_S5_N6thrust23THRUST_200600_302600_NS6detail15normal_iteratorINS8_7pointerItNS8_11hip_rocprim5par_tENS8_11use_defaultESE_EEEENSA_INSB_IlSD_SE_SE_EEEEZNS1_13binary_searchIS3_S5_NSA_INS8_10device_ptrItEEEESG_SI_NS1_21upper_bound_search_opENS9_16wrapped_functionINS8_6system6detail7generic6detail18binary_search_lessEbEEEE10hipError_tPvRmT1_T2_T3_mmT4_T5_P12ihipStream_tbEUlRKtE_EESV_SZ_S10_mS11_S14_bEUlT_E_NS1_11comp_targetILNS1_3genE5ELNS1_11target_archE942ELNS1_3gpuE9ELNS1_3repE0EEENS1_30default_config_static_selectorELNS0_4arch9wavefront6targetE0EEEvSY_
    .private_segment_fixed_size: 0
    .sgpr_count:     0
    .sgpr_spill_count: 0
    .symbol:         _ZN7rocprim17ROCPRIM_400000_NS6detail17trampoline_kernelINS0_14default_configENS1_27upper_bound_config_selectorItlEEZNS1_14transform_implILb0ES3_S5_N6thrust23THRUST_200600_302600_NS6detail15normal_iteratorINS8_7pointerItNS8_11hip_rocprim5par_tENS8_11use_defaultESE_EEEENSA_INSB_IlSD_SE_SE_EEEEZNS1_13binary_searchIS3_S5_NSA_INS8_10device_ptrItEEEESG_SI_NS1_21upper_bound_search_opENS9_16wrapped_functionINS8_6system6detail7generic6detail18binary_search_lessEbEEEE10hipError_tPvRmT1_T2_T3_mmT4_T5_P12ihipStream_tbEUlRKtE_EESV_SZ_S10_mS11_S14_bEUlT_E_NS1_11comp_targetILNS1_3genE5ELNS1_11target_archE942ELNS1_3gpuE9ELNS1_3repE0EEENS1_30default_config_static_selectorELNS0_4arch9wavefront6targetE0EEEvSY_.kd
    .uniform_work_group_size: 1
    .uses_dynamic_stack: false
    .vgpr_count:     0
    .vgpr_spill_count: 0
    .wavefront_size: 32
    .workgroup_processor_mode: 1
  - .args:
      - .offset:         0
        .size:           56
        .value_kind:     by_value
    .group_segment_fixed_size: 0
    .kernarg_segment_align: 8
    .kernarg_segment_size: 56
    .language:       OpenCL C
    .language_version:
      - 2
      - 0
    .max_flat_workgroup_size: 256
    .name:           _ZN7rocprim17ROCPRIM_400000_NS6detail17trampoline_kernelINS0_14default_configENS1_27upper_bound_config_selectorItlEEZNS1_14transform_implILb0ES3_S5_N6thrust23THRUST_200600_302600_NS6detail15normal_iteratorINS8_7pointerItNS8_11hip_rocprim5par_tENS8_11use_defaultESE_EEEENSA_INSB_IlSD_SE_SE_EEEEZNS1_13binary_searchIS3_S5_NSA_INS8_10device_ptrItEEEESG_SI_NS1_21upper_bound_search_opENS9_16wrapped_functionINS8_6system6detail7generic6detail18binary_search_lessEbEEEE10hipError_tPvRmT1_T2_T3_mmT4_T5_P12ihipStream_tbEUlRKtE_EESV_SZ_S10_mS11_S14_bEUlT_E_NS1_11comp_targetILNS1_3genE4ELNS1_11target_archE910ELNS1_3gpuE8ELNS1_3repE0EEENS1_30default_config_static_selectorELNS0_4arch9wavefront6targetE0EEEvSY_
    .private_segment_fixed_size: 0
    .sgpr_count:     0
    .sgpr_spill_count: 0
    .symbol:         _ZN7rocprim17ROCPRIM_400000_NS6detail17trampoline_kernelINS0_14default_configENS1_27upper_bound_config_selectorItlEEZNS1_14transform_implILb0ES3_S5_N6thrust23THRUST_200600_302600_NS6detail15normal_iteratorINS8_7pointerItNS8_11hip_rocprim5par_tENS8_11use_defaultESE_EEEENSA_INSB_IlSD_SE_SE_EEEEZNS1_13binary_searchIS3_S5_NSA_INS8_10device_ptrItEEEESG_SI_NS1_21upper_bound_search_opENS9_16wrapped_functionINS8_6system6detail7generic6detail18binary_search_lessEbEEEE10hipError_tPvRmT1_T2_T3_mmT4_T5_P12ihipStream_tbEUlRKtE_EESV_SZ_S10_mS11_S14_bEUlT_E_NS1_11comp_targetILNS1_3genE4ELNS1_11target_archE910ELNS1_3gpuE8ELNS1_3repE0EEENS1_30default_config_static_selectorELNS0_4arch9wavefront6targetE0EEEvSY_.kd
    .uniform_work_group_size: 1
    .uses_dynamic_stack: false
    .vgpr_count:     0
    .vgpr_spill_count: 0
    .wavefront_size: 32
    .workgroup_processor_mode: 1
  - .args:
      - .offset:         0
        .size:           56
        .value_kind:     by_value
    .group_segment_fixed_size: 0
    .kernarg_segment_align: 8
    .kernarg_segment_size: 56
    .language:       OpenCL C
    .language_version:
      - 2
      - 0
    .max_flat_workgroup_size: 128
    .name:           _ZN7rocprim17ROCPRIM_400000_NS6detail17trampoline_kernelINS0_14default_configENS1_27upper_bound_config_selectorItlEEZNS1_14transform_implILb0ES3_S5_N6thrust23THRUST_200600_302600_NS6detail15normal_iteratorINS8_7pointerItNS8_11hip_rocprim5par_tENS8_11use_defaultESE_EEEENSA_INSB_IlSD_SE_SE_EEEEZNS1_13binary_searchIS3_S5_NSA_INS8_10device_ptrItEEEESG_SI_NS1_21upper_bound_search_opENS9_16wrapped_functionINS8_6system6detail7generic6detail18binary_search_lessEbEEEE10hipError_tPvRmT1_T2_T3_mmT4_T5_P12ihipStream_tbEUlRKtE_EESV_SZ_S10_mS11_S14_bEUlT_E_NS1_11comp_targetILNS1_3genE3ELNS1_11target_archE908ELNS1_3gpuE7ELNS1_3repE0EEENS1_30default_config_static_selectorELNS0_4arch9wavefront6targetE0EEEvSY_
    .private_segment_fixed_size: 0
    .sgpr_count:     0
    .sgpr_spill_count: 0
    .symbol:         _ZN7rocprim17ROCPRIM_400000_NS6detail17trampoline_kernelINS0_14default_configENS1_27upper_bound_config_selectorItlEEZNS1_14transform_implILb0ES3_S5_N6thrust23THRUST_200600_302600_NS6detail15normal_iteratorINS8_7pointerItNS8_11hip_rocprim5par_tENS8_11use_defaultESE_EEEENSA_INSB_IlSD_SE_SE_EEEEZNS1_13binary_searchIS3_S5_NSA_INS8_10device_ptrItEEEESG_SI_NS1_21upper_bound_search_opENS9_16wrapped_functionINS8_6system6detail7generic6detail18binary_search_lessEbEEEE10hipError_tPvRmT1_T2_T3_mmT4_T5_P12ihipStream_tbEUlRKtE_EESV_SZ_S10_mS11_S14_bEUlT_E_NS1_11comp_targetILNS1_3genE3ELNS1_11target_archE908ELNS1_3gpuE7ELNS1_3repE0EEENS1_30default_config_static_selectorELNS0_4arch9wavefront6targetE0EEEvSY_.kd
    .uniform_work_group_size: 1
    .uses_dynamic_stack: false
    .vgpr_count:     0
    .vgpr_spill_count: 0
    .wavefront_size: 32
    .workgroup_processor_mode: 1
  - .args:
      - .offset:         0
        .size:           56
        .value_kind:     by_value
    .group_segment_fixed_size: 0
    .kernarg_segment_align: 8
    .kernarg_segment_size: 56
    .language:       OpenCL C
    .language_version:
      - 2
      - 0
    .max_flat_workgroup_size: 256
    .name:           _ZN7rocprim17ROCPRIM_400000_NS6detail17trampoline_kernelINS0_14default_configENS1_27upper_bound_config_selectorItlEEZNS1_14transform_implILb0ES3_S5_N6thrust23THRUST_200600_302600_NS6detail15normal_iteratorINS8_7pointerItNS8_11hip_rocprim5par_tENS8_11use_defaultESE_EEEENSA_INSB_IlSD_SE_SE_EEEEZNS1_13binary_searchIS3_S5_NSA_INS8_10device_ptrItEEEESG_SI_NS1_21upper_bound_search_opENS9_16wrapped_functionINS8_6system6detail7generic6detail18binary_search_lessEbEEEE10hipError_tPvRmT1_T2_T3_mmT4_T5_P12ihipStream_tbEUlRKtE_EESV_SZ_S10_mS11_S14_bEUlT_E_NS1_11comp_targetILNS1_3genE2ELNS1_11target_archE906ELNS1_3gpuE6ELNS1_3repE0EEENS1_30default_config_static_selectorELNS0_4arch9wavefront6targetE0EEEvSY_
    .private_segment_fixed_size: 0
    .sgpr_count:     0
    .sgpr_spill_count: 0
    .symbol:         _ZN7rocprim17ROCPRIM_400000_NS6detail17trampoline_kernelINS0_14default_configENS1_27upper_bound_config_selectorItlEEZNS1_14transform_implILb0ES3_S5_N6thrust23THRUST_200600_302600_NS6detail15normal_iteratorINS8_7pointerItNS8_11hip_rocprim5par_tENS8_11use_defaultESE_EEEENSA_INSB_IlSD_SE_SE_EEEEZNS1_13binary_searchIS3_S5_NSA_INS8_10device_ptrItEEEESG_SI_NS1_21upper_bound_search_opENS9_16wrapped_functionINS8_6system6detail7generic6detail18binary_search_lessEbEEEE10hipError_tPvRmT1_T2_T3_mmT4_T5_P12ihipStream_tbEUlRKtE_EESV_SZ_S10_mS11_S14_bEUlT_E_NS1_11comp_targetILNS1_3genE2ELNS1_11target_archE906ELNS1_3gpuE6ELNS1_3repE0EEENS1_30default_config_static_selectorELNS0_4arch9wavefront6targetE0EEEvSY_.kd
    .uniform_work_group_size: 1
    .uses_dynamic_stack: false
    .vgpr_count:     0
    .vgpr_spill_count: 0
    .wavefront_size: 32
    .workgroup_processor_mode: 1
  - .args:
      - .offset:         0
        .size:           56
        .value_kind:     by_value
    .group_segment_fixed_size: 0
    .kernarg_segment_align: 8
    .kernarg_segment_size: 56
    .language:       OpenCL C
    .language_version:
      - 2
      - 0
    .max_flat_workgroup_size: 256
    .name:           _ZN7rocprim17ROCPRIM_400000_NS6detail17trampoline_kernelINS0_14default_configENS1_27upper_bound_config_selectorItlEEZNS1_14transform_implILb0ES3_S5_N6thrust23THRUST_200600_302600_NS6detail15normal_iteratorINS8_7pointerItNS8_11hip_rocprim5par_tENS8_11use_defaultESE_EEEENSA_INSB_IlSD_SE_SE_EEEEZNS1_13binary_searchIS3_S5_NSA_INS8_10device_ptrItEEEESG_SI_NS1_21upper_bound_search_opENS9_16wrapped_functionINS8_6system6detail7generic6detail18binary_search_lessEbEEEE10hipError_tPvRmT1_T2_T3_mmT4_T5_P12ihipStream_tbEUlRKtE_EESV_SZ_S10_mS11_S14_bEUlT_E_NS1_11comp_targetILNS1_3genE10ELNS1_11target_archE1201ELNS1_3gpuE5ELNS1_3repE0EEENS1_30default_config_static_selectorELNS0_4arch9wavefront6targetE0EEEvSY_
    .private_segment_fixed_size: 0
    .sgpr_count:     0
    .sgpr_spill_count: 0
    .symbol:         _ZN7rocprim17ROCPRIM_400000_NS6detail17trampoline_kernelINS0_14default_configENS1_27upper_bound_config_selectorItlEEZNS1_14transform_implILb0ES3_S5_N6thrust23THRUST_200600_302600_NS6detail15normal_iteratorINS8_7pointerItNS8_11hip_rocprim5par_tENS8_11use_defaultESE_EEEENSA_INSB_IlSD_SE_SE_EEEEZNS1_13binary_searchIS3_S5_NSA_INS8_10device_ptrItEEEESG_SI_NS1_21upper_bound_search_opENS9_16wrapped_functionINS8_6system6detail7generic6detail18binary_search_lessEbEEEE10hipError_tPvRmT1_T2_T3_mmT4_T5_P12ihipStream_tbEUlRKtE_EESV_SZ_S10_mS11_S14_bEUlT_E_NS1_11comp_targetILNS1_3genE10ELNS1_11target_archE1201ELNS1_3gpuE5ELNS1_3repE0EEENS1_30default_config_static_selectorELNS0_4arch9wavefront6targetE0EEEvSY_.kd
    .uniform_work_group_size: 1
    .uses_dynamic_stack: false
    .vgpr_count:     0
    .vgpr_spill_count: 0
    .wavefront_size: 32
    .workgroup_processor_mode: 1
  - .args:
      - .offset:         0
        .size:           56
        .value_kind:     by_value
    .group_segment_fixed_size: 0
    .kernarg_segment_align: 8
    .kernarg_segment_size: 56
    .language:       OpenCL C
    .language_version:
      - 2
      - 0
    .max_flat_workgroup_size: 256
    .name:           _ZN7rocprim17ROCPRIM_400000_NS6detail17trampoline_kernelINS0_14default_configENS1_27upper_bound_config_selectorItlEEZNS1_14transform_implILb0ES3_S5_N6thrust23THRUST_200600_302600_NS6detail15normal_iteratorINS8_7pointerItNS8_11hip_rocprim5par_tENS8_11use_defaultESE_EEEENSA_INSB_IlSD_SE_SE_EEEEZNS1_13binary_searchIS3_S5_NSA_INS8_10device_ptrItEEEESG_SI_NS1_21upper_bound_search_opENS9_16wrapped_functionINS8_6system6detail7generic6detail18binary_search_lessEbEEEE10hipError_tPvRmT1_T2_T3_mmT4_T5_P12ihipStream_tbEUlRKtE_EESV_SZ_S10_mS11_S14_bEUlT_E_NS1_11comp_targetILNS1_3genE10ELNS1_11target_archE1200ELNS1_3gpuE4ELNS1_3repE0EEENS1_30default_config_static_selectorELNS0_4arch9wavefront6targetE0EEEvSY_
    .private_segment_fixed_size: 0
    .sgpr_count:     0
    .sgpr_spill_count: 0
    .symbol:         _ZN7rocprim17ROCPRIM_400000_NS6detail17trampoline_kernelINS0_14default_configENS1_27upper_bound_config_selectorItlEEZNS1_14transform_implILb0ES3_S5_N6thrust23THRUST_200600_302600_NS6detail15normal_iteratorINS8_7pointerItNS8_11hip_rocprim5par_tENS8_11use_defaultESE_EEEENSA_INSB_IlSD_SE_SE_EEEEZNS1_13binary_searchIS3_S5_NSA_INS8_10device_ptrItEEEESG_SI_NS1_21upper_bound_search_opENS9_16wrapped_functionINS8_6system6detail7generic6detail18binary_search_lessEbEEEE10hipError_tPvRmT1_T2_T3_mmT4_T5_P12ihipStream_tbEUlRKtE_EESV_SZ_S10_mS11_S14_bEUlT_E_NS1_11comp_targetILNS1_3genE10ELNS1_11target_archE1200ELNS1_3gpuE4ELNS1_3repE0EEENS1_30default_config_static_selectorELNS0_4arch9wavefront6targetE0EEEvSY_.kd
    .uniform_work_group_size: 1
    .uses_dynamic_stack: false
    .vgpr_count:     0
    .vgpr_spill_count: 0
    .wavefront_size: 32
    .workgroup_processor_mode: 1
  - .args:
      - .offset:         0
        .size:           56
        .value_kind:     by_value
    .group_segment_fixed_size: 0
    .kernarg_segment_align: 8
    .kernarg_segment_size: 56
    .language:       OpenCL C
    .language_version:
      - 2
      - 0
    .max_flat_workgroup_size: 64
    .name:           _ZN7rocprim17ROCPRIM_400000_NS6detail17trampoline_kernelINS0_14default_configENS1_27upper_bound_config_selectorItlEEZNS1_14transform_implILb0ES3_S5_N6thrust23THRUST_200600_302600_NS6detail15normal_iteratorINS8_7pointerItNS8_11hip_rocprim5par_tENS8_11use_defaultESE_EEEENSA_INSB_IlSD_SE_SE_EEEEZNS1_13binary_searchIS3_S5_NSA_INS8_10device_ptrItEEEESG_SI_NS1_21upper_bound_search_opENS9_16wrapped_functionINS8_6system6detail7generic6detail18binary_search_lessEbEEEE10hipError_tPvRmT1_T2_T3_mmT4_T5_P12ihipStream_tbEUlRKtE_EESV_SZ_S10_mS11_S14_bEUlT_E_NS1_11comp_targetILNS1_3genE9ELNS1_11target_archE1100ELNS1_3gpuE3ELNS1_3repE0EEENS1_30default_config_static_selectorELNS0_4arch9wavefront6targetE0EEEvSY_
    .private_segment_fixed_size: 0
    .sgpr_count:     0
    .sgpr_spill_count: 0
    .symbol:         _ZN7rocprim17ROCPRIM_400000_NS6detail17trampoline_kernelINS0_14default_configENS1_27upper_bound_config_selectorItlEEZNS1_14transform_implILb0ES3_S5_N6thrust23THRUST_200600_302600_NS6detail15normal_iteratorINS8_7pointerItNS8_11hip_rocprim5par_tENS8_11use_defaultESE_EEEENSA_INSB_IlSD_SE_SE_EEEEZNS1_13binary_searchIS3_S5_NSA_INS8_10device_ptrItEEEESG_SI_NS1_21upper_bound_search_opENS9_16wrapped_functionINS8_6system6detail7generic6detail18binary_search_lessEbEEEE10hipError_tPvRmT1_T2_T3_mmT4_T5_P12ihipStream_tbEUlRKtE_EESV_SZ_S10_mS11_S14_bEUlT_E_NS1_11comp_targetILNS1_3genE9ELNS1_11target_archE1100ELNS1_3gpuE3ELNS1_3repE0EEENS1_30default_config_static_selectorELNS0_4arch9wavefront6targetE0EEEvSY_.kd
    .uniform_work_group_size: 1
    .uses_dynamic_stack: false
    .vgpr_count:     0
    .vgpr_spill_count: 0
    .wavefront_size: 32
    .workgroup_processor_mode: 1
  - .args:
      - .offset:         0
        .size:           56
        .value_kind:     by_value
      - .offset:         56
        .size:           4
        .value_kind:     hidden_block_count_x
      - .offset:         60
        .size:           4
        .value_kind:     hidden_block_count_y
      - .offset:         64
        .size:           4
        .value_kind:     hidden_block_count_z
      - .offset:         68
        .size:           2
        .value_kind:     hidden_group_size_x
      - .offset:         70
        .size:           2
        .value_kind:     hidden_group_size_y
      - .offset:         72
        .size:           2
        .value_kind:     hidden_group_size_z
      - .offset:         74
        .size:           2
        .value_kind:     hidden_remainder_x
      - .offset:         76
        .size:           2
        .value_kind:     hidden_remainder_y
      - .offset:         78
        .size:           2
        .value_kind:     hidden_remainder_z
      - .offset:         96
        .size:           8
        .value_kind:     hidden_global_offset_x
      - .offset:         104
        .size:           8
        .value_kind:     hidden_global_offset_y
      - .offset:         112
        .size:           8
        .value_kind:     hidden_global_offset_z
      - .offset:         120
        .size:           2
        .value_kind:     hidden_grid_dims
    .group_segment_fixed_size: 0
    .kernarg_segment_align: 8
    .kernarg_segment_size: 312
    .language:       OpenCL C
    .language_version:
      - 2
      - 0
    .max_flat_workgroup_size: 128
    .name:           _ZN7rocprim17ROCPRIM_400000_NS6detail17trampoline_kernelINS0_14default_configENS1_27upper_bound_config_selectorItlEEZNS1_14transform_implILb0ES3_S5_N6thrust23THRUST_200600_302600_NS6detail15normal_iteratorINS8_7pointerItNS8_11hip_rocprim5par_tENS8_11use_defaultESE_EEEENSA_INSB_IlSD_SE_SE_EEEEZNS1_13binary_searchIS3_S5_NSA_INS8_10device_ptrItEEEESG_SI_NS1_21upper_bound_search_opENS9_16wrapped_functionINS8_6system6detail7generic6detail18binary_search_lessEbEEEE10hipError_tPvRmT1_T2_T3_mmT4_T5_P12ihipStream_tbEUlRKtE_EESV_SZ_S10_mS11_S14_bEUlT_E_NS1_11comp_targetILNS1_3genE8ELNS1_11target_archE1030ELNS1_3gpuE2ELNS1_3repE0EEENS1_30default_config_static_selectorELNS0_4arch9wavefront6targetE0EEEvSY_
    .private_segment_fixed_size: 0
    .sgpr_count:     22
    .sgpr_spill_count: 0
    .symbol:         _ZN7rocprim17ROCPRIM_400000_NS6detail17trampoline_kernelINS0_14default_configENS1_27upper_bound_config_selectorItlEEZNS1_14transform_implILb0ES3_S5_N6thrust23THRUST_200600_302600_NS6detail15normal_iteratorINS8_7pointerItNS8_11hip_rocprim5par_tENS8_11use_defaultESE_EEEENSA_INSB_IlSD_SE_SE_EEEEZNS1_13binary_searchIS3_S5_NSA_INS8_10device_ptrItEEEESG_SI_NS1_21upper_bound_search_opENS9_16wrapped_functionINS8_6system6detail7generic6detail18binary_search_lessEbEEEE10hipError_tPvRmT1_T2_T3_mmT4_T5_P12ihipStream_tbEUlRKtE_EESV_SZ_S10_mS11_S14_bEUlT_E_NS1_11comp_targetILNS1_3genE8ELNS1_11target_archE1030ELNS1_3gpuE2ELNS1_3repE0EEENS1_30default_config_static_selectorELNS0_4arch9wavefront6targetE0EEEvSY_.kd
    .uniform_work_group_size: 1
    .uses_dynamic_stack: false
    .vgpr_count:     17
    .vgpr_spill_count: 0
    .wavefront_size: 32
    .workgroup_processor_mode: 1
  - .args:
      - .offset:         0
        .size:           56
        .value_kind:     by_value
    .group_segment_fixed_size: 0
    .kernarg_segment_align: 8
    .kernarg_segment_size: 56
    .language:       OpenCL C
    .language_version:
      - 2
      - 0
    .max_flat_workgroup_size: 128
    .name:           _ZN7rocprim17ROCPRIM_400000_NS6detail17trampoline_kernelINS0_14default_configENS1_27upper_bound_config_selectorIxlEEZNS1_14transform_implILb0ES3_S5_N6thrust23THRUST_200600_302600_NS6detail15normal_iteratorINS8_7pointerIxNS8_11hip_rocprim5par_tENS8_11use_defaultESE_EEEENSA_INSB_IlSD_SE_SE_EEEEZNS1_13binary_searchIS3_S5_NSA_INS8_10device_ptrIxEEEESG_SI_NS1_21upper_bound_search_opENS9_16wrapped_functionINS8_6system6detail7generic6detail18binary_search_lessEbEEEE10hipError_tPvRmT1_T2_T3_mmT4_T5_P12ihipStream_tbEUlRKxE_EESV_SZ_S10_mS11_S14_bEUlT_E_NS1_11comp_targetILNS1_3genE0ELNS1_11target_archE4294967295ELNS1_3gpuE0ELNS1_3repE0EEENS1_30default_config_static_selectorELNS0_4arch9wavefront6targetE0EEEvSY_
    .private_segment_fixed_size: 0
    .sgpr_count:     0
    .sgpr_spill_count: 0
    .symbol:         _ZN7rocprim17ROCPRIM_400000_NS6detail17trampoline_kernelINS0_14default_configENS1_27upper_bound_config_selectorIxlEEZNS1_14transform_implILb0ES3_S5_N6thrust23THRUST_200600_302600_NS6detail15normal_iteratorINS8_7pointerIxNS8_11hip_rocprim5par_tENS8_11use_defaultESE_EEEENSA_INSB_IlSD_SE_SE_EEEEZNS1_13binary_searchIS3_S5_NSA_INS8_10device_ptrIxEEEESG_SI_NS1_21upper_bound_search_opENS9_16wrapped_functionINS8_6system6detail7generic6detail18binary_search_lessEbEEEE10hipError_tPvRmT1_T2_T3_mmT4_T5_P12ihipStream_tbEUlRKxE_EESV_SZ_S10_mS11_S14_bEUlT_E_NS1_11comp_targetILNS1_3genE0ELNS1_11target_archE4294967295ELNS1_3gpuE0ELNS1_3repE0EEENS1_30default_config_static_selectorELNS0_4arch9wavefront6targetE0EEEvSY_.kd
    .uniform_work_group_size: 1
    .uses_dynamic_stack: false
    .vgpr_count:     0
    .vgpr_spill_count: 0
    .wavefront_size: 32
    .workgroup_processor_mode: 1
  - .args:
      - .offset:         0
        .size:           56
        .value_kind:     by_value
    .group_segment_fixed_size: 0
    .kernarg_segment_align: 8
    .kernarg_segment_size: 56
    .language:       OpenCL C
    .language_version:
      - 2
      - 0
    .max_flat_workgroup_size: 64
    .name:           _ZN7rocprim17ROCPRIM_400000_NS6detail17trampoline_kernelINS0_14default_configENS1_27upper_bound_config_selectorIxlEEZNS1_14transform_implILb0ES3_S5_N6thrust23THRUST_200600_302600_NS6detail15normal_iteratorINS8_7pointerIxNS8_11hip_rocprim5par_tENS8_11use_defaultESE_EEEENSA_INSB_IlSD_SE_SE_EEEEZNS1_13binary_searchIS3_S5_NSA_INS8_10device_ptrIxEEEESG_SI_NS1_21upper_bound_search_opENS9_16wrapped_functionINS8_6system6detail7generic6detail18binary_search_lessEbEEEE10hipError_tPvRmT1_T2_T3_mmT4_T5_P12ihipStream_tbEUlRKxE_EESV_SZ_S10_mS11_S14_bEUlT_E_NS1_11comp_targetILNS1_3genE5ELNS1_11target_archE942ELNS1_3gpuE9ELNS1_3repE0EEENS1_30default_config_static_selectorELNS0_4arch9wavefront6targetE0EEEvSY_
    .private_segment_fixed_size: 0
    .sgpr_count:     0
    .sgpr_spill_count: 0
    .symbol:         _ZN7rocprim17ROCPRIM_400000_NS6detail17trampoline_kernelINS0_14default_configENS1_27upper_bound_config_selectorIxlEEZNS1_14transform_implILb0ES3_S5_N6thrust23THRUST_200600_302600_NS6detail15normal_iteratorINS8_7pointerIxNS8_11hip_rocprim5par_tENS8_11use_defaultESE_EEEENSA_INSB_IlSD_SE_SE_EEEEZNS1_13binary_searchIS3_S5_NSA_INS8_10device_ptrIxEEEESG_SI_NS1_21upper_bound_search_opENS9_16wrapped_functionINS8_6system6detail7generic6detail18binary_search_lessEbEEEE10hipError_tPvRmT1_T2_T3_mmT4_T5_P12ihipStream_tbEUlRKxE_EESV_SZ_S10_mS11_S14_bEUlT_E_NS1_11comp_targetILNS1_3genE5ELNS1_11target_archE942ELNS1_3gpuE9ELNS1_3repE0EEENS1_30default_config_static_selectorELNS0_4arch9wavefront6targetE0EEEvSY_.kd
    .uniform_work_group_size: 1
    .uses_dynamic_stack: false
    .vgpr_count:     0
    .vgpr_spill_count: 0
    .wavefront_size: 32
    .workgroup_processor_mode: 1
  - .args:
      - .offset:         0
        .size:           56
        .value_kind:     by_value
    .group_segment_fixed_size: 0
    .kernarg_segment_align: 8
    .kernarg_segment_size: 56
    .language:       OpenCL C
    .language_version:
      - 2
      - 0
    .max_flat_workgroup_size: 64
    .name:           _ZN7rocprim17ROCPRIM_400000_NS6detail17trampoline_kernelINS0_14default_configENS1_27upper_bound_config_selectorIxlEEZNS1_14transform_implILb0ES3_S5_N6thrust23THRUST_200600_302600_NS6detail15normal_iteratorINS8_7pointerIxNS8_11hip_rocprim5par_tENS8_11use_defaultESE_EEEENSA_INSB_IlSD_SE_SE_EEEEZNS1_13binary_searchIS3_S5_NSA_INS8_10device_ptrIxEEEESG_SI_NS1_21upper_bound_search_opENS9_16wrapped_functionINS8_6system6detail7generic6detail18binary_search_lessEbEEEE10hipError_tPvRmT1_T2_T3_mmT4_T5_P12ihipStream_tbEUlRKxE_EESV_SZ_S10_mS11_S14_bEUlT_E_NS1_11comp_targetILNS1_3genE4ELNS1_11target_archE910ELNS1_3gpuE8ELNS1_3repE0EEENS1_30default_config_static_selectorELNS0_4arch9wavefront6targetE0EEEvSY_
    .private_segment_fixed_size: 0
    .sgpr_count:     0
    .sgpr_spill_count: 0
    .symbol:         _ZN7rocprim17ROCPRIM_400000_NS6detail17trampoline_kernelINS0_14default_configENS1_27upper_bound_config_selectorIxlEEZNS1_14transform_implILb0ES3_S5_N6thrust23THRUST_200600_302600_NS6detail15normal_iteratorINS8_7pointerIxNS8_11hip_rocprim5par_tENS8_11use_defaultESE_EEEENSA_INSB_IlSD_SE_SE_EEEEZNS1_13binary_searchIS3_S5_NSA_INS8_10device_ptrIxEEEESG_SI_NS1_21upper_bound_search_opENS9_16wrapped_functionINS8_6system6detail7generic6detail18binary_search_lessEbEEEE10hipError_tPvRmT1_T2_T3_mmT4_T5_P12ihipStream_tbEUlRKxE_EESV_SZ_S10_mS11_S14_bEUlT_E_NS1_11comp_targetILNS1_3genE4ELNS1_11target_archE910ELNS1_3gpuE8ELNS1_3repE0EEENS1_30default_config_static_selectorELNS0_4arch9wavefront6targetE0EEEvSY_.kd
    .uniform_work_group_size: 1
    .uses_dynamic_stack: false
    .vgpr_count:     0
    .vgpr_spill_count: 0
    .wavefront_size: 32
    .workgroup_processor_mode: 1
  - .args:
      - .offset:         0
        .size:           56
        .value_kind:     by_value
    .group_segment_fixed_size: 0
    .kernarg_segment_align: 8
    .kernarg_segment_size: 56
    .language:       OpenCL C
    .language_version:
      - 2
      - 0
    .max_flat_workgroup_size: 128
    .name:           _ZN7rocprim17ROCPRIM_400000_NS6detail17trampoline_kernelINS0_14default_configENS1_27upper_bound_config_selectorIxlEEZNS1_14transform_implILb0ES3_S5_N6thrust23THRUST_200600_302600_NS6detail15normal_iteratorINS8_7pointerIxNS8_11hip_rocprim5par_tENS8_11use_defaultESE_EEEENSA_INSB_IlSD_SE_SE_EEEEZNS1_13binary_searchIS3_S5_NSA_INS8_10device_ptrIxEEEESG_SI_NS1_21upper_bound_search_opENS9_16wrapped_functionINS8_6system6detail7generic6detail18binary_search_lessEbEEEE10hipError_tPvRmT1_T2_T3_mmT4_T5_P12ihipStream_tbEUlRKxE_EESV_SZ_S10_mS11_S14_bEUlT_E_NS1_11comp_targetILNS1_3genE3ELNS1_11target_archE908ELNS1_3gpuE7ELNS1_3repE0EEENS1_30default_config_static_selectorELNS0_4arch9wavefront6targetE0EEEvSY_
    .private_segment_fixed_size: 0
    .sgpr_count:     0
    .sgpr_spill_count: 0
    .symbol:         _ZN7rocprim17ROCPRIM_400000_NS6detail17trampoline_kernelINS0_14default_configENS1_27upper_bound_config_selectorIxlEEZNS1_14transform_implILb0ES3_S5_N6thrust23THRUST_200600_302600_NS6detail15normal_iteratorINS8_7pointerIxNS8_11hip_rocprim5par_tENS8_11use_defaultESE_EEEENSA_INSB_IlSD_SE_SE_EEEEZNS1_13binary_searchIS3_S5_NSA_INS8_10device_ptrIxEEEESG_SI_NS1_21upper_bound_search_opENS9_16wrapped_functionINS8_6system6detail7generic6detail18binary_search_lessEbEEEE10hipError_tPvRmT1_T2_T3_mmT4_T5_P12ihipStream_tbEUlRKxE_EESV_SZ_S10_mS11_S14_bEUlT_E_NS1_11comp_targetILNS1_3genE3ELNS1_11target_archE908ELNS1_3gpuE7ELNS1_3repE0EEENS1_30default_config_static_selectorELNS0_4arch9wavefront6targetE0EEEvSY_.kd
    .uniform_work_group_size: 1
    .uses_dynamic_stack: false
    .vgpr_count:     0
    .vgpr_spill_count: 0
    .wavefront_size: 32
    .workgroup_processor_mode: 1
  - .args:
      - .offset:         0
        .size:           56
        .value_kind:     by_value
    .group_segment_fixed_size: 0
    .kernarg_segment_align: 8
    .kernarg_segment_size: 56
    .language:       OpenCL C
    .language_version:
      - 2
      - 0
    .max_flat_workgroup_size: 256
    .name:           _ZN7rocprim17ROCPRIM_400000_NS6detail17trampoline_kernelINS0_14default_configENS1_27upper_bound_config_selectorIxlEEZNS1_14transform_implILb0ES3_S5_N6thrust23THRUST_200600_302600_NS6detail15normal_iteratorINS8_7pointerIxNS8_11hip_rocprim5par_tENS8_11use_defaultESE_EEEENSA_INSB_IlSD_SE_SE_EEEEZNS1_13binary_searchIS3_S5_NSA_INS8_10device_ptrIxEEEESG_SI_NS1_21upper_bound_search_opENS9_16wrapped_functionINS8_6system6detail7generic6detail18binary_search_lessEbEEEE10hipError_tPvRmT1_T2_T3_mmT4_T5_P12ihipStream_tbEUlRKxE_EESV_SZ_S10_mS11_S14_bEUlT_E_NS1_11comp_targetILNS1_3genE2ELNS1_11target_archE906ELNS1_3gpuE6ELNS1_3repE0EEENS1_30default_config_static_selectorELNS0_4arch9wavefront6targetE0EEEvSY_
    .private_segment_fixed_size: 0
    .sgpr_count:     0
    .sgpr_spill_count: 0
    .symbol:         _ZN7rocprim17ROCPRIM_400000_NS6detail17trampoline_kernelINS0_14default_configENS1_27upper_bound_config_selectorIxlEEZNS1_14transform_implILb0ES3_S5_N6thrust23THRUST_200600_302600_NS6detail15normal_iteratorINS8_7pointerIxNS8_11hip_rocprim5par_tENS8_11use_defaultESE_EEEENSA_INSB_IlSD_SE_SE_EEEEZNS1_13binary_searchIS3_S5_NSA_INS8_10device_ptrIxEEEESG_SI_NS1_21upper_bound_search_opENS9_16wrapped_functionINS8_6system6detail7generic6detail18binary_search_lessEbEEEE10hipError_tPvRmT1_T2_T3_mmT4_T5_P12ihipStream_tbEUlRKxE_EESV_SZ_S10_mS11_S14_bEUlT_E_NS1_11comp_targetILNS1_3genE2ELNS1_11target_archE906ELNS1_3gpuE6ELNS1_3repE0EEENS1_30default_config_static_selectorELNS0_4arch9wavefront6targetE0EEEvSY_.kd
    .uniform_work_group_size: 1
    .uses_dynamic_stack: false
    .vgpr_count:     0
    .vgpr_spill_count: 0
    .wavefront_size: 32
    .workgroup_processor_mode: 1
  - .args:
      - .offset:         0
        .size:           56
        .value_kind:     by_value
    .group_segment_fixed_size: 0
    .kernarg_segment_align: 8
    .kernarg_segment_size: 56
    .language:       OpenCL C
    .language_version:
      - 2
      - 0
    .max_flat_workgroup_size: 128
    .name:           _ZN7rocprim17ROCPRIM_400000_NS6detail17trampoline_kernelINS0_14default_configENS1_27upper_bound_config_selectorIxlEEZNS1_14transform_implILb0ES3_S5_N6thrust23THRUST_200600_302600_NS6detail15normal_iteratorINS8_7pointerIxNS8_11hip_rocprim5par_tENS8_11use_defaultESE_EEEENSA_INSB_IlSD_SE_SE_EEEEZNS1_13binary_searchIS3_S5_NSA_INS8_10device_ptrIxEEEESG_SI_NS1_21upper_bound_search_opENS9_16wrapped_functionINS8_6system6detail7generic6detail18binary_search_lessEbEEEE10hipError_tPvRmT1_T2_T3_mmT4_T5_P12ihipStream_tbEUlRKxE_EESV_SZ_S10_mS11_S14_bEUlT_E_NS1_11comp_targetILNS1_3genE10ELNS1_11target_archE1201ELNS1_3gpuE5ELNS1_3repE0EEENS1_30default_config_static_selectorELNS0_4arch9wavefront6targetE0EEEvSY_
    .private_segment_fixed_size: 0
    .sgpr_count:     0
    .sgpr_spill_count: 0
    .symbol:         _ZN7rocprim17ROCPRIM_400000_NS6detail17trampoline_kernelINS0_14default_configENS1_27upper_bound_config_selectorIxlEEZNS1_14transform_implILb0ES3_S5_N6thrust23THRUST_200600_302600_NS6detail15normal_iteratorINS8_7pointerIxNS8_11hip_rocprim5par_tENS8_11use_defaultESE_EEEENSA_INSB_IlSD_SE_SE_EEEEZNS1_13binary_searchIS3_S5_NSA_INS8_10device_ptrIxEEEESG_SI_NS1_21upper_bound_search_opENS9_16wrapped_functionINS8_6system6detail7generic6detail18binary_search_lessEbEEEE10hipError_tPvRmT1_T2_T3_mmT4_T5_P12ihipStream_tbEUlRKxE_EESV_SZ_S10_mS11_S14_bEUlT_E_NS1_11comp_targetILNS1_3genE10ELNS1_11target_archE1201ELNS1_3gpuE5ELNS1_3repE0EEENS1_30default_config_static_selectorELNS0_4arch9wavefront6targetE0EEEvSY_.kd
    .uniform_work_group_size: 1
    .uses_dynamic_stack: false
    .vgpr_count:     0
    .vgpr_spill_count: 0
    .wavefront_size: 32
    .workgroup_processor_mode: 1
  - .args:
      - .offset:         0
        .size:           56
        .value_kind:     by_value
    .group_segment_fixed_size: 0
    .kernarg_segment_align: 8
    .kernarg_segment_size: 56
    .language:       OpenCL C
    .language_version:
      - 2
      - 0
    .max_flat_workgroup_size: 128
    .name:           _ZN7rocprim17ROCPRIM_400000_NS6detail17trampoline_kernelINS0_14default_configENS1_27upper_bound_config_selectorIxlEEZNS1_14transform_implILb0ES3_S5_N6thrust23THRUST_200600_302600_NS6detail15normal_iteratorINS8_7pointerIxNS8_11hip_rocprim5par_tENS8_11use_defaultESE_EEEENSA_INSB_IlSD_SE_SE_EEEEZNS1_13binary_searchIS3_S5_NSA_INS8_10device_ptrIxEEEESG_SI_NS1_21upper_bound_search_opENS9_16wrapped_functionINS8_6system6detail7generic6detail18binary_search_lessEbEEEE10hipError_tPvRmT1_T2_T3_mmT4_T5_P12ihipStream_tbEUlRKxE_EESV_SZ_S10_mS11_S14_bEUlT_E_NS1_11comp_targetILNS1_3genE10ELNS1_11target_archE1200ELNS1_3gpuE4ELNS1_3repE0EEENS1_30default_config_static_selectorELNS0_4arch9wavefront6targetE0EEEvSY_
    .private_segment_fixed_size: 0
    .sgpr_count:     0
    .sgpr_spill_count: 0
    .symbol:         _ZN7rocprim17ROCPRIM_400000_NS6detail17trampoline_kernelINS0_14default_configENS1_27upper_bound_config_selectorIxlEEZNS1_14transform_implILb0ES3_S5_N6thrust23THRUST_200600_302600_NS6detail15normal_iteratorINS8_7pointerIxNS8_11hip_rocprim5par_tENS8_11use_defaultESE_EEEENSA_INSB_IlSD_SE_SE_EEEEZNS1_13binary_searchIS3_S5_NSA_INS8_10device_ptrIxEEEESG_SI_NS1_21upper_bound_search_opENS9_16wrapped_functionINS8_6system6detail7generic6detail18binary_search_lessEbEEEE10hipError_tPvRmT1_T2_T3_mmT4_T5_P12ihipStream_tbEUlRKxE_EESV_SZ_S10_mS11_S14_bEUlT_E_NS1_11comp_targetILNS1_3genE10ELNS1_11target_archE1200ELNS1_3gpuE4ELNS1_3repE0EEENS1_30default_config_static_selectorELNS0_4arch9wavefront6targetE0EEEvSY_.kd
    .uniform_work_group_size: 1
    .uses_dynamic_stack: false
    .vgpr_count:     0
    .vgpr_spill_count: 0
    .wavefront_size: 32
    .workgroup_processor_mode: 1
  - .args:
      - .offset:         0
        .size:           56
        .value_kind:     by_value
    .group_segment_fixed_size: 0
    .kernarg_segment_align: 8
    .kernarg_segment_size: 56
    .language:       OpenCL C
    .language_version:
      - 2
      - 0
    .max_flat_workgroup_size: 256
    .name:           _ZN7rocprim17ROCPRIM_400000_NS6detail17trampoline_kernelINS0_14default_configENS1_27upper_bound_config_selectorIxlEEZNS1_14transform_implILb0ES3_S5_N6thrust23THRUST_200600_302600_NS6detail15normal_iteratorINS8_7pointerIxNS8_11hip_rocprim5par_tENS8_11use_defaultESE_EEEENSA_INSB_IlSD_SE_SE_EEEEZNS1_13binary_searchIS3_S5_NSA_INS8_10device_ptrIxEEEESG_SI_NS1_21upper_bound_search_opENS9_16wrapped_functionINS8_6system6detail7generic6detail18binary_search_lessEbEEEE10hipError_tPvRmT1_T2_T3_mmT4_T5_P12ihipStream_tbEUlRKxE_EESV_SZ_S10_mS11_S14_bEUlT_E_NS1_11comp_targetILNS1_3genE9ELNS1_11target_archE1100ELNS1_3gpuE3ELNS1_3repE0EEENS1_30default_config_static_selectorELNS0_4arch9wavefront6targetE0EEEvSY_
    .private_segment_fixed_size: 0
    .sgpr_count:     0
    .sgpr_spill_count: 0
    .symbol:         _ZN7rocprim17ROCPRIM_400000_NS6detail17trampoline_kernelINS0_14default_configENS1_27upper_bound_config_selectorIxlEEZNS1_14transform_implILb0ES3_S5_N6thrust23THRUST_200600_302600_NS6detail15normal_iteratorINS8_7pointerIxNS8_11hip_rocprim5par_tENS8_11use_defaultESE_EEEENSA_INSB_IlSD_SE_SE_EEEEZNS1_13binary_searchIS3_S5_NSA_INS8_10device_ptrIxEEEESG_SI_NS1_21upper_bound_search_opENS9_16wrapped_functionINS8_6system6detail7generic6detail18binary_search_lessEbEEEE10hipError_tPvRmT1_T2_T3_mmT4_T5_P12ihipStream_tbEUlRKxE_EESV_SZ_S10_mS11_S14_bEUlT_E_NS1_11comp_targetILNS1_3genE9ELNS1_11target_archE1100ELNS1_3gpuE3ELNS1_3repE0EEENS1_30default_config_static_selectorELNS0_4arch9wavefront6targetE0EEEvSY_.kd
    .uniform_work_group_size: 1
    .uses_dynamic_stack: false
    .vgpr_count:     0
    .vgpr_spill_count: 0
    .wavefront_size: 32
    .workgroup_processor_mode: 1
  - .args:
      - .offset:         0
        .size:           56
        .value_kind:     by_value
      - .offset:         56
        .size:           4
        .value_kind:     hidden_block_count_x
      - .offset:         60
        .size:           4
        .value_kind:     hidden_block_count_y
      - .offset:         64
        .size:           4
        .value_kind:     hidden_block_count_z
      - .offset:         68
        .size:           2
        .value_kind:     hidden_group_size_x
      - .offset:         70
        .size:           2
        .value_kind:     hidden_group_size_y
      - .offset:         72
        .size:           2
        .value_kind:     hidden_group_size_z
      - .offset:         74
        .size:           2
        .value_kind:     hidden_remainder_x
      - .offset:         76
        .size:           2
        .value_kind:     hidden_remainder_y
      - .offset:         78
        .size:           2
        .value_kind:     hidden_remainder_z
      - .offset:         96
        .size:           8
        .value_kind:     hidden_global_offset_x
      - .offset:         104
        .size:           8
        .value_kind:     hidden_global_offset_y
      - .offset:         112
        .size:           8
        .value_kind:     hidden_global_offset_z
      - .offset:         120
        .size:           2
        .value_kind:     hidden_grid_dims
    .group_segment_fixed_size: 0
    .kernarg_segment_align: 8
    .kernarg_segment_size: 312
    .language:       OpenCL C
    .language_version:
      - 2
      - 0
    .max_flat_workgroup_size: 256
    .name:           _ZN7rocprim17ROCPRIM_400000_NS6detail17trampoline_kernelINS0_14default_configENS1_27upper_bound_config_selectorIxlEEZNS1_14transform_implILb0ES3_S5_N6thrust23THRUST_200600_302600_NS6detail15normal_iteratorINS8_7pointerIxNS8_11hip_rocprim5par_tENS8_11use_defaultESE_EEEENSA_INSB_IlSD_SE_SE_EEEEZNS1_13binary_searchIS3_S5_NSA_INS8_10device_ptrIxEEEESG_SI_NS1_21upper_bound_search_opENS9_16wrapped_functionINS8_6system6detail7generic6detail18binary_search_lessEbEEEE10hipError_tPvRmT1_T2_T3_mmT4_T5_P12ihipStream_tbEUlRKxE_EESV_SZ_S10_mS11_S14_bEUlT_E_NS1_11comp_targetILNS1_3genE8ELNS1_11target_archE1030ELNS1_3gpuE2ELNS1_3repE0EEENS1_30default_config_static_selectorELNS0_4arch9wavefront6targetE0EEEvSY_
    .private_segment_fixed_size: 0
    .sgpr_count:     22
    .sgpr_spill_count: 0
    .symbol:         _ZN7rocprim17ROCPRIM_400000_NS6detail17trampoline_kernelINS0_14default_configENS1_27upper_bound_config_selectorIxlEEZNS1_14transform_implILb0ES3_S5_N6thrust23THRUST_200600_302600_NS6detail15normal_iteratorINS8_7pointerIxNS8_11hip_rocprim5par_tENS8_11use_defaultESE_EEEENSA_INSB_IlSD_SE_SE_EEEEZNS1_13binary_searchIS3_S5_NSA_INS8_10device_ptrIxEEEESG_SI_NS1_21upper_bound_search_opENS9_16wrapped_functionINS8_6system6detail7generic6detail18binary_search_lessEbEEEE10hipError_tPvRmT1_T2_T3_mmT4_T5_P12ihipStream_tbEUlRKxE_EESV_SZ_S10_mS11_S14_bEUlT_E_NS1_11comp_targetILNS1_3genE8ELNS1_11target_archE1030ELNS1_3gpuE2ELNS1_3repE0EEENS1_30default_config_static_selectorELNS0_4arch9wavefront6targetE0EEEvSY_.kd
    .uniform_work_group_size: 1
    .uses_dynamic_stack: false
    .vgpr_count:     12
    .vgpr_spill_count: 0
    .wavefront_size: 32
    .workgroup_processor_mode: 1
  - .args:
      - .offset:         0
        .size:           56
        .value_kind:     by_value
    .group_segment_fixed_size: 0
    .kernarg_segment_align: 8
    .kernarg_segment_size: 56
    .language:       OpenCL C
    .language_version:
      - 2
      - 0
    .max_flat_workgroup_size: 256
    .name:           _ZN7rocprim17ROCPRIM_400000_NS6detail17trampoline_kernelINS0_14default_configENS1_27upper_bound_config_selectorIilEEZNS1_14transform_implILb0ES3_S5_N6thrust23THRUST_200600_302600_NS6detail15normal_iteratorINS8_7pointerIiNS8_11hip_rocprim12par_nosync_tENS8_11use_defaultESE_EEEENSA_INSB_IlSD_SE_SE_EEEEZNS1_13binary_searchIS3_S5_NSA_INS8_10device_ptrIiEEEESG_SI_NS1_21upper_bound_search_opENS9_16wrapped_functionINS8_6system6detail7generic6detail18binary_search_lessEbEEEE10hipError_tPvRmT1_T2_T3_mmT4_T5_P12ihipStream_tbEUlRKiE_EESV_SZ_S10_mS11_S14_bEUlT_E_NS1_11comp_targetILNS1_3genE0ELNS1_11target_archE4294967295ELNS1_3gpuE0ELNS1_3repE0EEENS1_30default_config_static_selectorELNS0_4arch9wavefront6targetE0EEEvSY_
    .private_segment_fixed_size: 0
    .sgpr_count:     0
    .sgpr_spill_count: 0
    .symbol:         _ZN7rocprim17ROCPRIM_400000_NS6detail17trampoline_kernelINS0_14default_configENS1_27upper_bound_config_selectorIilEEZNS1_14transform_implILb0ES3_S5_N6thrust23THRUST_200600_302600_NS6detail15normal_iteratorINS8_7pointerIiNS8_11hip_rocprim12par_nosync_tENS8_11use_defaultESE_EEEENSA_INSB_IlSD_SE_SE_EEEEZNS1_13binary_searchIS3_S5_NSA_INS8_10device_ptrIiEEEESG_SI_NS1_21upper_bound_search_opENS9_16wrapped_functionINS8_6system6detail7generic6detail18binary_search_lessEbEEEE10hipError_tPvRmT1_T2_T3_mmT4_T5_P12ihipStream_tbEUlRKiE_EESV_SZ_S10_mS11_S14_bEUlT_E_NS1_11comp_targetILNS1_3genE0ELNS1_11target_archE4294967295ELNS1_3gpuE0ELNS1_3repE0EEENS1_30default_config_static_selectorELNS0_4arch9wavefront6targetE0EEEvSY_.kd
    .uniform_work_group_size: 1
    .uses_dynamic_stack: false
    .vgpr_count:     0
    .vgpr_spill_count: 0
    .wavefront_size: 32
    .workgroup_processor_mode: 1
  - .args:
      - .offset:         0
        .size:           56
        .value_kind:     by_value
    .group_segment_fixed_size: 0
    .kernarg_segment_align: 8
    .kernarg_segment_size: 56
    .language:       OpenCL C
    .language_version:
      - 2
      - 0
    .max_flat_workgroup_size: 256
    .name:           _ZN7rocprim17ROCPRIM_400000_NS6detail17trampoline_kernelINS0_14default_configENS1_27upper_bound_config_selectorIilEEZNS1_14transform_implILb0ES3_S5_N6thrust23THRUST_200600_302600_NS6detail15normal_iteratorINS8_7pointerIiNS8_11hip_rocprim12par_nosync_tENS8_11use_defaultESE_EEEENSA_INSB_IlSD_SE_SE_EEEEZNS1_13binary_searchIS3_S5_NSA_INS8_10device_ptrIiEEEESG_SI_NS1_21upper_bound_search_opENS9_16wrapped_functionINS8_6system6detail7generic6detail18binary_search_lessEbEEEE10hipError_tPvRmT1_T2_T3_mmT4_T5_P12ihipStream_tbEUlRKiE_EESV_SZ_S10_mS11_S14_bEUlT_E_NS1_11comp_targetILNS1_3genE5ELNS1_11target_archE942ELNS1_3gpuE9ELNS1_3repE0EEENS1_30default_config_static_selectorELNS0_4arch9wavefront6targetE0EEEvSY_
    .private_segment_fixed_size: 0
    .sgpr_count:     0
    .sgpr_spill_count: 0
    .symbol:         _ZN7rocprim17ROCPRIM_400000_NS6detail17trampoline_kernelINS0_14default_configENS1_27upper_bound_config_selectorIilEEZNS1_14transform_implILb0ES3_S5_N6thrust23THRUST_200600_302600_NS6detail15normal_iteratorINS8_7pointerIiNS8_11hip_rocprim12par_nosync_tENS8_11use_defaultESE_EEEENSA_INSB_IlSD_SE_SE_EEEEZNS1_13binary_searchIS3_S5_NSA_INS8_10device_ptrIiEEEESG_SI_NS1_21upper_bound_search_opENS9_16wrapped_functionINS8_6system6detail7generic6detail18binary_search_lessEbEEEE10hipError_tPvRmT1_T2_T3_mmT4_T5_P12ihipStream_tbEUlRKiE_EESV_SZ_S10_mS11_S14_bEUlT_E_NS1_11comp_targetILNS1_3genE5ELNS1_11target_archE942ELNS1_3gpuE9ELNS1_3repE0EEENS1_30default_config_static_selectorELNS0_4arch9wavefront6targetE0EEEvSY_.kd
    .uniform_work_group_size: 1
    .uses_dynamic_stack: false
    .vgpr_count:     0
    .vgpr_spill_count: 0
    .wavefront_size: 32
    .workgroup_processor_mode: 1
  - .args:
      - .offset:         0
        .size:           56
        .value_kind:     by_value
    .group_segment_fixed_size: 0
    .kernarg_segment_align: 8
    .kernarg_segment_size: 56
    .language:       OpenCL C
    .language_version:
      - 2
      - 0
    .max_flat_workgroup_size: 256
    .name:           _ZN7rocprim17ROCPRIM_400000_NS6detail17trampoline_kernelINS0_14default_configENS1_27upper_bound_config_selectorIilEEZNS1_14transform_implILb0ES3_S5_N6thrust23THRUST_200600_302600_NS6detail15normal_iteratorINS8_7pointerIiNS8_11hip_rocprim12par_nosync_tENS8_11use_defaultESE_EEEENSA_INSB_IlSD_SE_SE_EEEEZNS1_13binary_searchIS3_S5_NSA_INS8_10device_ptrIiEEEESG_SI_NS1_21upper_bound_search_opENS9_16wrapped_functionINS8_6system6detail7generic6detail18binary_search_lessEbEEEE10hipError_tPvRmT1_T2_T3_mmT4_T5_P12ihipStream_tbEUlRKiE_EESV_SZ_S10_mS11_S14_bEUlT_E_NS1_11comp_targetILNS1_3genE4ELNS1_11target_archE910ELNS1_3gpuE8ELNS1_3repE0EEENS1_30default_config_static_selectorELNS0_4arch9wavefront6targetE0EEEvSY_
    .private_segment_fixed_size: 0
    .sgpr_count:     0
    .sgpr_spill_count: 0
    .symbol:         _ZN7rocprim17ROCPRIM_400000_NS6detail17trampoline_kernelINS0_14default_configENS1_27upper_bound_config_selectorIilEEZNS1_14transform_implILb0ES3_S5_N6thrust23THRUST_200600_302600_NS6detail15normal_iteratorINS8_7pointerIiNS8_11hip_rocprim12par_nosync_tENS8_11use_defaultESE_EEEENSA_INSB_IlSD_SE_SE_EEEEZNS1_13binary_searchIS3_S5_NSA_INS8_10device_ptrIiEEEESG_SI_NS1_21upper_bound_search_opENS9_16wrapped_functionINS8_6system6detail7generic6detail18binary_search_lessEbEEEE10hipError_tPvRmT1_T2_T3_mmT4_T5_P12ihipStream_tbEUlRKiE_EESV_SZ_S10_mS11_S14_bEUlT_E_NS1_11comp_targetILNS1_3genE4ELNS1_11target_archE910ELNS1_3gpuE8ELNS1_3repE0EEENS1_30default_config_static_selectorELNS0_4arch9wavefront6targetE0EEEvSY_.kd
    .uniform_work_group_size: 1
    .uses_dynamic_stack: false
    .vgpr_count:     0
    .vgpr_spill_count: 0
    .wavefront_size: 32
    .workgroup_processor_mode: 1
  - .args:
      - .offset:         0
        .size:           56
        .value_kind:     by_value
    .group_segment_fixed_size: 0
    .kernarg_segment_align: 8
    .kernarg_segment_size: 56
    .language:       OpenCL C
    .language_version:
      - 2
      - 0
    .max_flat_workgroup_size: 256
    .name:           _ZN7rocprim17ROCPRIM_400000_NS6detail17trampoline_kernelINS0_14default_configENS1_27upper_bound_config_selectorIilEEZNS1_14transform_implILb0ES3_S5_N6thrust23THRUST_200600_302600_NS6detail15normal_iteratorINS8_7pointerIiNS8_11hip_rocprim12par_nosync_tENS8_11use_defaultESE_EEEENSA_INSB_IlSD_SE_SE_EEEEZNS1_13binary_searchIS3_S5_NSA_INS8_10device_ptrIiEEEESG_SI_NS1_21upper_bound_search_opENS9_16wrapped_functionINS8_6system6detail7generic6detail18binary_search_lessEbEEEE10hipError_tPvRmT1_T2_T3_mmT4_T5_P12ihipStream_tbEUlRKiE_EESV_SZ_S10_mS11_S14_bEUlT_E_NS1_11comp_targetILNS1_3genE3ELNS1_11target_archE908ELNS1_3gpuE7ELNS1_3repE0EEENS1_30default_config_static_selectorELNS0_4arch9wavefront6targetE0EEEvSY_
    .private_segment_fixed_size: 0
    .sgpr_count:     0
    .sgpr_spill_count: 0
    .symbol:         _ZN7rocprim17ROCPRIM_400000_NS6detail17trampoline_kernelINS0_14default_configENS1_27upper_bound_config_selectorIilEEZNS1_14transform_implILb0ES3_S5_N6thrust23THRUST_200600_302600_NS6detail15normal_iteratorINS8_7pointerIiNS8_11hip_rocprim12par_nosync_tENS8_11use_defaultESE_EEEENSA_INSB_IlSD_SE_SE_EEEEZNS1_13binary_searchIS3_S5_NSA_INS8_10device_ptrIiEEEESG_SI_NS1_21upper_bound_search_opENS9_16wrapped_functionINS8_6system6detail7generic6detail18binary_search_lessEbEEEE10hipError_tPvRmT1_T2_T3_mmT4_T5_P12ihipStream_tbEUlRKiE_EESV_SZ_S10_mS11_S14_bEUlT_E_NS1_11comp_targetILNS1_3genE3ELNS1_11target_archE908ELNS1_3gpuE7ELNS1_3repE0EEENS1_30default_config_static_selectorELNS0_4arch9wavefront6targetE0EEEvSY_.kd
    .uniform_work_group_size: 1
    .uses_dynamic_stack: false
    .vgpr_count:     0
    .vgpr_spill_count: 0
    .wavefront_size: 32
    .workgroup_processor_mode: 1
  - .args:
      - .offset:         0
        .size:           56
        .value_kind:     by_value
    .group_segment_fixed_size: 0
    .kernarg_segment_align: 8
    .kernarg_segment_size: 56
    .language:       OpenCL C
    .language_version:
      - 2
      - 0
    .max_flat_workgroup_size: 256
    .name:           _ZN7rocprim17ROCPRIM_400000_NS6detail17trampoline_kernelINS0_14default_configENS1_27upper_bound_config_selectorIilEEZNS1_14transform_implILb0ES3_S5_N6thrust23THRUST_200600_302600_NS6detail15normal_iteratorINS8_7pointerIiNS8_11hip_rocprim12par_nosync_tENS8_11use_defaultESE_EEEENSA_INSB_IlSD_SE_SE_EEEEZNS1_13binary_searchIS3_S5_NSA_INS8_10device_ptrIiEEEESG_SI_NS1_21upper_bound_search_opENS9_16wrapped_functionINS8_6system6detail7generic6detail18binary_search_lessEbEEEE10hipError_tPvRmT1_T2_T3_mmT4_T5_P12ihipStream_tbEUlRKiE_EESV_SZ_S10_mS11_S14_bEUlT_E_NS1_11comp_targetILNS1_3genE2ELNS1_11target_archE906ELNS1_3gpuE6ELNS1_3repE0EEENS1_30default_config_static_selectorELNS0_4arch9wavefront6targetE0EEEvSY_
    .private_segment_fixed_size: 0
    .sgpr_count:     0
    .sgpr_spill_count: 0
    .symbol:         _ZN7rocprim17ROCPRIM_400000_NS6detail17trampoline_kernelINS0_14default_configENS1_27upper_bound_config_selectorIilEEZNS1_14transform_implILb0ES3_S5_N6thrust23THRUST_200600_302600_NS6detail15normal_iteratorINS8_7pointerIiNS8_11hip_rocprim12par_nosync_tENS8_11use_defaultESE_EEEENSA_INSB_IlSD_SE_SE_EEEEZNS1_13binary_searchIS3_S5_NSA_INS8_10device_ptrIiEEEESG_SI_NS1_21upper_bound_search_opENS9_16wrapped_functionINS8_6system6detail7generic6detail18binary_search_lessEbEEEE10hipError_tPvRmT1_T2_T3_mmT4_T5_P12ihipStream_tbEUlRKiE_EESV_SZ_S10_mS11_S14_bEUlT_E_NS1_11comp_targetILNS1_3genE2ELNS1_11target_archE906ELNS1_3gpuE6ELNS1_3repE0EEENS1_30default_config_static_selectorELNS0_4arch9wavefront6targetE0EEEvSY_.kd
    .uniform_work_group_size: 1
    .uses_dynamic_stack: false
    .vgpr_count:     0
    .vgpr_spill_count: 0
    .wavefront_size: 32
    .workgroup_processor_mode: 1
  - .args:
      - .offset:         0
        .size:           56
        .value_kind:     by_value
    .group_segment_fixed_size: 0
    .kernarg_segment_align: 8
    .kernarg_segment_size: 56
    .language:       OpenCL C
    .language_version:
      - 2
      - 0
    .max_flat_workgroup_size: 128
    .name:           _ZN7rocprim17ROCPRIM_400000_NS6detail17trampoline_kernelINS0_14default_configENS1_27upper_bound_config_selectorIilEEZNS1_14transform_implILb0ES3_S5_N6thrust23THRUST_200600_302600_NS6detail15normal_iteratorINS8_7pointerIiNS8_11hip_rocprim12par_nosync_tENS8_11use_defaultESE_EEEENSA_INSB_IlSD_SE_SE_EEEEZNS1_13binary_searchIS3_S5_NSA_INS8_10device_ptrIiEEEESG_SI_NS1_21upper_bound_search_opENS9_16wrapped_functionINS8_6system6detail7generic6detail18binary_search_lessEbEEEE10hipError_tPvRmT1_T2_T3_mmT4_T5_P12ihipStream_tbEUlRKiE_EESV_SZ_S10_mS11_S14_bEUlT_E_NS1_11comp_targetILNS1_3genE10ELNS1_11target_archE1201ELNS1_3gpuE5ELNS1_3repE0EEENS1_30default_config_static_selectorELNS0_4arch9wavefront6targetE0EEEvSY_
    .private_segment_fixed_size: 0
    .sgpr_count:     0
    .sgpr_spill_count: 0
    .symbol:         _ZN7rocprim17ROCPRIM_400000_NS6detail17trampoline_kernelINS0_14default_configENS1_27upper_bound_config_selectorIilEEZNS1_14transform_implILb0ES3_S5_N6thrust23THRUST_200600_302600_NS6detail15normal_iteratorINS8_7pointerIiNS8_11hip_rocprim12par_nosync_tENS8_11use_defaultESE_EEEENSA_INSB_IlSD_SE_SE_EEEEZNS1_13binary_searchIS3_S5_NSA_INS8_10device_ptrIiEEEESG_SI_NS1_21upper_bound_search_opENS9_16wrapped_functionINS8_6system6detail7generic6detail18binary_search_lessEbEEEE10hipError_tPvRmT1_T2_T3_mmT4_T5_P12ihipStream_tbEUlRKiE_EESV_SZ_S10_mS11_S14_bEUlT_E_NS1_11comp_targetILNS1_3genE10ELNS1_11target_archE1201ELNS1_3gpuE5ELNS1_3repE0EEENS1_30default_config_static_selectorELNS0_4arch9wavefront6targetE0EEEvSY_.kd
    .uniform_work_group_size: 1
    .uses_dynamic_stack: false
    .vgpr_count:     0
    .vgpr_spill_count: 0
    .wavefront_size: 32
    .workgroup_processor_mode: 1
  - .args:
      - .offset:         0
        .size:           56
        .value_kind:     by_value
    .group_segment_fixed_size: 0
    .kernarg_segment_align: 8
    .kernarg_segment_size: 56
    .language:       OpenCL C
    .language_version:
      - 2
      - 0
    .max_flat_workgroup_size: 128
    .name:           _ZN7rocprim17ROCPRIM_400000_NS6detail17trampoline_kernelINS0_14default_configENS1_27upper_bound_config_selectorIilEEZNS1_14transform_implILb0ES3_S5_N6thrust23THRUST_200600_302600_NS6detail15normal_iteratorINS8_7pointerIiNS8_11hip_rocprim12par_nosync_tENS8_11use_defaultESE_EEEENSA_INSB_IlSD_SE_SE_EEEEZNS1_13binary_searchIS3_S5_NSA_INS8_10device_ptrIiEEEESG_SI_NS1_21upper_bound_search_opENS9_16wrapped_functionINS8_6system6detail7generic6detail18binary_search_lessEbEEEE10hipError_tPvRmT1_T2_T3_mmT4_T5_P12ihipStream_tbEUlRKiE_EESV_SZ_S10_mS11_S14_bEUlT_E_NS1_11comp_targetILNS1_3genE10ELNS1_11target_archE1200ELNS1_3gpuE4ELNS1_3repE0EEENS1_30default_config_static_selectorELNS0_4arch9wavefront6targetE0EEEvSY_
    .private_segment_fixed_size: 0
    .sgpr_count:     0
    .sgpr_spill_count: 0
    .symbol:         _ZN7rocprim17ROCPRIM_400000_NS6detail17trampoline_kernelINS0_14default_configENS1_27upper_bound_config_selectorIilEEZNS1_14transform_implILb0ES3_S5_N6thrust23THRUST_200600_302600_NS6detail15normal_iteratorINS8_7pointerIiNS8_11hip_rocprim12par_nosync_tENS8_11use_defaultESE_EEEENSA_INSB_IlSD_SE_SE_EEEEZNS1_13binary_searchIS3_S5_NSA_INS8_10device_ptrIiEEEESG_SI_NS1_21upper_bound_search_opENS9_16wrapped_functionINS8_6system6detail7generic6detail18binary_search_lessEbEEEE10hipError_tPvRmT1_T2_T3_mmT4_T5_P12ihipStream_tbEUlRKiE_EESV_SZ_S10_mS11_S14_bEUlT_E_NS1_11comp_targetILNS1_3genE10ELNS1_11target_archE1200ELNS1_3gpuE4ELNS1_3repE0EEENS1_30default_config_static_selectorELNS0_4arch9wavefront6targetE0EEEvSY_.kd
    .uniform_work_group_size: 1
    .uses_dynamic_stack: false
    .vgpr_count:     0
    .vgpr_spill_count: 0
    .wavefront_size: 32
    .workgroup_processor_mode: 1
  - .args:
      - .offset:         0
        .size:           56
        .value_kind:     by_value
    .group_segment_fixed_size: 0
    .kernarg_segment_align: 8
    .kernarg_segment_size: 56
    .language:       OpenCL C
    .language_version:
      - 2
      - 0
    .max_flat_workgroup_size: 256
    .name:           _ZN7rocprim17ROCPRIM_400000_NS6detail17trampoline_kernelINS0_14default_configENS1_27upper_bound_config_selectorIilEEZNS1_14transform_implILb0ES3_S5_N6thrust23THRUST_200600_302600_NS6detail15normal_iteratorINS8_7pointerIiNS8_11hip_rocprim12par_nosync_tENS8_11use_defaultESE_EEEENSA_INSB_IlSD_SE_SE_EEEEZNS1_13binary_searchIS3_S5_NSA_INS8_10device_ptrIiEEEESG_SI_NS1_21upper_bound_search_opENS9_16wrapped_functionINS8_6system6detail7generic6detail18binary_search_lessEbEEEE10hipError_tPvRmT1_T2_T3_mmT4_T5_P12ihipStream_tbEUlRKiE_EESV_SZ_S10_mS11_S14_bEUlT_E_NS1_11comp_targetILNS1_3genE9ELNS1_11target_archE1100ELNS1_3gpuE3ELNS1_3repE0EEENS1_30default_config_static_selectorELNS0_4arch9wavefront6targetE0EEEvSY_
    .private_segment_fixed_size: 0
    .sgpr_count:     0
    .sgpr_spill_count: 0
    .symbol:         _ZN7rocprim17ROCPRIM_400000_NS6detail17trampoline_kernelINS0_14default_configENS1_27upper_bound_config_selectorIilEEZNS1_14transform_implILb0ES3_S5_N6thrust23THRUST_200600_302600_NS6detail15normal_iteratorINS8_7pointerIiNS8_11hip_rocprim12par_nosync_tENS8_11use_defaultESE_EEEENSA_INSB_IlSD_SE_SE_EEEEZNS1_13binary_searchIS3_S5_NSA_INS8_10device_ptrIiEEEESG_SI_NS1_21upper_bound_search_opENS9_16wrapped_functionINS8_6system6detail7generic6detail18binary_search_lessEbEEEE10hipError_tPvRmT1_T2_T3_mmT4_T5_P12ihipStream_tbEUlRKiE_EESV_SZ_S10_mS11_S14_bEUlT_E_NS1_11comp_targetILNS1_3genE9ELNS1_11target_archE1100ELNS1_3gpuE3ELNS1_3repE0EEENS1_30default_config_static_selectorELNS0_4arch9wavefront6targetE0EEEvSY_.kd
    .uniform_work_group_size: 1
    .uses_dynamic_stack: false
    .vgpr_count:     0
    .vgpr_spill_count: 0
    .wavefront_size: 32
    .workgroup_processor_mode: 1
  - .args:
      - .offset:         0
        .size:           56
        .value_kind:     by_value
      - .offset:         56
        .size:           4
        .value_kind:     hidden_block_count_x
      - .offset:         60
        .size:           4
        .value_kind:     hidden_block_count_y
      - .offset:         64
        .size:           4
        .value_kind:     hidden_block_count_z
      - .offset:         68
        .size:           2
        .value_kind:     hidden_group_size_x
      - .offset:         70
        .size:           2
        .value_kind:     hidden_group_size_y
      - .offset:         72
        .size:           2
        .value_kind:     hidden_group_size_z
      - .offset:         74
        .size:           2
        .value_kind:     hidden_remainder_x
      - .offset:         76
        .size:           2
        .value_kind:     hidden_remainder_y
      - .offset:         78
        .size:           2
        .value_kind:     hidden_remainder_z
      - .offset:         96
        .size:           8
        .value_kind:     hidden_global_offset_x
      - .offset:         104
        .size:           8
        .value_kind:     hidden_global_offset_y
      - .offset:         112
        .size:           8
        .value_kind:     hidden_global_offset_z
      - .offset:         120
        .size:           2
        .value_kind:     hidden_grid_dims
    .group_segment_fixed_size: 0
    .kernarg_segment_align: 8
    .kernarg_segment_size: 312
    .language:       OpenCL C
    .language_version:
      - 2
      - 0
    .max_flat_workgroup_size: 256
    .name:           _ZN7rocprim17ROCPRIM_400000_NS6detail17trampoline_kernelINS0_14default_configENS1_27upper_bound_config_selectorIilEEZNS1_14transform_implILb0ES3_S5_N6thrust23THRUST_200600_302600_NS6detail15normal_iteratorINS8_7pointerIiNS8_11hip_rocprim12par_nosync_tENS8_11use_defaultESE_EEEENSA_INSB_IlSD_SE_SE_EEEEZNS1_13binary_searchIS3_S5_NSA_INS8_10device_ptrIiEEEESG_SI_NS1_21upper_bound_search_opENS9_16wrapped_functionINS8_6system6detail7generic6detail18binary_search_lessEbEEEE10hipError_tPvRmT1_T2_T3_mmT4_T5_P12ihipStream_tbEUlRKiE_EESV_SZ_S10_mS11_S14_bEUlT_E_NS1_11comp_targetILNS1_3genE8ELNS1_11target_archE1030ELNS1_3gpuE2ELNS1_3repE0EEENS1_30default_config_static_selectorELNS0_4arch9wavefront6targetE0EEEvSY_
    .private_segment_fixed_size: 0
    .sgpr_count:     19
    .sgpr_spill_count: 0
    .symbol:         _ZN7rocprim17ROCPRIM_400000_NS6detail17trampoline_kernelINS0_14default_configENS1_27upper_bound_config_selectorIilEEZNS1_14transform_implILb0ES3_S5_N6thrust23THRUST_200600_302600_NS6detail15normal_iteratorINS8_7pointerIiNS8_11hip_rocprim12par_nosync_tENS8_11use_defaultESE_EEEENSA_INSB_IlSD_SE_SE_EEEEZNS1_13binary_searchIS3_S5_NSA_INS8_10device_ptrIiEEEESG_SI_NS1_21upper_bound_search_opENS9_16wrapped_functionINS8_6system6detail7generic6detail18binary_search_lessEbEEEE10hipError_tPvRmT1_T2_T3_mmT4_T5_P12ihipStream_tbEUlRKiE_EESV_SZ_S10_mS11_S14_bEUlT_E_NS1_11comp_targetILNS1_3genE8ELNS1_11target_archE1030ELNS1_3gpuE2ELNS1_3repE0EEENS1_30default_config_static_selectorELNS0_4arch9wavefront6targetE0EEEvSY_.kd
    .uniform_work_group_size: 1
    .uses_dynamic_stack: false
    .vgpr_count:     11
    .vgpr_spill_count: 0
    .wavefront_size: 32
    .workgroup_processor_mode: 1
  - .args:
      - .offset:         0
        .size:           56
        .value_kind:     by_value
    .group_segment_fixed_size: 0
    .kernarg_segment_align: 8
    .kernarg_segment_size: 56
    .language:       OpenCL C
    .language_version:
      - 2
      - 0
    .max_flat_workgroup_size: 256
    .name:           _ZN7rocprim17ROCPRIM_400000_NS6detail17trampoline_kernelINS0_14default_configENS1_27upper_bound_config_selectorIilEEZNS1_14transform_implILb0ES3_S5_N6thrust23THRUST_200600_302600_NS6detail15normal_iteratorINS8_7pointerIiNS8_11hip_rocprim5par_tENS8_11use_defaultESE_EEEENSA_INSB_IlSD_SE_SE_EEEEZNS1_13binary_searchIS3_S5_NSA_INS8_10device_ptrIiEEEESG_SI_NS1_21upper_bound_search_opENS9_16wrapped_functionINS8_6system6detail7generic6detail18binary_search_lessEbEEEE10hipError_tPvRmT1_T2_T3_mmT4_T5_P12ihipStream_tbEUlRKiE_EESV_SZ_S10_mS11_S14_bEUlT_E_NS1_11comp_targetILNS1_3genE0ELNS1_11target_archE4294967295ELNS1_3gpuE0ELNS1_3repE0EEENS1_30default_config_static_selectorELNS0_4arch9wavefront6targetE0EEEvSY_
    .private_segment_fixed_size: 0
    .sgpr_count:     0
    .sgpr_spill_count: 0
    .symbol:         _ZN7rocprim17ROCPRIM_400000_NS6detail17trampoline_kernelINS0_14default_configENS1_27upper_bound_config_selectorIilEEZNS1_14transform_implILb0ES3_S5_N6thrust23THRUST_200600_302600_NS6detail15normal_iteratorINS8_7pointerIiNS8_11hip_rocprim5par_tENS8_11use_defaultESE_EEEENSA_INSB_IlSD_SE_SE_EEEEZNS1_13binary_searchIS3_S5_NSA_INS8_10device_ptrIiEEEESG_SI_NS1_21upper_bound_search_opENS9_16wrapped_functionINS8_6system6detail7generic6detail18binary_search_lessEbEEEE10hipError_tPvRmT1_T2_T3_mmT4_T5_P12ihipStream_tbEUlRKiE_EESV_SZ_S10_mS11_S14_bEUlT_E_NS1_11comp_targetILNS1_3genE0ELNS1_11target_archE4294967295ELNS1_3gpuE0ELNS1_3repE0EEENS1_30default_config_static_selectorELNS0_4arch9wavefront6targetE0EEEvSY_.kd
    .uniform_work_group_size: 1
    .uses_dynamic_stack: false
    .vgpr_count:     0
    .vgpr_spill_count: 0
    .wavefront_size: 32
    .workgroup_processor_mode: 1
  - .args:
      - .offset:         0
        .size:           56
        .value_kind:     by_value
    .group_segment_fixed_size: 0
    .kernarg_segment_align: 8
    .kernarg_segment_size: 56
    .language:       OpenCL C
    .language_version:
      - 2
      - 0
    .max_flat_workgroup_size: 256
    .name:           _ZN7rocprim17ROCPRIM_400000_NS6detail17trampoline_kernelINS0_14default_configENS1_27upper_bound_config_selectorIilEEZNS1_14transform_implILb0ES3_S5_N6thrust23THRUST_200600_302600_NS6detail15normal_iteratorINS8_7pointerIiNS8_11hip_rocprim5par_tENS8_11use_defaultESE_EEEENSA_INSB_IlSD_SE_SE_EEEEZNS1_13binary_searchIS3_S5_NSA_INS8_10device_ptrIiEEEESG_SI_NS1_21upper_bound_search_opENS9_16wrapped_functionINS8_6system6detail7generic6detail18binary_search_lessEbEEEE10hipError_tPvRmT1_T2_T3_mmT4_T5_P12ihipStream_tbEUlRKiE_EESV_SZ_S10_mS11_S14_bEUlT_E_NS1_11comp_targetILNS1_3genE5ELNS1_11target_archE942ELNS1_3gpuE9ELNS1_3repE0EEENS1_30default_config_static_selectorELNS0_4arch9wavefront6targetE0EEEvSY_
    .private_segment_fixed_size: 0
    .sgpr_count:     0
    .sgpr_spill_count: 0
    .symbol:         _ZN7rocprim17ROCPRIM_400000_NS6detail17trampoline_kernelINS0_14default_configENS1_27upper_bound_config_selectorIilEEZNS1_14transform_implILb0ES3_S5_N6thrust23THRUST_200600_302600_NS6detail15normal_iteratorINS8_7pointerIiNS8_11hip_rocprim5par_tENS8_11use_defaultESE_EEEENSA_INSB_IlSD_SE_SE_EEEEZNS1_13binary_searchIS3_S5_NSA_INS8_10device_ptrIiEEEESG_SI_NS1_21upper_bound_search_opENS9_16wrapped_functionINS8_6system6detail7generic6detail18binary_search_lessEbEEEE10hipError_tPvRmT1_T2_T3_mmT4_T5_P12ihipStream_tbEUlRKiE_EESV_SZ_S10_mS11_S14_bEUlT_E_NS1_11comp_targetILNS1_3genE5ELNS1_11target_archE942ELNS1_3gpuE9ELNS1_3repE0EEENS1_30default_config_static_selectorELNS0_4arch9wavefront6targetE0EEEvSY_.kd
    .uniform_work_group_size: 1
    .uses_dynamic_stack: false
    .vgpr_count:     0
    .vgpr_spill_count: 0
    .wavefront_size: 32
    .workgroup_processor_mode: 1
  - .args:
      - .offset:         0
        .size:           56
        .value_kind:     by_value
    .group_segment_fixed_size: 0
    .kernarg_segment_align: 8
    .kernarg_segment_size: 56
    .language:       OpenCL C
    .language_version:
      - 2
      - 0
    .max_flat_workgroup_size: 256
    .name:           _ZN7rocprim17ROCPRIM_400000_NS6detail17trampoline_kernelINS0_14default_configENS1_27upper_bound_config_selectorIilEEZNS1_14transform_implILb0ES3_S5_N6thrust23THRUST_200600_302600_NS6detail15normal_iteratorINS8_7pointerIiNS8_11hip_rocprim5par_tENS8_11use_defaultESE_EEEENSA_INSB_IlSD_SE_SE_EEEEZNS1_13binary_searchIS3_S5_NSA_INS8_10device_ptrIiEEEESG_SI_NS1_21upper_bound_search_opENS9_16wrapped_functionINS8_6system6detail7generic6detail18binary_search_lessEbEEEE10hipError_tPvRmT1_T2_T3_mmT4_T5_P12ihipStream_tbEUlRKiE_EESV_SZ_S10_mS11_S14_bEUlT_E_NS1_11comp_targetILNS1_3genE4ELNS1_11target_archE910ELNS1_3gpuE8ELNS1_3repE0EEENS1_30default_config_static_selectorELNS0_4arch9wavefront6targetE0EEEvSY_
    .private_segment_fixed_size: 0
    .sgpr_count:     0
    .sgpr_spill_count: 0
    .symbol:         _ZN7rocprim17ROCPRIM_400000_NS6detail17trampoline_kernelINS0_14default_configENS1_27upper_bound_config_selectorIilEEZNS1_14transform_implILb0ES3_S5_N6thrust23THRUST_200600_302600_NS6detail15normal_iteratorINS8_7pointerIiNS8_11hip_rocprim5par_tENS8_11use_defaultESE_EEEENSA_INSB_IlSD_SE_SE_EEEEZNS1_13binary_searchIS3_S5_NSA_INS8_10device_ptrIiEEEESG_SI_NS1_21upper_bound_search_opENS9_16wrapped_functionINS8_6system6detail7generic6detail18binary_search_lessEbEEEE10hipError_tPvRmT1_T2_T3_mmT4_T5_P12ihipStream_tbEUlRKiE_EESV_SZ_S10_mS11_S14_bEUlT_E_NS1_11comp_targetILNS1_3genE4ELNS1_11target_archE910ELNS1_3gpuE8ELNS1_3repE0EEENS1_30default_config_static_selectorELNS0_4arch9wavefront6targetE0EEEvSY_.kd
    .uniform_work_group_size: 1
    .uses_dynamic_stack: false
    .vgpr_count:     0
    .vgpr_spill_count: 0
    .wavefront_size: 32
    .workgroup_processor_mode: 1
  - .args:
      - .offset:         0
        .size:           56
        .value_kind:     by_value
    .group_segment_fixed_size: 0
    .kernarg_segment_align: 8
    .kernarg_segment_size: 56
    .language:       OpenCL C
    .language_version:
      - 2
      - 0
    .max_flat_workgroup_size: 256
    .name:           _ZN7rocprim17ROCPRIM_400000_NS6detail17trampoline_kernelINS0_14default_configENS1_27upper_bound_config_selectorIilEEZNS1_14transform_implILb0ES3_S5_N6thrust23THRUST_200600_302600_NS6detail15normal_iteratorINS8_7pointerIiNS8_11hip_rocprim5par_tENS8_11use_defaultESE_EEEENSA_INSB_IlSD_SE_SE_EEEEZNS1_13binary_searchIS3_S5_NSA_INS8_10device_ptrIiEEEESG_SI_NS1_21upper_bound_search_opENS9_16wrapped_functionINS8_6system6detail7generic6detail18binary_search_lessEbEEEE10hipError_tPvRmT1_T2_T3_mmT4_T5_P12ihipStream_tbEUlRKiE_EESV_SZ_S10_mS11_S14_bEUlT_E_NS1_11comp_targetILNS1_3genE3ELNS1_11target_archE908ELNS1_3gpuE7ELNS1_3repE0EEENS1_30default_config_static_selectorELNS0_4arch9wavefront6targetE0EEEvSY_
    .private_segment_fixed_size: 0
    .sgpr_count:     0
    .sgpr_spill_count: 0
    .symbol:         _ZN7rocprim17ROCPRIM_400000_NS6detail17trampoline_kernelINS0_14default_configENS1_27upper_bound_config_selectorIilEEZNS1_14transform_implILb0ES3_S5_N6thrust23THRUST_200600_302600_NS6detail15normal_iteratorINS8_7pointerIiNS8_11hip_rocprim5par_tENS8_11use_defaultESE_EEEENSA_INSB_IlSD_SE_SE_EEEEZNS1_13binary_searchIS3_S5_NSA_INS8_10device_ptrIiEEEESG_SI_NS1_21upper_bound_search_opENS9_16wrapped_functionINS8_6system6detail7generic6detail18binary_search_lessEbEEEE10hipError_tPvRmT1_T2_T3_mmT4_T5_P12ihipStream_tbEUlRKiE_EESV_SZ_S10_mS11_S14_bEUlT_E_NS1_11comp_targetILNS1_3genE3ELNS1_11target_archE908ELNS1_3gpuE7ELNS1_3repE0EEENS1_30default_config_static_selectorELNS0_4arch9wavefront6targetE0EEEvSY_.kd
    .uniform_work_group_size: 1
    .uses_dynamic_stack: false
    .vgpr_count:     0
    .vgpr_spill_count: 0
    .wavefront_size: 32
    .workgroup_processor_mode: 1
  - .args:
      - .offset:         0
        .size:           56
        .value_kind:     by_value
    .group_segment_fixed_size: 0
    .kernarg_segment_align: 8
    .kernarg_segment_size: 56
    .language:       OpenCL C
    .language_version:
      - 2
      - 0
    .max_flat_workgroup_size: 256
    .name:           _ZN7rocprim17ROCPRIM_400000_NS6detail17trampoline_kernelINS0_14default_configENS1_27upper_bound_config_selectorIilEEZNS1_14transform_implILb0ES3_S5_N6thrust23THRUST_200600_302600_NS6detail15normal_iteratorINS8_7pointerIiNS8_11hip_rocprim5par_tENS8_11use_defaultESE_EEEENSA_INSB_IlSD_SE_SE_EEEEZNS1_13binary_searchIS3_S5_NSA_INS8_10device_ptrIiEEEESG_SI_NS1_21upper_bound_search_opENS9_16wrapped_functionINS8_6system6detail7generic6detail18binary_search_lessEbEEEE10hipError_tPvRmT1_T2_T3_mmT4_T5_P12ihipStream_tbEUlRKiE_EESV_SZ_S10_mS11_S14_bEUlT_E_NS1_11comp_targetILNS1_3genE2ELNS1_11target_archE906ELNS1_3gpuE6ELNS1_3repE0EEENS1_30default_config_static_selectorELNS0_4arch9wavefront6targetE0EEEvSY_
    .private_segment_fixed_size: 0
    .sgpr_count:     0
    .sgpr_spill_count: 0
    .symbol:         _ZN7rocprim17ROCPRIM_400000_NS6detail17trampoline_kernelINS0_14default_configENS1_27upper_bound_config_selectorIilEEZNS1_14transform_implILb0ES3_S5_N6thrust23THRUST_200600_302600_NS6detail15normal_iteratorINS8_7pointerIiNS8_11hip_rocprim5par_tENS8_11use_defaultESE_EEEENSA_INSB_IlSD_SE_SE_EEEEZNS1_13binary_searchIS3_S5_NSA_INS8_10device_ptrIiEEEESG_SI_NS1_21upper_bound_search_opENS9_16wrapped_functionINS8_6system6detail7generic6detail18binary_search_lessEbEEEE10hipError_tPvRmT1_T2_T3_mmT4_T5_P12ihipStream_tbEUlRKiE_EESV_SZ_S10_mS11_S14_bEUlT_E_NS1_11comp_targetILNS1_3genE2ELNS1_11target_archE906ELNS1_3gpuE6ELNS1_3repE0EEENS1_30default_config_static_selectorELNS0_4arch9wavefront6targetE0EEEvSY_.kd
    .uniform_work_group_size: 1
    .uses_dynamic_stack: false
    .vgpr_count:     0
    .vgpr_spill_count: 0
    .wavefront_size: 32
    .workgroup_processor_mode: 1
  - .args:
      - .offset:         0
        .size:           56
        .value_kind:     by_value
    .group_segment_fixed_size: 0
    .kernarg_segment_align: 8
    .kernarg_segment_size: 56
    .language:       OpenCL C
    .language_version:
      - 2
      - 0
    .max_flat_workgroup_size: 128
    .name:           _ZN7rocprim17ROCPRIM_400000_NS6detail17trampoline_kernelINS0_14default_configENS1_27upper_bound_config_selectorIilEEZNS1_14transform_implILb0ES3_S5_N6thrust23THRUST_200600_302600_NS6detail15normal_iteratorINS8_7pointerIiNS8_11hip_rocprim5par_tENS8_11use_defaultESE_EEEENSA_INSB_IlSD_SE_SE_EEEEZNS1_13binary_searchIS3_S5_NSA_INS8_10device_ptrIiEEEESG_SI_NS1_21upper_bound_search_opENS9_16wrapped_functionINS8_6system6detail7generic6detail18binary_search_lessEbEEEE10hipError_tPvRmT1_T2_T3_mmT4_T5_P12ihipStream_tbEUlRKiE_EESV_SZ_S10_mS11_S14_bEUlT_E_NS1_11comp_targetILNS1_3genE10ELNS1_11target_archE1201ELNS1_3gpuE5ELNS1_3repE0EEENS1_30default_config_static_selectorELNS0_4arch9wavefront6targetE0EEEvSY_
    .private_segment_fixed_size: 0
    .sgpr_count:     0
    .sgpr_spill_count: 0
    .symbol:         _ZN7rocprim17ROCPRIM_400000_NS6detail17trampoline_kernelINS0_14default_configENS1_27upper_bound_config_selectorIilEEZNS1_14transform_implILb0ES3_S5_N6thrust23THRUST_200600_302600_NS6detail15normal_iteratorINS8_7pointerIiNS8_11hip_rocprim5par_tENS8_11use_defaultESE_EEEENSA_INSB_IlSD_SE_SE_EEEEZNS1_13binary_searchIS3_S5_NSA_INS8_10device_ptrIiEEEESG_SI_NS1_21upper_bound_search_opENS9_16wrapped_functionINS8_6system6detail7generic6detail18binary_search_lessEbEEEE10hipError_tPvRmT1_T2_T3_mmT4_T5_P12ihipStream_tbEUlRKiE_EESV_SZ_S10_mS11_S14_bEUlT_E_NS1_11comp_targetILNS1_3genE10ELNS1_11target_archE1201ELNS1_3gpuE5ELNS1_3repE0EEENS1_30default_config_static_selectorELNS0_4arch9wavefront6targetE0EEEvSY_.kd
    .uniform_work_group_size: 1
    .uses_dynamic_stack: false
    .vgpr_count:     0
    .vgpr_spill_count: 0
    .wavefront_size: 32
    .workgroup_processor_mode: 1
  - .args:
      - .offset:         0
        .size:           56
        .value_kind:     by_value
    .group_segment_fixed_size: 0
    .kernarg_segment_align: 8
    .kernarg_segment_size: 56
    .language:       OpenCL C
    .language_version:
      - 2
      - 0
    .max_flat_workgroup_size: 128
    .name:           _ZN7rocprim17ROCPRIM_400000_NS6detail17trampoline_kernelINS0_14default_configENS1_27upper_bound_config_selectorIilEEZNS1_14transform_implILb0ES3_S5_N6thrust23THRUST_200600_302600_NS6detail15normal_iteratorINS8_7pointerIiNS8_11hip_rocprim5par_tENS8_11use_defaultESE_EEEENSA_INSB_IlSD_SE_SE_EEEEZNS1_13binary_searchIS3_S5_NSA_INS8_10device_ptrIiEEEESG_SI_NS1_21upper_bound_search_opENS9_16wrapped_functionINS8_6system6detail7generic6detail18binary_search_lessEbEEEE10hipError_tPvRmT1_T2_T3_mmT4_T5_P12ihipStream_tbEUlRKiE_EESV_SZ_S10_mS11_S14_bEUlT_E_NS1_11comp_targetILNS1_3genE10ELNS1_11target_archE1200ELNS1_3gpuE4ELNS1_3repE0EEENS1_30default_config_static_selectorELNS0_4arch9wavefront6targetE0EEEvSY_
    .private_segment_fixed_size: 0
    .sgpr_count:     0
    .sgpr_spill_count: 0
    .symbol:         _ZN7rocprim17ROCPRIM_400000_NS6detail17trampoline_kernelINS0_14default_configENS1_27upper_bound_config_selectorIilEEZNS1_14transform_implILb0ES3_S5_N6thrust23THRUST_200600_302600_NS6detail15normal_iteratorINS8_7pointerIiNS8_11hip_rocprim5par_tENS8_11use_defaultESE_EEEENSA_INSB_IlSD_SE_SE_EEEEZNS1_13binary_searchIS3_S5_NSA_INS8_10device_ptrIiEEEESG_SI_NS1_21upper_bound_search_opENS9_16wrapped_functionINS8_6system6detail7generic6detail18binary_search_lessEbEEEE10hipError_tPvRmT1_T2_T3_mmT4_T5_P12ihipStream_tbEUlRKiE_EESV_SZ_S10_mS11_S14_bEUlT_E_NS1_11comp_targetILNS1_3genE10ELNS1_11target_archE1200ELNS1_3gpuE4ELNS1_3repE0EEENS1_30default_config_static_selectorELNS0_4arch9wavefront6targetE0EEEvSY_.kd
    .uniform_work_group_size: 1
    .uses_dynamic_stack: false
    .vgpr_count:     0
    .vgpr_spill_count: 0
    .wavefront_size: 32
    .workgroup_processor_mode: 1
  - .args:
      - .offset:         0
        .size:           56
        .value_kind:     by_value
    .group_segment_fixed_size: 0
    .kernarg_segment_align: 8
    .kernarg_segment_size: 56
    .language:       OpenCL C
    .language_version:
      - 2
      - 0
    .max_flat_workgroup_size: 256
    .name:           _ZN7rocprim17ROCPRIM_400000_NS6detail17trampoline_kernelINS0_14default_configENS1_27upper_bound_config_selectorIilEEZNS1_14transform_implILb0ES3_S5_N6thrust23THRUST_200600_302600_NS6detail15normal_iteratorINS8_7pointerIiNS8_11hip_rocprim5par_tENS8_11use_defaultESE_EEEENSA_INSB_IlSD_SE_SE_EEEEZNS1_13binary_searchIS3_S5_NSA_INS8_10device_ptrIiEEEESG_SI_NS1_21upper_bound_search_opENS9_16wrapped_functionINS8_6system6detail7generic6detail18binary_search_lessEbEEEE10hipError_tPvRmT1_T2_T3_mmT4_T5_P12ihipStream_tbEUlRKiE_EESV_SZ_S10_mS11_S14_bEUlT_E_NS1_11comp_targetILNS1_3genE9ELNS1_11target_archE1100ELNS1_3gpuE3ELNS1_3repE0EEENS1_30default_config_static_selectorELNS0_4arch9wavefront6targetE0EEEvSY_
    .private_segment_fixed_size: 0
    .sgpr_count:     0
    .sgpr_spill_count: 0
    .symbol:         _ZN7rocprim17ROCPRIM_400000_NS6detail17trampoline_kernelINS0_14default_configENS1_27upper_bound_config_selectorIilEEZNS1_14transform_implILb0ES3_S5_N6thrust23THRUST_200600_302600_NS6detail15normal_iteratorINS8_7pointerIiNS8_11hip_rocprim5par_tENS8_11use_defaultESE_EEEENSA_INSB_IlSD_SE_SE_EEEEZNS1_13binary_searchIS3_S5_NSA_INS8_10device_ptrIiEEEESG_SI_NS1_21upper_bound_search_opENS9_16wrapped_functionINS8_6system6detail7generic6detail18binary_search_lessEbEEEE10hipError_tPvRmT1_T2_T3_mmT4_T5_P12ihipStream_tbEUlRKiE_EESV_SZ_S10_mS11_S14_bEUlT_E_NS1_11comp_targetILNS1_3genE9ELNS1_11target_archE1100ELNS1_3gpuE3ELNS1_3repE0EEENS1_30default_config_static_selectorELNS0_4arch9wavefront6targetE0EEEvSY_.kd
    .uniform_work_group_size: 1
    .uses_dynamic_stack: false
    .vgpr_count:     0
    .vgpr_spill_count: 0
    .wavefront_size: 32
    .workgroup_processor_mode: 1
  - .args:
      - .offset:         0
        .size:           56
        .value_kind:     by_value
      - .offset:         56
        .size:           4
        .value_kind:     hidden_block_count_x
      - .offset:         60
        .size:           4
        .value_kind:     hidden_block_count_y
      - .offset:         64
        .size:           4
        .value_kind:     hidden_block_count_z
      - .offset:         68
        .size:           2
        .value_kind:     hidden_group_size_x
      - .offset:         70
        .size:           2
        .value_kind:     hidden_group_size_y
      - .offset:         72
        .size:           2
        .value_kind:     hidden_group_size_z
      - .offset:         74
        .size:           2
        .value_kind:     hidden_remainder_x
      - .offset:         76
        .size:           2
        .value_kind:     hidden_remainder_y
      - .offset:         78
        .size:           2
        .value_kind:     hidden_remainder_z
      - .offset:         96
        .size:           8
        .value_kind:     hidden_global_offset_x
      - .offset:         104
        .size:           8
        .value_kind:     hidden_global_offset_y
      - .offset:         112
        .size:           8
        .value_kind:     hidden_global_offset_z
      - .offset:         120
        .size:           2
        .value_kind:     hidden_grid_dims
    .group_segment_fixed_size: 0
    .kernarg_segment_align: 8
    .kernarg_segment_size: 312
    .language:       OpenCL C
    .language_version:
      - 2
      - 0
    .max_flat_workgroup_size: 256
    .name:           _ZN7rocprim17ROCPRIM_400000_NS6detail17trampoline_kernelINS0_14default_configENS1_27upper_bound_config_selectorIilEEZNS1_14transform_implILb0ES3_S5_N6thrust23THRUST_200600_302600_NS6detail15normal_iteratorINS8_7pointerIiNS8_11hip_rocprim5par_tENS8_11use_defaultESE_EEEENSA_INSB_IlSD_SE_SE_EEEEZNS1_13binary_searchIS3_S5_NSA_INS8_10device_ptrIiEEEESG_SI_NS1_21upper_bound_search_opENS9_16wrapped_functionINS8_6system6detail7generic6detail18binary_search_lessEbEEEE10hipError_tPvRmT1_T2_T3_mmT4_T5_P12ihipStream_tbEUlRKiE_EESV_SZ_S10_mS11_S14_bEUlT_E_NS1_11comp_targetILNS1_3genE8ELNS1_11target_archE1030ELNS1_3gpuE2ELNS1_3repE0EEENS1_30default_config_static_selectorELNS0_4arch9wavefront6targetE0EEEvSY_
    .private_segment_fixed_size: 0
    .sgpr_count:     19
    .sgpr_spill_count: 0
    .symbol:         _ZN7rocprim17ROCPRIM_400000_NS6detail17trampoline_kernelINS0_14default_configENS1_27upper_bound_config_selectorIilEEZNS1_14transform_implILb0ES3_S5_N6thrust23THRUST_200600_302600_NS6detail15normal_iteratorINS8_7pointerIiNS8_11hip_rocprim5par_tENS8_11use_defaultESE_EEEENSA_INSB_IlSD_SE_SE_EEEEZNS1_13binary_searchIS3_S5_NSA_INS8_10device_ptrIiEEEESG_SI_NS1_21upper_bound_search_opENS9_16wrapped_functionINS8_6system6detail7generic6detail18binary_search_lessEbEEEE10hipError_tPvRmT1_T2_T3_mmT4_T5_P12ihipStream_tbEUlRKiE_EESV_SZ_S10_mS11_S14_bEUlT_E_NS1_11comp_targetILNS1_3genE8ELNS1_11target_archE1030ELNS1_3gpuE2ELNS1_3repE0EEENS1_30default_config_static_selectorELNS0_4arch9wavefront6targetE0EEEvSY_.kd
    .uniform_work_group_size: 1
    .uses_dynamic_stack: false
    .vgpr_count:     11
    .vgpr_spill_count: 0
    .wavefront_size: 32
    .workgroup_processor_mode: 1
  - .args:
      - .offset:         0
        .size:           56
        .value_kind:     by_value
    .group_segment_fixed_size: 0
    .kernarg_segment_align: 8
    .kernarg_segment_size: 56
    .language:       OpenCL C
    .language_version:
      - 2
      - 0
    .max_flat_workgroup_size: 128
    .name:           _ZN7rocprim17ROCPRIM_400000_NS6detail17trampoline_kernelINS0_14default_configENS1_27upper_bound_config_selectorIslEEZNS1_14transform_implILb0ES3_S5_N6thrust23THRUST_200600_302600_NS6detail15normal_iteratorINS8_7pointerIsNS8_11hip_rocprim5par_tENS8_11use_defaultESE_EEEENSA_INSB_IlSD_SE_SE_EEEEZNS1_13binary_searchIS3_S5_NSA_INS8_10device_ptrIsEEEESG_SI_NS1_21upper_bound_search_opENS9_16wrapped_functionINS8_6system6detail7generic6detail18binary_search_lessEbEEEE10hipError_tPvRmT1_T2_T3_mmT4_T5_P12ihipStream_tbEUlRKsE_EESV_SZ_S10_mS11_S14_bEUlT_E_NS1_11comp_targetILNS1_3genE0ELNS1_11target_archE4294967295ELNS1_3gpuE0ELNS1_3repE0EEENS1_30default_config_static_selectorELNS0_4arch9wavefront6targetE0EEEvSY_
    .private_segment_fixed_size: 0
    .sgpr_count:     0
    .sgpr_spill_count: 0
    .symbol:         _ZN7rocprim17ROCPRIM_400000_NS6detail17trampoline_kernelINS0_14default_configENS1_27upper_bound_config_selectorIslEEZNS1_14transform_implILb0ES3_S5_N6thrust23THRUST_200600_302600_NS6detail15normal_iteratorINS8_7pointerIsNS8_11hip_rocprim5par_tENS8_11use_defaultESE_EEEENSA_INSB_IlSD_SE_SE_EEEEZNS1_13binary_searchIS3_S5_NSA_INS8_10device_ptrIsEEEESG_SI_NS1_21upper_bound_search_opENS9_16wrapped_functionINS8_6system6detail7generic6detail18binary_search_lessEbEEEE10hipError_tPvRmT1_T2_T3_mmT4_T5_P12ihipStream_tbEUlRKsE_EESV_SZ_S10_mS11_S14_bEUlT_E_NS1_11comp_targetILNS1_3genE0ELNS1_11target_archE4294967295ELNS1_3gpuE0ELNS1_3repE0EEENS1_30default_config_static_selectorELNS0_4arch9wavefront6targetE0EEEvSY_.kd
    .uniform_work_group_size: 1
    .uses_dynamic_stack: false
    .vgpr_count:     0
    .vgpr_spill_count: 0
    .wavefront_size: 32
    .workgroup_processor_mode: 1
  - .args:
      - .offset:         0
        .size:           56
        .value_kind:     by_value
    .group_segment_fixed_size: 0
    .kernarg_segment_align: 8
    .kernarg_segment_size: 56
    .language:       OpenCL C
    .language_version:
      - 2
      - 0
    .max_flat_workgroup_size: 256
    .name:           _ZN7rocprim17ROCPRIM_400000_NS6detail17trampoline_kernelINS0_14default_configENS1_27upper_bound_config_selectorIslEEZNS1_14transform_implILb0ES3_S5_N6thrust23THRUST_200600_302600_NS6detail15normal_iteratorINS8_7pointerIsNS8_11hip_rocprim5par_tENS8_11use_defaultESE_EEEENSA_INSB_IlSD_SE_SE_EEEEZNS1_13binary_searchIS3_S5_NSA_INS8_10device_ptrIsEEEESG_SI_NS1_21upper_bound_search_opENS9_16wrapped_functionINS8_6system6detail7generic6detail18binary_search_lessEbEEEE10hipError_tPvRmT1_T2_T3_mmT4_T5_P12ihipStream_tbEUlRKsE_EESV_SZ_S10_mS11_S14_bEUlT_E_NS1_11comp_targetILNS1_3genE5ELNS1_11target_archE942ELNS1_3gpuE9ELNS1_3repE0EEENS1_30default_config_static_selectorELNS0_4arch9wavefront6targetE0EEEvSY_
    .private_segment_fixed_size: 0
    .sgpr_count:     0
    .sgpr_spill_count: 0
    .symbol:         _ZN7rocprim17ROCPRIM_400000_NS6detail17trampoline_kernelINS0_14default_configENS1_27upper_bound_config_selectorIslEEZNS1_14transform_implILb0ES3_S5_N6thrust23THRUST_200600_302600_NS6detail15normal_iteratorINS8_7pointerIsNS8_11hip_rocprim5par_tENS8_11use_defaultESE_EEEENSA_INSB_IlSD_SE_SE_EEEEZNS1_13binary_searchIS3_S5_NSA_INS8_10device_ptrIsEEEESG_SI_NS1_21upper_bound_search_opENS9_16wrapped_functionINS8_6system6detail7generic6detail18binary_search_lessEbEEEE10hipError_tPvRmT1_T2_T3_mmT4_T5_P12ihipStream_tbEUlRKsE_EESV_SZ_S10_mS11_S14_bEUlT_E_NS1_11comp_targetILNS1_3genE5ELNS1_11target_archE942ELNS1_3gpuE9ELNS1_3repE0EEENS1_30default_config_static_selectorELNS0_4arch9wavefront6targetE0EEEvSY_.kd
    .uniform_work_group_size: 1
    .uses_dynamic_stack: false
    .vgpr_count:     0
    .vgpr_spill_count: 0
    .wavefront_size: 32
    .workgroup_processor_mode: 1
  - .args:
      - .offset:         0
        .size:           56
        .value_kind:     by_value
    .group_segment_fixed_size: 0
    .kernarg_segment_align: 8
    .kernarg_segment_size: 56
    .language:       OpenCL C
    .language_version:
      - 2
      - 0
    .max_flat_workgroup_size: 256
    .name:           _ZN7rocprim17ROCPRIM_400000_NS6detail17trampoline_kernelINS0_14default_configENS1_27upper_bound_config_selectorIslEEZNS1_14transform_implILb0ES3_S5_N6thrust23THRUST_200600_302600_NS6detail15normal_iteratorINS8_7pointerIsNS8_11hip_rocprim5par_tENS8_11use_defaultESE_EEEENSA_INSB_IlSD_SE_SE_EEEEZNS1_13binary_searchIS3_S5_NSA_INS8_10device_ptrIsEEEESG_SI_NS1_21upper_bound_search_opENS9_16wrapped_functionINS8_6system6detail7generic6detail18binary_search_lessEbEEEE10hipError_tPvRmT1_T2_T3_mmT4_T5_P12ihipStream_tbEUlRKsE_EESV_SZ_S10_mS11_S14_bEUlT_E_NS1_11comp_targetILNS1_3genE4ELNS1_11target_archE910ELNS1_3gpuE8ELNS1_3repE0EEENS1_30default_config_static_selectorELNS0_4arch9wavefront6targetE0EEEvSY_
    .private_segment_fixed_size: 0
    .sgpr_count:     0
    .sgpr_spill_count: 0
    .symbol:         _ZN7rocprim17ROCPRIM_400000_NS6detail17trampoline_kernelINS0_14default_configENS1_27upper_bound_config_selectorIslEEZNS1_14transform_implILb0ES3_S5_N6thrust23THRUST_200600_302600_NS6detail15normal_iteratorINS8_7pointerIsNS8_11hip_rocprim5par_tENS8_11use_defaultESE_EEEENSA_INSB_IlSD_SE_SE_EEEEZNS1_13binary_searchIS3_S5_NSA_INS8_10device_ptrIsEEEESG_SI_NS1_21upper_bound_search_opENS9_16wrapped_functionINS8_6system6detail7generic6detail18binary_search_lessEbEEEE10hipError_tPvRmT1_T2_T3_mmT4_T5_P12ihipStream_tbEUlRKsE_EESV_SZ_S10_mS11_S14_bEUlT_E_NS1_11comp_targetILNS1_3genE4ELNS1_11target_archE910ELNS1_3gpuE8ELNS1_3repE0EEENS1_30default_config_static_selectorELNS0_4arch9wavefront6targetE0EEEvSY_.kd
    .uniform_work_group_size: 1
    .uses_dynamic_stack: false
    .vgpr_count:     0
    .vgpr_spill_count: 0
    .wavefront_size: 32
    .workgroup_processor_mode: 1
  - .args:
      - .offset:         0
        .size:           56
        .value_kind:     by_value
    .group_segment_fixed_size: 0
    .kernarg_segment_align: 8
    .kernarg_segment_size: 56
    .language:       OpenCL C
    .language_version:
      - 2
      - 0
    .max_flat_workgroup_size: 128
    .name:           _ZN7rocprim17ROCPRIM_400000_NS6detail17trampoline_kernelINS0_14default_configENS1_27upper_bound_config_selectorIslEEZNS1_14transform_implILb0ES3_S5_N6thrust23THRUST_200600_302600_NS6detail15normal_iteratorINS8_7pointerIsNS8_11hip_rocprim5par_tENS8_11use_defaultESE_EEEENSA_INSB_IlSD_SE_SE_EEEEZNS1_13binary_searchIS3_S5_NSA_INS8_10device_ptrIsEEEESG_SI_NS1_21upper_bound_search_opENS9_16wrapped_functionINS8_6system6detail7generic6detail18binary_search_lessEbEEEE10hipError_tPvRmT1_T2_T3_mmT4_T5_P12ihipStream_tbEUlRKsE_EESV_SZ_S10_mS11_S14_bEUlT_E_NS1_11comp_targetILNS1_3genE3ELNS1_11target_archE908ELNS1_3gpuE7ELNS1_3repE0EEENS1_30default_config_static_selectorELNS0_4arch9wavefront6targetE0EEEvSY_
    .private_segment_fixed_size: 0
    .sgpr_count:     0
    .sgpr_spill_count: 0
    .symbol:         _ZN7rocprim17ROCPRIM_400000_NS6detail17trampoline_kernelINS0_14default_configENS1_27upper_bound_config_selectorIslEEZNS1_14transform_implILb0ES3_S5_N6thrust23THRUST_200600_302600_NS6detail15normal_iteratorINS8_7pointerIsNS8_11hip_rocprim5par_tENS8_11use_defaultESE_EEEENSA_INSB_IlSD_SE_SE_EEEEZNS1_13binary_searchIS3_S5_NSA_INS8_10device_ptrIsEEEESG_SI_NS1_21upper_bound_search_opENS9_16wrapped_functionINS8_6system6detail7generic6detail18binary_search_lessEbEEEE10hipError_tPvRmT1_T2_T3_mmT4_T5_P12ihipStream_tbEUlRKsE_EESV_SZ_S10_mS11_S14_bEUlT_E_NS1_11comp_targetILNS1_3genE3ELNS1_11target_archE908ELNS1_3gpuE7ELNS1_3repE0EEENS1_30default_config_static_selectorELNS0_4arch9wavefront6targetE0EEEvSY_.kd
    .uniform_work_group_size: 1
    .uses_dynamic_stack: false
    .vgpr_count:     0
    .vgpr_spill_count: 0
    .wavefront_size: 32
    .workgroup_processor_mode: 1
  - .args:
      - .offset:         0
        .size:           56
        .value_kind:     by_value
    .group_segment_fixed_size: 0
    .kernarg_segment_align: 8
    .kernarg_segment_size: 56
    .language:       OpenCL C
    .language_version:
      - 2
      - 0
    .max_flat_workgroup_size: 256
    .name:           _ZN7rocprim17ROCPRIM_400000_NS6detail17trampoline_kernelINS0_14default_configENS1_27upper_bound_config_selectorIslEEZNS1_14transform_implILb0ES3_S5_N6thrust23THRUST_200600_302600_NS6detail15normal_iteratorINS8_7pointerIsNS8_11hip_rocprim5par_tENS8_11use_defaultESE_EEEENSA_INSB_IlSD_SE_SE_EEEEZNS1_13binary_searchIS3_S5_NSA_INS8_10device_ptrIsEEEESG_SI_NS1_21upper_bound_search_opENS9_16wrapped_functionINS8_6system6detail7generic6detail18binary_search_lessEbEEEE10hipError_tPvRmT1_T2_T3_mmT4_T5_P12ihipStream_tbEUlRKsE_EESV_SZ_S10_mS11_S14_bEUlT_E_NS1_11comp_targetILNS1_3genE2ELNS1_11target_archE906ELNS1_3gpuE6ELNS1_3repE0EEENS1_30default_config_static_selectorELNS0_4arch9wavefront6targetE0EEEvSY_
    .private_segment_fixed_size: 0
    .sgpr_count:     0
    .sgpr_spill_count: 0
    .symbol:         _ZN7rocprim17ROCPRIM_400000_NS6detail17trampoline_kernelINS0_14default_configENS1_27upper_bound_config_selectorIslEEZNS1_14transform_implILb0ES3_S5_N6thrust23THRUST_200600_302600_NS6detail15normal_iteratorINS8_7pointerIsNS8_11hip_rocprim5par_tENS8_11use_defaultESE_EEEENSA_INSB_IlSD_SE_SE_EEEEZNS1_13binary_searchIS3_S5_NSA_INS8_10device_ptrIsEEEESG_SI_NS1_21upper_bound_search_opENS9_16wrapped_functionINS8_6system6detail7generic6detail18binary_search_lessEbEEEE10hipError_tPvRmT1_T2_T3_mmT4_T5_P12ihipStream_tbEUlRKsE_EESV_SZ_S10_mS11_S14_bEUlT_E_NS1_11comp_targetILNS1_3genE2ELNS1_11target_archE906ELNS1_3gpuE6ELNS1_3repE0EEENS1_30default_config_static_selectorELNS0_4arch9wavefront6targetE0EEEvSY_.kd
    .uniform_work_group_size: 1
    .uses_dynamic_stack: false
    .vgpr_count:     0
    .vgpr_spill_count: 0
    .wavefront_size: 32
    .workgroup_processor_mode: 1
  - .args:
      - .offset:         0
        .size:           56
        .value_kind:     by_value
    .group_segment_fixed_size: 0
    .kernarg_segment_align: 8
    .kernarg_segment_size: 56
    .language:       OpenCL C
    .language_version:
      - 2
      - 0
    .max_flat_workgroup_size: 256
    .name:           _ZN7rocprim17ROCPRIM_400000_NS6detail17trampoline_kernelINS0_14default_configENS1_27upper_bound_config_selectorIslEEZNS1_14transform_implILb0ES3_S5_N6thrust23THRUST_200600_302600_NS6detail15normal_iteratorINS8_7pointerIsNS8_11hip_rocprim5par_tENS8_11use_defaultESE_EEEENSA_INSB_IlSD_SE_SE_EEEEZNS1_13binary_searchIS3_S5_NSA_INS8_10device_ptrIsEEEESG_SI_NS1_21upper_bound_search_opENS9_16wrapped_functionINS8_6system6detail7generic6detail18binary_search_lessEbEEEE10hipError_tPvRmT1_T2_T3_mmT4_T5_P12ihipStream_tbEUlRKsE_EESV_SZ_S10_mS11_S14_bEUlT_E_NS1_11comp_targetILNS1_3genE10ELNS1_11target_archE1201ELNS1_3gpuE5ELNS1_3repE0EEENS1_30default_config_static_selectorELNS0_4arch9wavefront6targetE0EEEvSY_
    .private_segment_fixed_size: 0
    .sgpr_count:     0
    .sgpr_spill_count: 0
    .symbol:         _ZN7rocprim17ROCPRIM_400000_NS6detail17trampoline_kernelINS0_14default_configENS1_27upper_bound_config_selectorIslEEZNS1_14transform_implILb0ES3_S5_N6thrust23THRUST_200600_302600_NS6detail15normal_iteratorINS8_7pointerIsNS8_11hip_rocprim5par_tENS8_11use_defaultESE_EEEENSA_INSB_IlSD_SE_SE_EEEEZNS1_13binary_searchIS3_S5_NSA_INS8_10device_ptrIsEEEESG_SI_NS1_21upper_bound_search_opENS9_16wrapped_functionINS8_6system6detail7generic6detail18binary_search_lessEbEEEE10hipError_tPvRmT1_T2_T3_mmT4_T5_P12ihipStream_tbEUlRKsE_EESV_SZ_S10_mS11_S14_bEUlT_E_NS1_11comp_targetILNS1_3genE10ELNS1_11target_archE1201ELNS1_3gpuE5ELNS1_3repE0EEENS1_30default_config_static_selectorELNS0_4arch9wavefront6targetE0EEEvSY_.kd
    .uniform_work_group_size: 1
    .uses_dynamic_stack: false
    .vgpr_count:     0
    .vgpr_spill_count: 0
    .wavefront_size: 32
    .workgroup_processor_mode: 1
  - .args:
      - .offset:         0
        .size:           56
        .value_kind:     by_value
    .group_segment_fixed_size: 0
    .kernarg_segment_align: 8
    .kernarg_segment_size: 56
    .language:       OpenCL C
    .language_version:
      - 2
      - 0
    .max_flat_workgroup_size: 256
    .name:           _ZN7rocprim17ROCPRIM_400000_NS6detail17trampoline_kernelINS0_14default_configENS1_27upper_bound_config_selectorIslEEZNS1_14transform_implILb0ES3_S5_N6thrust23THRUST_200600_302600_NS6detail15normal_iteratorINS8_7pointerIsNS8_11hip_rocprim5par_tENS8_11use_defaultESE_EEEENSA_INSB_IlSD_SE_SE_EEEEZNS1_13binary_searchIS3_S5_NSA_INS8_10device_ptrIsEEEESG_SI_NS1_21upper_bound_search_opENS9_16wrapped_functionINS8_6system6detail7generic6detail18binary_search_lessEbEEEE10hipError_tPvRmT1_T2_T3_mmT4_T5_P12ihipStream_tbEUlRKsE_EESV_SZ_S10_mS11_S14_bEUlT_E_NS1_11comp_targetILNS1_3genE10ELNS1_11target_archE1200ELNS1_3gpuE4ELNS1_3repE0EEENS1_30default_config_static_selectorELNS0_4arch9wavefront6targetE0EEEvSY_
    .private_segment_fixed_size: 0
    .sgpr_count:     0
    .sgpr_spill_count: 0
    .symbol:         _ZN7rocprim17ROCPRIM_400000_NS6detail17trampoline_kernelINS0_14default_configENS1_27upper_bound_config_selectorIslEEZNS1_14transform_implILb0ES3_S5_N6thrust23THRUST_200600_302600_NS6detail15normal_iteratorINS8_7pointerIsNS8_11hip_rocprim5par_tENS8_11use_defaultESE_EEEENSA_INSB_IlSD_SE_SE_EEEEZNS1_13binary_searchIS3_S5_NSA_INS8_10device_ptrIsEEEESG_SI_NS1_21upper_bound_search_opENS9_16wrapped_functionINS8_6system6detail7generic6detail18binary_search_lessEbEEEE10hipError_tPvRmT1_T2_T3_mmT4_T5_P12ihipStream_tbEUlRKsE_EESV_SZ_S10_mS11_S14_bEUlT_E_NS1_11comp_targetILNS1_3genE10ELNS1_11target_archE1200ELNS1_3gpuE4ELNS1_3repE0EEENS1_30default_config_static_selectorELNS0_4arch9wavefront6targetE0EEEvSY_.kd
    .uniform_work_group_size: 1
    .uses_dynamic_stack: false
    .vgpr_count:     0
    .vgpr_spill_count: 0
    .wavefront_size: 32
    .workgroup_processor_mode: 1
  - .args:
      - .offset:         0
        .size:           56
        .value_kind:     by_value
    .group_segment_fixed_size: 0
    .kernarg_segment_align: 8
    .kernarg_segment_size: 56
    .language:       OpenCL C
    .language_version:
      - 2
      - 0
    .max_flat_workgroup_size: 64
    .name:           _ZN7rocprim17ROCPRIM_400000_NS6detail17trampoline_kernelINS0_14default_configENS1_27upper_bound_config_selectorIslEEZNS1_14transform_implILb0ES3_S5_N6thrust23THRUST_200600_302600_NS6detail15normal_iteratorINS8_7pointerIsNS8_11hip_rocprim5par_tENS8_11use_defaultESE_EEEENSA_INSB_IlSD_SE_SE_EEEEZNS1_13binary_searchIS3_S5_NSA_INS8_10device_ptrIsEEEESG_SI_NS1_21upper_bound_search_opENS9_16wrapped_functionINS8_6system6detail7generic6detail18binary_search_lessEbEEEE10hipError_tPvRmT1_T2_T3_mmT4_T5_P12ihipStream_tbEUlRKsE_EESV_SZ_S10_mS11_S14_bEUlT_E_NS1_11comp_targetILNS1_3genE9ELNS1_11target_archE1100ELNS1_3gpuE3ELNS1_3repE0EEENS1_30default_config_static_selectorELNS0_4arch9wavefront6targetE0EEEvSY_
    .private_segment_fixed_size: 0
    .sgpr_count:     0
    .sgpr_spill_count: 0
    .symbol:         _ZN7rocprim17ROCPRIM_400000_NS6detail17trampoline_kernelINS0_14default_configENS1_27upper_bound_config_selectorIslEEZNS1_14transform_implILb0ES3_S5_N6thrust23THRUST_200600_302600_NS6detail15normal_iteratorINS8_7pointerIsNS8_11hip_rocprim5par_tENS8_11use_defaultESE_EEEENSA_INSB_IlSD_SE_SE_EEEEZNS1_13binary_searchIS3_S5_NSA_INS8_10device_ptrIsEEEESG_SI_NS1_21upper_bound_search_opENS9_16wrapped_functionINS8_6system6detail7generic6detail18binary_search_lessEbEEEE10hipError_tPvRmT1_T2_T3_mmT4_T5_P12ihipStream_tbEUlRKsE_EESV_SZ_S10_mS11_S14_bEUlT_E_NS1_11comp_targetILNS1_3genE9ELNS1_11target_archE1100ELNS1_3gpuE3ELNS1_3repE0EEENS1_30default_config_static_selectorELNS0_4arch9wavefront6targetE0EEEvSY_.kd
    .uniform_work_group_size: 1
    .uses_dynamic_stack: false
    .vgpr_count:     0
    .vgpr_spill_count: 0
    .wavefront_size: 32
    .workgroup_processor_mode: 1
  - .args:
      - .offset:         0
        .size:           56
        .value_kind:     by_value
      - .offset:         56
        .size:           4
        .value_kind:     hidden_block_count_x
      - .offset:         60
        .size:           4
        .value_kind:     hidden_block_count_y
      - .offset:         64
        .size:           4
        .value_kind:     hidden_block_count_z
      - .offset:         68
        .size:           2
        .value_kind:     hidden_group_size_x
      - .offset:         70
        .size:           2
        .value_kind:     hidden_group_size_y
      - .offset:         72
        .size:           2
        .value_kind:     hidden_group_size_z
      - .offset:         74
        .size:           2
        .value_kind:     hidden_remainder_x
      - .offset:         76
        .size:           2
        .value_kind:     hidden_remainder_y
      - .offset:         78
        .size:           2
        .value_kind:     hidden_remainder_z
      - .offset:         96
        .size:           8
        .value_kind:     hidden_global_offset_x
      - .offset:         104
        .size:           8
        .value_kind:     hidden_global_offset_y
      - .offset:         112
        .size:           8
        .value_kind:     hidden_global_offset_z
      - .offset:         120
        .size:           2
        .value_kind:     hidden_grid_dims
    .group_segment_fixed_size: 0
    .kernarg_segment_align: 8
    .kernarg_segment_size: 312
    .language:       OpenCL C
    .language_version:
      - 2
      - 0
    .max_flat_workgroup_size: 128
    .name:           _ZN7rocprim17ROCPRIM_400000_NS6detail17trampoline_kernelINS0_14default_configENS1_27upper_bound_config_selectorIslEEZNS1_14transform_implILb0ES3_S5_N6thrust23THRUST_200600_302600_NS6detail15normal_iteratorINS8_7pointerIsNS8_11hip_rocprim5par_tENS8_11use_defaultESE_EEEENSA_INSB_IlSD_SE_SE_EEEEZNS1_13binary_searchIS3_S5_NSA_INS8_10device_ptrIsEEEESG_SI_NS1_21upper_bound_search_opENS9_16wrapped_functionINS8_6system6detail7generic6detail18binary_search_lessEbEEEE10hipError_tPvRmT1_T2_T3_mmT4_T5_P12ihipStream_tbEUlRKsE_EESV_SZ_S10_mS11_S14_bEUlT_E_NS1_11comp_targetILNS1_3genE8ELNS1_11target_archE1030ELNS1_3gpuE2ELNS1_3repE0EEENS1_30default_config_static_selectorELNS0_4arch9wavefront6targetE0EEEvSY_
    .private_segment_fixed_size: 0
    .sgpr_count:     22
    .sgpr_spill_count: 0
    .symbol:         _ZN7rocprim17ROCPRIM_400000_NS6detail17trampoline_kernelINS0_14default_configENS1_27upper_bound_config_selectorIslEEZNS1_14transform_implILb0ES3_S5_N6thrust23THRUST_200600_302600_NS6detail15normal_iteratorINS8_7pointerIsNS8_11hip_rocprim5par_tENS8_11use_defaultESE_EEEENSA_INSB_IlSD_SE_SE_EEEEZNS1_13binary_searchIS3_S5_NSA_INS8_10device_ptrIsEEEESG_SI_NS1_21upper_bound_search_opENS9_16wrapped_functionINS8_6system6detail7generic6detail18binary_search_lessEbEEEE10hipError_tPvRmT1_T2_T3_mmT4_T5_P12ihipStream_tbEUlRKsE_EESV_SZ_S10_mS11_S14_bEUlT_E_NS1_11comp_targetILNS1_3genE8ELNS1_11target_archE1030ELNS1_3gpuE2ELNS1_3repE0EEENS1_30default_config_static_selectorELNS0_4arch9wavefront6targetE0EEEvSY_.kd
    .uniform_work_group_size: 1
    .uses_dynamic_stack: false
    .vgpr_count:     17
    .vgpr_spill_count: 0
    .wavefront_size: 32
    .workgroup_processor_mode: 1
  - .args:
      - .offset:         0
        .size:           56
        .value_kind:     by_value
    .group_segment_fixed_size: 0
    .kernarg_segment_align: 8
    .kernarg_segment_size: 56
    .language:       OpenCL C
    .language_version:
      - 2
      - 0
    .max_flat_workgroup_size: 128
    .name:           _ZN7rocprim17ROCPRIM_400000_NS6detail17trampoline_kernelINS0_14default_configENS1_27upper_bound_config_selectorIN6thrust23THRUST_200600_302600_NS5tupleIiiNS6_9null_typeES8_S8_S8_S8_S8_S8_S8_EElEEZNS1_14transform_implILb0ES3_SA_NS6_6detail15normal_iteratorINS6_7pointerIS9_NS6_11hip_rocprim5par_tENS6_11use_defaultESH_EEEENSD_INSE_IlSG_SH_SH_EEEEZNS1_13binary_searchIS3_SA_NSD_INS6_10device_ptrIS9_EEEESJ_SL_NS1_21upper_bound_search_opENSC_16wrapped_functionINS6_6system6detail7generic6detail18binary_search_lessEbEEEE10hipError_tPvRmT1_T2_T3_mmT4_T5_P12ihipStream_tbEUlRKS9_E_EESY_S12_S13_mS14_S17_bEUlT_E_NS1_11comp_targetILNS1_3genE0ELNS1_11target_archE4294967295ELNS1_3gpuE0ELNS1_3repE0EEENS1_30default_config_static_selectorELNS0_4arch9wavefront6targetE0EEEvS11_
    .private_segment_fixed_size: 0
    .sgpr_count:     0
    .sgpr_spill_count: 0
    .symbol:         _ZN7rocprim17ROCPRIM_400000_NS6detail17trampoline_kernelINS0_14default_configENS1_27upper_bound_config_selectorIN6thrust23THRUST_200600_302600_NS5tupleIiiNS6_9null_typeES8_S8_S8_S8_S8_S8_S8_EElEEZNS1_14transform_implILb0ES3_SA_NS6_6detail15normal_iteratorINS6_7pointerIS9_NS6_11hip_rocprim5par_tENS6_11use_defaultESH_EEEENSD_INSE_IlSG_SH_SH_EEEEZNS1_13binary_searchIS3_SA_NSD_INS6_10device_ptrIS9_EEEESJ_SL_NS1_21upper_bound_search_opENSC_16wrapped_functionINS6_6system6detail7generic6detail18binary_search_lessEbEEEE10hipError_tPvRmT1_T2_T3_mmT4_T5_P12ihipStream_tbEUlRKS9_E_EESY_S12_S13_mS14_S17_bEUlT_E_NS1_11comp_targetILNS1_3genE0ELNS1_11target_archE4294967295ELNS1_3gpuE0ELNS1_3repE0EEENS1_30default_config_static_selectorELNS0_4arch9wavefront6targetE0EEEvS11_.kd
    .uniform_work_group_size: 1
    .uses_dynamic_stack: false
    .vgpr_count:     0
    .vgpr_spill_count: 0
    .wavefront_size: 32
    .workgroup_processor_mode: 1
  - .args:
      - .offset:         0
        .size:           56
        .value_kind:     by_value
    .group_segment_fixed_size: 0
    .kernarg_segment_align: 8
    .kernarg_segment_size: 56
    .language:       OpenCL C
    .language_version:
      - 2
      - 0
    .max_flat_workgroup_size: 64
    .name:           _ZN7rocprim17ROCPRIM_400000_NS6detail17trampoline_kernelINS0_14default_configENS1_27upper_bound_config_selectorIN6thrust23THRUST_200600_302600_NS5tupleIiiNS6_9null_typeES8_S8_S8_S8_S8_S8_S8_EElEEZNS1_14transform_implILb0ES3_SA_NS6_6detail15normal_iteratorINS6_7pointerIS9_NS6_11hip_rocprim5par_tENS6_11use_defaultESH_EEEENSD_INSE_IlSG_SH_SH_EEEEZNS1_13binary_searchIS3_SA_NSD_INS6_10device_ptrIS9_EEEESJ_SL_NS1_21upper_bound_search_opENSC_16wrapped_functionINS6_6system6detail7generic6detail18binary_search_lessEbEEEE10hipError_tPvRmT1_T2_T3_mmT4_T5_P12ihipStream_tbEUlRKS9_E_EESY_S12_S13_mS14_S17_bEUlT_E_NS1_11comp_targetILNS1_3genE5ELNS1_11target_archE942ELNS1_3gpuE9ELNS1_3repE0EEENS1_30default_config_static_selectorELNS0_4arch9wavefront6targetE0EEEvS11_
    .private_segment_fixed_size: 0
    .sgpr_count:     0
    .sgpr_spill_count: 0
    .symbol:         _ZN7rocprim17ROCPRIM_400000_NS6detail17trampoline_kernelINS0_14default_configENS1_27upper_bound_config_selectorIN6thrust23THRUST_200600_302600_NS5tupleIiiNS6_9null_typeES8_S8_S8_S8_S8_S8_S8_EElEEZNS1_14transform_implILb0ES3_SA_NS6_6detail15normal_iteratorINS6_7pointerIS9_NS6_11hip_rocprim5par_tENS6_11use_defaultESH_EEEENSD_INSE_IlSG_SH_SH_EEEEZNS1_13binary_searchIS3_SA_NSD_INS6_10device_ptrIS9_EEEESJ_SL_NS1_21upper_bound_search_opENSC_16wrapped_functionINS6_6system6detail7generic6detail18binary_search_lessEbEEEE10hipError_tPvRmT1_T2_T3_mmT4_T5_P12ihipStream_tbEUlRKS9_E_EESY_S12_S13_mS14_S17_bEUlT_E_NS1_11comp_targetILNS1_3genE5ELNS1_11target_archE942ELNS1_3gpuE9ELNS1_3repE0EEENS1_30default_config_static_selectorELNS0_4arch9wavefront6targetE0EEEvS11_.kd
    .uniform_work_group_size: 1
    .uses_dynamic_stack: false
    .vgpr_count:     0
    .vgpr_spill_count: 0
    .wavefront_size: 32
    .workgroup_processor_mode: 1
  - .args:
      - .offset:         0
        .size:           56
        .value_kind:     by_value
    .group_segment_fixed_size: 0
    .kernarg_segment_align: 8
    .kernarg_segment_size: 56
    .language:       OpenCL C
    .language_version:
      - 2
      - 0
    .max_flat_workgroup_size: 64
    .name:           _ZN7rocprim17ROCPRIM_400000_NS6detail17trampoline_kernelINS0_14default_configENS1_27upper_bound_config_selectorIN6thrust23THRUST_200600_302600_NS5tupleIiiNS6_9null_typeES8_S8_S8_S8_S8_S8_S8_EElEEZNS1_14transform_implILb0ES3_SA_NS6_6detail15normal_iteratorINS6_7pointerIS9_NS6_11hip_rocprim5par_tENS6_11use_defaultESH_EEEENSD_INSE_IlSG_SH_SH_EEEEZNS1_13binary_searchIS3_SA_NSD_INS6_10device_ptrIS9_EEEESJ_SL_NS1_21upper_bound_search_opENSC_16wrapped_functionINS6_6system6detail7generic6detail18binary_search_lessEbEEEE10hipError_tPvRmT1_T2_T3_mmT4_T5_P12ihipStream_tbEUlRKS9_E_EESY_S12_S13_mS14_S17_bEUlT_E_NS1_11comp_targetILNS1_3genE4ELNS1_11target_archE910ELNS1_3gpuE8ELNS1_3repE0EEENS1_30default_config_static_selectorELNS0_4arch9wavefront6targetE0EEEvS11_
    .private_segment_fixed_size: 0
    .sgpr_count:     0
    .sgpr_spill_count: 0
    .symbol:         _ZN7rocprim17ROCPRIM_400000_NS6detail17trampoline_kernelINS0_14default_configENS1_27upper_bound_config_selectorIN6thrust23THRUST_200600_302600_NS5tupleIiiNS6_9null_typeES8_S8_S8_S8_S8_S8_S8_EElEEZNS1_14transform_implILb0ES3_SA_NS6_6detail15normal_iteratorINS6_7pointerIS9_NS6_11hip_rocprim5par_tENS6_11use_defaultESH_EEEENSD_INSE_IlSG_SH_SH_EEEEZNS1_13binary_searchIS3_SA_NSD_INS6_10device_ptrIS9_EEEESJ_SL_NS1_21upper_bound_search_opENSC_16wrapped_functionINS6_6system6detail7generic6detail18binary_search_lessEbEEEE10hipError_tPvRmT1_T2_T3_mmT4_T5_P12ihipStream_tbEUlRKS9_E_EESY_S12_S13_mS14_S17_bEUlT_E_NS1_11comp_targetILNS1_3genE4ELNS1_11target_archE910ELNS1_3gpuE8ELNS1_3repE0EEENS1_30default_config_static_selectorELNS0_4arch9wavefront6targetE0EEEvS11_.kd
    .uniform_work_group_size: 1
    .uses_dynamic_stack: false
    .vgpr_count:     0
    .vgpr_spill_count: 0
    .wavefront_size: 32
    .workgroup_processor_mode: 1
  - .args:
      - .offset:         0
        .size:           56
        .value_kind:     by_value
    .group_segment_fixed_size: 0
    .kernarg_segment_align: 8
    .kernarg_segment_size: 56
    .language:       OpenCL C
    .language_version:
      - 2
      - 0
    .max_flat_workgroup_size: 128
    .name:           _ZN7rocprim17ROCPRIM_400000_NS6detail17trampoline_kernelINS0_14default_configENS1_27upper_bound_config_selectorIN6thrust23THRUST_200600_302600_NS5tupleIiiNS6_9null_typeES8_S8_S8_S8_S8_S8_S8_EElEEZNS1_14transform_implILb0ES3_SA_NS6_6detail15normal_iteratorINS6_7pointerIS9_NS6_11hip_rocprim5par_tENS6_11use_defaultESH_EEEENSD_INSE_IlSG_SH_SH_EEEEZNS1_13binary_searchIS3_SA_NSD_INS6_10device_ptrIS9_EEEESJ_SL_NS1_21upper_bound_search_opENSC_16wrapped_functionINS6_6system6detail7generic6detail18binary_search_lessEbEEEE10hipError_tPvRmT1_T2_T3_mmT4_T5_P12ihipStream_tbEUlRKS9_E_EESY_S12_S13_mS14_S17_bEUlT_E_NS1_11comp_targetILNS1_3genE3ELNS1_11target_archE908ELNS1_3gpuE7ELNS1_3repE0EEENS1_30default_config_static_selectorELNS0_4arch9wavefront6targetE0EEEvS11_
    .private_segment_fixed_size: 0
    .sgpr_count:     0
    .sgpr_spill_count: 0
    .symbol:         _ZN7rocprim17ROCPRIM_400000_NS6detail17trampoline_kernelINS0_14default_configENS1_27upper_bound_config_selectorIN6thrust23THRUST_200600_302600_NS5tupleIiiNS6_9null_typeES8_S8_S8_S8_S8_S8_S8_EElEEZNS1_14transform_implILb0ES3_SA_NS6_6detail15normal_iteratorINS6_7pointerIS9_NS6_11hip_rocprim5par_tENS6_11use_defaultESH_EEEENSD_INSE_IlSG_SH_SH_EEEEZNS1_13binary_searchIS3_SA_NSD_INS6_10device_ptrIS9_EEEESJ_SL_NS1_21upper_bound_search_opENSC_16wrapped_functionINS6_6system6detail7generic6detail18binary_search_lessEbEEEE10hipError_tPvRmT1_T2_T3_mmT4_T5_P12ihipStream_tbEUlRKS9_E_EESY_S12_S13_mS14_S17_bEUlT_E_NS1_11comp_targetILNS1_3genE3ELNS1_11target_archE908ELNS1_3gpuE7ELNS1_3repE0EEENS1_30default_config_static_selectorELNS0_4arch9wavefront6targetE0EEEvS11_.kd
    .uniform_work_group_size: 1
    .uses_dynamic_stack: false
    .vgpr_count:     0
    .vgpr_spill_count: 0
    .wavefront_size: 32
    .workgroup_processor_mode: 1
  - .args:
      - .offset:         0
        .size:           56
        .value_kind:     by_value
    .group_segment_fixed_size: 0
    .kernarg_segment_align: 8
    .kernarg_segment_size: 56
    .language:       OpenCL C
    .language_version:
      - 2
      - 0
    .max_flat_workgroup_size: 256
    .name:           _ZN7rocprim17ROCPRIM_400000_NS6detail17trampoline_kernelINS0_14default_configENS1_27upper_bound_config_selectorIN6thrust23THRUST_200600_302600_NS5tupleIiiNS6_9null_typeES8_S8_S8_S8_S8_S8_S8_EElEEZNS1_14transform_implILb0ES3_SA_NS6_6detail15normal_iteratorINS6_7pointerIS9_NS6_11hip_rocprim5par_tENS6_11use_defaultESH_EEEENSD_INSE_IlSG_SH_SH_EEEEZNS1_13binary_searchIS3_SA_NSD_INS6_10device_ptrIS9_EEEESJ_SL_NS1_21upper_bound_search_opENSC_16wrapped_functionINS6_6system6detail7generic6detail18binary_search_lessEbEEEE10hipError_tPvRmT1_T2_T3_mmT4_T5_P12ihipStream_tbEUlRKS9_E_EESY_S12_S13_mS14_S17_bEUlT_E_NS1_11comp_targetILNS1_3genE2ELNS1_11target_archE906ELNS1_3gpuE6ELNS1_3repE0EEENS1_30default_config_static_selectorELNS0_4arch9wavefront6targetE0EEEvS11_
    .private_segment_fixed_size: 0
    .sgpr_count:     0
    .sgpr_spill_count: 0
    .symbol:         _ZN7rocprim17ROCPRIM_400000_NS6detail17trampoline_kernelINS0_14default_configENS1_27upper_bound_config_selectorIN6thrust23THRUST_200600_302600_NS5tupleIiiNS6_9null_typeES8_S8_S8_S8_S8_S8_S8_EElEEZNS1_14transform_implILb0ES3_SA_NS6_6detail15normal_iteratorINS6_7pointerIS9_NS6_11hip_rocprim5par_tENS6_11use_defaultESH_EEEENSD_INSE_IlSG_SH_SH_EEEEZNS1_13binary_searchIS3_SA_NSD_INS6_10device_ptrIS9_EEEESJ_SL_NS1_21upper_bound_search_opENSC_16wrapped_functionINS6_6system6detail7generic6detail18binary_search_lessEbEEEE10hipError_tPvRmT1_T2_T3_mmT4_T5_P12ihipStream_tbEUlRKS9_E_EESY_S12_S13_mS14_S17_bEUlT_E_NS1_11comp_targetILNS1_3genE2ELNS1_11target_archE906ELNS1_3gpuE6ELNS1_3repE0EEENS1_30default_config_static_selectorELNS0_4arch9wavefront6targetE0EEEvS11_.kd
    .uniform_work_group_size: 1
    .uses_dynamic_stack: false
    .vgpr_count:     0
    .vgpr_spill_count: 0
    .wavefront_size: 32
    .workgroup_processor_mode: 1
  - .args:
      - .offset:         0
        .size:           56
        .value_kind:     by_value
    .group_segment_fixed_size: 0
    .kernarg_segment_align: 8
    .kernarg_segment_size: 56
    .language:       OpenCL C
    .language_version:
      - 2
      - 0
    .max_flat_workgroup_size: 128
    .name:           _ZN7rocprim17ROCPRIM_400000_NS6detail17trampoline_kernelINS0_14default_configENS1_27upper_bound_config_selectorIN6thrust23THRUST_200600_302600_NS5tupleIiiNS6_9null_typeES8_S8_S8_S8_S8_S8_S8_EElEEZNS1_14transform_implILb0ES3_SA_NS6_6detail15normal_iteratorINS6_7pointerIS9_NS6_11hip_rocprim5par_tENS6_11use_defaultESH_EEEENSD_INSE_IlSG_SH_SH_EEEEZNS1_13binary_searchIS3_SA_NSD_INS6_10device_ptrIS9_EEEESJ_SL_NS1_21upper_bound_search_opENSC_16wrapped_functionINS6_6system6detail7generic6detail18binary_search_lessEbEEEE10hipError_tPvRmT1_T2_T3_mmT4_T5_P12ihipStream_tbEUlRKS9_E_EESY_S12_S13_mS14_S17_bEUlT_E_NS1_11comp_targetILNS1_3genE10ELNS1_11target_archE1201ELNS1_3gpuE5ELNS1_3repE0EEENS1_30default_config_static_selectorELNS0_4arch9wavefront6targetE0EEEvS11_
    .private_segment_fixed_size: 0
    .sgpr_count:     0
    .sgpr_spill_count: 0
    .symbol:         _ZN7rocprim17ROCPRIM_400000_NS6detail17trampoline_kernelINS0_14default_configENS1_27upper_bound_config_selectorIN6thrust23THRUST_200600_302600_NS5tupleIiiNS6_9null_typeES8_S8_S8_S8_S8_S8_S8_EElEEZNS1_14transform_implILb0ES3_SA_NS6_6detail15normal_iteratorINS6_7pointerIS9_NS6_11hip_rocprim5par_tENS6_11use_defaultESH_EEEENSD_INSE_IlSG_SH_SH_EEEEZNS1_13binary_searchIS3_SA_NSD_INS6_10device_ptrIS9_EEEESJ_SL_NS1_21upper_bound_search_opENSC_16wrapped_functionINS6_6system6detail7generic6detail18binary_search_lessEbEEEE10hipError_tPvRmT1_T2_T3_mmT4_T5_P12ihipStream_tbEUlRKS9_E_EESY_S12_S13_mS14_S17_bEUlT_E_NS1_11comp_targetILNS1_3genE10ELNS1_11target_archE1201ELNS1_3gpuE5ELNS1_3repE0EEENS1_30default_config_static_selectorELNS0_4arch9wavefront6targetE0EEEvS11_.kd
    .uniform_work_group_size: 1
    .uses_dynamic_stack: false
    .vgpr_count:     0
    .vgpr_spill_count: 0
    .wavefront_size: 32
    .workgroup_processor_mode: 1
  - .args:
      - .offset:         0
        .size:           56
        .value_kind:     by_value
    .group_segment_fixed_size: 0
    .kernarg_segment_align: 8
    .kernarg_segment_size: 56
    .language:       OpenCL C
    .language_version:
      - 2
      - 0
    .max_flat_workgroup_size: 128
    .name:           _ZN7rocprim17ROCPRIM_400000_NS6detail17trampoline_kernelINS0_14default_configENS1_27upper_bound_config_selectorIN6thrust23THRUST_200600_302600_NS5tupleIiiNS6_9null_typeES8_S8_S8_S8_S8_S8_S8_EElEEZNS1_14transform_implILb0ES3_SA_NS6_6detail15normal_iteratorINS6_7pointerIS9_NS6_11hip_rocprim5par_tENS6_11use_defaultESH_EEEENSD_INSE_IlSG_SH_SH_EEEEZNS1_13binary_searchIS3_SA_NSD_INS6_10device_ptrIS9_EEEESJ_SL_NS1_21upper_bound_search_opENSC_16wrapped_functionINS6_6system6detail7generic6detail18binary_search_lessEbEEEE10hipError_tPvRmT1_T2_T3_mmT4_T5_P12ihipStream_tbEUlRKS9_E_EESY_S12_S13_mS14_S17_bEUlT_E_NS1_11comp_targetILNS1_3genE10ELNS1_11target_archE1200ELNS1_3gpuE4ELNS1_3repE0EEENS1_30default_config_static_selectorELNS0_4arch9wavefront6targetE0EEEvS11_
    .private_segment_fixed_size: 0
    .sgpr_count:     0
    .sgpr_spill_count: 0
    .symbol:         _ZN7rocprim17ROCPRIM_400000_NS6detail17trampoline_kernelINS0_14default_configENS1_27upper_bound_config_selectorIN6thrust23THRUST_200600_302600_NS5tupleIiiNS6_9null_typeES8_S8_S8_S8_S8_S8_S8_EElEEZNS1_14transform_implILb0ES3_SA_NS6_6detail15normal_iteratorINS6_7pointerIS9_NS6_11hip_rocprim5par_tENS6_11use_defaultESH_EEEENSD_INSE_IlSG_SH_SH_EEEEZNS1_13binary_searchIS3_SA_NSD_INS6_10device_ptrIS9_EEEESJ_SL_NS1_21upper_bound_search_opENSC_16wrapped_functionINS6_6system6detail7generic6detail18binary_search_lessEbEEEE10hipError_tPvRmT1_T2_T3_mmT4_T5_P12ihipStream_tbEUlRKS9_E_EESY_S12_S13_mS14_S17_bEUlT_E_NS1_11comp_targetILNS1_3genE10ELNS1_11target_archE1200ELNS1_3gpuE4ELNS1_3repE0EEENS1_30default_config_static_selectorELNS0_4arch9wavefront6targetE0EEEvS11_.kd
    .uniform_work_group_size: 1
    .uses_dynamic_stack: false
    .vgpr_count:     0
    .vgpr_spill_count: 0
    .wavefront_size: 32
    .workgroup_processor_mode: 1
  - .args:
      - .offset:         0
        .size:           56
        .value_kind:     by_value
    .group_segment_fixed_size: 0
    .kernarg_segment_align: 8
    .kernarg_segment_size: 56
    .language:       OpenCL C
    .language_version:
      - 2
      - 0
    .max_flat_workgroup_size: 256
    .name:           _ZN7rocprim17ROCPRIM_400000_NS6detail17trampoline_kernelINS0_14default_configENS1_27upper_bound_config_selectorIN6thrust23THRUST_200600_302600_NS5tupleIiiNS6_9null_typeES8_S8_S8_S8_S8_S8_S8_EElEEZNS1_14transform_implILb0ES3_SA_NS6_6detail15normal_iteratorINS6_7pointerIS9_NS6_11hip_rocprim5par_tENS6_11use_defaultESH_EEEENSD_INSE_IlSG_SH_SH_EEEEZNS1_13binary_searchIS3_SA_NSD_INS6_10device_ptrIS9_EEEESJ_SL_NS1_21upper_bound_search_opENSC_16wrapped_functionINS6_6system6detail7generic6detail18binary_search_lessEbEEEE10hipError_tPvRmT1_T2_T3_mmT4_T5_P12ihipStream_tbEUlRKS9_E_EESY_S12_S13_mS14_S17_bEUlT_E_NS1_11comp_targetILNS1_3genE9ELNS1_11target_archE1100ELNS1_3gpuE3ELNS1_3repE0EEENS1_30default_config_static_selectorELNS0_4arch9wavefront6targetE0EEEvS11_
    .private_segment_fixed_size: 0
    .sgpr_count:     0
    .sgpr_spill_count: 0
    .symbol:         _ZN7rocprim17ROCPRIM_400000_NS6detail17trampoline_kernelINS0_14default_configENS1_27upper_bound_config_selectorIN6thrust23THRUST_200600_302600_NS5tupleIiiNS6_9null_typeES8_S8_S8_S8_S8_S8_S8_EElEEZNS1_14transform_implILb0ES3_SA_NS6_6detail15normal_iteratorINS6_7pointerIS9_NS6_11hip_rocprim5par_tENS6_11use_defaultESH_EEEENSD_INSE_IlSG_SH_SH_EEEEZNS1_13binary_searchIS3_SA_NSD_INS6_10device_ptrIS9_EEEESJ_SL_NS1_21upper_bound_search_opENSC_16wrapped_functionINS6_6system6detail7generic6detail18binary_search_lessEbEEEE10hipError_tPvRmT1_T2_T3_mmT4_T5_P12ihipStream_tbEUlRKS9_E_EESY_S12_S13_mS14_S17_bEUlT_E_NS1_11comp_targetILNS1_3genE9ELNS1_11target_archE1100ELNS1_3gpuE3ELNS1_3repE0EEENS1_30default_config_static_selectorELNS0_4arch9wavefront6targetE0EEEvS11_.kd
    .uniform_work_group_size: 1
    .uses_dynamic_stack: false
    .vgpr_count:     0
    .vgpr_spill_count: 0
    .wavefront_size: 32
    .workgroup_processor_mode: 1
  - .args:
      - .offset:         0
        .size:           56
        .value_kind:     by_value
      - .offset:         56
        .size:           4
        .value_kind:     hidden_block_count_x
      - .offset:         60
        .size:           4
        .value_kind:     hidden_block_count_y
      - .offset:         64
        .size:           4
        .value_kind:     hidden_block_count_z
      - .offset:         68
        .size:           2
        .value_kind:     hidden_group_size_x
      - .offset:         70
        .size:           2
        .value_kind:     hidden_group_size_y
      - .offset:         72
        .size:           2
        .value_kind:     hidden_group_size_z
      - .offset:         74
        .size:           2
        .value_kind:     hidden_remainder_x
      - .offset:         76
        .size:           2
        .value_kind:     hidden_remainder_y
      - .offset:         78
        .size:           2
        .value_kind:     hidden_remainder_z
      - .offset:         96
        .size:           8
        .value_kind:     hidden_global_offset_x
      - .offset:         104
        .size:           8
        .value_kind:     hidden_global_offset_y
      - .offset:         112
        .size:           8
        .value_kind:     hidden_global_offset_z
      - .offset:         120
        .size:           2
        .value_kind:     hidden_grid_dims
    .group_segment_fixed_size: 0
    .kernarg_segment_align: 8
    .kernarg_segment_size: 312
    .language:       OpenCL C
    .language_version:
      - 2
      - 0
    .max_flat_workgroup_size: 256
    .name:           _ZN7rocprim17ROCPRIM_400000_NS6detail17trampoline_kernelINS0_14default_configENS1_27upper_bound_config_selectorIN6thrust23THRUST_200600_302600_NS5tupleIiiNS6_9null_typeES8_S8_S8_S8_S8_S8_S8_EElEEZNS1_14transform_implILb0ES3_SA_NS6_6detail15normal_iteratorINS6_7pointerIS9_NS6_11hip_rocprim5par_tENS6_11use_defaultESH_EEEENSD_INSE_IlSG_SH_SH_EEEEZNS1_13binary_searchIS3_SA_NSD_INS6_10device_ptrIS9_EEEESJ_SL_NS1_21upper_bound_search_opENSC_16wrapped_functionINS6_6system6detail7generic6detail18binary_search_lessEbEEEE10hipError_tPvRmT1_T2_T3_mmT4_T5_P12ihipStream_tbEUlRKS9_E_EESY_S12_S13_mS14_S17_bEUlT_E_NS1_11comp_targetILNS1_3genE8ELNS1_11target_archE1030ELNS1_3gpuE2ELNS1_3repE0EEENS1_30default_config_static_selectorELNS0_4arch9wavefront6targetE0EEEvS11_
    .private_segment_fixed_size: 0
    .sgpr_count:     22
    .sgpr_spill_count: 0
    .symbol:         _ZN7rocprim17ROCPRIM_400000_NS6detail17trampoline_kernelINS0_14default_configENS1_27upper_bound_config_selectorIN6thrust23THRUST_200600_302600_NS5tupleIiiNS6_9null_typeES8_S8_S8_S8_S8_S8_S8_EElEEZNS1_14transform_implILb0ES3_SA_NS6_6detail15normal_iteratorINS6_7pointerIS9_NS6_11hip_rocprim5par_tENS6_11use_defaultESH_EEEENSD_INSE_IlSG_SH_SH_EEEEZNS1_13binary_searchIS3_SA_NSD_INS6_10device_ptrIS9_EEEESJ_SL_NS1_21upper_bound_search_opENSC_16wrapped_functionINS6_6system6detail7generic6detail18binary_search_lessEbEEEE10hipError_tPvRmT1_T2_T3_mmT4_T5_P12ihipStream_tbEUlRKS9_E_EESY_S12_S13_mS14_S17_bEUlT_E_NS1_11comp_targetILNS1_3genE8ELNS1_11target_archE1030ELNS1_3gpuE2ELNS1_3repE0EEENS1_30default_config_static_selectorELNS0_4arch9wavefront6targetE0EEEvS11_.kd
    .uniform_work_group_size: 1
    .uses_dynamic_stack: false
    .vgpr_count:     13
    .vgpr_spill_count: 0
    .wavefront_size: 32
    .workgroup_processor_mode: 1
  - .args:
      - .offset:         0
        .size:           56
        .value_kind:     by_value
    .group_segment_fixed_size: 0
    .kernarg_segment_align: 8
    .kernarg_segment_size: 56
    .language:       OpenCL C
    .language_version:
      - 2
      - 0
    .max_flat_workgroup_size: 256
    .name:           _ZN7rocprim17ROCPRIM_400000_NS6detail17trampoline_kernelINS0_14default_configENS1_27upper_bound_config_selectorIiiEEZNS1_14transform_implILb0ES3_S5_N6thrust23THRUST_200600_302600_NS6detail15normal_iteratorINS8_10device_ptrIiEEEESD_ZNS1_13binary_searchIS3_S5_SD_SD_SD_NS1_21upper_bound_search_opENS9_16wrapped_functionINS0_4lessIvEEbEEEE10hipError_tPvRmT1_T2_T3_mmT4_T5_P12ihipStream_tbEUlRKiE_EESK_SO_SP_mSQ_ST_bEUlT_E_NS1_11comp_targetILNS1_3genE0ELNS1_11target_archE4294967295ELNS1_3gpuE0ELNS1_3repE0EEENS1_30default_config_static_selectorELNS0_4arch9wavefront6targetE0EEEvSN_
    .private_segment_fixed_size: 0
    .sgpr_count:     0
    .sgpr_spill_count: 0
    .symbol:         _ZN7rocprim17ROCPRIM_400000_NS6detail17trampoline_kernelINS0_14default_configENS1_27upper_bound_config_selectorIiiEEZNS1_14transform_implILb0ES3_S5_N6thrust23THRUST_200600_302600_NS6detail15normal_iteratorINS8_10device_ptrIiEEEESD_ZNS1_13binary_searchIS3_S5_SD_SD_SD_NS1_21upper_bound_search_opENS9_16wrapped_functionINS0_4lessIvEEbEEEE10hipError_tPvRmT1_T2_T3_mmT4_T5_P12ihipStream_tbEUlRKiE_EESK_SO_SP_mSQ_ST_bEUlT_E_NS1_11comp_targetILNS1_3genE0ELNS1_11target_archE4294967295ELNS1_3gpuE0ELNS1_3repE0EEENS1_30default_config_static_selectorELNS0_4arch9wavefront6targetE0EEEvSN_.kd
    .uniform_work_group_size: 1
    .uses_dynamic_stack: false
    .vgpr_count:     0
    .vgpr_spill_count: 0
    .wavefront_size: 32
    .workgroup_processor_mode: 1
  - .args:
      - .offset:         0
        .size:           56
        .value_kind:     by_value
    .group_segment_fixed_size: 0
    .kernarg_segment_align: 8
    .kernarg_segment_size: 56
    .language:       OpenCL C
    .language_version:
      - 2
      - 0
    .max_flat_workgroup_size: 256
    .name:           _ZN7rocprim17ROCPRIM_400000_NS6detail17trampoline_kernelINS0_14default_configENS1_27upper_bound_config_selectorIiiEEZNS1_14transform_implILb0ES3_S5_N6thrust23THRUST_200600_302600_NS6detail15normal_iteratorINS8_10device_ptrIiEEEESD_ZNS1_13binary_searchIS3_S5_SD_SD_SD_NS1_21upper_bound_search_opENS9_16wrapped_functionINS0_4lessIvEEbEEEE10hipError_tPvRmT1_T2_T3_mmT4_T5_P12ihipStream_tbEUlRKiE_EESK_SO_SP_mSQ_ST_bEUlT_E_NS1_11comp_targetILNS1_3genE5ELNS1_11target_archE942ELNS1_3gpuE9ELNS1_3repE0EEENS1_30default_config_static_selectorELNS0_4arch9wavefront6targetE0EEEvSN_
    .private_segment_fixed_size: 0
    .sgpr_count:     0
    .sgpr_spill_count: 0
    .symbol:         _ZN7rocprim17ROCPRIM_400000_NS6detail17trampoline_kernelINS0_14default_configENS1_27upper_bound_config_selectorIiiEEZNS1_14transform_implILb0ES3_S5_N6thrust23THRUST_200600_302600_NS6detail15normal_iteratorINS8_10device_ptrIiEEEESD_ZNS1_13binary_searchIS3_S5_SD_SD_SD_NS1_21upper_bound_search_opENS9_16wrapped_functionINS0_4lessIvEEbEEEE10hipError_tPvRmT1_T2_T3_mmT4_T5_P12ihipStream_tbEUlRKiE_EESK_SO_SP_mSQ_ST_bEUlT_E_NS1_11comp_targetILNS1_3genE5ELNS1_11target_archE942ELNS1_3gpuE9ELNS1_3repE0EEENS1_30default_config_static_selectorELNS0_4arch9wavefront6targetE0EEEvSN_.kd
    .uniform_work_group_size: 1
    .uses_dynamic_stack: false
    .vgpr_count:     0
    .vgpr_spill_count: 0
    .wavefront_size: 32
    .workgroup_processor_mode: 1
  - .args:
      - .offset:         0
        .size:           56
        .value_kind:     by_value
    .group_segment_fixed_size: 0
    .kernarg_segment_align: 8
    .kernarg_segment_size: 56
    .language:       OpenCL C
    .language_version:
      - 2
      - 0
    .max_flat_workgroup_size: 256
    .name:           _ZN7rocprim17ROCPRIM_400000_NS6detail17trampoline_kernelINS0_14default_configENS1_27upper_bound_config_selectorIiiEEZNS1_14transform_implILb0ES3_S5_N6thrust23THRUST_200600_302600_NS6detail15normal_iteratorINS8_10device_ptrIiEEEESD_ZNS1_13binary_searchIS3_S5_SD_SD_SD_NS1_21upper_bound_search_opENS9_16wrapped_functionINS0_4lessIvEEbEEEE10hipError_tPvRmT1_T2_T3_mmT4_T5_P12ihipStream_tbEUlRKiE_EESK_SO_SP_mSQ_ST_bEUlT_E_NS1_11comp_targetILNS1_3genE4ELNS1_11target_archE910ELNS1_3gpuE8ELNS1_3repE0EEENS1_30default_config_static_selectorELNS0_4arch9wavefront6targetE0EEEvSN_
    .private_segment_fixed_size: 0
    .sgpr_count:     0
    .sgpr_spill_count: 0
    .symbol:         _ZN7rocprim17ROCPRIM_400000_NS6detail17trampoline_kernelINS0_14default_configENS1_27upper_bound_config_selectorIiiEEZNS1_14transform_implILb0ES3_S5_N6thrust23THRUST_200600_302600_NS6detail15normal_iteratorINS8_10device_ptrIiEEEESD_ZNS1_13binary_searchIS3_S5_SD_SD_SD_NS1_21upper_bound_search_opENS9_16wrapped_functionINS0_4lessIvEEbEEEE10hipError_tPvRmT1_T2_T3_mmT4_T5_P12ihipStream_tbEUlRKiE_EESK_SO_SP_mSQ_ST_bEUlT_E_NS1_11comp_targetILNS1_3genE4ELNS1_11target_archE910ELNS1_3gpuE8ELNS1_3repE0EEENS1_30default_config_static_selectorELNS0_4arch9wavefront6targetE0EEEvSN_.kd
    .uniform_work_group_size: 1
    .uses_dynamic_stack: false
    .vgpr_count:     0
    .vgpr_spill_count: 0
    .wavefront_size: 32
    .workgroup_processor_mode: 1
  - .args:
      - .offset:         0
        .size:           56
        .value_kind:     by_value
    .group_segment_fixed_size: 0
    .kernarg_segment_align: 8
    .kernarg_segment_size: 56
    .language:       OpenCL C
    .language_version:
      - 2
      - 0
    .max_flat_workgroup_size: 256
    .name:           _ZN7rocprim17ROCPRIM_400000_NS6detail17trampoline_kernelINS0_14default_configENS1_27upper_bound_config_selectorIiiEEZNS1_14transform_implILb0ES3_S5_N6thrust23THRUST_200600_302600_NS6detail15normal_iteratorINS8_10device_ptrIiEEEESD_ZNS1_13binary_searchIS3_S5_SD_SD_SD_NS1_21upper_bound_search_opENS9_16wrapped_functionINS0_4lessIvEEbEEEE10hipError_tPvRmT1_T2_T3_mmT4_T5_P12ihipStream_tbEUlRKiE_EESK_SO_SP_mSQ_ST_bEUlT_E_NS1_11comp_targetILNS1_3genE3ELNS1_11target_archE908ELNS1_3gpuE7ELNS1_3repE0EEENS1_30default_config_static_selectorELNS0_4arch9wavefront6targetE0EEEvSN_
    .private_segment_fixed_size: 0
    .sgpr_count:     0
    .sgpr_spill_count: 0
    .symbol:         _ZN7rocprim17ROCPRIM_400000_NS6detail17trampoline_kernelINS0_14default_configENS1_27upper_bound_config_selectorIiiEEZNS1_14transform_implILb0ES3_S5_N6thrust23THRUST_200600_302600_NS6detail15normal_iteratorINS8_10device_ptrIiEEEESD_ZNS1_13binary_searchIS3_S5_SD_SD_SD_NS1_21upper_bound_search_opENS9_16wrapped_functionINS0_4lessIvEEbEEEE10hipError_tPvRmT1_T2_T3_mmT4_T5_P12ihipStream_tbEUlRKiE_EESK_SO_SP_mSQ_ST_bEUlT_E_NS1_11comp_targetILNS1_3genE3ELNS1_11target_archE908ELNS1_3gpuE7ELNS1_3repE0EEENS1_30default_config_static_selectorELNS0_4arch9wavefront6targetE0EEEvSN_.kd
    .uniform_work_group_size: 1
    .uses_dynamic_stack: false
    .vgpr_count:     0
    .vgpr_spill_count: 0
    .wavefront_size: 32
    .workgroup_processor_mode: 1
  - .args:
      - .offset:         0
        .size:           56
        .value_kind:     by_value
    .group_segment_fixed_size: 0
    .kernarg_segment_align: 8
    .kernarg_segment_size: 56
    .language:       OpenCL C
    .language_version:
      - 2
      - 0
    .max_flat_workgroup_size: 256
    .name:           _ZN7rocprim17ROCPRIM_400000_NS6detail17trampoline_kernelINS0_14default_configENS1_27upper_bound_config_selectorIiiEEZNS1_14transform_implILb0ES3_S5_N6thrust23THRUST_200600_302600_NS6detail15normal_iteratorINS8_10device_ptrIiEEEESD_ZNS1_13binary_searchIS3_S5_SD_SD_SD_NS1_21upper_bound_search_opENS9_16wrapped_functionINS0_4lessIvEEbEEEE10hipError_tPvRmT1_T2_T3_mmT4_T5_P12ihipStream_tbEUlRKiE_EESK_SO_SP_mSQ_ST_bEUlT_E_NS1_11comp_targetILNS1_3genE2ELNS1_11target_archE906ELNS1_3gpuE6ELNS1_3repE0EEENS1_30default_config_static_selectorELNS0_4arch9wavefront6targetE0EEEvSN_
    .private_segment_fixed_size: 0
    .sgpr_count:     0
    .sgpr_spill_count: 0
    .symbol:         _ZN7rocprim17ROCPRIM_400000_NS6detail17trampoline_kernelINS0_14default_configENS1_27upper_bound_config_selectorIiiEEZNS1_14transform_implILb0ES3_S5_N6thrust23THRUST_200600_302600_NS6detail15normal_iteratorINS8_10device_ptrIiEEEESD_ZNS1_13binary_searchIS3_S5_SD_SD_SD_NS1_21upper_bound_search_opENS9_16wrapped_functionINS0_4lessIvEEbEEEE10hipError_tPvRmT1_T2_T3_mmT4_T5_P12ihipStream_tbEUlRKiE_EESK_SO_SP_mSQ_ST_bEUlT_E_NS1_11comp_targetILNS1_3genE2ELNS1_11target_archE906ELNS1_3gpuE6ELNS1_3repE0EEENS1_30default_config_static_selectorELNS0_4arch9wavefront6targetE0EEEvSN_.kd
    .uniform_work_group_size: 1
    .uses_dynamic_stack: false
    .vgpr_count:     0
    .vgpr_spill_count: 0
    .wavefront_size: 32
    .workgroup_processor_mode: 1
  - .args:
      - .offset:         0
        .size:           56
        .value_kind:     by_value
    .group_segment_fixed_size: 0
    .kernarg_segment_align: 8
    .kernarg_segment_size: 56
    .language:       OpenCL C
    .language_version:
      - 2
      - 0
    .max_flat_workgroup_size: 128
    .name:           _ZN7rocprim17ROCPRIM_400000_NS6detail17trampoline_kernelINS0_14default_configENS1_27upper_bound_config_selectorIiiEEZNS1_14transform_implILb0ES3_S5_N6thrust23THRUST_200600_302600_NS6detail15normal_iteratorINS8_10device_ptrIiEEEESD_ZNS1_13binary_searchIS3_S5_SD_SD_SD_NS1_21upper_bound_search_opENS9_16wrapped_functionINS0_4lessIvEEbEEEE10hipError_tPvRmT1_T2_T3_mmT4_T5_P12ihipStream_tbEUlRKiE_EESK_SO_SP_mSQ_ST_bEUlT_E_NS1_11comp_targetILNS1_3genE10ELNS1_11target_archE1201ELNS1_3gpuE5ELNS1_3repE0EEENS1_30default_config_static_selectorELNS0_4arch9wavefront6targetE0EEEvSN_
    .private_segment_fixed_size: 0
    .sgpr_count:     0
    .sgpr_spill_count: 0
    .symbol:         _ZN7rocprim17ROCPRIM_400000_NS6detail17trampoline_kernelINS0_14default_configENS1_27upper_bound_config_selectorIiiEEZNS1_14transform_implILb0ES3_S5_N6thrust23THRUST_200600_302600_NS6detail15normal_iteratorINS8_10device_ptrIiEEEESD_ZNS1_13binary_searchIS3_S5_SD_SD_SD_NS1_21upper_bound_search_opENS9_16wrapped_functionINS0_4lessIvEEbEEEE10hipError_tPvRmT1_T2_T3_mmT4_T5_P12ihipStream_tbEUlRKiE_EESK_SO_SP_mSQ_ST_bEUlT_E_NS1_11comp_targetILNS1_3genE10ELNS1_11target_archE1201ELNS1_3gpuE5ELNS1_3repE0EEENS1_30default_config_static_selectorELNS0_4arch9wavefront6targetE0EEEvSN_.kd
    .uniform_work_group_size: 1
    .uses_dynamic_stack: false
    .vgpr_count:     0
    .vgpr_spill_count: 0
    .wavefront_size: 32
    .workgroup_processor_mode: 1
  - .args:
      - .offset:         0
        .size:           56
        .value_kind:     by_value
    .group_segment_fixed_size: 0
    .kernarg_segment_align: 8
    .kernarg_segment_size: 56
    .language:       OpenCL C
    .language_version:
      - 2
      - 0
    .max_flat_workgroup_size: 128
    .name:           _ZN7rocprim17ROCPRIM_400000_NS6detail17trampoline_kernelINS0_14default_configENS1_27upper_bound_config_selectorIiiEEZNS1_14transform_implILb0ES3_S5_N6thrust23THRUST_200600_302600_NS6detail15normal_iteratorINS8_10device_ptrIiEEEESD_ZNS1_13binary_searchIS3_S5_SD_SD_SD_NS1_21upper_bound_search_opENS9_16wrapped_functionINS0_4lessIvEEbEEEE10hipError_tPvRmT1_T2_T3_mmT4_T5_P12ihipStream_tbEUlRKiE_EESK_SO_SP_mSQ_ST_bEUlT_E_NS1_11comp_targetILNS1_3genE10ELNS1_11target_archE1200ELNS1_3gpuE4ELNS1_3repE0EEENS1_30default_config_static_selectorELNS0_4arch9wavefront6targetE0EEEvSN_
    .private_segment_fixed_size: 0
    .sgpr_count:     0
    .sgpr_spill_count: 0
    .symbol:         _ZN7rocprim17ROCPRIM_400000_NS6detail17trampoline_kernelINS0_14default_configENS1_27upper_bound_config_selectorIiiEEZNS1_14transform_implILb0ES3_S5_N6thrust23THRUST_200600_302600_NS6detail15normal_iteratorINS8_10device_ptrIiEEEESD_ZNS1_13binary_searchIS3_S5_SD_SD_SD_NS1_21upper_bound_search_opENS9_16wrapped_functionINS0_4lessIvEEbEEEE10hipError_tPvRmT1_T2_T3_mmT4_T5_P12ihipStream_tbEUlRKiE_EESK_SO_SP_mSQ_ST_bEUlT_E_NS1_11comp_targetILNS1_3genE10ELNS1_11target_archE1200ELNS1_3gpuE4ELNS1_3repE0EEENS1_30default_config_static_selectorELNS0_4arch9wavefront6targetE0EEEvSN_.kd
    .uniform_work_group_size: 1
    .uses_dynamic_stack: false
    .vgpr_count:     0
    .vgpr_spill_count: 0
    .wavefront_size: 32
    .workgroup_processor_mode: 1
  - .args:
      - .offset:         0
        .size:           56
        .value_kind:     by_value
    .group_segment_fixed_size: 0
    .kernarg_segment_align: 8
    .kernarg_segment_size: 56
    .language:       OpenCL C
    .language_version:
      - 2
      - 0
    .max_flat_workgroup_size: 256
    .name:           _ZN7rocprim17ROCPRIM_400000_NS6detail17trampoline_kernelINS0_14default_configENS1_27upper_bound_config_selectorIiiEEZNS1_14transform_implILb0ES3_S5_N6thrust23THRUST_200600_302600_NS6detail15normal_iteratorINS8_10device_ptrIiEEEESD_ZNS1_13binary_searchIS3_S5_SD_SD_SD_NS1_21upper_bound_search_opENS9_16wrapped_functionINS0_4lessIvEEbEEEE10hipError_tPvRmT1_T2_T3_mmT4_T5_P12ihipStream_tbEUlRKiE_EESK_SO_SP_mSQ_ST_bEUlT_E_NS1_11comp_targetILNS1_3genE9ELNS1_11target_archE1100ELNS1_3gpuE3ELNS1_3repE0EEENS1_30default_config_static_selectorELNS0_4arch9wavefront6targetE0EEEvSN_
    .private_segment_fixed_size: 0
    .sgpr_count:     0
    .sgpr_spill_count: 0
    .symbol:         _ZN7rocprim17ROCPRIM_400000_NS6detail17trampoline_kernelINS0_14default_configENS1_27upper_bound_config_selectorIiiEEZNS1_14transform_implILb0ES3_S5_N6thrust23THRUST_200600_302600_NS6detail15normal_iteratorINS8_10device_ptrIiEEEESD_ZNS1_13binary_searchIS3_S5_SD_SD_SD_NS1_21upper_bound_search_opENS9_16wrapped_functionINS0_4lessIvEEbEEEE10hipError_tPvRmT1_T2_T3_mmT4_T5_P12ihipStream_tbEUlRKiE_EESK_SO_SP_mSQ_ST_bEUlT_E_NS1_11comp_targetILNS1_3genE9ELNS1_11target_archE1100ELNS1_3gpuE3ELNS1_3repE0EEENS1_30default_config_static_selectorELNS0_4arch9wavefront6targetE0EEEvSN_.kd
    .uniform_work_group_size: 1
    .uses_dynamic_stack: false
    .vgpr_count:     0
    .vgpr_spill_count: 0
    .wavefront_size: 32
    .workgroup_processor_mode: 1
  - .args:
      - .offset:         0
        .size:           56
        .value_kind:     by_value
      - .offset:         56
        .size:           4
        .value_kind:     hidden_block_count_x
      - .offset:         60
        .size:           4
        .value_kind:     hidden_block_count_y
      - .offset:         64
        .size:           4
        .value_kind:     hidden_block_count_z
      - .offset:         68
        .size:           2
        .value_kind:     hidden_group_size_x
      - .offset:         70
        .size:           2
        .value_kind:     hidden_group_size_y
      - .offset:         72
        .size:           2
        .value_kind:     hidden_group_size_z
      - .offset:         74
        .size:           2
        .value_kind:     hidden_remainder_x
      - .offset:         76
        .size:           2
        .value_kind:     hidden_remainder_y
      - .offset:         78
        .size:           2
        .value_kind:     hidden_remainder_z
      - .offset:         96
        .size:           8
        .value_kind:     hidden_global_offset_x
      - .offset:         104
        .size:           8
        .value_kind:     hidden_global_offset_y
      - .offset:         112
        .size:           8
        .value_kind:     hidden_global_offset_z
      - .offset:         120
        .size:           2
        .value_kind:     hidden_grid_dims
    .group_segment_fixed_size: 0
    .kernarg_segment_align: 8
    .kernarg_segment_size: 312
    .language:       OpenCL C
    .language_version:
      - 2
      - 0
    .max_flat_workgroup_size: 256
    .name:           _ZN7rocprim17ROCPRIM_400000_NS6detail17trampoline_kernelINS0_14default_configENS1_27upper_bound_config_selectorIiiEEZNS1_14transform_implILb0ES3_S5_N6thrust23THRUST_200600_302600_NS6detail15normal_iteratorINS8_10device_ptrIiEEEESD_ZNS1_13binary_searchIS3_S5_SD_SD_SD_NS1_21upper_bound_search_opENS9_16wrapped_functionINS0_4lessIvEEbEEEE10hipError_tPvRmT1_T2_T3_mmT4_T5_P12ihipStream_tbEUlRKiE_EESK_SO_SP_mSQ_ST_bEUlT_E_NS1_11comp_targetILNS1_3genE8ELNS1_11target_archE1030ELNS1_3gpuE2ELNS1_3repE0EEENS1_30default_config_static_selectorELNS0_4arch9wavefront6targetE0EEEvSN_
    .private_segment_fixed_size: 0
    .sgpr_count:     20
    .sgpr_spill_count: 0
    .symbol:         _ZN7rocprim17ROCPRIM_400000_NS6detail17trampoline_kernelINS0_14default_configENS1_27upper_bound_config_selectorIiiEEZNS1_14transform_implILb0ES3_S5_N6thrust23THRUST_200600_302600_NS6detail15normal_iteratorINS8_10device_ptrIiEEEESD_ZNS1_13binary_searchIS3_S5_SD_SD_SD_NS1_21upper_bound_search_opENS9_16wrapped_functionINS0_4lessIvEEbEEEE10hipError_tPvRmT1_T2_T3_mmT4_T5_P12ihipStream_tbEUlRKiE_EESK_SO_SP_mSQ_ST_bEUlT_E_NS1_11comp_targetILNS1_3genE8ELNS1_11target_archE1030ELNS1_3gpuE2ELNS1_3repE0EEENS1_30default_config_static_selectorELNS0_4arch9wavefront6targetE0EEEvSN_.kd
    .uniform_work_group_size: 1
    .uses_dynamic_stack: false
    .vgpr_count:     12
    .vgpr_spill_count: 0
    .wavefront_size: 32
    .workgroup_processor_mode: 1
  - .args:
      - .offset:         0
        .size:           56
        .value_kind:     by_value
    .group_segment_fixed_size: 0
    .kernarg_segment_align: 8
    .kernarg_segment_size: 56
    .language:       OpenCL C
    .language_version:
      - 2
      - 0
    .max_flat_workgroup_size: 64
    .name:           _ZN7rocprim17ROCPRIM_400000_NS6detail17trampoline_kernelINS0_14default_configENS1_27upper_bound_config_selectorIN6thrust23THRUST_200600_302600_NS5tupleIiiNS6_9null_typeES8_S8_S8_S8_S8_S8_S8_EEiEEZNS1_14transform_implILb0ES3_SA_NS6_6detail15normal_iteratorINS6_10device_ptrIS9_EEEENSD_INSE_IiEEEEZNS1_13binary_searchIS3_SA_SG_SG_SI_NS1_21upper_bound_search_opENSC_16wrapped_functionINS0_4lessIvEEbEEEE10hipError_tPvRmT1_T2_T3_mmT4_T5_P12ihipStream_tbEUlRKS9_E_EESP_ST_SU_mSV_SY_bEUlT_E_NS1_11comp_targetILNS1_3genE0ELNS1_11target_archE4294967295ELNS1_3gpuE0ELNS1_3repE0EEENS1_30default_config_static_selectorELNS0_4arch9wavefront6targetE0EEEvSS_
    .private_segment_fixed_size: 0
    .sgpr_count:     0
    .sgpr_spill_count: 0
    .symbol:         _ZN7rocprim17ROCPRIM_400000_NS6detail17trampoline_kernelINS0_14default_configENS1_27upper_bound_config_selectorIN6thrust23THRUST_200600_302600_NS5tupleIiiNS6_9null_typeES8_S8_S8_S8_S8_S8_S8_EEiEEZNS1_14transform_implILb0ES3_SA_NS6_6detail15normal_iteratorINS6_10device_ptrIS9_EEEENSD_INSE_IiEEEEZNS1_13binary_searchIS3_SA_SG_SG_SI_NS1_21upper_bound_search_opENSC_16wrapped_functionINS0_4lessIvEEbEEEE10hipError_tPvRmT1_T2_T3_mmT4_T5_P12ihipStream_tbEUlRKS9_E_EESP_ST_SU_mSV_SY_bEUlT_E_NS1_11comp_targetILNS1_3genE0ELNS1_11target_archE4294967295ELNS1_3gpuE0ELNS1_3repE0EEENS1_30default_config_static_selectorELNS0_4arch9wavefront6targetE0EEEvSS_.kd
    .uniform_work_group_size: 1
    .uses_dynamic_stack: false
    .vgpr_count:     0
    .vgpr_spill_count: 0
    .wavefront_size: 32
    .workgroup_processor_mode: 1
  - .args:
      - .offset:         0
        .size:           56
        .value_kind:     by_value
    .group_segment_fixed_size: 0
    .kernarg_segment_align: 8
    .kernarg_segment_size: 56
    .language:       OpenCL C
    .language_version:
      - 2
      - 0
    .max_flat_workgroup_size: 64
    .name:           _ZN7rocprim17ROCPRIM_400000_NS6detail17trampoline_kernelINS0_14default_configENS1_27upper_bound_config_selectorIN6thrust23THRUST_200600_302600_NS5tupleIiiNS6_9null_typeES8_S8_S8_S8_S8_S8_S8_EEiEEZNS1_14transform_implILb0ES3_SA_NS6_6detail15normal_iteratorINS6_10device_ptrIS9_EEEENSD_INSE_IiEEEEZNS1_13binary_searchIS3_SA_SG_SG_SI_NS1_21upper_bound_search_opENSC_16wrapped_functionINS0_4lessIvEEbEEEE10hipError_tPvRmT1_T2_T3_mmT4_T5_P12ihipStream_tbEUlRKS9_E_EESP_ST_SU_mSV_SY_bEUlT_E_NS1_11comp_targetILNS1_3genE5ELNS1_11target_archE942ELNS1_3gpuE9ELNS1_3repE0EEENS1_30default_config_static_selectorELNS0_4arch9wavefront6targetE0EEEvSS_
    .private_segment_fixed_size: 0
    .sgpr_count:     0
    .sgpr_spill_count: 0
    .symbol:         _ZN7rocprim17ROCPRIM_400000_NS6detail17trampoline_kernelINS0_14default_configENS1_27upper_bound_config_selectorIN6thrust23THRUST_200600_302600_NS5tupleIiiNS6_9null_typeES8_S8_S8_S8_S8_S8_S8_EEiEEZNS1_14transform_implILb0ES3_SA_NS6_6detail15normal_iteratorINS6_10device_ptrIS9_EEEENSD_INSE_IiEEEEZNS1_13binary_searchIS3_SA_SG_SG_SI_NS1_21upper_bound_search_opENSC_16wrapped_functionINS0_4lessIvEEbEEEE10hipError_tPvRmT1_T2_T3_mmT4_T5_P12ihipStream_tbEUlRKS9_E_EESP_ST_SU_mSV_SY_bEUlT_E_NS1_11comp_targetILNS1_3genE5ELNS1_11target_archE942ELNS1_3gpuE9ELNS1_3repE0EEENS1_30default_config_static_selectorELNS0_4arch9wavefront6targetE0EEEvSS_.kd
    .uniform_work_group_size: 1
    .uses_dynamic_stack: false
    .vgpr_count:     0
    .vgpr_spill_count: 0
    .wavefront_size: 32
    .workgroup_processor_mode: 1
  - .args:
      - .offset:         0
        .size:           56
        .value_kind:     by_value
    .group_segment_fixed_size: 0
    .kernarg_segment_align: 8
    .kernarg_segment_size: 56
    .language:       OpenCL C
    .language_version:
      - 2
      - 0
    .max_flat_workgroup_size: 64
    .name:           _ZN7rocprim17ROCPRIM_400000_NS6detail17trampoline_kernelINS0_14default_configENS1_27upper_bound_config_selectorIN6thrust23THRUST_200600_302600_NS5tupleIiiNS6_9null_typeES8_S8_S8_S8_S8_S8_S8_EEiEEZNS1_14transform_implILb0ES3_SA_NS6_6detail15normal_iteratorINS6_10device_ptrIS9_EEEENSD_INSE_IiEEEEZNS1_13binary_searchIS3_SA_SG_SG_SI_NS1_21upper_bound_search_opENSC_16wrapped_functionINS0_4lessIvEEbEEEE10hipError_tPvRmT1_T2_T3_mmT4_T5_P12ihipStream_tbEUlRKS9_E_EESP_ST_SU_mSV_SY_bEUlT_E_NS1_11comp_targetILNS1_3genE4ELNS1_11target_archE910ELNS1_3gpuE8ELNS1_3repE0EEENS1_30default_config_static_selectorELNS0_4arch9wavefront6targetE0EEEvSS_
    .private_segment_fixed_size: 0
    .sgpr_count:     0
    .sgpr_spill_count: 0
    .symbol:         _ZN7rocprim17ROCPRIM_400000_NS6detail17trampoline_kernelINS0_14default_configENS1_27upper_bound_config_selectorIN6thrust23THRUST_200600_302600_NS5tupleIiiNS6_9null_typeES8_S8_S8_S8_S8_S8_S8_EEiEEZNS1_14transform_implILb0ES3_SA_NS6_6detail15normal_iteratorINS6_10device_ptrIS9_EEEENSD_INSE_IiEEEEZNS1_13binary_searchIS3_SA_SG_SG_SI_NS1_21upper_bound_search_opENSC_16wrapped_functionINS0_4lessIvEEbEEEE10hipError_tPvRmT1_T2_T3_mmT4_T5_P12ihipStream_tbEUlRKS9_E_EESP_ST_SU_mSV_SY_bEUlT_E_NS1_11comp_targetILNS1_3genE4ELNS1_11target_archE910ELNS1_3gpuE8ELNS1_3repE0EEENS1_30default_config_static_selectorELNS0_4arch9wavefront6targetE0EEEvSS_.kd
    .uniform_work_group_size: 1
    .uses_dynamic_stack: false
    .vgpr_count:     0
    .vgpr_spill_count: 0
    .wavefront_size: 32
    .workgroup_processor_mode: 1
  - .args:
      - .offset:         0
        .size:           56
        .value_kind:     by_value
    .group_segment_fixed_size: 0
    .kernarg_segment_align: 8
    .kernarg_segment_size: 56
    .language:       OpenCL C
    .language_version:
      - 2
      - 0
    .max_flat_workgroup_size: 64
    .name:           _ZN7rocprim17ROCPRIM_400000_NS6detail17trampoline_kernelINS0_14default_configENS1_27upper_bound_config_selectorIN6thrust23THRUST_200600_302600_NS5tupleIiiNS6_9null_typeES8_S8_S8_S8_S8_S8_S8_EEiEEZNS1_14transform_implILb0ES3_SA_NS6_6detail15normal_iteratorINS6_10device_ptrIS9_EEEENSD_INSE_IiEEEEZNS1_13binary_searchIS3_SA_SG_SG_SI_NS1_21upper_bound_search_opENSC_16wrapped_functionINS0_4lessIvEEbEEEE10hipError_tPvRmT1_T2_T3_mmT4_T5_P12ihipStream_tbEUlRKS9_E_EESP_ST_SU_mSV_SY_bEUlT_E_NS1_11comp_targetILNS1_3genE3ELNS1_11target_archE908ELNS1_3gpuE7ELNS1_3repE0EEENS1_30default_config_static_selectorELNS0_4arch9wavefront6targetE0EEEvSS_
    .private_segment_fixed_size: 0
    .sgpr_count:     0
    .sgpr_spill_count: 0
    .symbol:         _ZN7rocprim17ROCPRIM_400000_NS6detail17trampoline_kernelINS0_14default_configENS1_27upper_bound_config_selectorIN6thrust23THRUST_200600_302600_NS5tupleIiiNS6_9null_typeES8_S8_S8_S8_S8_S8_S8_EEiEEZNS1_14transform_implILb0ES3_SA_NS6_6detail15normal_iteratorINS6_10device_ptrIS9_EEEENSD_INSE_IiEEEEZNS1_13binary_searchIS3_SA_SG_SG_SI_NS1_21upper_bound_search_opENSC_16wrapped_functionINS0_4lessIvEEbEEEE10hipError_tPvRmT1_T2_T3_mmT4_T5_P12ihipStream_tbEUlRKS9_E_EESP_ST_SU_mSV_SY_bEUlT_E_NS1_11comp_targetILNS1_3genE3ELNS1_11target_archE908ELNS1_3gpuE7ELNS1_3repE0EEENS1_30default_config_static_selectorELNS0_4arch9wavefront6targetE0EEEvSS_.kd
    .uniform_work_group_size: 1
    .uses_dynamic_stack: false
    .vgpr_count:     0
    .vgpr_spill_count: 0
    .wavefront_size: 32
    .workgroup_processor_mode: 1
  - .args:
      - .offset:         0
        .size:           56
        .value_kind:     by_value
    .group_segment_fixed_size: 0
    .kernarg_segment_align: 8
    .kernarg_segment_size: 56
    .language:       OpenCL C
    .language_version:
      - 2
      - 0
    .max_flat_workgroup_size: 256
    .name:           _ZN7rocprim17ROCPRIM_400000_NS6detail17trampoline_kernelINS0_14default_configENS1_27upper_bound_config_selectorIN6thrust23THRUST_200600_302600_NS5tupleIiiNS6_9null_typeES8_S8_S8_S8_S8_S8_S8_EEiEEZNS1_14transform_implILb0ES3_SA_NS6_6detail15normal_iteratorINS6_10device_ptrIS9_EEEENSD_INSE_IiEEEEZNS1_13binary_searchIS3_SA_SG_SG_SI_NS1_21upper_bound_search_opENSC_16wrapped_functionINS0_4lessIvEEbEEEE10hipError_tPvRmT1_T2_T3_mmT4_T5_P12ihipStream_tbEUlRKS9_E_EESP_ST_SU_mSV_SY_bEUlT_E_NS1_11comp_targetILNS1_3genE2ELNS1_11target_archE906ELNS1_3gpuE6ELNS1_3repE0EEENS1_30default_config_static_selectorELNS0_4arch9wavefront6targetE0EEEvSS_
    .private_segment_fixed_size: 0
    .sgpr_count:     0
    .sgpr_spill_count: 0
    .symbol:         _ZN7rocprim17ROCPRIM_400000_NS6detail17trampoline_kernelINS0_14default_configENS1_27upper_bound_config_selectorIN6thrust23THRUST_200600_302600_NS5tupleIiiNS6_9null_typeES8_S8_S8_S8_S8_S8_S8_EEiEEZNS1_14transform_implILb0ES3_SA_NS6_6detail15normal_iteratorINS6_10device_ptrIS9_EEEENSD_INSE_IiEEEEZNS1_13binary_searchIS3_SA_SG_SG_SI_NS1_21upper_bound_search_opENSC_16wrapped_functionINS0_4lessIvEEbEEEE10hipError_tPvRmT1_T2_T3_mmT4_T5_P12ihipStream_tbEUlRKS9_E_EESP_ST_SU_mSV_SY_bEUlT_E_NS1_11comp_targetILNS1_3genE2ELNS1_11target_archE906ELNS1_3gpuE6ELNS1_3repE0EEENS1_30default_config_static_selectorELNS0_4arch9wavefront6targetE0EEEvSS_.kd
    .uniform_work_group_size: 1
    .uses_dynamic_stack: false
    .vgpr_count:     0
    .vgpr_spill_count: 0
    .wavefront_size: 32
    .workgroup_processor_mode: 1
  - .args:
      - .offset:         0
        .size:           56
        .value_kind:     by_value
    .group_segment_fixed_size: 0
    .kernarg_segment_align: 8
    .kernarg_segment_size: 56
    .language:       OpenCL C
    .language_version:
      - 2
      - 0
    .max_flat_workgroup_size: 128
    .name:           _ZN7rocprim17ROCPRIM_400000_NS6detail17trampoline_kernelINS0_14default_configENS1_27upper_bound_config_selectorIN6thrust23THRUST_200600_302600_NS5tupleIiiNS6_9null_typeES8_S8_S8_S8_S8_S8_S8_EEiEEZNS1_14transform_implILb0ES3_SA_NS6_6detail15normal_iteratorINS6_10device_ptrIS9_EEEENSD_INSE_IiEEEEZNS1_13binary_searchIS3_SA_SG_SG_SI_NS1_21upper_bound_search_opENSC_16wrapped_functionINS0_4lessIvEEbEEEE10hipError_tPvRmT1_T2_T3_mmT4_T5_P12ihipStream_tbEUlRKS9_E_EESP_ST_SU_mSV_SY_bEUlT_E_NS1_11comp_targetILNS1_3genE10ELNS1_11target_archE1201ELNS1_3gpuE5ELNS1_3repE0EEENS1_30default_config_static_selectorELNS0_4arch9wavefront6targetE0EEEvSS_
    .private_segment_fixed_size: 0
    .sgpr_count:     0
    .sgpr_spill_count: 0
    .symbol:         _ZN7rocprim17ROCPRIM_400000_NS6detail17trampoline_kernelINS0_14default_configENS1_27upper_bound_config_selectorIN6thrust23THRUST_200600_302600_NS5tupleIiiNS6_9null_typeES8_S8_S8_S8_S8_S8_S8_EEiEEZNS1_14transform_implILb0ES3_SA_NS6_6detail15normal_iteratorINS6_10device_ptrIS9_EEEENSD_INSE_IiEEEEZNS1_13binary_searchIS3_SA_SG_SG_SI_NS1_21upper_bound_search_opENSC_16wrapped_functionINS0_4lessIvEEbEEEE10hipError_tPvRmT1_T2_T3_mmT4_T5_P12ihipStream_tbEUlRKS9_E_EESP_ST_SU_mSV_SY_bEUlT_E_NS1_11comp_targetILNS1_3genE10ELNS1_11target_archE1201ELNS1_3gpuE5ELNS1_3repE0EEENS1_30default_config_static_selectorELNS0_4arch9wavefront6targetE0EEEvSS_.kd
    .uniform_work_group_size: 1
    .uses_dynamic_stack: false
    .vgpr_count:     0
    .vgpr_spill_count: 0
    .wavefront_size: 32
    .workgroup_processor_mode: 1
  - .args:
      - .offset:         0
        .size:           56
        .value_kind:     by_value
    .group_segment_fixed_size: 0
    .kernarg_segment_align: 8
    .kernarg_segment_size: 56
    .language:       OpenCL C
    .language_version:
      - 2
      - 0
    .max_flat_workgroup_size: 128
    .name:           _ZN7rocprim17ROCPRIM_400000_NS6detail17trampoline_kernelINS0_14default_configENS1_27upper_bound_config_selectorIN6thrust23THRUST_200600_302600_NS5tupleIiiNS6_9null_typeES8_S8_S8_S8_S8_S8_S8_EEiEEZNS1_14transform_implILb0ES3_SA_NS6_6detail15normal_iteratorINS6_10device_ptrIS9_EEEENSD_INSE_IiEEEEZNS1_13binary_searchIS3_SA_SG_SG_SI_NS1_21upper_bound_search_opENSC_16wrapped_functionINS0_4lessIvEEbEEEE10hipError_tPvRmT1_T2_T3_mmT4_T5_P12ihipStream_tbEUlRKS9_E_EESP_ST_SU_mSV_SY_bEUlT_E_NS1_11comp_targetILNS1_3genE10ELNS1_11target_archE1200ELNS1_3gpuE4ELNS1_3repE0EEENS1_30default_config_static_selectorELNS0_4arch9wavefront6targetE0EEEvSS_
    .private_segment_fixed_size: 0
    .sgpr_count:     0
    .sgpr_spill_count: 0
    .symbol:         _ZN7rocprim17ROCPRIM_400000_NS6detail17trampoline_kernelINS0_14default_configENS1_27upper_bound_config_selectorIN6thrust23THRUST_200600_302600_NS5tupleIiiNS6_9null_typeES8_S8_S8_S8_S8_S8_S8_EEiEEZNS1_14transform_implILb0ES3_SA_NS6_6detail15normal_iteratorINS6_10device_ptrIS9_EEEENSD_INSE_IiEEEEZNS1_13binary_searchIS3_SA_SG_SG_SI_NS1_21upper_bound_search_opENSC_16wrapped_functionINS0_4lessIvEEbEEEE10hipError_tPvRmT1_T2_T3_mmT4_T5_P12ihipStream_tbEUlRKS9_E_EESP_ST_SU_mSV_SY_bEUlT_E_NS1_11comp_targetILNS1_3genE10ELNS1_11target_archE1200ELNS1_3gpuE4ELNS1_3repE0EEENS1_30default_config_static_selectorELNS0_4arch9wavefront6targetE0EEEvSS_.kd
    .uniform_work_group_size: 1
    .uses_dynamic_stack: false
    .vgpr_count:     0
    .vgpr_spill_count: 0
    .wavefront_size: 32
    .workgroup_processor_mode: 1
  - .args:
      - .offset:         0
        .size:           56
        .value_kind:     by_value
    .group_segment_fixed_size: 0
    .kernarg_segment_align: 8
    .kernarg_segment_size: 56
    .language:       OpenCL C
    .language_version:
      - 2
      - 0
    .max_flat_workgroup_size: 64
    .name:           _ZN7rocprim17ROCPRIM_400000_NS6detail17trampoline_kernelINS0_14default_configENS1_27upper_bound_config_selectorIN6thrust23THRUST_200600_302600_NS5tupleIiiNS6_9null_typeES8_S8_S8_S8_S8_S8_S8_EEiEEZNS1_14transform_implILb0ES3_SA_NS6_6detail15normal_iteratorINS6_10device_ptrIS9_EEEENSD_INSE_IiEEEEZNS1_13binary_searchIS3_SA_SG_SG_SI_NS1_21upper_bound_search_opENSC_16wrapped_functionINS0_4lessIvEEbEEEE10hipError_tPvRmT1_T2_T3_mmT4_T5_P12ihipStream_tbEUlRKS9_E_EESP_ST_SU_mSV_SY_bEUlT_E_NS1_11comp_targetILNS1_3genE9ELNS1_11target_archE1100ELNS1_3gpuE3ELNS1_3repE0EEENS1_30default_config_static_selectorELNS0_4arch9wavefront6targetE0EEEvSS_
    .private_segment_fixed_size: 0
    .sgpr_count:     0
    .sgpr_spill_count: 0
    .symbol:         _ZN7rocprim17ROCPRIM_400000_NS6detail17trampoline_kernelINS0_14default_configENS1_27upper_bound_config_selectorIN6thrust23THRUST_200600_302600_NS5tupleIiiNS6_9null_typeES8_S8_S8_S8_S8_S8_S8_EEiEEZNS1_14transform_implILb0ES3_SA_NS6_6detail15normal_iteratorINS6_10device_ptrIS9_EEEENSD_INSE_IiEEEEZNS1_13binary_searchIS3_SA_SG_SG_SI_NS1_21upper_bound_search_opENSC_16wrapped_functionINS0_4lessIvEEbEEEE10hipError_tPvRmT1_T2_T3_mmT4_T5_P12ihipStream_tbEUlRKS9_E_EESP_ST_SU_mSV_SY_bEUlT_E_NS1_11comp_targetILNS1_3genE9ELNS1_11target_archE1100ELNS1_3gpuE3ELNS1_3repE0EEENS1_30default_config_static_selectorELNS0_4arch9wavefront6targetE0EEEvSS_.kd
    .uniform_work_group_size: 1
    .uses_dynamic_stack: false
    .vgpr_count:     0
    .vgpr_spill_count: 0
    .wavefront_size: 32
    .workgroup_processor_mode: 1
  - .args:
      - .offset:         0
        .size:           56
        .value_kind:     by_value
      - .offset:         56
        .size:           4
        .value_kind:     hidden_block_count_x
      - .offset:         60
        .size:           4
        .value_kind:     hidden_block_count_y
      - .offset:         64
        .size:           4
        .value_kind:     hidden_block_count_z
      - .offset:         68
        .size:           2
        .value_kind:     hidden_group_size_x
      - .offset:         70
        .size:           2
        .value_kind:     hidden_group_size_y
      - .offset:         72
        .size:           2
        .value_kind:     hidden_group_size_z
      - .offset:         74
        .size:           2
        .value_kind:     hidden_remainder_x
      - .offset:         76
        .size:           2
        .value_kind:     hidden_remainder_y
      - .offset:         78
        .size:           2
        .value_kind:     hidden_remainder_z
      - .offset:         96
        .size:           8
        .value_kind:     hidden_global_offset_x
      - .offset:         104
        .size:           8
        .value_kind:     hidden_global_offset_y
      - .offset:         112
        .size:           8
        .value_kind:     hidden_global_offset_z
      - .offset:         120
        .size:           2
        .value_kind:     hidden_grid_dims
    .group_segment_fixed_size: 0
    .kernarg_segment_align: 8
    .kernarg_segment_size: 312
    .language:       OpenCL C
    .language_version:
      - 2
      - 0
    .max_flat_workgroup_size: 256
    .name:           _ZN7rocprim17ROCPRIM_400000_NS6detail17trampoline_kernelINS0_14default_configENS1_27upper_bound_config_selectorIN6thrust23THRUST_200600_302600_NS5tupleIiiNS6_9null_typeES8_S8_S8_S8_S8_S8_S8_EEiEEZNS1_14transform_implILb0ES3_SA_NS6_6detail15normal_iteratorINS6_10device_ptrIS9_EEEENSD_INSE_IiEEEEZNS1_13binary_searchIS3_SA_SG_SG_SI_NS1_21upper_bound_search_opENSC_16wrapped_functionINS0_4lessIvEEbEEEE10hipError_tPvRmT1_T2_T3_mmT4_T5_P12ihipStream_tbEUlRKS9_E_EESP_ST_SU_mSV_SY_bEUlT_E_NS1_11comp_targetILNS1_3genE8ELNS1_11target_archE1030ELNS1_3gpuE2ELNS1_3repE0EEENS1_30default_config_static_selectorELNS0_4arch9wavefront6targetE0EEEvSS_
    .private_segment_fixed_size: 0
    .sgpr_count:     20
    .sgpr_spill_count: 0
    .symbol:         _ZN7rocprim17ROCPRIM_400000_NS6detail17trampoline_kernelINS0_14default_configENS1_27upper_bound_config_selectorIN6thrust23THRUST_200600_302600_NS5tupleIiiNS6_9null_typeES8_S8_S8_S8_S8_S8_S8_EEiEEZNS1_14transform_implILb0ES3_SA_NS6_6detail15normal_iteratorINS6_10device_ptrIS9_EEEENSD_INSE_IiEEEEZNS1_13binary_searchIS3_SA_SG_SG_SI_NS1_21upper_bound_search_opENSC_16wrapped_functionINS0_4lessIvEEbEEEE10hipError_tPvRmT1_T2_T3_mmT4_T5_P12ihipStream_tbEUlRKS9_E_EESP_ST_SU_mSV_SY_bEUlT_E_NS1_11comp_targetILNS1_3genE8ELNS1_11target_archE1030ELNS1_3gpuE2ELNS1_3repE0EEENS1_30default_config_static_selectorELNS0_4arch9wavefront6targetE0EEEvSS_.kd
    .uniform_work_group_size: 1
    .uses_dynamic_stack: false
    .vgpr_count:     14
    .vgpr_spill_count: 0
    .wavefront_size: 32
    .workgroup_processor_mode: 1
  - .args:
      - .offset:         0
        .size:           56
        .value_kind:     by_value
    .group_segment_fixed_size: 0
    .kernarg_segment_align: 8
    .kernarg_segment_size: 56
    .language:       OpenCL C
    .language_version:
      - 2
      - 0
    .max_flat_workgroup_size: 256
    .name:           _ZN7rocprim17ROCPRIM_400000_NS6detail17trampoline_kernelINS0_14default_configENS1_29binary_search_config_selectorIdiEEZNS1_14transform_implILb0ES3_S5_N6thrust23THRUST_200600_302600_NS6detail15normal_iteratorINS8_7pointerIdNS8_11hip_rocprim5par_tENS8_11use_defaultESE_EEEENSA_INSB_IiSD_SE_SE_EEEEZNS1_13binary_searchIS3_S5_NSA_INS8_10device_ptrIdEEEESG_SI_NS1_16binary_search_opENS9_16wrapped_functionINS8_6system6detail7generic6detail18binary_search_lessEbEEEE10hipError_tPvRmT1_T2_T3_mmT4_T5_P12ihipStream_tbEUlRKdE_EESV_SZ_S10_mS11_S14_bEUlT_E_NS1_11comp_targetILNS1_3genE0ELNS1_11target_archE4294967295ELNS1_3gpuE0ELNS1_3repE0EEENS1_30default_config_static_selectorELNS0_4arch9wavefront6targetE0EEEvSY_
    .private_segment_fixed_size: 0
    .sgpr_count:     0
    .sgpr_spill_count: 0
    .symbol:         _ZN7rocprim17ROCPRIM_400000_NS6detail17trampoline_kernelINS0_14default_configENS1_29binary_search_config_selectorIdiEEZNS1_14transform_implILb0ES3_S5_N6thrust23THRUST_200600_302600_NS6detail15normal_iteratorINS8_7pointerIdNS8_11hip_rocprim5par_tENS8_11use_defaultESE_EEEENSA_INSB_IiSD_SE_SE_EEEEZNS1_13binary_searchIS3_S5_NSA_INS8_10device_ptrIdEEEESG_SI_NS1_16binary_search_opENS9_16wrapped_functionINS8_6system6detail7generic6detail18binary_search_lessEbEEEE10hipError_tPvRmT1_T2_T3_mmT4_T5_P12ihipStream_tbEUlRKdE_EESV_SZ_S10_mS11_S14_bEUlT_E_NS1_11comp_targetILNS1_3genE0ELNS1_11target_archE4294967295ELNS1_3gpuE0ELNS1_3repE0EEENS1_30default_config_static_selectorELNS0_4arch9wavefront6targetE0EEEvSY_.kd
    .uniform_work_group_size: 1
    .uses_dynamic_stack: false
    .vgpr_count:     0
    .vgpr_spill_count: 0
    .wavefront_size: 32
    .workgroup_processor_mode: 1
  - .args:
      - .offset:         0
        .size:           56
        .value_kind:     by_value
    .group_segment_fixed_size: 0
    .kernarg_segment_align: 8
    .kernarg_segment_size: 56
    .language:       OpenCL C
    .language_version:
      - 2
      - 0
    .max_flat_workgroup_size: 128
    .name:           _ZN7rocprim17ROCPRIM_400000_NS6detail17trampoline_kernelINS0_14default_configENS1_29binary_search_config_selectorIdiEEZNS1_14transform_implILb0ES3_S5_N6thrust23THRUST_200600_302600_NS6detail15normal_iteratorINS8_7pointerIdNS8_11hip_rocprim5par_tENS8_11use_defaultESE_EEEENSA_INSB_IiSD_SE_SE_EEEEZNS1_13binary_searchIS3_S5_NSA_INS8_10device_ptrIdEEEESG_SI_NS1_16binary_search_opENS9_16wrapped_functionINS8_6system6detail7generic6detail18binary_search_lessEbEEEE10hipError_tPvRmT1_T2_T3_mmT4_T5_P12ihipStream_tbEUlRKdE_EESV_SZ_S10_mS11_S14_bEUlT_E_NS1_11comp_targetILNS1_3genE5ELNS1_11target_archE942ELNS1_3gpuE9ELNS1_3repE0EEENS1_30default_config_static_selectorELNS0_4arch9wavefront6targetE0EEEvSY_
    .private_segment_fixed_size: 0
    .sgpr_count:     0
    .sgpr_spill_count: 0
    .symbol:         _ZN7rocprim17ROCPRIM_400000_NS6detail17trampoline_kernelINS0_14default_configENS1_29binary_search_config_selectorIdiEEZNS1_14transform_implILb0ES3_S5_N6thrust23THRUST_200600_302600_NS6detail15normal_iteratorINS8_7pointerIdNS8_11hip_rocprim5par_tENS8_11use_defaultESE_EEEENSA_INSB_IiSD_SE_SE_EEEEZNS1_13binary_searchIS3_S5_NSA_INS8_10device_ptrIdEEEESG_SI_NS1_16binary_search_opENS9_16wrapped_functionINS8_6system6detail7generic6detail18binary_search_lessEbEEEE10hipError_tPvRmT1_T2_T3_mmT4_T5_P12ihipStream_tbEUlRKdE_EESV_SZ_S10_mS11_S14_bEUlT_E_NS1_11comp_targetILNS1_3genE5ELNS1_11target_archE942ELNS1_3gpuE9ELNS1_3repE0EEENS1_30default_config_static_selectorELNS0_4arch9wavefront6targetE0EEEvSY_.kd
    .uniform_work_group_size: 1
    .uses_dynamic_stack: false
    .vgpr_count:     0
    .vgpr_spill_count: 0
    .wavefront_size: 32
    .workgroup_processor_mode: 1
  - .args:
      - .offset:         0
        .size:           56
        .value_kind:     by_value
    .group_segment_fixed_size: 0
    .kernarg_segment_align: 8
    .kernarg_segment_size: 56
    .language:       OpenCL C
    .language_version:
      - 2
      - 0
    .max_flat_workgroup_size: 64
    .name:           _ZN7rocprim17ROCPRIM_400000_NS6detail17trampoline_kernelINS0_14default_configENS1_29binary_search_config_selectorIdiEEZNS1_14transform_implILb0ES3_S5_N6thrust23THRUST_200600_302600_NS6detail15normal_iteratorINS8_7pointerIdNS8_11hip_rocprim5par_tENS8_11use_defaultESE_EEEENSA_INSB_IiSD_SE_SE_EEEEZNS1_13binary_searchIS3_S5_NSA_INS8_10device_ptrIdEEEESG_SI_NS1_16binary_search_opENS9_16wrapped_functionINS8_6system6detail7generic6detail18binary_search_lessEbEEEE10hipError_tPvRmT1_T2_T3_mmT4_T5_P12ihipStream_tbEUlRKdE_EESV_SZ_S10_mS11_S14_bEUlT_E_NS1_11comp_targetILNS1_3genE4ELNS1_11target_archE910ELNS1_3gpuE8ELNS1_3repE0EEENS1_30default_config_static_selectorELNS0_4arch9wavefront6targetE0EEEvSY_
    .private_segment_fixed_size: 0
    .sgpr_count:     0
    .sgpr_spill_count: 0
    .symbol:         _ZN7rocprim17ROCPRIM_400000_NS6detail17trampoline_kernelINS0_14default_configENS1_29binary_search_config_selectorIdiEEZNS1_14transform_implILb0ES3_S5_N6thrust23THRUST_200600_302600_NS6detail15normal_iteratorINS8_7pointerIdNS8_11hip_rocprim5par_tENS8_11use_defaultESE_EEEENSA_INSB_IiSD_SE_SE_EEEEZNS1_13binary_searchIS3_S5_NSA_INS8_10device_ptrIdEEEESG_SI_NS1_16binary_search_opENS9_16wrapped_functionINS8_6system6detail7generic6detail18binary_search_lessEbEEEE10hipError_tPvRmT1_T2_T3_mmT4_T5_P12ihipStream_tbEUlRKdE_EESV_SZ_S10_mS11_S14_bEUlT_E_NS1_11comp_targetILNS1_3genE4ELNS1_11target_archE910ELNS1_3gpuE8ELNS1_3repE0EEENS1_30default_config_static_selectorELNS0_4arch9wavefront6targetE0EEEvSY_.kd
    .uniform_work_group_size: 1
    .uses_dynamic_stack: false
    .vgpr_count:     0
    .vgpr_spill_count: 0
    .wavefront_size: 32
    .workgroup_processor_mode: 1
  - .args:
      - .offset:         0
        .size:           56
        .value_kind:     by_value
    .group_segment_fixed_size: 0
    .kernarg_segment_align: 8
    .kernarg_segment_size: 56
    .language:       OpenCL C
    .language_version:
      - 2
      - 0
    .max_flat_workgroup_size: 256
    .name:           _ZN7rocprim17ROCPRIM_400000_NS6detail17trampoline_kernelINS0_14default_configENS1_29binary_search_config_selectorIdiEEZNS1_14transform_implILb0ES3_S5_N6thrust23THRUST_200600_302600_NS6detail15normal_iteratorINS8_7pointerIdNS8_11hip_rocprim5par_tENS8_11use_defaultESE_EEEENSA_INSB_IiSD_SE_SE_EEEEZNS1_13binary_searchIS3_S5_NSA_INS8_10device_ptrIdEEEESG_SI_NS1_16binary_search_opENS9_16wrapped_functionINS8_6system6detail7generic6detail18binary_search_lessEbEEEE10hipError_tPvRmT1_T2_T3_mmT4_T5_P12ihipStream_tbEUlRKdE_EESV_SZ_S10_mS11_S14_bEUlT_E_NS1_11comp_targetILNS1_3genE3ELNS1_11target_archE908ELNS1_3gpuE7ELNS1_3repE0EEENS1_30default_config_static_selectorELNS0_4arch9wavefront6targetE0EEEvSY_
    .private_segment_fixed_size: 0
    .sgpr_count:     0
    .sgpr_spill_count: 0
    .symbol:         _ZN7rocprim17ROCPRIM_400000_NS6detail17trampoline_kernelINS0_14default_configENS1_29binary_search_config_selectorIdiEEZNS1_14transform_implILb0ES3_S5_N6thrust23THRUST_200600_302600_NS6detail15normal_iteratorINS8_7pointerIdNS8_11hip_rocprim5par_tENS8_11use_defaultESE_EEEENSA_INSB_IiSD_SE_SE_EEEEZNS1_13binary_searchIS3_S5_NSA_INS8_10device_ptrIdEEEESG_SI_NS1_16binary_search_opENS9_16wrapped_functionINS8_6system6detail7generic6detail18binary_search_lessEbEEEE10hipError_tPvRmT1_T2_T3_mmT4_T5_P12ihipStream_tbEUlRKdE_EESV_SZ_S10_mS11_S14_bEUlT_E_NS1_11comp_targetILNS1_3genE3ELNS1_11target_archE908ELNS1_3gpuE7ELNS1_3repE0EEENS1_30default_config_static_selectorELNS0_4arch9wavefront6targetE0EEEvSY_.kd
    .uniform_work_group_size: 1
    .uses_dynamic_stack: false
    .vgpr_count:     0
    .vgpr_spill_count: 0
    .wavefront_size: 32
    .workgroup_processor_mode: 1
  - .args:
      - .offset:         0
        .size:           56
        .value_kind:     by_value
    .group_segment_fixed_size: 0
    .kernarg_segment_align: 8
    .kernarg_segment_size: 56
    .language:       OpenCL C
    .language_version:
      - 2
      - 0
    .max_flat_workgroup_size: 256
    .name:           _ZN7rocprim17ROCPRIM_400000_NS6detail17trampoline_kernelINS0_14default_configENS1_29binary_search_config_selectorIdiEEZNS1_14transform_implILb0ES3_S5_N6thrust23THRUST_200600_302600_NS6detail15normal_iteratorINS8_7pointerIdNS8_11hip_rocprim5par_tENS8_11use_defaultESE_EEEENSA_INSB_IiSD_SE_SE_EEEEZNS1_13binary_searchIS3_S5_NSA_INS8_10device_ptrIdEEEESG_SI_NS1_16binary_search_opENS9_16wrapped_functionINS8_6system6detail7generic6detail18binary_search_lessEbEEEE10hipError_tPvRmT1_T2_T3_mmT4_T5_P12ihipStream_tbEUlRKdE_EESV_SZ_S10_mS11_S14_bEUlT_E_NS1_11comp_targetILNS1_3genE2ELNS1_11target_archE906ELNS1_3gpuE6ELNS1_3repE0EEENS1_30default_config_static_selectorELNS0_4arch9wavefront6targetE0EEEvSY_
    .private_segment_fixed_size: 0
    .sgpr_count:     0
    .sgpr_spill_count: 0
    .symbol:         _ZN7rocprim17ROCPRIM_400000_NS6detail17trampoline_kernelINS0_14default_configENS1_29binary_search_config_selectorIdiEEZNS1_14transform_implILb0ES3_S5_N6thrust23THRUST_200600_302600_NS6detail15normal_iteratorINS8_7pointerIdNS8_11hip_rocprim5par_tENS8_11use_defaultESE_EEEENSA_INSB_IiSD_SE_SE_EEEEZNS1_13binary_searchIS3_S5_NSA_INS8_10device_ptrIdEEEESG_SI_NS1_16binary_search_opENS9_16wrapped_functionINS8_6system6detail7generic6detail18binary_search_lessEbEEEE10hipError_tPvRmT1_T2_T3_mmT4_T5_P12ihipStream_tbEUlRKdE_EESV_SZ_S10_mS11_S14_bEUlT_E_NS1_11comp_targetILNS1_3genE2ELNS1_11target_archE906ELNS1_3gpuE6ELNS1_3repE0EEENS1_30default_config_static_selectorELNS0_4arch9wavefront6targetE0EEEvSY_.kd
    .uniform_work_group_size: 1
    .uses_dynamic_stack: false
    .vgpr_count:     0
    .vgpr_spill_count: 0
    .wavefront_size: 32
    .workgroup_processor_mode: 1
  - .args:
      - .offset:         0
        .size:           56
        .value_kind:     by_value
    .group_segment_fixed_size: 0
    .kernarg_segment_align: 8
    .kernarg_segment_size: 56
    .language:       OpenCL C
    .language_version:
      - 2
      - 0
    .max_flat_workgroup_size: 128
    .name:           _ZN7rocprim17ROCPRIM_400000_NS6detail17trampoline_kernelINS0_14default_configENS1_29binary_search_config_selectorIdiEEZNS1_14transform_implILb0ES3_S5_N6thrust23THRUST_200600_302600_NS6detail15normal_iteratorINS8_7pointerIdNS8_11hip_rocprim5par_tENS8_11use_defaultESE_EEEENSA_INSB_IiSD_SE_SE_EEEEZNS1_13binary_searchIS3_S5_NSA_INS8_10device_ptrIdEEEESG_SI_NS1_16binary_search_opENS9_16wrapped_functionINS8_6system6detail7generic6detail18binary_search_lessEbEEEE10hipError_tPvRmT1_T2_T3_mmT4_T5_P12ihipStream_tbEUlRKdE_EESV_SZ_S10_mS11_S14_bEUlT_E_NS1_11comp_targetILNS1_3genE10ELNS1_11target_archE1201ELNS1_3gpuE5ELNS1_3repE0EEENS1_30default_config_static_selectorELNS0_4arch9wavefront6targetE0EEEvSY_
    .private_segment_fixed_size: 0
    .sgpr_count:     0
    .sgpr_spill_count: 0
    .symbol:         _ZN7rocprim17ROCPRIM_400000_NS6detail17trampoline_kernelINS0_14default_configENS1_29binary_search_config_selectorIdiEEZNS1_14transform_implILb0ES3_S5_N6thrust23THRUST_200600_302600_NS6detail15normal_iteratorINS8_7pointerIdNS8_11hip_rocprim5par_tENS8_11use_defaultESE_EEEENSA_INSB_IiSD_SE_SE_EEEEZNS1_13binary_searchIS3_S5_NSA_INS8_10device_ptrIdEEEESG_SI_NS1_16binary_search_opENS9_16wrapped_functionINS8_6system6detail7generic6detail18binary_search_lessEbEEEE10hipError_tPvRmT1_T2_T3_mmT4_T5_P12ihipStream_tbEUlRKdE_EESV_SZ_S10_mS11_S14_bEUlT_E_NS1_11comp_targetILNS1_3genE10ELNS1_11target_archE1201ELNS1_3gpuE5ELNS1_3repE0EEENS1_30default_config_static_selectorELNS0_4arch9wavefront6targetE0EEEvSY_.kd
    .uniform_work_group_size: 1
    .uses_dynamic_stack: false
    .vgpr_count:     0
    .vgpr_spill_count: 0
    .wavefront_size: 32
    .workgroup_processor_mode: 1
  - .args:
      - .offset:         0
        .size:           56
        .value_kind:     by_value
    .group_segment_fixed_size: 0
    .kernarg_segment_align: 8
    .kernarg_segment_size: 56
    .language:       OpenCL C
    .language_version:
      - 2
      - 0
    .max_flat_workgroup_size: 128
    .name:           _ZN7rocprim17ROCPRIM_400000_NS6detail17trampoline_kernelINS0_14default_configENS1_29binary_search_config_selectorIdiEEZNS1_14transform_implILb0ES3_S5_N6thrust23THRUST_200600_302600_NS6detail15normal_iteratorINS8_7pointerIdNS8_11hip_rocprim5par_tENS8_11use_defaultESE_EEEENSA_INSB_IiSD_SE_SE_EEEEZNS1_13binary_searchIS3_S5_NSA_INS8_10device_ptrIdEEEESG_SI_NS1_16binary_search_opENS9_16wrapped_functionINS8_6system6detail7generic6detail18binary_search_lessEbEEEE10hipError_tPvRmT1_T2_T3_mmT4_T5_P12ihipStream_tbEUlRKdE_EESV_SZ_S10_mS11_S14_bEUlT_E_NS1_11comp_targetILNS1_3genE10ELNS1_11target_archE1200ELNS1_3gpuE4ELNS1_3repE0EEENS1_30default_config_static_selectorELNS0_4arch9wavefront6targetE0EEEvSY_
    .private_segment_fixed_size: 0
    .sgpr_count:     0
    .sgpr_spill_count: 0
    .symbol:         _ZN7rocprim17ROCPRIM_400000_NS6detail17trampoline_kernelINS0_14default_configENS1_29binary_search_config_selectorIdiEEZNS1_14transform_implILb0ES3_S5_N6thrust23THRUST_200600_302600_NS6detail15normal_iteratorINS8_7pointerIdNS8_11hip_rocprim5par_tENS8_11use_defaultESE_EEEENSA_INSB_IiSD_SE_SE_EEEEZNS1_13binary_searchIS3_S5_NSA_INS8_10device_ptrIdEEEESG_SI_NS1_16binary_search_opENS9_16wrapped_functionINS8_6system6detail7generic6detail18binary_search_lessEbEEEE10hipError_tPvRmT1_T2_T3_mmT4_T5_P12ihipStream_tbEUlRKdE_EESV_SZ_S10_mS11_S14_bEUlT_E_NS1_11comp_targetILNS1_3genE10ELNS1_11target_archE1200ELNS1_3gpuE4ELNS1_3repE0EEENS1_30default_config_static_selectorELNS0_4arch9wavefront6targetE0EEEvSY_.kd
    .uniform_work_group_size: 1
    .uses_dynamic_stack: false
    .vgpr_count:     0
    .vgpr_spill_count: 0
    .wavefront_size: 32
    .workgroup_processor_mode: 1
  - .args:
      - .offset:         0
        .size:           56
        .value_kind:     by_value
    .group_segment_fixed_size: 0
    .kernarg_segment_align: 8
    .kernarg_segment_size: 56
    .language:       OpenCL C
    .language_version:
      - 2
      - 0
    .max_flat_workgroup_size: 256
    .name:           _ZN7rocprim17ROCPRIM_400000_NS6detail17trampoline_kernelINS0_14default_configENS1_29binary_search_config_selectorIdiEEZNS1_14transform_implILb0ES3_S5_N6thrust23THRUST_200600_302600_NS6detail15normal_iteratorINS8_7pointerIdNS8_11hip_rocprim5par_tENS8_11use_defaultESE_EEEENSA_INSB_IiSD_SE_SE_EEEEZNS1_13binary_searchIS3_S5_NSA_INS8_10device_ptrIdEEEESG_SI_NS1_16binary_search_opENS9_16wrapped_functionINS8_6system6detail7generic6detail18binary_search_lessEbEEEE10hipError_tPvRmT1_T2_T3_mmT4_T5_P12ihipStream_tbEUlRKdE_EESV_SZ_S10_mS11_S14_bEUlT_E_NS1_11comp_targetILNS1_3genE9ELNS1_11target_archE1100ELNS1_3gpuE3ELNS1_3repE0EEENS1_30default_config_static_selectorELNS0_4arch9wavefront6targetE0EEEvSY_
    .private_segment_fixed_size: 0
    .sgpr_count:     0
    .sgpr_spill_count: 0
    .symbol:         _ZN7rocprim17ROCPRIM_400000_NS6detail17trampoline_kernelINS0_14default_configENS1_29binary_search_config_selectorIdiEEZNS1_14transform_implILb0ES3_S5_N6thrust23THRUST_200600_302600_NS6detail15normal_iteratorINS8_7pointerIdNS8_11hip_rocprim5par_tENS8_11use_defaultESE_EEEENSA_INSB_IiSD_SE_SE_EEEEZNS1_13binary_searchIS3_S5_NSA_INS8_10device_ptrIdEEEESG_SI_NS1_16binary_search_opENS9_16wrapped_functionINS8_6system6detail7generic6detail18binary_search_lessEbEEEE10hipError_tPvRmT1_T2_T3_mmT4_T5_P12ihipStream_tbEUlRKdE_EESV_SZ_S10_mS11_S14_bEUlT_E_NS1_11comp_targetILNS1_3genE9ELNS1_11target_archE1100ELNS1_3gpuE3ELNS1_3repE0EEENS1_30default_config_static_selectorELNS0_4arch9wavefront6targetE0EEEvSY_.kd
    .uniform_work_group_size: 1
    .uses_dynamic_stack: false
    .vgpr_count:     0
    .vgpr_spill_count: 0
    .wavefront_size: 32
    .workgroup_processor_mode: 1
  - .args:
      - .offset:         0
        .size:           56
        .value_kind:     by_value
      - .offset:         56
        .size:           4
        .value_kind:     hidden_block_count_x
      - .offset:         60
        .size:           4
        .value_kind:     hidden_block_count_y
      - .offset:         64
        .size:           4
        .value_kind:     hidden_block_count_z
      - .offset:         68
        .size:           2
        .value_kind:     hidden_group_size_x
      - .offset:         70
        .size:           2
        .value_kind:     hidden_group_size_y
      - .offset:         72
        .size:           2
        .value_kind:     hidden_group_size_z
      - .offset:         74
        .size:           2
        .value_kind:     hidden_remainder_x
      - .offset:         76
        .size:           2
        .value_kind:     hidden_remainder_y
      - .offset:         78
        .size:           2
        .value_kind:     hidden_remainder_z
      - .offset:         96
        .size:           8
        .value_kind:     hidden_global_offset_x
      - .offset:         104
        .size:           8
        .value_kind:     hidden_global_offset_y
      - .offset:         112
        .size:           8
        .value_kind:     hidden_global_offset_z
      - .offset:         120
        .size:           2
        .value_kind:     hidden_grid_dims
    .group_segment_fixed_size: 0
    .kernarg_segment_align: 8
    .kernarg_segment_size: 312
    .language:       OpenCL C
    .language_version:
      - 2
      - 0
    .max_flat_workgroup_size: 256
    .name:           _ZN7rocprim17ROCPRIM_400000_NS6detail17trampoline_kernelINS0_14default_configENS1_29binary_search_config_selectorIdiEEZNS1_14transform_implILb0ES3_S5_N6thrust23THRUST_200600_302600_NS6detail15normal_iteratorINS8_7pointerIdNS8_11hip_rocprim5par_tENS8_11use_defaultESE_EEEENSA_INSB_IiSD_SE_SE_EEEEZNS1_13binary_searchIS3_S5_NSA_INS8_10device_ptrIdEEEESG_SI_NS1_16binary_search_opENS9_16wrapped_functionINS8_6system6detail7generic6detail18binary_search_lessEbEEEE10hipError_tPvRmT1_T2_T3_mmT4_T5_P12ihipStream_tbEUlRKdE_EESV_SZ_S10_mS11_S14_bEUlT_E_NS1_11comp_targetILNS1_3genE8ELNS1_11target_archE1030ELNS1_3gpuE2ELNS1_3repE0EEENS1_30default_config_static_selectorELNS0_4arch9wavefront6targetE0EEEvSY_
    .private_segment_fixed_size: 0
    .sgpr_count:     22
    .sgpr_spill_count: 0
    .symbol:         _ZN7rocprim17ROCPRIM_400000_NS6detail17trampoline_kernelINS0_14default_configENS1_29binary_search_config_selectorIdiEEZNS1_14transform_implILb0ES3_S5_N6thrust23THRUST_200600_302600_NS6detail15normal_iteratorINS8_7pointerIdNS8_11hip_rocprim5par_tENS8_11use_defaultESE_EEEENSA_INSB_IiSD_SE_SE_EEEEZNS1_13binary_searchIS3_S5_NSA_INS8_10device_ptrIdEEEESG_SI_NS1_16binary_search_opENS9_16wrapped_functionINS8_6system6detail7generic6detail18binary_search_lessEbEEEE10hipError_tPvRmT1_T2_T3_mmT4_T5_P12ihipStream_tbEUlRKdE_EESV_SZ_S10_mS11_S14_bEUlT_E_NS1_11comp_targetILNS1_3genE8ELNS1_11target_archE1030ELNS1_3gpuE2ELNS1_3repE0EEENS1_30default_config_static_selectorELNS0_4arch9wavefront6targetE0EEEvSY_.kd
    .uniform_work_group_size: 1
    .uses_dynamic_stack: false
    .vgpr_count:     12
    .vgpr_spill_count: 0
    .wavefront_size: 32
    .workgroup_processor_mode: 1
  - .args:
      - .offset:         0
        .size:           56
        .value_kind:     by_value
    .group_segment_fixed_size: 0
    .kernarg_segment_align: 8
    .kernarg_segment_size: 56
    .language:       OpenCL C
    .language_version:
      - 2
      - 0
    .max_flat_workgroup_size: 256
    .name:           _ZN7rocprim17ROCPRIM_400000_NS6detail17trampoline_kernelINS0_14default_configENS1_29binary_search_config_selectorIfiEEZNS1_14transform_implILb0ES3_S5_N6thrust23THRUST_200600_302600_NS6detail15normal_iteratorINS8_7pointerIfNS8_11hip_rocprim16par_det_nosync_tENS8_11use_defaultESE_EEEENSA_INSB_IiSD_SE_SE_EEEEZNS1_13binary_searchIS3_S5_NSA_INS8_10device_ptrIfEEEESG_SI_NS1_16binary_search_opENS9_16wrapped_functionINS8_6system6detail7generic6detail18binary_search_lessEbEEEE10hipError_tPvRmT1_T2_T3_mmT4_T5_P12ihipStream_tbEUlRKfE_EESV_SZ_S10_mS11_S14_bEUlT_E_NS1_11comp_targetILNS1_3genE0ELNS1_11target_archE4294967295ELNS1_3gpuE0ELNS1_3repE0EEENS1_30default_config_static_selectorELNS0_4arch9wavefront6targetE0EEEvSY_
    .private_segment_fixed_size: 0
    .sgpr_count:     0
    .sgpr_spill_count: 0
    .symbol:         _ZN7rocprim17ROCPRIM_400000_NS6detail17trampoline_kernelINS0_14default_configENS1_29binary_search_config_selectorIfiEEZNS1_14transform_implILb0ES3_S5_N6thrust23THRUST_200600_302600_NS6detail15normal_iteratorINS8_7pointerIfNS8_11hip_rocprim16par_det_nosync_tENS8_11use_defaultESE_EEEENSA_INSB_IiSD_SE_SE_EEEEZNS1_13binary_searchIS3_S5_NSA_INS8_10device_ptrIfEEEESG_SI_NS1_16binary_search_opENS9_16wrapped_functionINS8_6system6detail7generic6detail18binary_search_lessEbEEEE10hipError_tPvRmT1_T2_T3_mmT4_T5_P12ihipStream_tbEUlRKfE_EESV_SZ_S10_mS11_S14_bEUlT_E_NS1_11comp_targetILNS1_3genE0ELNS1_11target_archE4294967295ELNS1_3gpuE0ELNS1_3repE0EEENS1_30default_config_static_selectorELNS0_4arch9wavefront6targetE0EEEvSY_.kd
    .uniform_work_group_size: 1
    .uses_dynamic_stack: false
    .vgpr_count:     0
    .vgpr_spill_count: 0
    .wavefront_size: 32
    .workgroup_processor_mode: 1
  - .args:
      - .offset:         0
        .size:           56
        .value_kind:     by_value
    .group_segment_fixed_size: 0
    .kernarg_segment_align: 8
    .kernarg_segment_size: 56
    .language:       OpenCL C
    .language_version:
      - 2
      - 0
    .max_flat_workgroup_size: 256
    .name:           _ZN7rocprim17ROCPRIM_400000_NS6detail17trampoline_kernelINS0_14default_configENS1_29binary_search_config_selectorIfiEEZNS1_14transform_implILb0ES3_S5_N6thrust23THRUST_200600_302600_NS6detail15normal_iteratorINS8_7pointerIfNS8_11hip_rocprim16par_det_nosync_tENS8_11use_defaultESE_EEEENSA_INSB_IiSD_SE_SE_EEEEZNS1_13binary_searchIS3_S5_NSA_INS8_10device_ptrIfEEEESG_SI_NS1_16binary_search_opENS9_16wrapped_functionINS8_6system6detail7generic6detail18binary_search_lessEbEEEE10hipError_tPvRmT1_T2_T3_mmT4_T5_P12ihipStream_tbEUlRKfE_EESV_SZ_S10_mS11_S14_bEUlT_E_NS1_11comp_targetILNS1_3genE5ELNS1_11target_archE942ELNS1_3gpuE9ELNS1_3repE0EEENS1_30default_config_static_selectorELNS0_4arch9wavefront6targetE0EEEvSY_
    .private_segment_fixed_size: 0
    .sgpr_count:     0
    .sgpr_spill_count: 0
    .symbol:         _ZN7rocprim17ROCPRIM_400000_NS6detail17trampoline_kernelINS0_14default_configENS1_29binary_search_config_selectorIfiEEZNS1_14transform_implILb0ES3_S5_N6thrust23THRUST_200600_302600_NS6detail15normal_iteratorINS8_7pointerIfNS8_11hip_rocprim16par_det_nosync_tENS8_11use_defaultESE_EEEENSA_INSB_IiSD_SE_SE_EEEEZNS1_13binary_searchIS3_S5_NSA_INS8_10device_ptrIfEEEESG_SI_NS1_16binary_search_opENS9_16wrapped_functionINS8_6system6detail7generic6detail18binary_search_lessEbEEEE10hipError_tPvRmT1_T2_T3_mmT4_T5_P12ihipStream_tbEUlRKfE_EESV_SZ_S10_mS11_S14_bEUlT_E_NS1_11comp_targetILNS1_3genE5ELNS1_11target_archE942ELNS1_3gpuE9ELNS1_3repE0EEENS1_30default_config_static_selectorELNS0_4arch9wavefront6targetE0EEEvSY_.kd
    .uniform_work_group_size: 1
    .uses_dynamic_stack: false
    .vgpr_count:     0
    .vgpr_spill_count: 0
    .wavefront_size: 32
    .workgroup_processor_mode: 1
  - .args:
      - .offset:         0
        .size:           56
        .value_kind:     by_value
    .group_segment_fixed_size: 0
    .kernarg_segment_align: 8
    .kernarg_segment_size: 56
    .language:       OpenCL C
    .language_version:
      - 2
      - 0
    .max_flat_workgroup_size: 256
    .name:           _ZN7rocprim17ROCPRIM_400000_NS6detail17trampoline_kernelINS0_14default_configENS1_29binary_search_config_selectorIfiEEZNS1_14transform_implILb0ES3_S5_N6thrust23THRUST_200600_302600_NS6detail15normal_iteratorINS8_7pointerIfNS8_11hip_rocprim16par_det_nosync_tENS8_11use_defaultESE_EEEENSA_INSB_IiSD_SE_SE_EEEEZNS1_13binary_searchIS3_S5_NSA_INS8_10device_ptrIfEEEESG_SI_NS1_16binary_search_opENS9_16wrapped_functionINS8_6system6detail7generic6detail18binary_search_lessEbEEEE10hipError_tPvRmT1_T2_T3_mmT4_T5_P12ihipStream_tbEUlRKfE_EESV_SZ_S10_mS11_S14_bEUlT_E_NS1_11comp_targetILNS1_3genE4ELNS1_11target_archE910ELNS1_3gpuE8ELNS1_3repE0EEENS1_30default_config_static_selectorELNS0_4arch9wavefront6targetE0EEEvSY_
    .private_segment_fixed_size: 0
    .sgpr_count:     0
    .sgpr_spill_count: 0
    .symbol:         _ZN7rocprim17ROCPRIM_400000_NS6detail17trampoline_kernelINS0_14default_configENS1_29binary_search_config_selectorIfiEEZNS1_14transform_implILb0ES3_S5_N6thrust23THRUST_200600_302600_NS6detail15normal_iteratorINS8_7pointerIfNS8_11hip_rocprim16par_det_nosync_tENS8_11use_defaultESE_EEEENSA_INSB_IiSD_SE_SE_EEEEZNS1_13binary_searchIS3_S5_NSA_INS8_10device_ptrIfEEEESG_SI_NS1_16binary_search_opENS9_16wrapped_functionINS8_6system6detail7generic6detail18binary_search_lessEbEEEE10hipError_tPvRmT1_T2_T3_mmT4_T5_P12ihipStream_tbEUlRKfE_EESV_SZ_S10_mS11_S14_bEUlT_E_NS1_11comp_targetILNS1_3genE4ELNS1_11target_archE910ELNS1_3gpuE8ELNS1_3repE0EEENS1_30default_config_static_selectorELNS0_4arch9wavefront6targetE0EEEvSY_.kd
    .uniform_work_group_size: 1
    .uses_dynamic_stack: false
    .vgpr_count:     0
    .vgpr_spill_count: 0
    .wavefront_size: 32
    .workgroup_processor_mode: 1
  - .args:
      - .offset:         0
        .size:           56
        .value_kind:     by_value
    .group_segment_fixed_size: 0
    .kernarg_segment_align: 8
    .kernarg_segment_size: 56
    .language:       OpenCL C
    .language_version:
      - 2
      - 0
    .max_flat_workgroup_size: 256
    .name:           _ZN7rocprim17ROCPRIM_400000_NS6detail17trampoline_kernelINS0_14default_configENS1_29binary_search_config_selectorIfiEEZNS1_14transform_implILb0ES3_S5_N6thrust23THRUST_200600_302600_NS6detail15normal_iteratorINS8_7pointerIfNS8_11hip_rocprim16par_det_nosync_tENS8_11use_defaultESE_EEEENSA_INSB_IiSD_SE_SE_EEEEZNS1_13binary_searchIS3_S5_NSA_INS8_10device_ptrIfEEEESG_SI_NS1_16binary_search_opENS9_16wrapped_functionINS8_6system6detail7generic6detail18binary_search_lessEbEEEE10hipError_tPvRmT1_T2_T3_mmT4_T5_P12ihipStream_tbEUlRKfE_EESV_SZ_S10_mS11_S14_bEUlT_E_NS1_11comp_targetILNS1_3genE3ELNS1_11target_archE908ELNS1_3gpuE7ELNS1_3repE0EEENS1_30default_config_static_selectorELNS0_4arch9wavefront6targetE0EEEvSY_
    .private_segment_fixed_size: 0
    .sgpr_count:     0
    .sgpr_spill_count: 0
    .symbol:         _ZN7rocprim17ROCPRIM_400000_NS6detail17trampoline_kernelINS0_14default_configENS1_29binary_search_config_selectorIfiEEZNS1_14transform_implILb0ES3_S5_N6thrust23THRUST_200600_302600_NS6detail15normal_iteratorINS8_7pointerIfNS8_11hip_rocprim16par_det_nosync_tENS8_11use_defaultESE_EEEENSA_INSB_IiSD_SE_SE_EEEEZNS1_13binary_searchIS3_S5_NSA_INS8_10device_ptrIfEEEESG_SI_NS1_16binary_search_opENS9_16wrapped_functionINS8_6system6detail7generic6detail18binary_search_lessEbEEEE10hipError_tPvRmT1_T2_T3_mmT4_T5_P12ihipStream_tbEUlRKfE_EESV_SZ_S10_mS11_S14_bEUlT_E_NS1_11comp_targetILNS1_3genE3ELNS1_11target_archE908ELNS1_3gpuE7ELNS1_3repE0EEENS1_30default_config_static_selectorELNS0_4arch9wavefront6targetE0EEEvSY_.kd
    .uniform_work_group_size: 1
    .uses_dynamic_stack: false
    .vgpr_count:     0
    .vgpr_spill_count: 0
    .wavefront_size: 32
    .workgroup_processor_mode: 1
  - .args:
      - .offset:         0
        .size:           56
        .value_kind:     by_value
    .group_segment_fixed_size: 0
    .kernarg_segment_align: 8
    .kernarg_segment_size: 56
    .language:       OpenCL C
    .language_version:
      - 2
      - 0
    .max_flat_workgroup_size: 256
    .name:           _ZN7rocprim17ROCPRIM_400000_NS6detail17trampoline_kernelINS0_14default_configENS1_29binary_search_config_selectorIfiEEZNS1_14transform_implILb0ES3_S5_N6thrust23THRUST_200600_302600_NS6detail15normal_iteratorINS8_7pointerIfNS8_11hip_rocprim16par_det_nosync_tENS8_11use_defaultESE_EEEENSA_INSB_IiSD_SE_SE_EEEEZNS1_13binary_searchIS3_S5_NSA_INS8_10device_ptrIfEEEESG_SI_NS1_16binary_search_opENS9_16wrapped_functionINS8_6system6detail7generic6detail18binary_search_lessEbEEEE10hipError_tPvRmT1_T2_T3_mmT4_T5_P12ihipStream_tbEUlRKfE_EESV_SZ_S10_mS11_S14_bEUlT_E_NS1_11comp_targetILNS1_3genE2ELNS1_11target_archE906ELNS1_3gpuE6ELNS1_3repE0EEENS1_30default_config_static_selectorELNS0_4arch9wavefront6targetE0EEEvSY_
    .private_segment_fixed_size: 0
    .sgpr_count:     0
    .sgpr_spill_count: 0
    .symbol:         _ZN7rocprim17ROCPRIM_400000_NS6detail17trampoline_kernelINS0_14default_configENS1_29binary_search_config_selectorIfiEEZNS1_14transform_implILb0ES3_S5_N6thrust23THRUST_200600_302600_NS6detail15normal_iteratorINS8_7pointerIfNS8_11hip_rocprim16par_det_nosync_tENS8_11use_defaultESE_EEEENSA_INSB_IiSD_SE_SE_EEEEZNS1_13binary_searchIS3_S5_NSA_INS8_10device_ptrIfEEEESG_SI_NS1_16binary_search_opENS9_16wrapped_functionINS8_6system6detail7generic6detail18binary_search_lessEbEEEE10hipError_tPvRmT1_T2_T3_mmT4_T5_P12ihipStream_tbEUlRKfE_EESV_SZ_S10_mS11_S14_bEUlT_E_NS1_11comp_targetILNS1_3genE2ELNS1_11target_archE906ELNS1_3gpuE6ELNS1_3repE0EEENS1_30default_config_static_selectorELNS0_4arch9wavefront6targetE0EEEvSY_.kd
    .uniform_work_group_size: 1
    .uses_dynamic_stack: false
    .vgpr_count:     0
    .vgpr_spill_count: 0
    .wavefront_size: 32
    .workgroup_processor_mode: 1
  - .args:
      - .offset:         0
        .size:           56
        .value_kind:     by_value
    .group_segment_fixed_size: 0
    .kernarg_segment_align: 8
    .kernarg_segment_size: 56
    .language:       OpenCL C
    .language_version:
      - 2
      - 0
    .max_flat_workgroup_size: 128
    .name:           _ZN7rocprim17ROCPRIM_400000_NS6detail17trampoline_kernelINS0_14default_configENS1_29binary_search_config_selectorIfiEEZNS1_14transform_implILb0ES3_S5_N6thrust23THRUST_200600_302600_NS6detail15normal_iteratorINS8_7pointerIfNS8_11hip_rocprim16par_det_nosync_tENS8_11use_defaultESE_EEEENSA_INSB_IiSD_SE_SE_EEEEZNS1_13binary_searchIS3_S5_NSA_INS8_10device_ptrIfEEEESG_SI_NS1_16binary_search_opENS9_16wrapped_functionINS8_6system6detail7generic6detail18binary_search_lessEbEEEE10hipError_tPvRmT1_T2_T3_mmT4_T5_P12ihipStream_tbEUlRKfE_EESV_SZ_S10_mS11_S14_bEUlT_E_NS1_11comp_targetILNS1_3genE10ELNS1_11target_archE1201ELNS1_3gpuE5ELNS1_3repE0EEENS1_30default_config_static_selectorELNS0_4arch9wavefront6targetE0EEEvSY_
    .private_segment_fixed_size: 0
    .sgpr_count:     0
    .sgpr_spill_count: 0
    .symbol:         _ZN7rocprim17ROCPRIM_400000_NS6detail17trampoline_kernelINS0_14default_configENS1_29binary_search_config_selectorIfiEEZNS1_14transform_implILb0ES3_S5_N6thrust23THRUST_200600_302600_NS6detail15normal_iteratorINS8_7pointerIfNS8_11hip_rocprim16par_det_nosync_tENS8_11use_defaultESE_EEEENSA_INSB_IiSD_SE_SE_EEEEZNS1_13binary_searchIS3_S5_NSA_INS8_10device_ptrIfEEEESG_SI_NS1_16binary_search_opENS9_16wrapped_functionINS8_6system6detail7generic6detail18binary_search_lessEbEEEE10hipError_tPvRmT1_T2_T3_mmT4_T5_P12ihipStream_tbEUlRKfE_EESV_SZ_S10_mS11_S14_bEUlT_E_NS1_11comp_targetILNS1_3genE10ELNS1_11target_archE1201ELNS1_3gpuE5ELNS1_3repE0EEENS1_30default_config_static_selectorELNS0_4arch9wavefront6targetE0EEEvSY_.kd
    .uniform_work_group_size: 1
    .uses_dynamic_stack: false
    .vgpr_count:     0
    .vgpr_spill_count: 0
    .wavefront_size: 32
    .workgroup_processor_mode: 1
  - .args:
      - .offset:         0
        .size:           56
        .value_kind:     by_value
    .group_segment_fixed_size: 0
    .kernarg_segment_align: 8
    .kernarg_segment_size: 56
    .language:       OpenCL C
    .language_version:
      - 2
      - 0
    .max_flat_workgroup_size: 128
    .name:           _ZN7rocprim17ROCPRIM_400000_NS6detail17trampoline_kernelINS0_14default_configENS1_29binary_search_config_selectorIfiEEZNS1_14transform_implILb0ES3_S5_N6thrust23THRUST_200600_302600_NS6detail15normal_iteratorINS8_7pointerIfNS8_11hip_rocprim16par_det_nosync_tENS8_11use_defaultESE_EEEENSA_INSB_IiSD_SE_SE_EEEEZNS1_13binary_searchIS3_S5_NSA_INS8_10device_ptrIfEEEESG_SI_NS1_16binary_search_opENS9_16wrapped_functionINS8_6system6detail7generic6detail18binary_search_lessEbEEEE10hipError_tPvRmT1_T2_T3_mmT4_T5_P12ihipStream_tbEUlRKfE_EESV_SZ_S10_mS11_S14_bEUlT_E_NS1_11comp_targetILNS1_3genE10ELNS1_11target_archE1200ELNS1_3gpuE4ELNS1_3repE0EEENS1_30default_config_static_selectorELNS0_4arch9wavefront6targetE0EEEvSY_
    .private_segment_fixed_size: 0
    .sgpr_count:     0
    .sgpr_spill_count: 0
    .symbol:         _ZN7rocprim17ROCPRIM_400000_NS6detail17trampoline_kernelINS0_14default_configENS1_29binary_search_config_selectorIfiEEZNS1_14transform_implILb0ES3_S5_N6thrust23THRUST_200600_302600_NS6detail15normal_iteratorINS8_7pointerIfNS8_11hip_rocprim16par_det_nosync_tENS8_11use_defaultESE_EEEENSA_INSB_IiSD_SE_SE_EEEEZNS1_13binary_searchIS3_S5_NSA_INS8_10device_ptrIfEEEESG_SI_NS1_16binary_search_opENS9_16wrapped_functionINS8_6system6detail7generic6detail18binary_search_lessEbEEEE10hipError_tPvRmT1_T2_T3_mmT4_T5_P12ihipStream_tbEUlRKfE_EESV_SZ_S10_mS11_S14_bEUlT_E_NS1_11comp_targetILNS1_3genE10ELNS1_11target_archE1200ELNS1_3gpuE4ELNS1_3repE0EEENS1_30default_config_static_selectorELNS0_4arch9wavefront6targetE0EEEvSY_.kd
    .uniform_work_group_size: 1
    .uses_dynamic_stack: false
    .vgpr_count:     0
    .vgpr_spill_count: 0
    .wavefront_size: 32
    .workgroup_processor_mode: 1
  - .args:
      - .offset:         0
        .size:           56
        .value_kind:     by_value
    .group_segment_fixed_size: 0
    .kernarg_segment_align: 8
    .kernarg_segment_size: 56
    .language:       OpenCL C
    .language_version:
      - 2
      - 0
    .max_flat_workgroup_size: 256
    .name:           _ZN7rocprim17ROCPRIM_400000_NS6detail17trampoline_kernelINS0_14default_configENS1_29binary_search_config_selectorIfiEEZNS1_14transform_implILb0ES3_S5_N6thrust23THRUST_200600_302600_NS6detail15normal_iteratorINS8_7pointerIfNS8_11hip_rocprim16par_det_nosync_tENS8_11use_defaultESE_EEEENSA_INSB_IiSD_SE_SE_EEEEZNS1_13binary_searchIS3_S5_NSA_INS8_10device_ptrIfEEEESG_SI_NS1_16binary_search_opENS9_16wrapped_functionINS8_6system6detail7generic6detail18binary_search_lessEbEEEE10hipError_tPvRmT1_T2_T3_mmT4_T5_P12ihipStream_tbEUlRKfE_EESV_SZ_S10_mS11_S14_bEUlT_E_NS1_11comp_targetILNS1_3genE9ELNS1_11target_archE1100ELNS1_3gpuE3ELNS1_3repE0EEENS1_30default_config_static_selectorELNS0_4arch9wavefront6targetE0EEEvSY_
    .private_segment_fixed_size: 0
    .sgpr_count:     0
    .sgpr_spill_count: 0
    .symbol:         _ZN7rocprim17ROCPRIM_400000_NS6detail17trampoline_kernelINS0_14default_configENS1_29binary_search_config_selectorIfiEEZNS1_14transform_implILb0ES3_S5_N6thrust23THRUST_200600_302600_NS6detail15normal_iteratorINS8_7pointerIfNS8_11hip_rocprim16par_det_nosync_tENS8_11use_defaultESE_EEEENSA_INSB_IiSD_SE_SE_EEEEZNS1_13binary_searchIS3_S5_NSA_INS8_10device_ptrIfEEEESG_SI_NS1_16binary_search_opENS9_16wrapped_functionINS8_6system6detail7generic6detail18binary_search_lessEbEEEE10hipError_tPvRmT1_T2_T3_mmT4_T5_P12ihipStream_tbEUlRKfE_EESV_SZ_S10_mS11_S14_bEUlT_E_NS1_11comp_targetILNS1_3genE9ELNS1_11target_archE1100ELNS1_3gpuE3ELNS1_3repE0EEENS1_30default_config_static_selectorELNS0_4arch9wavefront6targetE0EEEvSY_.kd
    .uniform_work_group_size: 1
    .uses_dynamic_stack: false
    .vgpr_count:     0
    .vgpr_spill_count: 0
    .wavefront_size: 32
    .workgroup_processor_mode: 1
  - .args:
      - .offset:         0
        .size:           56
        .value_kind:     by_value
      - .offset:         56
        .size:           4
        .value_kind:     hidden_block_count_x
      - .offset:         60
        .size:           4
        .value_kind:     hidden_block_count_y
      - .offset:         64
        .size:           4
        .value_kind:     hidden_block_count_z
      - .offset:         68
        .size:           2
        .value_kind:     hidden_group_size_x
      - .offset:         70
        .size:           2
        .value_kind:     hidden_group_size_y
      - .offset:         72
        .size:           2
        .value_kind:     hidden_group_size_z
      - .offset:         74
        .size:           2
        .value_kind:     hidden_remainder_x
      - .offset:         76
        .size:           2
        .value_kind:     hidden_remainder_y
      - .offset:         78
        .size:           2
        .value_kind:     hidden_remainder_z
      - .offset:         96
        .size:           8
        .value_kind:     hidden_global_offset_x
      - .offset:         104
        .size:           8
        .value_kind:     hidden_global_offset_y
      - .offset:         112
        .size:           8
        .value_kind:     hidden_global_offset_z
      - .offset:         120
        .size:           2
        .value_kind:     hidden_grid_dims
    .group_segment_fixed_size: 0
    .kernarg_segment_align: 8
    .kernarg_segment_size: 312
    .language:       OpenCL C
    .language_version:
      - 2
      - 0
    .max_flat_workgroup_size: 256
    .name:           _ZN7rocprim17ROCPRIM_400000_NS6detail17trampoline_kernelINS0_14default_configENS1_29binary_search_config_selectorIfiEEZNS1_14transform_implILb0ES3_S5_N6thrust23THRUST_200600_302600_NS6detail15normal_iteratorINS8_7pointerIfNS8_11hip_rocprim16par_det_nosync_tENS8_11use_defaultESE_EEEENSA_INSB_IiSD_SE_SE_EEEEZNS1_13binary_searchIS3_S5_NSA_INS8_10device_ptrIfEEEESG_SI_NS1_16binary_search_opENS9_16wrapped_functionINS8_6system6detail7generic6detail18binary_search_lessEbEEEE10hipError_tPvRmT1_T2_T3_mmT4_T5_P12ihipStream_tbEUlRKfE_EESV_SZ_S10_mS11_S14_bEUlT_E_NS1_11comp_targetILNS1_3genE8ELNS1_11target_archE1030ELNS1_3gpuE2ELNS1_3repE0EEENS1_30default_config_static_selectorELNS0_4arch9wavefront6targetE0EEEvSY_
    .private_segment_fixed_size: 0
    .sgpr_count:     22
    .sgpr_spill_count: 0
    .symbol:         _ZN7rocprim17ROCPRIM_400000_NS6detail17trampoline_kernelINS0_14default_configENS1_29binary_search_config_selectorIfiEEZNS1_14transform_implILb0ES3_S5_N6thrust23THRUST_200600_302600_NS6detail15normal_iteratorINS8_7pointerIfNS8_11hip_rocprim16par_det_nosync_tENS8_11use_defaultESE_EEEENSA_INSB_IiSD_SE_SE_EEEEZNS1_13binary_searchIS3_S5_NSA_INS8_10device_ptrIfEEEESG_SI_NS1_16binary_search_opENS9_16wrapped_functionINS8_6system6detail7generic6detail18binary_search_lessEbEEEE10hipError_tPvRmT1_T2_T3_mmT4_T5_P12ihipStream_tbEUlRKfE_EESV_SZ_S10_mS11_S14_bEUlT_E_NS1_11comp_targetILNS1_3genE8ELNS1_11target_archE1030ELNS1_3gpuE2ELNS1_3repE0EEENS1_30default_config_static_selectorELNS0_4arch9wavefront6targetE0EEEvSY_.kd
    .uniform_work_group_size: 1
    .uses_dynamic_stack: false
    .vgpr_count:     12
    .vgpr_spill_count: 0
    .wavefront_size: 32
    .workgroup_processor_mode: 1
  - .args:
      - .offset:         0
        .size:           56
        .value_kind:     by_value
    .group_segment_fixed_size: 0
    .kernarg_segment_align: 8
    .kernarg_segment_size: 56
    .language:       OpenCL C
    .language_version:
      - 2
      - 0
    .max_flat_workgroup_size: 256
    .name:           _ZN7rocprim17ROCPRIM_400000_NS6detail17trampoline_kernelINS0_14default_configENS1_29binary_search_config_selectorIfiEEZNS1_14transform_implILb0ES3_S5_N6thrust23THRUST_200600_302600_NS6detail15normal_iteratorINS8_7pointerIfNS8_11hip_rocprim9par_det_tENS8_11use_defaultESE_EEEENSA_INSB_IiSD_SE_SE_EEEEZNS1_13binary_searchIS3_S5_NSA_INS8_10device_ptrIfEEEESG_SI_NS1_16binary_search_opENS9_16wrapped_functionINS8_6system6detail7generic6detail18binary_search_lessEbEEEE10hipError_tPvRmT1_T2_T3_mmT4_T5_P12ihipStream_tbEUlRKfE_EESV_SZ_S10_mS11_S14_bEUlT_E_NS1_11comp_targetILNS1_3genE0ELNS1_11target_archE4294967295ELNS1_3gpuE0ELNS1_3repE0EEENS1_30default_config_static_selectorELNS0_4arch9wavefront6targetE0EEEvSY_
    .private_segment_fixed_size: 0
    .sgpr_count:     0
    .sgpr_spill_count: 0
    .symbol:         _ZN7rocprim17ROCPRIM_400000_NS6detail17trampoline_kernelINS0_14default_configENS1_29binary_search_config_selectorIfiEEZNS1_14transform_implILb0ES3_S5_N6thrust23THRUST_200600_302600_NS6detail15normal_iteratorINS8_7pointerIfNS8_11hip_rocprim9par_det_tENS8_11use_defaultESE_EEEENSA_INSB_IiSD_SE_SE_EEEEZNS1_13binary_searchIS3_S5_NSA_INS8_10device_ptrIfEEEESG_SI_NS1_16binary_search_opENS9_16wrapped_functionINS8_6system6detail7generic6detail18binary_search_lessEbEEEE10hipError_tPvRmT1_T2_T3_mmT4_T5_P12ihipStream_tbEUlRKfE_EESV_SZ_S10_mS11_S14_bEUlT_E_NS1_11comp_targetILNS1_3genE0ELNS1_11target_archE4294967295ELNS1_3gpuE0ELNS1_3repE0EEENS1_30default_config_static_selectorELNS0_4arch9wavefront6targetE0EEEvSY_.kd
    .uniform_work_group_size: 1
    .uses_dynamic_stack: false
    .vgpr_count:     0
    .vgpr_spill_count: 0
    .wavefront_size: 32
    .workgroup_processor_mode: 1
  - .args:
      - .offset:         0
        .size:           56
        .value_kind:     by_value
    .group_segment_fixed_size: 0
    .kernarg_segment_align: 8
    .kernarg_segment_size: 56
    .language:       OpenCL C
    .language_version:
      - 2
      - 0
    .max_flat_workgroup_size: 256
    .name:           _ZN7rocprim17ROCPRIM_400000_NS6detail17trampoline_kernelINS0_14default_configENS1_29binary_search_config_selectorIfiEEZNS1_14transform_implILb0ES3_S5_N6thrust23THRUST_200600_302600_NS6detail15normal_iteratorINS8_7pointerIfNS8_11hip_rocprim9par_det_tENS8_11use_defaultESE_EEEENSA_INSB_IiSD_SE_SE_EEEEZNS1_13binary_searchIS3_S5_NSA_INS8_10device_ptrIfEEEESG_SI_NS1_16binary_search_opENS9_16wrapped_functionINS8_6system6detail7generic6detail18binary_search_lessEbEEEE10hipError_tPvRmT1_T2_T3_mmT4_T5_P12ihipStream_tbEUlRKfE_EESV_SZ_S10_mS11_S14_bEUlT_E_NS1_11comp_targetILNS1_3genE5ELNS1_11target_archE942ELNS1_3gpuE9ELNS1_3repE0EEENS1_30default_config_static_selectorELNS0_4arch9wavefront6targetE0EEEvSY_
    .private_segment_fixed_size: 0
    .sgpr_count:     0
    .sgpr_spill_count: 0
    .symbol:         _ZN7rocprim17ROCPRIM_400000_NS6detail17trampoline_kernelINS0_14default_configENS1_29binary_search_config_selectorIfiEEZNS1_14transform_implILb0ES3_S5_N6thrust23THRUST_200600_302600_NS6detail15normal_iteratorINS8_7pointerIfNS8_11hip_rocprim9par_det_tENS8_11use_defaultESE_EEEENSA_INSB_IiSD_SE_SE_EEEEZNS1_13binary_searchIS3_S5_NSA_INS8_10device_ptrIfEEEESG_SI_NS1_16binary_search_opENS9_16wrapped_functionINS8_6system6detail7generic6detail18binary_search_lessEbEEEE10hipError_tPvRmT1_T2_T3_mmT4_T5_P12ihipStream_tbEUlRKfE_EESV_SZ_S10_mS11_S14_bEUlT_E_NS1_11comp_targetILNS1_3genE5ELNS1_11target_archE942ELNS1_3gpuE9ELNS1_3repE0EEENS1_30default_config_static_selectorELNS0_4arch9wavefront6targetE0EEEvSY_.kd
    .uniform_work_group_size: 1
    .uses_dynamic_stack: false
    .vgpr_count:     0
    .vgpr_spill_count: 0
    .wavefront_size: 32
    .workgroup_processor_mode: 1
  - .args:
      - .offset:         0
        .size:           56
        .value_kind:     by_value
    .group_segment_fixed_size: 0
    .kernarg_segment_align: 8
    .kernarg_segment_size: 56
    .language:       OpenCL C
    .language_version:
      - 2
      - 0
    .max_flat_workgroup_size: 256
    .name:           _ZN7rocprim17ROCPRIM_400000_NS6detail17trampoline_kernelINS0_14default_configENS1_29binary_search_config_selectorIfiEEZNS1_14transform_implILb0ES3_S5_N6thrust23THRUST_200600_302600_NS6detail15normal_iteratorINS8_7pointerIfNS8_11hip_rocprim9par_det_tENS8_11use_defaultESE_EEEENSA_INSB_IiSD_SE_SE_EEEEZNS1_13binary_searchIS3_S5_NSA_INS8_10device_ptrIfEEEESG_SI_NS1_16binary_search_opENS9_16wrapped_functionINS8_6system6detail7generic6detail18binary_search_lessEbEEEE10hipError_tPvRmT1_T2_T3_mmT4_T5_P12ihipStream_tbEUlRKfE_EESV_SZ_S10_mS11_S14_bEUlT_E_NS1_11comp_targetILNS1_3genE4ELNS1_11target_archE910ELNS1_3gpuE8ELNS1_3repE0EEENS1_30default_config_static_selectorELNS0_4arch9wavefront6targetE0EEEvSY_
    .private_segment_fixed_size: 0
    .sgpr_count:     0
    .sgpr_spill_count: 0
    .symbol:         _ZN7rocprim17ROCPRIM_400000_NS6detail17trampoline_kernelINS0_14default_configENS1_29binary_search_config_selectorIfiEEZNS1_14transform_implILb0ES3_S5_N6thrust23THRUST_200600_302600_NS6detail15normal_iteratorINS8_7pointerIfNS8_11hip_rocprim9par_det_tENS8_11use_defaultESE_EEEENSA_INSB_IiSD_SE_SE_EEEEZNS1_13binary_searchIS3_S5_NSA_INS8_10device_ptrIfEEEESG_SI_NS1_16binary_search_opENS9_16wrapped_functionINS8_6system6detail7generic6detail18binary_search_lessEbEEEE10hipError_tPvRmT1_T2_T3_mmT4_T5_P12ihipStream_tbEUlRKfE_EESV_SZ_S10_mS11_S14_bEUlT_E_NS1_11comp_targetILNS1_3genE4ELNS1_11target_archE910ELNS1_3gpuE8ELNS1_3repE0EEENS1_30default_config_static_selectorELNS0_4arch9wavefront6targetE0EEEvSY_.kd
    .uniform_work_group_size: 1
    .uses_dynamic_stack: false
    .vgpr_count:     0
    .vgpr_spill_count: 0
    .wavefront_size: 32
    .workgroup_processor_mode: 1
  - .args:
      - .offset:         0
        .size:           56
        .value_kind:     by_value
    .group_segment_fixed_size: 0
    .kernarg_segment_align: 8
    .kernarg_segment_size: 56
    .language:       OpenCL C
    .language_version:
      - 2
      - 0
    .max_flat_workgroup_size: 256
    .name:           _ZN7rocprim17ROCPRIM_400000_NS6detail17trampoline_kernelINS0_14default_configENS1_29binary_search_config_selectorIfiEEZNS1_14transform_implILb0ES3_S5_N6thrust23THRUST_200600_302600_NS6detail15normal_iteratorINS8_7pointerIfNS8_11hip_rocprim9par_det_tENS8_11use_defaultESE_EEEENSA_INSB_IiSD_SE_SE_EEEEZNS1_13binary_searchIS3_S5_NSA_INS8_10device_ptrIfEEEESG_SI_NS1_16binary_search_opENS9_16wrapped_functionINS8_6system6detail7generic6detail18binary_search_lessEbEEEE10hipError_tPvRmT1_T2_T3_mmT4_T5_P12ihipStream_tbEUlRKfE_EESV_SZ_S10_mS11_S14_bEUlT_E_NS1_11comp_targetILNS1_3genE3ELNS1_11target_archE908ELNS1_3gpuE7ELNS1_3repE0EEENS1_30default_config_static_selectorELNS0_4arch9wavefront6targetE0EEEvSY_
    .private_segment_fixed_size: 0
    .sgpr_count:     0
    .sgpr_spill_count: 0
    .symbol:         _ZN7rocprim17ROCPRIM_400000_NS6detail17trampoline_kernelINS0_14default_configENS1_29binary_search_config_selectorIfiEEZNS1_14transform_implILb0ES3_S5_N6thrust23THRUST_200600_302600_NS6detail15normal_iteratorINS8_7pointerIfNS8_11hip_rocprim9par_det_tENS8_11use_defaultESE_EEEENSA_INSB_IiSD_SE_SE_EEEEZNS1_13binary_searchIS3_S5_NSA_INS8_10device_ptrIfEEEESG_SI_NS1_16binary_search_opENS9_16wrapped_functionINS8_6system6detail7generic6detail18binary_search_lessEbEEEE10hipError_tPvRmT1_T2_T3_mmT4_T5_P12ihipStream_tbEUlRKfE_EESV_SZ_S10_mS11_S14_bEUlT_E_NS1_11comp_targetILNS1_3genE3ELNS1_11target_archE908ELNS1_3gpuE7ELNS1_3repE0EEENS1_30default_config_static_selectorELNS0_4arch9wavefront6targetE0EEEvSY_.kd
    .uniform_work_group_size: 1
    .uses_dynamic_stack: false
    .vgpr_count:     0
    .vgpr_spill_count: 0
    .wavefront_size: 32
    .workgroup_processor_mode: 1
  - .args:
      - .offset:         0
        .size:           56
        .value_kind:     by_value
    .group_segment_fixed_size: 0
    .kernarg_segment_align: 8
    .kernarg_segment_size: 56
    .language:       OpenCL C
    .language_version:
      - 2
      - 0
    .max_flat_workgroup_size: 256
    .name:           _ZN7rocprim17ROCPRIM_400000_NS6detail17trampoline_kernelINS0_14default_configENS1_29binary_search_config_selectorIfiEEZNS1_14transform_implILb0ES3_S5_N6thrust23THRUST_200600_302600_NS6detail15normal_iteratorINS8_7pointerIfNS8_11hip_rocprim9par_det_tENS8_11use_defaultESE_EEEENSA_INSB_IiSD_SE_SE_EEEEZNS1_13binary_searchIS3_S5_NSA_INS8_10device_ptrIfEEEESG_SI_NS1_16binary_search_opENS9_16wrapped_functionINS8_6system6detail7generic6detail18binary_search_lessEbEEEE10hipError_tPvRmT1_T2_T3_mmT4_T5_P12ihipStream_tbEUlRKfE_EESV_SZ_S10_mS11_S14_bEUlT_E_NS1_11comp_targetILNS1_3genE2ELNS1_11target_archE906ELNS1_3gpuE6ELNS1_3repE0EEENS1_30default_config_static_selectorELNS0_4arch9wavefront6targetE0EEEvSY_
    .private_segment_fixed_size: 0
    .sgpr_count:     0
    .sgpr_spill_count: 0
    .symbol:         _ZN7rocprim17ROCPRIM_400000_NS6detail17trampoline_kernelINS0_14default_configENS1_29binary_search_config_selectorIfiEEZNS1_14transform_implILb0ES3_S5_N6thrust23THRUST_200600_302600_NS6detail15normal_iteratorINS8_7pointerIfNS8_11hip_rocprim9par_det_tENS8_11use_defaultESE_EEEENSA_INSB_IiSD_SE_SE_EEEEZNS1_13binary_searchIS3_S5_NSA_INS8_10device_ptrIfEEEESG_SI_NS1_16binary_search_opENS9_16wrapped_functionINS8_6system6detail7generic6detail18binary_search_lessEbEEEE10hipError_tPvRmT1_T2_T3_mmT4_T5_P12ihipStream_tbEUlRKfE_EESV_SZ_S10_mS11_S14_bEUlT_E_NS1_11comp_targetILNS1_3genE2ELNS1_11target_archE906ELNS1_3gpuE6ELNS1_3repE0EEENS1_30default_config_static_selectorELNS0_4arch9wavefront6targetE0EEEvSY_.kd
    .uniform_work_group_size: 1
    .uses_dynamic_stack: false
    .vgpr_count:     0
    .vgpr_spill_count: 0
    .wavefront_size: 32
    .workgroup_processor_mode: 1
  - .args:
      - .offset:         0
        .size:           56
        .value_kind:     by_value
    .group_segment_fixed_size: 0
    .kernarg_segment_align: 8
    .kernarg_segment_size: 56
    .language:       OpenCL C
    .language_version:
      - 2
      - 0
    .max_flat_workgroup_size: 128
    .name:           _ZN7rocprim17ROCPRIM_400000_NS6detail17trampoline_kernelINS0_14default_configENS1_29binary_search_config_selectorIfiEEZNS1_14transform_implILb0ES3_S5_N6thrust23THRUST_200600_302600_NS6detail15normal_iteratorINS8_7pointerIfNS8_11hip_rocprim9par_det_tENS8_11use_defaultESE_EEEENSA_INSB_IiSD_SE_SE_EEEEZNS1_13binary_searchIS3_S5_NSA_INS8_10device_ptrIfEEEESG_SI_NS1_16binary_search_opENS9_16wrapped_functionINS8_6system6detail7generic6detail18binary_search_lessEbEEEE10hipError_tPvRmT1_T2_T3_mmT4_T5_P12ihipStream_tbEUlRKfE_EESV_SZ_S10_mS11_S14_bEUlT_E_NS1_11comp_targetILNS1_3genE10ELNS1_11target_archE1201ELNS1_3gpuE5ELNS1_3repE0EEENS1_30default_config_static_selectorELNS0_4arch9wavefront6targetE0EEEvSY_
    .private_segment_fixed_size: 0
    .sgpr_count:     0
    .sgpr_spill_count: 0
    .symbol:         _ZN7rocprim17ROCPRIM_400000_NS6detail17trampoline_kernelINS0_14default_configENS1_29binary_search_config_selectorIfiEEZNS1_14transform_implILb0ES3_S5_N6thrust23THRUST_200600_302600_NS6detail15normal_iteratorINS8_7pointerIfNS8_11hip_rocprim9par_det_tENS8_11use_defaultESE_EEEENSA_INSB_IiSD_SE_SE_EEEEZNS1_13binary_searchIS3_S5_NSA_INS8_10device_ptrIfEEEESG_SI_NS1_16binary_search_opENS9_16wrapped_functionINS8_6system6detail7generic6detail18binary_search_lessEbEEEE10hipError_tPvRmT1_T2_T3_mmT4_T5_P12ihipStream_tbEUlRKfE_EESV_SZ_S10_mS11_S14_bEUlT_E_NS1_11comp_targetILNS1_3genE10ELNS1_11target_archE1201ELNS1_3gpuE5ELNS1_3repE0EEENS1_30default_config_static_selectorELNS0_4arch9wavefront6targetE0EEEvSY_.kd
    .uniform_work_group_size: 1
    .uses_dynamic_stack: false
    .vgpr_count:     0
    .vgpr_spill_count: 0
    .wavefront_size: 32
    .workgroup_processor_mode: 1
  - .args:
      - .offset:         0
        .size:           56
        .value_kind:     by_value
    .group_segment_fixed_size: 0
    .kernarg_segment_align: 8
    .kernarg_segment_size: 56
    .language:       OpenCL C
    .language_version:
      - 2
      - 0
    .max_flat_workgroup_size: 128
    .name:           _ZN7rocprim17ROCPRIM_400000_NS6detail17trampoline_kernelINS0_14default_configENS1_29binary_search_config_selectorIfiEEZNS1_14transform_implILb0ES3_S5_N6thrust23THRUST_200600_302600_NS6detail15normal_iteratorINS8_7pointerIfNS8_11hip_rocprim9par_det_tENS8_11use_defaultESE_EEEENSA_INSB_IiSD_SE_SE_EEEEZNS1_13binary_searchIS3_S5_NSA_INS8_10device_ptrIfEEEESG_SI_NS1_16binary_search_opENS9_16wrapped_functionINS8_6system6detail7generic6detail18binary_search_lessEbEEEE10hipError_tPvRmT1_T2_T3_mmT4_T5_P12ihipStream_tbEUlRKfE_EESV_SZ_S10_mS11_S14_bEUlT_E_NS1_11comp_targetILNS1_3genE10ELNS1_11target_archE1200ELNS1_3gpuE4ELNS1_3repE0EEENS1_30default_config_static_selectorELNS0_4arch9wavefront6targetE0EEEvSY_
    .private_segment_fixed_size: 0
    .sgpr_count:     0
    .sgpr_spill_count: 0
    .symbol:         _ZN7rocprim17ROCPRIM_400000_NS6detail17trampoline_kernelINS0_14default_configENS1_29binary_search_config_selectorIfiEEZNS1_14transform_implILb0ES3_S5_N6thrust23THRUST_200600_302600_NS6detail15normal_iteratorINS8_7pointerIfNS8_11hip_rocprim9par_det_tENS8_11use_defaultESE_EEEENSA_INSB_IiSD_SE_SE_EEEEZNS1_13binary_searchIS3_S5_NSA_INS8_10device_ptrIfEEEESG_SI_NS1_16binary_search_opENS9_16wrapped_functionINS8_6system6detail7generic6detail18binary_search_lessEbEEEE10hipError_tPvRmT1_T2_T3_mmT4_T5_P12ihipStream_tbEUlRKfE_EESV_SZ_S10_mS11_S14_bEUlT_E_NS1_11comp_targetILNS1_3genE10ELNS1_11target_archE1200ELNS1_3gpuE4ELNS1_3repE0EEENS1_30default_config_static_selectorELNS0_4arch9wavefront6targetE0EEEvSY_.kd
    .uniform_work_group_size: 1
    .uses_dynamic_stack: false
    .vgpr_count:     0
    .vgpr_spill_count: 0
    .wavefront_size: 32
    .workgroup_processor_mode: 1
  - .args:
      - .offset:         0
        .size:           56
        .value_kind:     by_value
    .group_segment_fixed_size: 0
    .kernarg_segment_align: 8
    .kernarg_segment_size: 56
    .language:       OpenCL C
    .language_version:
      - 2
      - 0
    .max_flat_workgroup_size: 256
    .name:           _ZN7rocprim17ROCPRIM_400000_NS6detail17trampoline_kernelINS0_14default_configENS1_29binary_search_config_selectorIfiEEZNS1_14transform_implILb0ES3_S5_N6thrust23THRUST_200600_302600_NS6detail15normal_iteratorINS8_7pointerIfNS8_11hip_rocprim9par_det_tENS8_11use_defaultESE_EEEENSA_INSB_IiSD_SE_SE_EEEEZNS1_13binary_searchIS3_S5_NSA_INS8_10device_ptrIfEEEESG_SI_NS1_16binary_search_opENS9_16wrapped_functionINS8_6system6detail7generic6detail18binary_search_lessEbEEEE10hipError_tPvRmT1_T2_T3_mmT4_T5_P12ihipStream_tbEUlRKfE_EESV_SZ_S10_mS11_S14_bEUlT_E_NS1_11comp_targetILNS1_3genE9ELNS1_11target_archE1100ELNS1_3gpuE3ELNS1_3repE0EEENS1_30default_config_static_selectorELNS0_4arch9wavefront6targetE0EEEvSY_
    .private_segment_fixed_size: 0
    .sgpr_count:     0
    .sgpr_spill_count: 0
    .symbol:         _ZN7rocprim17ROCPRIM_400000_NS6detail17trampoline_kernelINS0_14default_configENS1_29binary_search_config_selectorIfiEEZNS1_14transform_implILb0ES3_S5_N6thrust23THRUST_200600_302600_NS6detail15normal_iteratorINS8_7pointerIfNS8_11hip_rocprim9par_det_tENS8_11use_defaultESE_EEEENSA_INSB_IiSD_SE_SE_EEEEZNS1_13binary_searchIS3_S5_NSA_INS8_10device_ptrIfEEEESG_SI_NS1_16binary_search_opENS9_16wrapped_functionINS8_6system6detail7generic6detail18binary_search_lessEbEEEE10hipError_tPvRmT1_T2_T3_mmT4_T5_P12ihipStream_tbEUlRKfE_EESV_SZ_S10_mS11_S14_bEUlT_E_NS1_11comp_targetILNS1_3genE9ELNS1_11target_archE1100ELNS1_3gpuE3ELNS1_3repE0EEENS1_30default_config_static_selectorELNS0_4arch9wavefront6targetE0EEEvSY_.kd
    .uniform_work_group_size: 1
    .uses_dynamic_stack: false
    .vgpr_count:     0
    .vgpr_spill_count: 0
    .wavefront_size: 32
    .workgroup_processor_mode: 1
  - .args:
      - .offset:         0
        .size:           56
        .value_kind:     by_value
      - .offset:         56
        .size:           4
        .value_kind:     hidden_block_count_x
      - .offset:         60
        .size:           4
        .value_kind:     hidden_block_count_y
      - .offset:         64
        .size:           4
        .value_kind:     hidden_block_count_z
      - .offset:         68
        .size:           2
        .value_kind:     hidden_group_size_x
      - .offset:         70
        .size:           2
        .value_kind:     hidden_group_size_y
      - .offset:         72
        .size:           2
        .value_kind:     hidden_group_size_z
      - .offset:         74
        .size:           2
        .value_kind:     hidden_remainder_x
      - .offset:         76
        .size:           2
        .value_kind:     hidden_remainder_y
      - .offset:         78
        .size:           2
        .value_kind:     hidden_remainder_z
      - .offset:         96
        .size:           8
        .value_kind:     hidden_global_offset_x
      - .offset:         104
        .size:           8
        .value_kind:     hidden_global_offset_y
      - .offset:         112
        .size:           8
        .value_kind:     hidden_global_offset_z
      - .offset:         120
        .size:           2
        .value_kind:     hidden_grid_dims
    .group_segment_fixed_size: 0
    .kernarg_segment_align: 8
    .kernarg_segment_size: 312
    .language:       OpenCL C
    .language_version:
      - 2
      - 0
    .max_flat_workgroup_size: 256
    .name:           _ZN7rocprim17ROCPRIM_400000_NS6detail17trampoline_kernelINS0_14default_configENS1_29binary_search_config_selectorIfiEEZNS1_14transform_implILb0ES3_S5_N6thrust23THRUST_200600_302600_NS6detail15normal_iteratorINS8_7pointerIfNS8_11hip_rocprim9par_det_tENS8_11use_defaultESE_EEEENSA_INSB_IiSD_SE_SE_EEEEZNS1_13binary_searchIS3_S5_NSA_INS8_10device_ptrIfEEEESG_SI_NS1_16binary_search_opENS9_16wrapped_functionINS8_6system6detail7generic6detail18binary_search_lessEbEEEE10hipError_tPvRmT1_T2_T3_mmT4_T5_P12ihipStream_tbEUlRKfE_EESV_SZ_S10_mS11_S14_bEUlT_E_NS1_11comp_targetILNS1_3genE8ELNS1_11target_archE1030ELNS1_3gpuE2ELNS1_3repE0EEENS1_30default_config_static_selectorELNS0_4arch9wavefront6targetE0EEEvSY_
    .private_segment_fixed_size: 0
    .sgpr_count:     22
    .sgpr_spill_count: 0
    .symbol:         _ZN7rocprim17ROCPRIM_400000_NS6detail17trampoline_kernelINS0_14default_configENS1_29binary_search_config_selectorIfiEEZNS1_14transform_implILb0ES3_S5_N6thrust23THRUST_200600_302600_NS6detail15normal_iteratorINS8_7pointerIfNS8_11hip_rocprim9par_det_tENS8_11use_defaultESE_EEEENSA_INSB_IiSD_SE_SE_EEEEZNS1_13binary_searchIS3_S5_NSA_INS8_10device_ptrIfEEEESG_SI_NS1_16binary_search_opENS9_16wrapped_functionINS8_6system6detail7generic6detail18binary_search_lessEbEEEE10hipError_tPvRmT1_T2_T3_mmT4_T5_P12ihipStream_tbEUlRKfE_EESV_SZ_S10_mS11_S14_bEUlT_E_NS1_11comp_targetILNS1_3genE8ELNS1_11target_archE1030ELNS1_3gpuE2ELNS1_3repE0EEENS1_30default_config_static_selectorELNS0_4arch9wavefront6targetE0EEEvSY_.kd
    .uniform_work_group_size: 1
    .uses_dynamic_stack: false
    .vgpr_count:     12
    .vgpr_spill_count: 0
    .wavefront_size: 32
    .workgroup_processor_mode: 1
  - .args:
      - .offset:         0
        .size:           56
        .value_kind:     by_value
    .group_segment_fixed_size: 0
    .kernarg_segment_align: 8
    .kernarg_segment_size: 56
    .language:       OpenCL C
    .language_version:
      - 2
      - 0
    .max_flat_workgroup_size: 256
    .name:           _ZN7rocprim17ROCPRIM_400000_NS6detail17trampoline_kernelINS0_14default_configENS1_29binary_search_config_selectorIfiEEZNS1_14transform_implILb0ES3_S5_N6thrust23THRUST_200600_302600_NS6detail15normal_iteratorINS8_7pointerIfNS8_11hip_rocprim5par_tENS8_11use_defaultESE_EEEENSA_INSB_IiSD_SE_SE_EEEEZNS1_13binary_searchIS3_S5_NSA_INS8_10device_ptrIfEEEESG_SI_NS1_16binary_search_opENS9_16wrapped_functionINS8_6system6detail7generic6detail18binary_search_lessEbEEEE10hipError_tPvRmT1_T2_T3_mmT4_T5_P12ihipStream_tbEUlRKfE_EESV_SZ_S10_mS11_S14_bEUlT_E_NS1_11comp_targetILNS1_3genE0ELNS1_11target_archE4294967295ELNS1_3gpuE0ELNS1_3repE0EEENS1_30default_config_static_selectorELNS0_4arch9wavefront6targetE0EEEvSY_
    .private_segment_fixed_size: 0
    .sgpr_count:     0
    .sgpr_spill_count: 0
    .symbol:         _ZN7rocprim17ROCPRIM_400000_NS6detail17trampoline_kernelINS0_14default_configENS1_29binary_search_config_selectorIfiEEZNS1_14transform_implILb0ES3_S5_N6thrust23THRUST_200600_302600_NS6detail15normal_iteratorINS8_7pointerIfNS8_11hip_rocprim5par_tENS8_11use_defaultESE_EEEENSA_INSB_IiSD_SE_SE_EEEEZNS1_13binary_searchIS3_S5_NSA_INS8_10device_ptrIfEEEESG_SI_NS1_16binary_search_opENS9_16wrapped_functionINS8_6system6detail7generic6detail18binary_search_lessEbEEEE10hipError_tPvRmT1_T2_T3_mmT4_T5_P12ihipStream_tbEUlRKfE_EESV_SZ_S10_mS11_S14_bEUlT_E_NS1_11comp_targetILNS1_3genE0ELNS1_11target_archE4294967295ELNS1_3gpuE0ELNS1_3repE0EEENS1_30default_config_static_selectorELNS0_4arch9wavefront6targetE0EEEvSY_.kd
    .uniform_work_group_size: 1
    .uses_dynamic_stack: false
    .vgpr_count:     0
    .vgpr_spill_count: 0
    .wavefront_size: 32
    .workgroup_processor_mode: 1
  - .args:
      - .offset:         0
        .size:           56
        .value_kind:     by_value
    .group_segment_fixed_size: 0
    .kernarg_segment_align: 8
    .kernarg_segment_size: 56
    .language:       OpenCL C
    .language_version:
      - 2
      - 0
    .max_flat_workgroup_size: 256
    .name:           _ZN7rocprim17ROCPRIM_400000_NS6detail17trampoline_kernelINS0_14default_configENS1_29binary_search_config_selectorIfiEEZNS1_14transform_implILb0ES3_S5_N6thrust23THRUST_200600_302600_NS6detail15normal_iteratorINS8_7pointerIfNS8_11hip_rocprim5par_tENS8_11use_defaultESE_EEEENSA_INSB_IiSD_SE_SE_EEEEZNS1_13binary_searchIS3_S5_NSA_INS8_10device_ptrIfEEEESG_SI_NS1_16binary_search_opENS9_16wrapped_functionINS8_6system6detail7generic6detail18binary_search_lessEbEEEE10hipError_tPvRmT1_T2_T3_mmT4_T5_P12ihipStream_tbEUlRKfE_EESV_SZ_S10_mS11_S14_bEUlT_E_NS1_11comp_targetILNS1_3genE5ELNS1_11target_archE942ELNS1_3gpuE9ELNS1_3repE0EEENS1_30default_config_static_selectorELNS0_4arch9wavefront6targetE0EEEvSY_
    .private_segment_fixed_size: 0
    .sgpr_count:     0
    .sgpr_spill_count: 0
    .symbol:         _ZN7rocprim17ROCPRIM_400000_NS6detail17trampoline_kernelINS0_14default_configENS1_29binary_search_config_selectorIfiEEZNS1_14transform_implILb0ES3_S5_N6thrust23THRUST_200600_302600_NS6detail15normal_iteratorINS8_7pointerIfNS8_11hip_rocprim5par_tENS8_11use_defaultESE_EEEENSA_INSB_IiSD_SE_SE_EEEEZNS1_13binary_searchIS3_S5_NSA_INS8_10device_ptrIfEEEESG_SI_NS1_16binary_search_opENS9_16wrapped_functionINS8_6system6detail7generic6detail18binary_search_lessEbEEEE10hipError_tPvRmT1_T2_T3_mmT4_T5_P12ihipStream_tbEUlRKfE_EESV_SZ_S10_mS11_S14_bEUlT_E_NS1_11comp_targetILNS1_3genE5ELNS1_11target_archE942ELNS1_3gpuE9ELNS1_3repE0EEENS1_30default_config_static_selectorELNS0_4arch9wavefront6targetE0EEEvSY_.kd
    .uniform_work_group_size: 1
    .uses_dynamic_stack: false
    .vgpr_count:     0
    .vgpr_spill_count: 0
    .wavefront_size: 32
    .workgroup_processor_mode: 1
  - .args:
      - .offset:         0
        .size:           56
        .value_kind:     by_value
    .group_segment_fixed_size: 0
    .kernarg_segment_align: 8
    .kernarg_segment_size: 56
    .language:       OpenCL C
    .language_version:
      - 2
      - 0
    .max_flat_workgroup_size: 256
    .name:           _ZN7rocprim17ROCPRIM_400000_NS6detail17trampoline_kernelINS0_14default_configENS1_29binary_search_config_selectorIfiEEZNS1_14transform_implILb0ES3_S5_N6thrust23THRUST_200600_302600_NS6detail15normal_iteratorINS8_7pointerIfNS8_11hip_rocprim5par_tENS8_11use_defaultESE_EEEENSA_INSB_IiSD_SE_SE_EEEEZNS1_13binary_searchIS3_S5_NSA_INS8_10device_ptrIfEEEESG_SI_NS1_16binary_search_opENS9_16wrapped_functionINS8_6system6detail7generic6detail18binary_search_lessEbEEEE10hipError_tPvRmT1_T2_T3_mmT4_T5_P12ihipStream_tbEUlRKfE_EESV_SZ_S10_mS11_S14_bEUlT_E_NS1_11comp_targetILNS1_3genE4ELNS1_11target_archE910ELNS1_3gpuE8ELNS1_3repE0EEENS1_30default_config_static_selectorELNS0_4arch9wavefront6targetE0EEEvSY_
    .private_segment_fixed_size: 0
    .sgpr_count:     0
    .sgpr_spill_count: 0
    .symbol:         _ZN7rocprim17ROCPRIM_400000_NS6detail17trampoline_kernelINS0_14default_configENS1_29binary_search_config_selectorIfiEEZNS1_14transform_implILb0ES3_S5_N6thrust23THRUST_200600_302600_NS6detail15normal_iteratorINS8_7pointerIfNS8_11hip_rocprim5par_tENS8_11use_defaultESE_EEEENSA_INSB_IiSD_SE_SE_EEEEZNS1_13binary_searchIS3_S5_NSA_INS8_10device_ptrIfEEEESG_SI_NS1_16binary_search_opENS9_16wrapped_functionINS8_6system6detail7generic6detail18binary_search_lessEbEEEE10hipError_tPvRmT1_T2_T3_mmT4_T5_P12ihipStream_tbEUlRKfE_EESV_SZ_S10_mS11_S14_bEUlT_E_NS1_11comp_targetILNS1_3genE4ELNS1_11target_archE910ELNS1_3gpuE8ELNS1_3repE0EEENS1_30default_config_static_selectorELNS0_4arch9wavefront6targetE0EEEvSY_.kd
    .uniform_work_group_size: 1
    .uses_dynamic_stack: false
    .vgpr_count:     0
    .vgpr_spill_count: 0
    .wavefront_size: 32
    .workgroup_processor_mode: 1
  - .args:
      - .offset:         0
        .size:           56
        .value_kind:     by_value
    .group_segment_fixed_size: 0
    .kernarg_segment_align: 8
    .kernarg_segment_size: 56
    .language:       OpenCL C
    .language_version:
      - 2
      - 0
    .max_flat_workgroup_size: 256
    .name:           _ZN7rocprim17ROCPRIM_400000_NS6detail17trampoline_kernelINS0_14default_configENS1_29binary_search_config_selectorIfiEEZNS1_14transform_implILb0ES3_S5_N6thrust23THRUST_200600_302600_NS6detail15normal_iteratorINS8_7pointerIfNS8_11hip_rocprim5par_tENS8_11use_defaultESE_EEEENSA_INSB_IiSD_SE_SE_EEEEZNS1_13binary_searchIS3_S5_NSA_INS8_10device_ptrIfEEEESG_SI_NS1_16binary_search_opENS9_16wrapped_functionINS8_6system6detail7generic6detail18binary_search_lessEbEEEE10hipError_tPvRmT1_T2_T3_mmT4_T5_P12ihipStream_tbEUlRKfE_EESV_SZ_S10_mS11_S14_bEUlT_E_NS1_11comp_targetILNS1_3genE3ELNS1_11target_archE908ELNS1_3gpuE7ELNS1_3repE0EEENS1_30default_config_static_selectorELNS0_4arch9wavefront6targetE0EEEvSY_
    .private_segment_fixed_size: 0
    .sgpr_count:     0
    .sgpr_spill_count: 0
    .symbol:         _ZN7rocprim17ROCPRIM_400000_NS6detail17trampoline_kernelINS0_14default_configENS1_29binary_search_config_selectorIfiEEZNS1_14transform_implILb0ES3_S5_N6thrust23THRUST_200600_302600_NS6detail15normal_iteratorINS8_7pointerIfNS8_11hip_rocprim5par_tENS8_11use_defaultESE_EEEENSA_INSB_IiSD_SE_SE_EEEEZNS1_13binary_searchIS3_S5_NSA_INS8_10device_ptrIfEEEESG_SI_NS1_16binary_search_opENS9_16wrapped_functionINS8_6system6detail7generic6detail18binary_search_lessEbEEEE10hipError_tPvRmT1_T2_T3_mmT4_T5_P12ihipStream_tbEUlRKfE_EESV_SZ_S10_mS11_S14_bEUlT_E_NS1_11comp_targetILNS1_3genE3ELNS1_11target_archE908ELNS1_3gpuE7ELNS1_3repE0EEENS1_30default_config_static_selectorELNS0_4arch9wavefront6targetE0EEEvSY_.kd
    .uniform_work_group_size: 1
    .uses_dynamic_stack: false
    .vgpr_count:     0
    .vgpr_spill_count: 0
    .wavefront_size: 32
    .workgroup_processor_mode: 1
  - .args:
      - .offset:         0
        .size:           56
        .value_kind:     by_value
    .group_segment_fixed_size: 0
    .kernarg_segment_align: 8
    .kernarg_segment_size: 56
    .language:       OpenCL C
    .language_version:
      - 2
      - 0
    .max_flat_workgroup_size: 256
    .name:           _ZN7rocprim17ROCPRIM_400000_NS6detail17trampoline_kernelINS0_14default_configENS1_29binary_search_config_selectorIfiEEZNS1_14transform_implILb0ES3_S5_N6thrust23THRUST_200600_302600_NS6detail15normal_iteratorINS8_7pointerIfNS8_11hip_rocprim5par_tENS8_11use_defaultESE_EEEENSA_INSB_IiSD_SE_SE_EEEEZNS1_13binary_searchIS3_S5_NSA_INS8_10device_ptrIfEEEESG_SI_NS1_16binary_search_opENS9_16wrapped_functionINS8_6system6detail7generic6detail18binary_search_lessEbEEEE10hipError_tPvRmT1_T2_T3_mmT4_T5_P12ihipStream_tbEUlRKfE_EESV_SZ_S10_mS11_S14_bEUlT_E_NS1_11comp_targetILNS1_3genE2ELNS1_11target_archE906ELNS1_3gpuE6ELNS1_3repE0EEENS1_30default_config_static_selectorELNS0_4arch9wavefront6targetE0EEEvSY_
    .private_segment_fixed_size: 0
    .sgpr_count:     0
    .sgpr_spill_count: 0
    .symbol:         _ZN7rocprim17ROCPRIM_400000_NS6detail17trampoline_kernelINS0_14default_configENS1_29binary_search_config_selectorIfiEEZNS1_14transform_implILb0ES3_S5_N6thrust23THRUST_200600_302600_NS6detail15normal_iteratorINS8_7pointerIfNS8_11hip_rocprim5par_tENS8_11use_defaultESE_EEEENSA_INSB_IiSD_SE_SE_EEEEZNS1_13binary_searchIS3_S5_NSA_INS8_10device_ptrIfEEEESG_SI_NS1_16binary_search_opENS9_16wrapped_functionINS8_6system6detail7generic6detail18binary_search_lessEbEEEE10hipError_tPvRmT1_T2_T3_mmT4_T5_P12ihipStream_tbEUlRKfE_EESV_SZ_S10_mS11_S14_bEUlT_E_NS1_11comp_targetILNS1_3genE2ELNS1_11target_archE906ELNS1_3gpuE6ELNS1_3repE0EEENS1_30default_config_static_selectorELNS0_4arch9wavefront6targetE0EEEvSY_.kd
    .uniform_work_group_size: 1
    .uses_dynamic_stack: false
    .vgpr_count:     0
    .vgpr_spill_count: 0
    .wavefront_size: 32
    .workgroup_processor_mode: 1
  - .args:
      - .offset:         0
        .size:           56
        .value_kind:     by_value
    .group_segment_fixed_size: 0
    .kernarg_segment_align: 8
    .kernarg_segment_size: 56
    .language:       OpenCL C
    .language_version:
      - 2
      - 0
    .max_flat_workgroup_size: 128
    .name:           _ZN7rocprim17ROCPRIM_400000_NS6detail17trampoline_kernelINS0_14default_configENS1_29binary_search_config_selectorIfiEEZNS1_14transform_implILb0ES3_S5_N6thrust23THRUST_200600_302600_NS6detail15normal_iteratorINS8_7pointerIfNS8_11hip_rocprim5par_tENS8_11use_defaultESE_EEEENSA_INSB_IiSD_SE_SE_EEEEZNS1_13binary_searchIS3_S5_NSA_INS8_10device_ptrIfEEEESG_SI_NS1_16binary_search_opENS9_16wrapped_functionINS8_6system6detail7generic6detail18binary_search_lessEbEEEE10hipError_tPvRmT1_T2_T3_mmT4_T5_P12ihipStream_tbEUlRKfE_EESV_SZ_S10_mS11_S14_bEUlT_E_NS1_11comp_targetILNS1_3genE10ELNS1_11target_archE1201ELNS1_3gpuE5ELNS1_3repE0EEENS1_30default_config_static_selectorELNS0_4arch9wavefront6targetE0EEEvSY_
    .private_segment_fixed_size: 0
    .sgpr_count:     0
    .sgpr_spill_count: 0
    .symbol:         _ZN7rocprim17ROCPRIM_400000_NS6detail17trampoline_kernelINS0_14default_configENS1_29binary_search_config_selectorIfiEEZNS1_14transform_implILb0ES3_S5_N6thrust23THRUST_200600_302600_NS6detail15normal_iteratorINS8_7pointerIfNS8_11hip_rocprim5par_tENS8_11use_defaultESE_EEEENSA_INSB_IiSD_SE_SE_EEEEZNS1_13binary_searchIS3_S5_NSA_INS8_10device_ptrIfEEEESG_SI_NS1_16binary_search_opENS9_16wrapped_functionINS8_6system6detail7generic6detail18binary_search_lessEbEEEE10hipError_tPvRmT1_T2_T3_mmT4_T5_P12ihipStream_tbEUlRKfE_EESV_SZ_S10_mS11_S14_bEUlT_E_NS1_11comp_targetILNS1_3genE10ELNS1_11target_archE1201ELNS1_3gpuE5ELNS1_3repE0EEENS1_30default_config_static_selectorELNS0_4arch9wavefront6targetE0EEEvSY_.kd
    .uniform_work_group_size: 1
    .uses_dynamic_stack: false
    .vgpr_count:     0
    .vgpr_spill_count: 0
    .wavefront_size: 32
    .workgroup_processor_mode: 1
  - .args:
      - .offset:         0
        .size:           56
        .value_kind:     by_value
    .group_segment_fixed_size: 0
    .kernarg_segment_align: 8
    .kernarg_segment_size: 56
    .language:       OpenCL C
    .language_version:
      - 2
      - 0
    .max_flat_workgroup_size: 128
    .name:           _ZN7rocprim17ROCPRIM_400000_NS6detail17trampoline_kernelINS0_14default_configENS1_29binary_search_config_selectorIfiEEZNS1_14transform_implILb0ES3_S5_N6thrust23THRUST_200600_302600_NS6detail15normal_iteratorINS8_7pointerIfNS8_11hip_rocprim5par_tENS8_11use_defaultESE_EEEENSA_INSB_IiSD_SE_SE_EEEEZNS1_13binary_searchIS3_S5_NSA_INS8_10device_ptrIfEEEESG_SI_NS1_16binary_search_opENS9_16wrapped_functionINS8_6system6detail7generic6detail18binary_search_lessEbEEEE10hipError_tPvRmT1_T2_T3_mmT4_T5_P12ihipStream_tbEUlRKfE_EESV_SZ_S10_mS11_S14_bEUlT_E_NS1_11comp_targetILNS1_3genE10ELNS1_11target_archE1200ELNS1_3gpuE4ELNS1_3repE0EEENS1_30default_config_static_selectorELNS0_4arch9wavefront6targetE0EEEvSY_
    .private_segment_fixed_size: 0
    .sgpr_count:     0
    .sgpr_spill_count: 0
    .symbol:         _ZN7rocprim17ROCPRIM_400000_NS6detail17trampoline_kernelINS0_14default_configENS1_29binary_search_config_selectorIfiEEZNS1_14transform_implILb0ES3_S5_N6thrust23THRUST_200600_302600_NS6detail15normal_iteratorINS8_7pointerIfNS8_11hip_rocprim5par_tENS8_11use_defaultESE_EEEENSA_INSB_IiSD_SE_SE_EEEEZNS1_13binary_searchIS3_S5_NSA_INS8_10device_ptrIfEEEESG_SI_NS1_16binary_search_opENS9_16wrapped_functionINS8_6system6detail7generic6detail18binary_search_lessEbEEEE10hipError_tPvRmT1_T2_T3_mmT4_T5_P12ihipStream_tbEUlRKfE_EESV_SZ_S10_mS11_S14_bEUlT_E_NS1_11comp_targetILNS1_3genE10ELNS1_11target_archE1200ELNS1_3gpuE4ELNS1_3repE0EEENS1_30default_config_static_selectorELNS0_4arch9wavefront6targetE0EEEvSY_.kd
    .uniform_work_group_size: 1
    .uses_dynamic_stack: false
    .vgpr_count:     0
    .vgpr_spill_count: 0
    .wavefront_size: 32
    .workgroup_processor_mode: 1
  - .args:
      - .offset:         0
        .size:           56
        .value_kind:     by_value
    .group_segment_fixed_size: 0
    .kernarg_segment_align: 8
    .kernarg_segment_size: 56
    .language:       OpenCL C
    .language_version:
      - 2
      - 0
    .max_flat_workgroup_size: 256
    .name:           _ZN7rocprim17ROCPRIM_400000_NS6detail17trampoline_kernelINS0_14default_configENS1_29binary_search_config_selectorIfiEEZNS1_14transform_implILb0ES3_S5_N6thrust23THRUST_200600_302600_NS6detail15normal_iteratorINS8_7pointerIfNS8_11hip_rocprim5par_tENS8_11use_defaultESE_EEEENSA_INSB_IiSD_SE_SE_EEEEZNS1_13binary_searchIS3_S5_NSA_INS8_10device_ptrIfEEEESG_SI_NS1_16binary_search_opENS9_16wrapped_functionINS8_6system6detail7generic6detail18binary_search_lessEbEEEE10hipError_tPvRmT1_T2_T3_mmT4_T5_P12ihipStream_tbEUlRKfE_EESV_SZ_S10_mS11_S14_bEUlT_E_NS1_11comp_targetILNS1_3genE9ELNS1_11target_archE1100ELNS1_3gpuE3ELNS1_3repE0EEENS1_30default_config_static_selectorELNS0_4arch9wavefront6targetE0EEEvSY_
    .private_segment_fixed_size: 0
    .sgpr_count:     0
    .sgpr_spill_count: 0
    .symbol:         _ZN7rocprim17ROCPRIM_400000_NS6detail17trampoline_kernelINS0_14default_configENS1_29binary_search_config_selectorIfiEEZNS1_14transform_implILb0ES3_S5_N6thrust23THRUST_200600_302600_NS6detail15normal_iteratorINS8_7pointerIfNS8_11hip_rocprim5par_tENS8_11use_defaultESE_EEEENSA_INSB_IiSD_SE_SE_EEEEZNS1_13binary_searchIS3_S5_NSA_INS8_10device_ptrIfEEEESG_SI_NS1_16binary_search_opENS9_16wrapped_functionINS8_6system6detail7generic6detail18binary_search_lessEbEEEE10hipError_tPvRmT1_T2_T3_mmT4_T5_P12ihipStream_tbEUlRKfE_EESV_SZ_S10_mS11_S14_bEUlT_E_NS1_11comp_targetILNS1_3genE9ELNS1_11target_archE1100ELNS1_3gpuE3ELNS1_3repE0EEENS1_30default_config_static_selectorELNS0_4arch9wavefront6targetE0EEEvSY_.kd
    .uniform_work_group_size: 1
    .uses_dynamic_stack: false
    .vgpr_count:     0
    .vgpr_spill_count: 0
    .wavefront_size: 32
    .workgroup_processor_mode: 1
  - .args:
      - .offset:         0
        .size:           56
        .value_kind:     by_value
      - .offset:         56
        .size:           4
        .value_kind:     hidden_block_count_x
      - .offset:         60
        .size:           4
        .value_kind:     hidden_block_count_y
      - .offset:         64
        .size:           4
        .value_kind:     hidden_block_count_z
      - .offset:         68
        .size:           2
        .value_kind:     hidden_group_size_x
      - .offset:         70
        .size:           2
        .value_kind:     hidden_group_size_y
      - .offset:         72
        .size:           2
        .value_kind:     hidden_group_size_z
      - .offset:         74
        .size:           2
        .value_kind:     hidden_remainder_x
      - .offset:         76
        .size:           2
        .value_kind:     hidden_remainder_y
      - .offset:         78
        .size:           2
        .value_kind:     hidden_remainder_z
      - .offset:         96
        .size:           8
        .value_kind:     hidden_global_offset_x
      - .offset:         104
        .size:           8
        .value_kind:     hidden_global_offset_y
      - .offset:         112
        .size:           8
        .value_kind:     hidden_global_offset_z
      - .offset:         120
        .size:           2
        .value_kind:     hidden_grid_dims
    .group_segment_fixed_size: 0
    .kernarg_segment_align: 8
    .kernarg_segment_size: 312
    .language:       OpenCL C
    .language_version:
      - 2
      - 0
    .max_flat_workgroup_size: 256
    .name:           _ZN7rocprim17ROCPRIM_400000_NS6detail17trampoline_kernelINS0_14default_configENS1_29binary_search_config_selectorIfiEEZNS1_14transform_implILb0ES3_S5_N6thrust23THRUST_200600_302600_NS6detail15normal_iteratorINS8_7pointerIfNS8_11hip_rocprim5par_tENS8_11use_defaultESE_EEEENSA_INSB_IiSD_SE_SE_EEEEZNS1_13binary_searchIS3_S5_NSA_INS8_10device_ptrIfEEEESG_SI_NS1_16binary_search_opENS9_16wrapped_functionINS8_6system6detail7generic6detail18binary_search_lessEbEEEE10hipError_tPvRmT1_T2_T3_mmT4_T5_P12ihipStream_tbEUlRKfE_EESV_SZ_S10_mS11_S14_bEUlT_E_NS1_11comp_targetILNS1_3genE8ELNS1_11target_archE1030ELNS1_3gpuE2ELNS1_3repE0EEENS1_30default_config_static_selectorELNS0_4arch9wavefront6targetE0EEEvSY_
    .private_segment_fixed_size: 0
    .sgpr_count:     22
    .sgpr_spill_count: 0
    .symbol:         _ZN7rocprim17ROCPRIM_400000_NS6detail17trampoline_kernelINS0_14default_configENS1_29binary_search_config_selectorIfiEEZNS1_14transform_implILb0ES3_S5_N6thrust23THRUST_200600_302600_NS6detail15normal_iteratorINS8_7pointerIfNS8_11hip_rocprim5par_tENS8_11use_defaultESE_EEEENSA_INSB_IiSD_SE_SE_EEEEZNS1_13binary_searchIS3_S5_NSA_INS8_10device_ptrIfEEEESG_SI_NS1_16binary_search_opENS9_16wrapped_functionINS8_6system6detail7generic6detail18binary_search_lessEbEEEE10hipError_tPvRmT1_T2_T3_mmT4_T5_P12ihipStream_tbEUlRKfE_EESV_SZ_S10_mS11_S14_bEUlT_E_NS1_11comp_targetILNS1_3genE8ELNS1_11target_archE1030ELNS1_3gpuE2ELNS1_3repE0EEENS1_30default_config_static_selectorELNS0_4arch9wavefront6targetE0EEEvSY_.kd
    .uniform_work_group_size: 1
    .uses_dynamic_stack: false
    .vgpr_count:     12
    .vgpr_spill_count: 0
    .wavefront_size: 32
    .workgroup_processor_mode: 1
  - .args:
      - .offset:         0
        .size:           56
        .value_kind:     by_value
    .group_segment_fixed_size: 0
    .kernarg_segment_align: 8
    .kernarg_segment_size: 56
    .language:       OpenCL C
    .language_version:
      - 2
      - 0
    .max_flat_workgroup_size: 256
    .name:           _ZN7rocprim17ROCPRIM_400000_NS6detail17trampoline_kernelINS0_14default_configENS1_29binary_search_config_selectorIyiEEZNS1_14transform_implILb0ES3_S5_N6thrust23THRUST_200600_302600_NS6detail15normal_iteratorINS8_7pointerIyNS8_11hip_rocprim5par_tENS8_11use_defaultESE_EEEENSA_INSB_IiSD_SE_SE_EEEEZNS1_13binary_searchIS3_S5_NSA_INS8_10device_ptrIyEEEESG_SI_NS1_16binary_search_opENS9_16wrapped_functionINS8_6system6detail7generic6detail18binary_search_lessEbEEEE10hipError_tPvRmT1_T2_T3_mmT4_T5_P12ihipStream_tbEUlRKyE_EESV_SZ_S10_mS11_S14_bEUlT_E_NS1_11comp_targetILNS1_3genE0ELNS1_11target_archE4294967295ELNS1_3gpuE0ELNS1_3repE0EEENS1_30default_config_static_selectorELNS0_4arch9wavefront6targetE0EEEvSY_
    .private_segment_fixed_size: 0
    .sgpr_count:     0
    .sgpr_spill_count: 0
    .symbol:         _ZN7rocprim17ROCPRIM_400000_NS6detail17trampoline_kernelINS0_14default_configENS1_29binary_search_config_selectorIyiEEZNS1_14transform_implILb0ES3_S5_N6thrust23THRUST_200600_302600_NS6detail15normal_iteratorINS8_7pointerIyNS8_11hip_rocprim5par_tENS8_11use_defaultESE_EEEENSA_INSB_IiSD_SE_SE_EEEEZNS1_13binary_searchIS3_S5_NSA_INS8_10device_ptrIyEEEESG_SI_NS1_16binary_search_opENS9_16wrapped_functionINS8_6system6detail7generic6detail18binary_search_lessEbEEEE10hipError_tPvRmT1_T2_T3_mmT4_T5_P12ihipStream_tbEUlRKyE_EESV_SZ_S10_mS11_S14_bEUlT_E_NS1_11comp_targetILNS1_3genE0ELNS1_11target_archE4294967295ELNS1_3gpuE0ELNS1_3repE0EEENS1_30default_config_static_selectorELNS0_4arch9wavefront6targetE0EEEvSY_.kd
    .uniform_work_group_size: 1
    .uses_dynamic_stack: false
    .vgpr_count:     0
    .vgpr_spill_count: 0
    .wavefront_size: 32
    .workgroup_processor_mode: 1
  - .args:
      - .offset:         0
        .size:           56
        .value_kind:     by_value
    .group_segment_fixed_size: 0
    .kernarg_segment_align: 8
    .kernarg_segment_size: 56
    .language:       OpenCL C
    .language_version:
      - 2
      - 0
    .max_flat_workgroup_size: 64
    .name:           _ZN7rocprim17ROCPRIM_400000_NS6detail17trampoline_kernelINS0_14default_configENS1_29binary_search_config_selectorIyiEEZNS1_14transform_implILb0ES3_S5_N6thrust23THRUST_200600_302600_NS6detail15normal_iteratorINS8_7pointerIyNS8_11hip_rocprim5par_tENS8_11use_defaultESE_EEEENSA_INSB_IiSD_SE_SE_EEEEZNS1_13binary_searchIS3_S5_NSA_INS8_10device_ptrIyEEEESG_SI_NS1_16binary_search_opENS9_16wrapped_functionINS8_6system6detail7generic6detail18binary_search_lessEbEEEE10hipError_tPvRmT1_T2_T3_mmT4_T5_P12ihipStream_tbEUlRKyE_EESV_SZ_S10_mS11_S14_bEUlT_E_NS1_11comp_targetILNS1_3genE5ELNS1_11target_archE942ELNS1_3gpuE9ELNS1_3repE0EEENS1_30default_config_static_selectorELNS0_4arch9wavefront6targetE0EEEvSY_
    .private_segment_fixed_size: 0
    .sgpr_count:     0
    .sgpr_spill_count: 0
    .symbol:         _ZN7rocprim17ROCPRIM_400000_NS6detail17trampoline_kernelINS0_14default_configENS1_29binary_search_config_selectorIyiEEZNS1_14transform_implILb0ES3_S5_N6thrust23THRUST_200600_302600_NS6detail15normal_iteratorINS8_7pointerIyNS8_11hip_rocprim5par_tENS8_11use_defaultESE_EEEENSA_INSB_IiSD_SE_SE_EEEEZNS1_13binary_searchIS3_S5_NSA_INS8_10device_ptrIyEEEESG_SI_NS1_16binary_search_opENS9_16wrapped_functionINS8_6system6detail7generic6detail18binary_search_lessEbEEEE10hipError_tPvRmT1_T2_T3_mmT4_T5_P12ihipStream_tbEUlRKyE_EESV_SZ_S10_mS11_S14_bEUlT_E_NS1_11comp_targetILNS1_3genE5ELNS1_11target_archE942ELNS1_3gpuE9ELNS1_3repE0EEENS1_30default_config_static_selectorELNS0_4arch9wavefront6targetE0EEEvSY_.kd
    .uniform_work_group_size: 1
    .uses_dynamic_stack: false
    .vgpr_count:     0
    .vgpr_spill_count: 0
    .wavefront_size: 32
    .workgroup_processor_mode: 1
  - .args:
      - .offset:         0
        .size:           56
        .value_kind:     by_value
    .group_segment_fixed_size: 0
    .kernarg_segment_align: 8
    .kernarg_segment_size: 56
    .language:       OpenCL C
    .language_version:
      - 2
      - 0
    .max_flat_workgroup_size: 64
    .name:           _ZN7rocprim17ROCPRIM_400000_NS6detail17trampoline_kernelINS0_14default_configENS1_29binary_search_config_selectorIyiEEZNS1_14transform_implILb0ES3_S5_N6thrust23THRUST_200600_302600_NS6detail15normal_iteratorINS8_7pointerIyNS8_11hip_rocprim5par_tENS8_11use_defaultESE_EEEENSA_INSB_IiSD_SE_SE_EEEEZNS1_13binary_searchIS3_S5_NSA_INS8_10device_ptrIyEEEESG_SI_NS1_16binary_search_opENS9_16wrapped_functionINS8_6system6detail7generic6detail18binary_search_lessEbEEEE10hipError_tPvRmT1_T2_T3_mmT4_T5_P12ihipStream_tbEUlRKyE_EESV_SZ_S10_mS11_S14_bEUlT_E_NS1_11comp_targetILNS1_3genE4ELNS1_11target_archE910ELNS1_3gpuE8ELNS1_3repE0EEENS1_30default_config_static_selectorELNS0_4arch9wavefront6targetE0EEEvSY_
    .private_segment_fixed_size: 0
    .sgpr_count:     0
    .sgpr_spill_count: 0
    .symbol:         _ZN7rocprim17ROCPRIM_400000_NS6detail17trampoline_kernelINS0_14default_configENS1_29binary_search_config_selectorIyiEEZNS1_14transform_implILb0ES3_S5_N6thrust23THRUST_200600_302600_NS6detail15normal_iteratorINS8_7pointerIyNS8_11hip_rocprim5par_tENS8_11use_defaultESE_EEEENSA_INSB_IiSD_SE_SE_EEEEZNS1_13binary_searchIS3_S5_NSA_INS8_10device_ptrIyEEEESG_SI_NS1_16binary_search_opENS9_16wrapped_functionINS8_6system6detail7generic6detail18binary_search_lessEbEEEE10hipError_tPvRmT1_T2_T3_mmT4_T5_P12ihipStream_tbEUlRKyE_EESV_SZ_S10_mS11_S14_bEUlT_E_NS1_11comp_targetILNS1_3genE4ELNS1_11target_archE910ELNS1_3gpuE8ELNS1_3repE0EEENS1_30default_config_static_selectorELNS0_4arch9wavefront6targetE0EEEvSY_.kd
    .uniform_work_group_size: 1
    .uses_dynamic_stack: false
    .vgpr_count:     0
    .vgpr_spill_count: 0
    .wavefront_size: 32
    .workgroup_processor_mode: 1
  - .args:
      - .offset:         0
        .size:           56
        .value_kind:     by_value
    .group_segment_fixed_size: 0
    .kernarg_segment_align: 8
    .kernarg_segment_size: 56
    .language:       OpenCL C
    .language_version:
      - 2
      - 0
    .max_flat_workgroup_size: 256
    .name:           _ZN7rocprim17ROCPRIM_400000_NS6detail17trampoline_kernelINS0_14default_configENS1_29binary_search_config_selectorIyiEEZNS1_14transform_implILb0ES3_S5_N6thrust23THRUST_200600_302600_NS6detail15normal_iteratorINS8_7pointerIyNS8_11hip_rocprim5par_tENS8_11use_defaultESE_EEEENSA_INSB_IiSD_SE_SE_EEEEZNS1_13binary_searchIS3_S5_NSA_INS8_10device_ptrIyEEEESG_SI_NS1_16binary_search_opENS9_16wrapped_functionINS8_6system6detail7generic6detail18binary_search_lessEbEEEE10hipError_tPvRmT1_T2_T3_mmT4_T5_P12ihipStream_tbEUlRKyE_EESV_SZ_S10_mS11_S14_bEUlT_E_NS1_11comp_targetILNS1_3genE3ELNS1_11target_archE908ELNS1_3gpuE7ELNS1_3repE0EEENS1_30default_config_static_selectorELNS0_4arch9wavefront6targetE0EEEvSY_
    .private_segment_fixed_size: 0
    .sgpr_count:     0
    .sgpr_spill_count: 0
    .symbol:         _ZN7rocprim17ROCPRIM_400000_NS6detail17trampoline_kernelINS0_14default_configENS1_29binary_search_config_selectorIyiEEZNS1_14transform_implILb0ES3_S5_N6thrust23THRUST_200600_302600_NS6detail15normal_iteratorINS8_7pointerIyNS8_11hip_rocprim5par_tENS8_11use_defaultESE_EEEENSA_INSB_IiSD_SE_SE_EEEEZNS1_13binary_searchIS3_S5_NSA_INS8_10device_ptrIyEEEESG_SI_NS1_16binary_search_opENS9_16wrapped_functionINS8_6system6detail7generic6detail18binary_search_lessEbEEEE10hipError_tPvRmT1_T2_T3_mmT4_T5_P12ihipStream_tbEUlRKyE_EESV_SZ_S10_mS11_S14_bEUlT_E_NS1_11comp_targetILNS1_3genE3ELNS1_11target_archE908ELNS1_3gpuE7ELNS1_3repE0EEENS1_30default_config_static_selectorELNS0_4arch9wavefront6targetE0EEEvSY_.kd
    .uniform_work_group_size: 1
    .uses_dynamic_stack: false
    .vgpr_count:     0
    .vgpr_spill_count: 0
    .wavefront_size: 32
    .workgroup_processor_mode: 1
  - .args:
      - .offset:         0
        .size:           56
        .value_kind:     by_value
    .group_segment_fixed_size: 0
    .kernarg_segment_align: 8
    .kernarg_segment_size: 56
    .language:       OpenCL C
    .language_version:
      - 2
      - 0
    .max_flat_workgroup_size: 256
    .name:           _ZN7rocprim17ROCPRIM_400000_NS6detail17trampoline_kernelINS0_14default_configENS1_29binary_search_config_selectorIyiEEZNS1_14transform_implILb0ES3_S5_N6thrust23THRUST_200600_302600_NS6detail15normal_iteratorINS8_7pointerIyNS8_11hip_rocprim5par_tENS8_11use_defaultESE_EEEENSA_INSB_IiSD_SE_SE_EEEEZNS1_13binary_searchIS3_S5_NSA_INS8_10device_ptrIyEEEESG_SI_NS1_16binary_search_opENS9_16wrapped_functionINS8_6system6detail7generic6detail18binary_search_lessEbEEEE10hipError_tPvRmT1_T2_T3_mmT4_T5_P12ihipStream_tbEUlRKyE_EESV_SZ_S10_mS11_S14_bEUlT_E_NS1_11comp_targetILNS1_3genE2ELNS1_11target_archE906ELNS1_3gpuE6ELNS1_3repE0EEENS1_30default_config_static_selectorELNS0_4arch9wavefront6targetE0EEEvSY_
    .private_segment_fixed_size: 0
    .sgpr_count:     0
    .sgpr_spill_count: 0
    .symbol:         _ZN7rocprim17ROCPRIM_400000_NS6detail17trampoline_kernelINS0_14default_configENS1_29binary_search_config_selectorIyiEEZNS1_14transform_implILb0ES3_S5_N6thrust23THRUST_200600_302600_NS6detail15normal_iteratorINS8_7pointerIyNS8_11hip_rocprim5par_tENS8_11use_defaultESE_EEEENSA_INSB_IiSD_SE_SE_EEEEZNS1_13binary_searchIS3_S5_NSA_INS8_10device_ptrIyEEEESG_SI_NS1_16binary_search_opENS9_16wrapped_functionINS8_6system6detail7generic6detail18binary_search_lessEbEEEE10hipError_tPvRmT1_T2_T3_mmT4_T5_P12ihipStream_tbEUlRKyE_EESV_SZ_S10_mS11_S14_bEUlT_E_NS1_11comp_targetILNS1_3genE2ELNS1_11target_archE906ELNS1_3gpuE6ELNS1_3repE0EEENS1_30default_config_static_selectorELNS0_4arch9wavefront6targetE0EEEvSY_.kd
    .uniform_work_group_size: 1
    .uses_dynamic_stack: false
    .vgpr_count:     0
    .vgpr_spill_count: 0
    .wavefront_size: 32
    .workgroup_processor_mode: 1
  - .args:
      - .offset:         0
        .size:           56
        .value_kind:     by_value
    .group_segment_fixed_size: 0
    .kernarg_segment_align: 8
    .kernarg_segment_size: 56
    .language:       OpenCL C
    .language_version:
      - 2
      - 0
    .max_flat_workgroup_size: 128
    .name:           _ZN7rocprim17ROCPRIM_400000_NS6detail17trampoline_kernelINS0_14default_configENS1_29binary_search_config_selectorIyiEEZNS1_14transform_implILb0ES3_S5_N6thrust23THRUST_200600_302600_NS6detail15normal_iteratorINS8_7pointerIyNS8_11hip_rocprim5par_tENS8_11use_defaultESE_EEEENSA_INSB_IiSD_SE_SE_EEEEZNS1_13binary_searchIS3_S5_NSA_INS8_10device_ptrIyEEEESG_SI_NS1_16binary_search_opENS9_16wrapped_functionINS8_6system6detail7generic6detail18binary_search_lessEbEEEE10hipError_tPvRmT1_T2_T3_mmT4_T5_P12ihipStream_tbEUlRKyE_EESV_SZ_S10_mS11_S14_bEUlT_E_NS1_11comp_targetILNS1_3genE10ELNS1_11target_archE1201ELNS1_3gpuE5ELNS1_3repE0EEENS1_30default_config_static_selectorELNS0_4arch9wavefront6targetE0EEEvSY_
    .private_segment_fixed_size: 0
    .sgpr_count:     0
    .sgpr_spill_count: 0
    .symbol:         _ZN7rocprim17ROCPRIM_400000_NS6detail17trampoline_kernelINS0_14default_configENS1_29binary_search_config_selectorIyiEEZNS1_14transform_implILb0ES3_S5_N6thrust23THRUST_200600_302600_NS6detail15normal_iteratorINS8_7pointerIyNS8_11hip_rocprim5par_tENS8_11use_defaultESE_EEEENSA_INSB_IiSD_SE_SE_EEEEZNS1_13binary_searchIS3_S5_NSA_INS8_10device_ptrIyEEEESG_SI_NS1_16binary_search_opENS9_16wrapped_functionINS8_6system6detail7generic6detail18binary_search_lessEbEEEE10hipError_tPvRmT1_T2_T3_mmT4_T5_P12ihipStream_tbEUlRKyE_EESV_SZ_S10_mS11_S14_bEUlT_E_NS1_11comp_targetILNS1_3genE10ELNS1_11target_archE1201ELNS1_3gpuE5ELNS1_3repE0EEENS1_30default_config_static_selectorELNS0_4arch9wavefront6targetE0EEEvSY_.kd
    .uniform_work_group_size: 1
    .uses_dynamic_stack: false
    .vgpr_count:     0
    .vgpr_spill_count: 0
    .wavefront_size: 32
    .workgroup_processor_mode: 1
  - .args:
      - .offset:         0
        .size:           56
        .value_kind:     by_value
    .group_segment_fixed_size: 0
    .kernarg_segment_align: 8
    .kernarg_segment_size: 56
    .language:       OpenCL C
    .language_version:
      - 2
      - 0
    .max_flat_workgroup_size: 128
    .name:           _ZN7rocprim17ROCPRIM_400000_NS6detail17trampoline_kernelINS0_14default_configENS1_29binary_search_config_selectorIyiEEZNS1_14transform_implILb0ES3_S5_N6thrust23THRUST_200600_302600_NS6detail15normal_iteratorINS8_7pointerIyNS8_11hip_rocprim5par_tENS8_11use_defaultESE_EEEENSA_INSB_IiSD_SE_SE_EEEEZNS1_13binary_searchIS3_S5_NSA_INS8_10device_ptrIyEEEESG_SI_NS1_16binary_search_opENS9_16wrapped_functionINS8_6system6detail7generic6detail18binary_search_lessEbEEEE10hipError_tPvRmT1_T2_T3_mmT4_T5_P12ihipStream_tbEUlRKyE_EESV_SZ_S10_mS11_S14_bEUlT_E_NS1_11comp_targetILNS1_3genE10ELNS1_11target_archE1200ELNS1_3gpuE4ELNS1_3repE0EEENS1_30default_config_static_selectorELNS0_4arch9wavefront6targetE0EEEvSY_
    .private_segment_fixed_size: 0
    .sgpr_count:     0
    .sgpr_spill_count: 0
    .symbol:         _ZN7rocprim17ROCPRIM_400000_NS6detail17trampoline_kernelINS0_14default_configENS1_29binary_search_config_selectorIyiEEZNS1_14transform_implILb0ES3_S5_N6thrust23THRUST_200600_302600_NS6detail15normal_iteratorINS8_7pointerIyNS8_11hip_rocprim5par_tENS8_11use_defaultESE_EEEENSA_INSB_IiSD_SE_SE_EEEEZNS1_13binary_searchIS3_S5_NSA_INS8_10device_ptrIyEEEESG_SI_NS1_16binary_search_opENS9_16wrapped_functionINS8_6system6detail7generic6detail18binary_search_lessEbEEEE10hipError_tPvRmT1_T2_T3_mmT4_T5_P12ihipStream_tbEUlRKyE_EESV_SZ_S10_mS11_S14_bEUlT_E_NS1_11comp_targetILNS1_3genE10ELNS1_11target_archE1200ELNS1_3gpuE4ELNS1_3repE0EEENS1_30default_config_static_selectorELNS0_4arch9wavefront6targetE0EEEvSY_.kd
    .uniform_work_group_size: 1
    .uses_dynamic_stack: false
    .vgpr_count:     0
    .vgpr_spill_count: 0
    .wavefront_size: 32
    .workgroup_processor_mode: 1
  - .args:
      - .offset:         0
        .size:           56
        .value_kind:     by_value
    .group_segment_fixed_size: 0
    .kernarg_segment_align: 8
    .kernarg_segment_size: 56
    .language:       OpenCL C
    .language_version:
      - 2
      - 0
    .max_flat_workgroup_size: 256
    .name:           _ZN7rocprim17ROCPRIM_400000_NS6detail17trampoline_kernelINS0_14default_configENS1_29binary_search_config_selectorIyiEEZNS1_14transform_implILb0ES3_S5_N6thrust23THRUST_200600_302600_NS6detail15normal_iteratorINS8_7pointerIyNS8_11hip_rocprim5par_tENS8_11use_defaultESE_EEEENSA_INSB_IiSD_SE_SE_EEEEZNS1_13binary_searchIS3_S5_NSA_INS8_10device_ptrIyEEEESG_SI_NS1_16binary_search_opENS9_16wrapped_functionINS8_6system6detail7generic6detail18binary_search_lessEbEEEE10hipError_tPvRmT1_T2_T3_mmT4_T5_P12ihipStream_tbEUlRKyE_EESV_SZ_S10_mS11_S14_bEUlT_E_NS1_11comp_targetILNS1_3genE9ELNS1_11target_archE1100ELNS1_3gpuE3ELNS1_3repE0EEENS1_30default_config_static_selectorELNS0_4arch9wavefront6targetE0EEEvSY_
    .private_segment_fixed_size: 0
    .sgpr_count:     0
    .sgpr_spill_count: 0
    .symbol:         _ZN7rocprim17ROCPRIM_400000_NS6detail17trampoline_kernelINS0_14default_configENS1_29binary_search_config_selectorIyiEEZNS1_14transform_implILb0ES3_S5_N6thrust23THRUST_200600_302600_NS6detail15normal_iteratorINS8_7pointerIyNS8_11hip_rocprim5par_tENS8_11use_defaultESE_EEEENSA_INSB_IiSD_SE_SE_EEEEZNS1_13binary_searchIS3_S5_NSA_INS8_10device_ptrIyEEEESG_SI_NS1_16binary_search_opENS9_16wrapped_functionINS8_6system6detail7generic6detail18binary_search_lessEbEEEE10hipError_tPvRmT1_T2_T3_mmT4_T5_P12ihipStream_tbEUlRKyE_EESV_SZ_S10_mS11_S14_bEUlT_E_NS1_11comp_targetILNS1_3genE9ELNS1_11target_archE1100ELNS1_3gpuE3ELNS1_3repE0EEENS1_30default_config_static_selectorELNS0_4arch9wavefront6targetE0EEEvSY_.kd
    .uniform_work_group_size: 1
    .uses_dynamic_stack: false
    .vgpr_count:     0
    .vgpr_spill_count: 0
    .wavefront_size: 32
    .workgroup_processor_mode: 1
  - .args:
      - .offset:         0
        .size:           56
        .value_kind:     by_value
      - .offset:         56
        .size:           4
        .value_kind:     hidden_block_count_x
      - .offset:         60
        .size:           4
        .value_kind:     hidden_block_count_y
      - .offset:         64
        .size:           4
        .value_kind:     hidden_block_count_z
      - .offset:         68
        .size:           2
        .value_kind:     hidden_group_size_x
      - .offset:         70
        .size:           2
        .value_kind:     hidden_group_size_y
      - .offset:         72
        .size:           2
        .value_kind:     hidden_group_size_z
      - .offset:         74
        .size:           2
        .value_kind:     hidden_remainder_x
      - .offset:         76
        .size:           2
        .value_kind:     hidden_remainder_y
      - .offset:         78
        .size:           2
        .value_kind:     hidden_remainder_z
      - .offset:         96
        .size:           8
        .value_kind:     hidden_global_offset_x
      - .offset:         104
        .size:           8
        .value_kind:     hidden_global_offset_y
      - .offset:         112
        .size:           8
        .value_kind:     hidden_global_offset_z
      - .offset:         120
        .size:           2
        .value_kind:     hidden_grid_dims
    .group_segment_fixed_size: 0
    .kernarg_segment_align: 8
    .kernarg_segment_size: 312
    .language:       OpenCL C
    .language_version:
      - 2
      - 0
    .max_flat_workgroup_size: 256
    .name:           _ZN7rocprim17ROCPRIM_400000_NS6detail17trampoline_kernelINS0_14default_configENS1_29binary_search_config_selectorIyiEEZNS1_14transform_implILb0ES3_S5_N6thrust23THRUST_200600_302600_NS6detail15normal_iteratorINS8_7pointerIyNS8_11hip_rocprim5par_tENS8_11use_defaultESE_EEEENSA_INSB_IiSD_SE_SE_EEEEZNS1_13binary_searchIS3_S5_NSA_INS8_10device_ptrIyEEEESG_SI_NS1_16binary_search_opENS9_16wrapped_functionINS8_6system6detail7generic6detail18binary_search_lessEbEEEE10hipError_tPvRmT1_T2_T3_mmT4_T5_P12ihipStream_tbEUlRKyE_EESV_SZ_S10_mS11_S14_bEUlT_E_NS1_11comp_targetILNS1_3genE8ELNS1_11target_archE1030ELNS1_3gpuE2ELNS1_3repE0EEENS1_30default_config_static_selectorELNS0_4arch9wavefront6targetE0EEEvSY_
    .private_segment_fixed_size: 0
    .sgpr_count:     22
    .sgpr_spill_count: 0
    .symbol:         _ZN7rocprim17ROCPRIM_400000_NS6detail17trampoline_kernelINS0_14default_configENS1_29binary_search_config_selectorIyiEEZNS1_14transform_implILb0ES3_S5_N6thrust23THRUST_200600_302600_NS6detail15normal_iteratorINS8_7pointerIyNS8_11hip_rocprim5par_tENS8_11use_defaultESE_EEEENSA_INSB_IiSD_SE_SE_EEEEZNS1_13binary_searchIS3_S5_NSA_INS8_10device_ptrIyEEEESG_SI_NS1_16binary_search_opENS9_16wrapped_functionINS8_6system6detail7generic6detail18binary_search_lessEbEEEE10hipError_tPvRmT1_T2_T3_mmT4_T5_P12ihipStream_tbEUlRKyE_EESV_SZ_S10_mS11_S14_bEUlT_E_NS1_11comp_targetILNS1_3genE8ELNS1_11target_archE1030ELNS1_3gpuE2ELNS1_3repE0EEENS1_30default_config_static_selectorELNS0_4arch9wavefront6targetE0EEEvSY_.kd
    .uniform_work_group_size: 1
    .uses_dynamic_stack: false
    .vgpr_count:     13
    .vgpr_spill_count: 0
    .wavefront_size: 32
    .workgroup_processor_mode: 1
  - .args:
      - .offset:         0
        .size:           56
        .value_kind:     by_value
    .group_segment_fixed_size: 0
    .kernarg_segment_align: 8
    .kernarg_segment_size: 56
    .language:       OpenCL C
    .language_version:
      - 2
      - 0
    .max_flat_workgroup_size: 256
    .name:           _ZN7rocprim17ROCPRIM_400000_NS6detail17trampoline_kernelINS0_14default_configENS1_29binary_search_config_selectorIjiEEZNS1_14transform_implILb0ES3_S5_N6thrust23THRUST_200600_302600_NS6detail15normal_iteratorINS8_7pointerIjNS8_11hip_rocprim5par_tENS8_11use_defaultESE_EEEENSA_INSB_IiSD_SE_SE_EEEEZNS1_13binary_searchIS3_S5_NSA_INS8_10device_ptrIjEEEESG_SI_NS1_16binary_search_opENS9_16wrapped_functionINS8_6system6detail7generic6detail18binary_search_lessEbEEEE10hipError_tPvRmT1_T2_T3_mmT4_T5_P12ihipStream_tbEUlRKjE_EESV_SZ_S10_mS11_S14_bEUlT_E_NS1_11comp_targetILNS1_3genE0ELNS1_11target_archE4294967295ELNS1_3gpuE0ELNS1_3repE0EEENS1_30default_config_static_selectorELNS0_4arch9wavefront6targetE0EEEvSY_
    .private_segment_fixed_size: 0
    .sgpr_count:     0
    .sgpr_spill_count: 0
    .symbol:         _ZN7rocprim17ROCPRIM_400000_NS6detail17trampoline_kernelINS0_14default_configENS1_29binary_search_config_selectorIjiEEZNS1_14transform_implILb0ES3_S5_N6thrust23THRUST_200600_302600_NS6detail15normal_iteratorINS8_7pointerIjNS8_11hip_rocprim5par_tENS8_11use_defaultESE_EEEENSA_INSB_IiSD_SE_SE_EEEEZNS1_13binary_searchIS3_S5_NSA_INS8_10device_ptrIjEEEESG_SI_NS1_16binary_search_opENS9_16wrapped_functionINS8_6system6detail7generic6detail18binary_search_lessEbEEEE10hipError_tPvRmT1_T2_T3_mmT4_T5_P12ihipStream_tbEUlRKjE_EESV_SZ_S10_mS11_S14_bEUlT_E_NS1_11comp_targetILNS1_3genE0ELNS1_11target_archE4294967295ELNS1_3gpuE0ELNS1_3repE0EEENS1_30default_config_static_selectorELNS0_4arch9wavefront6targetE0EEEvSY_.kd
    .uniform_work_group_size: 1
    .uses_dynamic_stack: false
    .vgpr_count:     0
    .vgpr_spill_count: 0
    .wavefront_size: 32
    .workgroup_processor_mode: 1
  - .args:
      - .offset:         0
        .size:           56
        .value_kind:     by_value
    .group_segment_fixed_size: 0
    .kernarg_segment_align: 8
    .kernarg_segment_size: 56
    .language:       OpenCL C
    .language_version:
      - 2
      - 0
    .max_flat_workgroup_size: 256
    .name:           _ZN7rocprim17ROCPRIM_400000_NS6detail17trampoline_kernelINS0_14default_configENS1_29binary_search_config_selectorIjiEEZNS1_14transform_implILb0ES3_S5_N6thrust23THRUST_200600_302600_NS6detail15normal_iteratorINS8_7pointerIjNS8_11hip_rocprim5par_tENS8_11use_defaultESE_EEEENSA_INSB_IiSD_SE_SE_EEEEZNS1_13binary_searchIS3_S5_NSA_INS8_10device_ptrIjEEEESG_SI_NS1_16binary_search_opENS9_16wrapped_functionINS8_6system6detail7generic6detail18binary_search_lessEbEEEE10hipError_tPvRmT1_T2_T3_mmT4_T5_P12ihipStream_tbEUlRKjE_EESV_SZ_S10_mS11_S14_bEUlT_E_NS1_11comp_targetILNS1_3genE5ELNS1_11target_archE942ELNS1_3gpuE9ELNS1_3repE0EEENS1_30default_config_static_selectorELNS0_4arch9wavefront6targetE0EEEvSY_
    .private_segment_fixed_size: 0
    .sgpr_count:     0
    .sgpr_spill_count: 0
    .symbol:         _ZN7rocprim17ROCPRIM_400000_NS6detail17trampoline_kernelINS0_14default_configENS1_29binary_search_config_selectorIjiEEZNS1_14transform_implILb0ES3_S5_N6thrust23THRUST_200600_302600_NS6detail15normal_iteratorINS8_7pointerIjNS8_11hip_rocprim5par_tENS8_11use_defaultESE_EEEENSA_INSB_IiSD_SE_SE_EEEEZNS1_13binary_searchIS3_S5_NSA_INS8_10device_ptrIjEEEESG_SI_NS1_16binary_search_opENS9_16wrapped_functionINS8_6system6detail7generic6detail18binary_search_lessEbEEEE10hipError_tPvRmT1_T2_T3_mmT4_T5_P12ihipStream_tbEUlRKjE_EESV_SZ_S10_mS11_S14_bEUlT_E_NS1_11comp_targetILNS1_3genE5ELNS1_11target_archE942ELNS1_3gpuE9ELNS1_3repE0EEENS1_30default_config_static_selectorELNS0_4arch9wavefront6targetE0EEEvSY_.kd
    .uniform_work_group_size: 1
    .uses_dynamic_stack: false
    .vgpr_count:     0
    .vgpr_spill_count: 0
    .wavefront_size: 32
    .workgroup_processor_mode: 1
  - .args:
      - .offset:         0
        .size:           56
        .value_kind:     by_value
    .group_segment_fixed_size: 0
    .kernarg_segment_align: 8
    .kernarg_segment_size: 56
    .language:       OpenCL C
    .language_version:
      - 2
      - 0
    .max_flat_workgroup_size: 256
    .name:           _ZN7rocprim17ROCPRIM_400000_NS6detail17trampoline_kernelINS0_14default_configENS1_29binary_search_config_selectorIjiEEZNS1_14transform_implILb0ES3_S5_N6thrust23THRUST_200600_302600_NS6detail15normal_iteratorINS8_7pointerIjNS8_11hip_rocprim5par_tENS8_11use_defaultESE_EEEENSA_INSB_IiSD_SE_SE_EEEEZNS1_13binary_searchIS3_S5_NSA_INS8_10device_ptrIjEEEESG_SI_NS1_16binary_search_opENS9_16wrapped_functionINS8_6system6detail7generic6detail18binary_search_lessEbEEEE10hipError_tPvRmT1_T2_T3_mmT4_T5_P12ihipStream_tbEUlRKjE_EESV_SZ_S10_mS11_S14_bEUlT_E_NS1_11comp_targetILNS1_3genE4ELNS1_11target_archE910ELNS1_3gpuE8ELNS1_3repE0EEENS1_30default_config_static_selectorELNS0_4arch9wavefront6targetE0EEEvSY_
    .private_segment_fixed_size: 0
    .sgpr_count:     0
    .sgpr_spill_count: 0
    .symbol:         _ZN7rocprim17ROCPRIM_400000_NS6detail17trampoline_kernelINS0_14default_configENS1_29binary_search_config_selectorIjiEEZNS1_14transform_implILb0ES3_S5_N6thrust23THRUST_200600_302600_NS6detail15normal_iteratorINS8_7pointerIjNS8_11hip_rocprim5par_tENS8_11use_defaultESE_EEEENSA_INSB_IiSD_SE_SE_EEEEZNS1_13binary_searchIS3_S5_NSA_INS8_10device_ptrIjEEEESG_SI_NS1_16binary_search_opENS9_16wrapped_functionINS8_6system6detail7generic6detail18binary_search_lessEbEEEE10hipError_tPvRmT1_T2_T3_mmT4_T5_P12ihipStream_tbEUlRKjE_EESV_SZ_S10_mS11_S14_bEUlT_E_NS1_11comp_targetILNS1_3genE4ELNS1_11target_archE910ELNS1_3gpuE8ELNS1_3repE0EEENS1_30default_config_static_selectorELNS0_4arch9wavefront6targetE0EEEvSY_.kd
    .uniform_work_group_size: 1
    .uses_dynamic_stack: false
    .vgpr_count:     0
    .vgpr_spill_count: 0
    .wavefront_size: 32
    .workgroup_processor_mode: 1
  - .args:
      - .offset:         0
        .size:           56
        .value_kind:     by_value
    .group_segment_fixed_size: 0
    .kernarg_segment_align: 8
    .kernarg_segment_size: 56
    .language:       OpenCL C
    .language_version:
      - 2
      - 0
    .max_flat_workgroup_size: 256
    .name:           _ZN7rocprim17ROCPRIM_400000_NS6detail17trampoline_kernelINS0_14default_configENS1_29binary_search_config_selectorIjiEEZNS1_14transform_implILb0ES3_S5_N6thrust23THRUST_200600_302600_NS6detail15normal_iteratorINS8_7pointerIjNS8_11hip_rocprim5par_tENS8_11use_defaultESE_EEEENSA_INSB_IiSD_SE_SE_EEEEZNS1_13binary_searchIS3_S5_NSA_INS8_10device_ptrIjEEEESG_SI_NS1_16binary_search_opENS9_16wrapped_functionINS8_6system6detail7generic6detail18binary_search_lessEbEEEE10hipError_tPvRmT1_T2_T3_mmT4_T5_P12ihipStream_tbEUlRKjE_EESV_SZ_S10_mS11_S14_bEUlT_E_NS1_11comp_targetILNS1_3genE3ELNS1_11target_archE908ELNS1_3gpuE7ELNS1_3repE0EEENS1_30default_config_static_selectorELNS0_4arch9wavefront6targetE0EEEvSY_
    .private_segment_fixed_size: 0
    .sgpr_count:     0
    .sgpr_spill_count: 0
    .symbol:         _ZN7rocprim17ROCPRIM_400000_NS6detail17trampoline_kernelINS0_14default_configENS1_29binary_search_config_selectorIjiEEZNS1_14transform_implILb0ES3_S5_N6thrust23THRUST_200600_302600_NS6detail15normal_iteratorINS8_7pointerIjNS8_11hip_rocprim5par_tENS8_11use_defaultESE_EEEENSA_INSB_IiSD_SE_SE_EEEEZNS1_13binary_searchIS3_S5_NSA_INS8_10device_ptrIjEEEESG_SI_NS1_16binary_search_opENS9_16wrapped_functionINS8_6system6detail7generic6detail18binary_search_lessEbEEEE10hipError_tPvRmT1_T2_T3_mmT4_T5_P12ihipStream_tbEUlRKjE_EESV_SZ_S10_mS11_S14_bEUlT_E_NS1_11comp_targetILNS1_3genE3ELNS1_11target_archE908ELNS1_3gpuE7ELNS1_3repE0EEENS1_30default_config_static_selectorELNS0_4arch9wavefront6targetE0EEEvSY_.kd
    .uniform_work_group_size: 1
    .uses_dynamic_stack: false
    .vgpr_count:     0
    .vgpr_spill_count: 0
    .wavefront_size: 32
    .workgroup_processor_mode: 1
  - .args:
      - .offset:         0
        .size:           56
        .value_kind:     by_value
    .group_segment_fixed_size: 0
    .kernarg_segment_align: 8
    .kernarg_segment_size: 56
    .language:       OpenCL C
    .language_version:
      - 2
      - 0
    .max_flat_workgroup_size: 256
    .name:           _ZN7rocprim17ROCPRIM_400000_NS6detail17trampoline_kernelINS0_14default_configENS1_29binary_search_config_selectorIjiEEZNS1_14transform_implILb0ES3_S5_N6thrust23THRUST_200600_302600_NS6detail15normal_iteratorINS8_7pointerIjNS8_11hip_rocprim5par_tENS8_11use_defaultESE_EEEENSA_INSB_IiSD_SE_SE_EEEEZNS1_13binary_searchIS3_S5_NSA_INS8_10device_ptrIjEEEESG_SI_NS1_16binary_search_opENS9_16wrapped_functionINS8_6system6detail7generic6detail18binary_search_lessEbEEEE10hipError_tPvRmT1_T2_T3_mmT4_T5_P12ihipStream_tbEUlRKjE_EESV_SZ_S10_mS11_S14_bEUlT_E_NS1_11comp_targetILNS1_3genE2ELNS1_11target_archE906ELNS1_3gpuE6ELNS1_3repE0EEENS1_30default_config_static_selectorELNS0_4arch9wavefront6targetE0EEEvSY_
    .private_segment_fixed_size: 0
    .sgpr_count:     0
    .sgpr_spill_count: 0
    .symbol:         _ZN7rocprim17ROCPRIM_400000_NS6detail17trampoline_kernelINS0_14default_configENS1_29binary_search_config_selectorIjiEEZNS1_14transform_implILb0ES3_S5_N6thrust23THRUST_200600_302600_NS6detail15normal_iteratorINS8_7pointerIjNS8_11hip_rocprim5par_tENS8_11use_defaultESE_EEEENSA_INSB_IiSD_SE_SE_EEEEZNS1_13binary_searchIS3_S5_NSA_INS8_10device_ptrIjEEEESG_SI_NS1_16binary_search_opENS9_16wrapped_functionINS8_6system6detail7generic6detail18binary_search_lessEbEEEE10hipError_tPvRmT1_T2_T3_mmT4_T5_P12ihipStream_tbEUlRKjE_EESV_SZ_S10_mS11_S14_bEUlT_E_NS1_11comp_targetILNS1_3genE2ELNS1_11target_archE906ELNS1_3gpuE6ELNS1_3repE0EEENS1_30default_config_static_selectorELNS0_4arch9wavefront6targetE0EEEvSY_.kd
    .uniform_work_group_size: 1
    .uses_dynamic_stack: false
    .vgpr_count:     0
    .vgpr_spill_count: 0
    .wavefront_size: 32
    .workgroup_processor_mode: 1
  - .args:
      - .offset:         0
        .size:           56
        .value_kind:     by_value
    .group_segment_fixed_size: 0
    .kernarg_segment_align: 8
    .kernarg_segment_size: 56
    .language:       OpenCL C
    .language_version:
      - 2
      - 0
    .max_flat_workgroup_size: 128
    .name:           _ZN7rocprim17ROCPRIM_400000_NS6detail17trampoline_kernelINS0_14default_configENS1_29binary_search_config_selectorIjiEEZNS1_14transform_implILb0ES3_S5_N6thrust23THRUST_200600_302600_NS6detail15normal_iteratorINS8_7pointerIjNS8_11hip_rocprim5par_tENS8_11use_defaultESE_EEEENSA_INSB_IiSD_SE_SE_EEEEZNS1_13binary_searchIS3_S5_NSA_INS8_10device_ptrIjEEEESG_SI_NS1_16binary_search_opENS9_16wrapped_functionINS8_6system6detail7generic6detail18binary_search_lessEbEEEE10hipError_tPvRmT1_T2_T3_mmT4_T5_P12ihipStream_tbEUlRKjE_EESV_SZ_S10_mS11_S14_bEUlT_E_NS1_11comp_targetILNS1_3genE10ELNS1_11target_archE1201ELNS1_3gpuE5ELNS1_3repE0EEENS1_30default_config_static_selectorELNS0_4arch9wavefront6targetE0EEEvSY_
    .private_segment_fixed_size: 0
    .sgpr_count:     0
    .sgpr_spill_count: 0
    .symbol:         _ZN7rocprim17ROCPRIM_400000_NS6detail17trampoline_kernelINS0_14default_configENS1_29binary_search_config_selectorIjiEEZNS1_14transform_implILb0ES3_S5_N6thrust23THRUST_200600_302600_NS6detail15normal_iteratorINS8_7pointerIjNS8_11hip_rocprim5par_tENS8_11use_defaultESE_EEEENSA_INSB_IiSD_SE_SE_EEEEZNS1_13binary_searchIS3_S5_NSA_INS8_10device_ptrIjEEEESG_SI_NS1_16binary_search_opENS9_16wrapped_functionINS8_6system6detail7generic6detail18binary_search_lessEbEEEE10hipError_tPvRmT1_T2_T3_mmT4_T5_P12ihipStream_tbEUlRKjE_EESV_SZ_S10_mS11_S14_bEUlT_E_NS1_11comp_targetILNS1_3genE10ELNS1_11target_archE1201ELNS1_3gpuE5ELNS1_3repE0EEENS1_30default_config_static_selectorELNS0_4arch9wavefront6targetE0EEEvSY_.kd
    .uniform_work_group_size: 1
    .uses_dynamic_stack: false
    .vgpr_count:     0
    .vgpr_spill_count: 0
    .wavefront_size: 32
    .workgroup_processor_mode: 1
  - .args:
      - .offset:         0
        .size:           56
        .value_kind:     by_value
    .group_segment_fixed_size: 0
    .kernarg_segment_align: 8
    .kernarg_segment_size: 56
    .language:       OpenCL C
    .language_version:
      - 2
      - 0
    .max_flat_workgroup_size: 128
    .name:           _ZN7rocprim17ROCPRIM_400000_NS6detail17trampoline_kernelINS0_14default_configENS1_29binary_search_config_selectorIjiEEZNS1_14transform_implILb0ES3_S5_N6thrust23THRUST_200600_302600_NS6detail15normal_iteratorINS8_7pointerIjNS8_11hip_rocprim5par_tENS8_11use_defaultESE_EEEENSA_INSB_IiSD_SE_SE_EEEEZNS1_13binary_searchIS3_S5_NSA_INS8_10device_ptrIjEEEESG_SI_NS1_16binary_search_opENS9_16wrapped_functionINS8_6system6detail7generic6detail18binary_search_lessEbEEEE10hipError_tPvRmT1_T2_T3_mmT4_T5_P12ihipStream_tbEUlRKjE_EESV_SZ_S10_mS11_S14_bEUlT_E_NS1_11comp_targetILNS1_3genE10ELNS1_11target_archE1200ELNS1_3gpuE4ELNS1_3repE0EEENS1_30default_config_static_selectorELNS0_4arch9wavefront6targetE0EEEvSY_
    .private_segment_fixed_size: 0
    .sgpr_count:     0
    .sgpr_spill_count: 0
    .symbol:         _ZN7rocprim17ROCPRIM_400000_NS6detail17trampoline_kernelINS0_14default_configENS1_29binary_search_config_selectorIjiEEZNS1_14transform_implILb0ES3_S5_N6thrust23THRUST_200600_302600_NS6detail15normal_iteratorINS8_7pointerIjNS8_11hip_rocprim5par_tENS8_11use_defaultESE_EEEENSA_INSB_IiSD_SE_SE_EEEEZNS1_13binary_searchIS3_S5_NSA_INS8_10device_ptrIjEEEESG_SI_NS1_16binary_search_opENS9_16wrapped_functionINS8_6system6detail7generic6detail18binary_search_lessEbEEEE10hipError_tPvRmT1_T2_T3_mmT4_T5_P12ihipStream_tbEUlRKjE_EESV_SZ_S10_mS11_S14_bEUlT_E_NS1_11comp_targetILNS1_3genE10ELNS1_11target_archE1200ELNS1_3gpuE4ELNS1_3repE0EEENS1_30default_config_static_selectorELNS0_4arch9wavefront6targetE0EEEvSY_.kd
    .uniform_work_group_size: 1
    .uses_dynamic_stack: false
    .vgpr_count:     0
    .vgpr_spill_count: 0
    .wavefront_size: 32
    .workgroup_processor_mode: 1
  - .args:
      - .offset:         0
        .size:           56
        .value_kind:     by_value
    .group_segment_fixed_size: 0
    .kernarg_segment_align: 8
    .kernarg_segment_size: 56
    .language:       OpenCL C
    .language_version:
      - 2
      - 0
    .max_flat_workgroup_size: 256
    .name:           _ZN7rocprim17ROCPRIM_400000_NS6detail17trampoline_kernelINS0_14default_configENS1_29binary_search_config_selectorIjiEEZNS1_14transform_implILb0ES3_S5_N6thrust23THRUST_200600_302600_NS6detail15normal_iteratorINS8_7pointerIjNS8_11hip_rocprim5par_tENS8_11use_defaultESE_EEEENSA_INSB_IiSD_SE_SE_EEEEZNS1_13binary_searchIS3_S5_NSA_INS8_10device_ptrIjEEEESG_SI_NS1_16binary_search_opENS9_16wrapped_functionINS8_6system6detail7generic6detail18binary_search_lessEbEEEE10hipError_tPvRmT1_T2_T3_mmT4_T5_P12ihipStream_tbEUlRKjE_EESV_SZ_S10_mS11_S14_bEUlT_E_NS1_11comp_targetILNS1_3genE9ELNS1_11target_archE1100ELNS1_3gpuE3ELNS1_3repE0EEENS1_30default_config_static_selectorELNS0_4arch9wavefront6targetE0EEEvSY_
    .private_segment_fixed_size: 0
    .sgpr_count:     0
    .sgpr_spill_count: 0
    .symbol:         _ZN7rocprim17ROCPRIM_400000_NS6detail17trampoline_kernelINS0_14default_configENS1_29binary_search_config_selectorIjiEEZNS1_14transform_implILb0ES3_S5_N6thrust23THRUST_200600_302600_NS6detail15normal_iteratorINS8_7pointerIjNS8_11hip_rocprim5par_tENS8_11use_defaultESE_EEEENSA_INSB_IiSD_SE_SE_EEEEZNS1_13binary_searchIS3_S5_NSA_INS8_10device_ptrIjEEEESG_SI_NS1_16binary_search_opENS9_16wrapped_functionINS8_6system6detail7generic6detail18binary_search_lessEbEEEE10hipError_tPvRmT1_T2_T3_mmT4_T5_P12ihipStream_tbEUlRKjE_EESV_SZ_S10_mS11_S14_bEUlT_E_NS1_11comp_targetILNS1_3genE9ELNS1_11target_archE1100ELNS1_3gpuE3ELNS1_3repE0EEENS1_30default_config_static_selectorELNS0_4arch9wavefront6targetE0EEEvSY_.kd
    .uniform_work_group_size: 1
    .uses_dynamic_stack: false
    .vgpr_count:     0
    .vgpr_spill_count: 0
    .wavefront_size: 32
    .workgroup_processor_mode: 1
  - .args:
      - .offset:         0
        .size:           56
        .value_kind:     by_value
      - .offset:         56
        .size:           4
        .value_kind:     hidden_block_count_x
      - .offset:         60
        .size:           4
        .value_kind:     hidden_block_count_y
      - .offset:         64
        .size:           4
        .value_kind:     hidden_block_count_z
      - .offset:         68
        .size:           2
        .value_kind:     hidden_group_size_x
      - .offset:         70
        .size:           2
        .value_kind:     hidden_group_size_y
      - .offset:         72
        .size:           2
        .value_kind:     hidden_group_size_z
      - .offset:         74
        .size:           2
        .value_kind:     hidden_remainder_x
      - .offset:         76
        .size:           2
        .value_kind:     hidden_remainder_y
      - .offset:         78
        .size:           2
        .value_kind:     hidden_remainder_z
      - .offset:         96
        .size:           8
        .value_kind:     hidden_global_offset_x
      - .offset:         104
        .size:           8
        .value_kind:     hidden_global_offset_y
      - .offset:         112
        .size:           8
        .value_kind:     hidden_global_offset_z
      - .offset:         120
        .size:           2
        .value_kind:     hidden_grid_dims
    .group_segment_fixed_size: 0
    .kernarg_segment_align: 8
    .kernarg_segment_size: 312
    .language:       OpenCL C
    .language_version:
      - 2
      - 0
    .max_flat_workgroup_size: 256
    .name:           _ZN7rocprim17ROCPRIM_400000_NS6detail17trampoline_kernelINS0_14default_configENS1_29binary_search_config_selectorIjiEEZNS1_14transform_implILb0ES3_S5_N6thrust23THRUST_200600_302600_NS6detail15normal_iteratorINS8_7pointerIjNS8_11hip_rocprim5par_tENS8_11use_defaultESE_EEEENSA_INSB_IiSD_SE_SE_EEEEZNS1_13binary_searchIS3_S5_NSA_INS8_10device_ptrIjEEEESG_SI_NS1_16binary_search_opENS9_16wrapped_functionINS8_6system6detail7generic6detail18binary_search_lessEbEEEE10hipError_tPvRmT1_T2_T3_mmT4_T5_P12ihipStream_tbEUlRKjE_EESV_SZ_S10_mS11_S14_bEUlT_E_NS1_11comp_targetILNS1_3genE8ELNS1_11target_archE1030ELNS1_3gpuE2ELNS1_3repE0EEENS1_30default_config_static_selectorELNS0_4arch9wavefront6targetE0EEEvSY_
    .private_segment_fixed_size: 0
    .sgpr_count:     22
    .sgpr_spill_count: 0
    .symbol:         _ZN7rocprim17ROCPRIM_400000_NS6detail17trampoline_kernelINS0_14default_configENS1_29binary_search_config_selectorIjiEEZNS1_14transform_implILb0ES3_S5_N6thrust23THRUST_200600_302600_NS6detail15normal_iteratorINS8_7pointerIjNS8_11hip_rocprim5par_tENS8_11use_defaultESE_EEEENSA_INSB_IiSD_SE_SE_EEEEZNS1_13binary_searchIS3_S5_NSA_INS8_10device_ptrIjEEEESG_SI_NS1_16binary_search_opENS9_16wrapped_functionINS8_6system6detail7generic6detail18binary_search_lessEbEEEE10hipError_tPvRmT1_T2_T3_mmT4_T5_P12ihipStream_tbEUlRKjE_EESV_SZ_S10_mS11_S14_bEUlT_E_NS1_11comp_targetILNS1_3genE8ELNS1_11target_archE1030ELNS1_3gpuE2ELNS1_3repE0EEENS1_30default_config_static_selectorELNS0_4arch9wavefront6targetE0EEEvSY_.kd
    .uniform_work_group_size: 1
    .uses_dynamic_stack: false
    .vgpr_count:     12
    .vgpr_spill_count: 0
    .wavefront_size: 32
    .workgroup_processor_mode: 1
  - .args:
      - .offset:         0
        .size:           56
        .value_kind:     by_value
    .group_segment_fixed_size: 0
    .kernarg_segment_align: 8
    .kernarg_segment_size: 56
    .language:       OpenCL C
    .language_version:
      - 2
      - 0
    .max_flat_workgroup_size: 128
    .name:           _ZN7rocprim17ROCPRIM_400000_NS6detail17trampoline_kernelINS0_14default_configENS1_29binary_search_config_selectorItiEEZNS1_14transform_implILb0ES3_S5_N6thrust23THRUST_200600_302600_NS6detail15normal_iteratorINS8_7pointerItNS8_11hip_rocprim5par_tENS8_11use_defaultESE_EEEENSA_INSB_IiSD_SE_SE_EEEEZNS1_13binary_searchIS3_S5_NSA_INS8_10device_ptrItEEEESG_SI_NS1_16binary_search_opENS9_16wrapped_functionINS8_6system6detail7generic6detail18binary_search_lessEbEEEE10hipError_tPvRmT1_T2_T3_mmT4_T5_P12ihipStream_tbEUlRKtE_EESV_SZ_S10_mS11_S14_bEUlT_E_NS1_11comp_targetILNS1_3genE0ELNS1_11target_archE4294967295ELNS1_3gpuE0ELNS1_3repE0EEENS1_30default_config_static_selectorELNS0_4arch9wavefront6targetE0EEEvSY_
    .private_segment_fixed_size: 0
    .sgpr_count:     0
    .sgpr_spill_count: 0
    .symbol:         _ZN7rocprim17ROCPRIM_400000_NS6detail17trampoline_kernelINS0_14default_configENS1_29binary_search_config_selectorItiEEZNS1_14transform_implILb0ES3_S5_N6thrust23THRUST_200600_302600_NS6detail15normal_iteratorINS8_7pointerItNS8_11hip_rocprim5par_tENS8_11use_defaultESE_EEEENSA_INSB_IiSD_SE_SE_EEEEZNS1_13binary_searchIS3_S5_NSA_INS8_10device_ptrItEEEESG_SI_NS1_16binary_search_opENS9_16wrapped_functionINS8_6system6detail7generic6detail18binary_search_lessEbEEEE10hipError_tPvRmT1_T2_T3_mmT4_T5_P12ihipStream_tbEUlRKtE_EESV_SZ_S10_mS11_S14_bEUlT_E_NS1_11comp_targetILNS1_3genE0ELNS1_11target_archE4294967295ELNS1_3gpuE0ELNS1_3repE0EEENS1_30default_config_static_selectorELNS0_4arch9wavefront6targetE0EEEvSY_.kd
    .uniform_work_group_size: 1
    .uses_dynamic_stack: false
    .vgpr_count:     0
    .vgpr_spill_count: 0
    .wavefront_size: 32
    .workgroup_processor_mode: 1
  - .args:
      - .offset:         0
        .size:           56
        .value_kind:     by_value
    .group_segment_fixed_size: 0
    .kernarg_segment_align: 8
    .kernarg_segment_size: 56
    .language:       OpenCL C
    .language_version:
      - 2
      - 0
    .max_flat_workgroup_size: 256
    .name:           _ZN7rocprim17ROCPRIM_400000_NS6detail17trampoline_kernelINS0_14default_configENS1_29binary_search_config_selectorItiEEZNS1_14transform_implILb0ES3_S5_N6thrust23THRUST_200600_302600_NS6detail15normal_iteratorINS8_7pointerItNS8_11hip_rocprim5par_tENS8_11use_defaultESE_EEEENSA_INSB_IiSD_SE_SE_EEEEZNS1_13binary_searchIS3_S5_NSA_INS8_10device_ptrItEEEESG_SI_NS1_16binary_search_opENS9_16wrapped_functionINS8_6system6detail7generic6detail18binary_search_lessEbEEEE10hipError_tPvRmT1_T2_T3_mmT4_T5_P12ihipStream_tbEUlRKtE_EESV_SZ_S10_mS11_S14_bEUlT_E_NS1_11comp_targetILNS1_3genE5ELNS1_11target_archE942ELNS1_3gpuE9ELNS1_3repE0EEENS1_30default_config_static_selectorELNS0_4arch9wavefront6targetE0EEEvSY_
    .private_segment_fixed_size: 0
    .sgpr_count:     0
    .sgpr_spill_count: 0
    .symbol:         _ZN7rocprim17ROCPRIM_400000_NS6detail17trampoline_kernelINS0_14default_configENS1_29binary_search_config_selectorItiEEZNS1_14transform_implILb0ES3_S5_N6thrust23THRUST_200600_302600_NS6detail15normal_iteratorINS8_7pointerItNS8_11hip_rocprim5par_tENS8_11use_defaultESE_EEEENSA_INSB_IiSD_SE_SE_EEEEZNS1_13binary_searchIS3_S5_NSA_INS8_10device_ptrItEEEESG_SI_NS1_16binary_search_opENS9_16wrapped_functionINS8_6system6detail7generic6detail18binary_search_lessEbEEEE10hipError_tPvRmT1_T2_T3_mmT4_T5_P12ihipStream_tbEUlRKtE_EESV_SZ_S10_mS11_S14_bEUlT_E_NS1_11comp_targetILNS1_3genE5ELNS1_11target_archE942ELNS1_3gpuE9ELNS1_3repE0EEENS1_30default_config_static_selectorELNS0_4arch9wavefront6targetE0EEEvSY_.kd
    .uniform_work_group_size: 1
    .uses_dynamic_stack: false
    .vgpr_count:     0
    .vgpr_spill_count: 0
    .wavefront_size: 32
    .workgroup_processor_mode: 1
  - .args:
      - .offset:         0
        .size:           56
        .value_kind:     by_value
    .group_segment_fixed_size: 0
    .kernarg_segment_align: 8
    .kernarg_segment_size: 56
    .language:       OpenCL C
    .language_version:
      - 2
      - 0
    .max_flat_workgroup_size: 256
    .name:           _ZN7rocprim17ROCPRIM_400000_NS6detail17trampoline_kernelINS0_14default_configENS1_29binary_search_config_selectorItiEEZNS1_14transform_implILb0ES3_S5_N6thrust23THRUST_200600_302600_NS6detail15normal_iteratorINS8_7pointerItNS8_11hip_rocprim5par_tENS8_11use_defaultESE_EEEENSA_INSB_IiSD_SE_SE_EEEEZNS1_13binary_searchIS3_S5_NSA_INS8_10device_ptrItEEEESG_SI_NS1_16binary_search_opENS9_16wrapped_functionINS8_6system6detail7generic6detail18binary_search_lessEbEEEE10hipError_tPvRmT1_T2_T3_mmT4_T5_P12ihipStream_tbEUlRKtE_EESV_SZ_S10_mS11_S14_bEUlT_E_NS1_11comp_targetILNS1_3genE4ELNS1_11target_archE910ELNS1_3gpuE8ELNS1_3repE0EEENS1_30default_config_static_selectorELNS0_4arch9wavefront6targetE0EEEvSY_
    .private_segment_fixed_size: 0
    .sgpr_count:     0
    .sgpr_spill_count: 0
    .symbol:         _ZN7rocprim17ROCPRIM_400000_NS6detail17trampoline_kernelINS0_14default_configENS1_29binary_search_config_selectorItiEEZNS1_14transform_implILb0ES3_S5_N6thrust23THRUST_200600_302600_NS6detail15normal_iteratorINS8_7pointerItNS8_11hip_rocprim5par_tENS8_11use_defaultESE_EEEENSA_INSB_IiSD_SE_SE_EEEEZNS1_13binary_searchIS3_S5_NSA_INS8_10device_ptrItEEEESG_SI_NS1_16binary_search_opENS9_16wrapped_functionINS8_6system6detail7generic6detail18binary_search_lessEbEEEE10hipError_tPvRmT1_T2_T3_mmT4_T5_P12ihipStream_tbEUlRKtE_EESV_SZ_S10_mS11_S14_bEUlT_E_NS1_11comp_targetILNS1_3genE4ELNS1_11target_archE910ELNS1_3gpuE8ELNS1_3repE0EEENS1_30default_config_static_selectorELNS0_4arch9wavefront6targetE0EEEvSY_.kd
    .uniform_work_group_size: 1
    .uses_dynamic_stack: false
    .vgpr_count:     0
    .vgpr_spill_count: 0
    .wavefront_size: 32
    .workgroup_processor_mode: 1
  - .args:
      - .offset:         0
        .size:           56
        .value_kind:     by_value
    .group_segment_fixed_size: 0
    .kernarg_segment_align: 8
    .kernarg_segment_size: 56
    .language:       OpenCL C
    .language_version:
      - 2
      - 0
    .max_flat_workgroup_size: 128
    .name:           _ZN7rocprim17ROCPRIM_400000_NS6detail17trampoline_kernelINS0_14default_configENS1_29binary_search_config_selectorItiEEZNS1_14transform_implILb0ES3_S5_N6thrust23THRUST_200600_302600_NS6detail15normal_iteratorINS8_7pointerItNS8_11hip_rocprim5par_tENS8_11use_defaultESE_EEEENSA_INSB_IiSD_SE_SE_EEEEZNS1_13binary_searchIS3_S5_NSA_INS8_10device_ptrItEEEESG_SI_NS1_16binary_search_opENS9_16wrapped_functionINS8_6system6detail7generic6detail18binary_search_lessEbEEEE10hipError_tPvRmT1_T2_T3_mmT4_T5_P12ihipStream_tbEUlRKtE_EESV_SZ_S10_mS11_S14_bEUlT_E_NS1_11comp_targetILNS1_3genE3ELNS1_11target_archE908ELNS1_3gpuE7ELNS1_3repE0EEENS1_30default_config_static_selectorELNS0_4arch9wavefront6targetE0EEEvSY_
    .private_segment_fixed_size: 0
    .sgpr_count:     0
    .sgpr_spill_count: 0
    .symbol:         _ZN7rocprim17ROCPRIM_400000_NS6detail17trampoline_kernelINS0_14default_configENS1_29binary_search_config_selectorItiEEZNS1_14transform_implILb0ES3_S5_N6thrust23THRUST_200600_302600_NS6detail15normal_iteratorINS8_7pointerItNS8_11hip_rocprim5par_tENS8_11use_defaultESE_EEEENSA_INSB_IiSD_SE_SE_EEEEZNS1_13binary_searchIS3_S5_NSA_INS8_10device_ptrItEEEESG_SI_NS1_16binary_search_opENS9_16wrapped_functionINS8_6system6detail7generic6detail18binary_search_lessEbEEEE10hipError_tPvRmT1_T2_T3_mmT4_T5_P12ihipStream_tbEUlRKtE_EESV_SZ_S10_mS11_S14_bEUlT_E_NS1_11comp_targetILNS1_3genE3ELNS1_11target_archE908ELNS1_3gpuE7ELNS1_3repE0EEENS1_30default_config_static_selectorELNS0_4arch9wavefront6targetE0EEEvSY_.kd
    .uniform_work_group_size: 1
    .uses_dynamic_stack: false
    .vgpr_count:     0
    .vgpr_spill_count: 0
    .wavefront_size: 32
    .workgroup_processor_mode: 1
  - .args:
      - .offset:         0
        .size:           56
        .value_kind:     by_value
    .group_segment_fixed_size: 0
    .kernarg_segment_align: 8
    .kernarg_segment_size: 56
    .language:       OpenCL C
    .language_version:
      - 2
      - 0
    .max_flat_workgroup_size: 256
    .name:           _ZN7rocprim17ROCPRIM_400000_NS6detail17trampoline_kernelINS0_14default_configENS1_29binary_search_config_selectorItiEEZNS1_14transform_implILb0ES3_S5_N6thrust23THRUST_200600_302600_NS6detail15normal_iteratorINS8_7pointerItNS8_11hip_rocprim5par_tENS8_11use_defaultESE_EEEENSA_INSB_IiSD_SE_SE_EEEEZNS1_13binary_searchIS3_S5_NSA_INS8_10device_ptrItEEEESG_SI_NS1_16binary_search_opENS9_16wrapped_functionINS8_6system6detail7generic6detail18binary_search_lessEbEEEE10hipError_tPvRmT1_T2_T3_mmT4_T5_P12ihipStream_tbEUlRKtE_EESV_SZ_S10_mS11_S14_bEUlT_E_NS1_11comp_targetILNS1_3genE2ELNS1_11target_archE906ELNS1_3gpuE6ELNS1_3repE0EEENS1_30default_config_static_selectorELNS0_4arch9wavefront6targetE0EEEvSY_
    .private_segment_fixed_size: 0
    .sgpr_count:     0
    .sgpr_spill_count: 0
    .symbol:         _ZN7rocprim17ROCPRIM_400000_NS6detail17trampoline_kernelINS0_14default_configENS1_29binary_search_config_selectorItiEEZNS1_14transform_implILb0ES3_S5_N6thrust23THRUST_200600_302600_NS6detail15normal_iteratorINS8_7pointerItNS8_11hip_rocprim5par_tENS8_11use_defaultESE_EEEENSA_INSB_IiSD_SE_SE_EEEEZNS1_13binary_searchIS3_S5_NSA_INS8_10device_ptrItEEEESG_SI_NS1_16binary_search_opENS9_16wrapped_functionINS8_6system6detail7generic6detail18binary_search_lessEbEEEE10hipError_tPvRmT1_T2_T3_mmT4_T5_P12ihipStream_tbEUlRKtE_EESV_SZ_S10_mS11_S14_bEUlT_E_NS1_11comp_targetILNS1_3genE2ELNS1_11target_archE906ELNS1_3gpuE6ELNS1_3repE0EEENS1_30default_config_static_selectorELNS0_4arch9wavefront6targetE0EEEvSY_.kd
    .uniform_work_group_size: 1
    .uses_dynamic_stack: false
    .vgpr_count:     0
    .vgpr_spill_count: 0
    .wavefront_size: 32
    .workgroup_processor_mode: 1
  - .args:
      - .offset:         0
        .size:           56
        .value_kind:     by_value
    .group_segment_fixed_size: 0
    .kernarg_segment_align: 8
    .kernarg_segment_size: 56
    .language:       OpenCL C
    .language_version:
      - 2
      - 0
    .max_flat_workgroup_size: 256
    .name:           _ZN7rocprim17ROCPRIM_400000_NS6detail17trampoline_kernelINS0_14default_configENS1_29binary_search_config_selectorItiEEZNS1_14transform_implILb0ES3_S5_N6thrust23THRUST_200600_302600_NS6detail15normal_iteratorINS8_7pointerItNS8_11hip_rocprim5par_tENS8_11use_defaultESE_EEEENSA_INSB_IiSD_SE_SE_EEEEZNS1_13binary_searchIS3_S5_NSA_INS8_10device_ptrItEEEESG_SI_NS1_16binary_search_opENS9_16wrapped_functionINS8_6system6detail7generic6detail18binary_search_lessEbEEEE10hipError_tPvRmT1_T2_T3_mmT4_T5_P12ihipStream_tbEUlRKtE_EESV_SZ_S10_mS11_S14_bEUlT_E_NS1_11comp_targetILNS1_3genE10ELNS1_11target_archE1201ELNS1_3gpuE5ELNS1_3repE0EEENS1_30default_config_static_selectorELNS0_4arch9wavefront6targetE0EEEvSY_
    .private_segment_fixed_size: 0
    .sgpr_count:     0
    .sgpr_spill_count: 0
    .symbol:         _ZN7rocprim17ROCPRIM_400000_NS6detail17trampoline_kernelINS0_14default_configENS1_29binary_search_config_selectorItiEEZNS1_14transform_implILb0ES3_S5_N6thrust23THRUST_200600_302600_NS6detail15normal_iteratorINS8_7pointerItNS8_11hip_rocprim5par_tENS8_11use_defaultESE_EEEENSA_INSB_IiSD_SE_SE_EEEEZNS1_13binary_searchIS3_S5_NSA_INS8_10device_ptrItEEEESG_SI_NS1_16binary_search_opENS9_16wrapped_functionINS8_6system6detail7generic6detail18binary_search_lessEbEEEE10hipError_tPvRmT1_T2_T3_mmT4_T5_P12ihipStream_tbEUlRKtE_EESV_SZ_S10_mS11_S14_bEUlT_E_NS1_11comp_targetILNS1_3genE10ELNS1_11target_archE1201ELNS1_3gpuE5ELNS1_3repE0EEENS1_30default_config_static_selectorELNS0_4arch9wavefront6targetE0EEEvSY_.kd
    .uniform_work_group_size: 1
    .uses_dynamic_stack: false
    .vgpr_count:     0
    .vgpr_spill_count: 0
    .wavefront_size: 32
    .workgroup_processor_mode: 1
  - .args:
      - .offset:         0
        .size:           56
        .value_kind:     by_value
    .group_segment_fixed_size: 0
    .kernarg_segment_align: 8
    .kernarg_segment_size: 56
    .language:       OpenCL C
    .language_version:
      - 2
      - 0
    .max_flat_workgroup_size: 256
    .name:           _ZN7rocprim17ROCPRIM_400000_NS6detail17trampoline_kernelINS0_14default_configENS1_29binary_search_config_selectorItiEEZNS1_14transform_implILb0ES3_S5_N6thrust23THRUST_200600_302600_NS6detail15normal_iteratorINS8_7pointerItNS8_11hip_rocprim5par_tENS8_11use_defaultESE_EEEENSA_INSB_IiSD_SE_SE_EEEEZNS1_13binary_searchIS3_S5_NSA_INS8_10device_ptrItEEEESG_SI_NS1_16binary_search_opENS9_16wrapped_functionINS8_6system6detail7generic6detail18binary_search_lessEbEEEE10hipError_tPvRmT1_T2_T3_mmT4_T5_P12ihipStream_tbEUlRKtE_EESV_SZ_S10_mS11_S14_bEUlT_E_NS1_11comp_targetILNS1_3genE10ELNS1_11target_archE1200ELNS1_3gpuE4ELNS1_3repE0EEENS1_30default_config_static_selectorELNS0_4arch9wavefront6targetE0EEEvSY_
    .private_segment_fixed_size: 0
    .sgpr_count:     0
    .sgpr_spill_count: 0
    .symbol:         _ZN7rocprim17ROCPRIM_400000_NS6detail17trampoline_kernelINS0_14default_configENS1_29binary_search_config_selectorItiEEZNS1_14transform_implILb0ES3_S5_N6thrust23THRUST_200600_302600_NS6detail15normal_iteratorINS8_7pointerItNS8_11hip_rocprim5par_tENS8_11use_defaultESE_EEEENSA_INSB_IiSD_SE_SE_EEEEZNS1_13binary_searchIS3_S5_NSA_INS8_10device_ptrItEEEESG_SI_NS1_16binary_search_opENS9_16wrapped_functionINS8_6system6detail7generic6detail18binary_search_lessEbEEEE10hipError_tPvRmT1_T2_T3_mmT4_T5_P12ihipStream_tbEUlRKtE_EESV_SZ_S10_mS11_S14_bEUlT_E_NS1_11comp_targetILNS1_3genE10ELNS1_11target_archE1200ELNS1_3gpuE4ELNS1_3repE0EEENS1_30default_config_static_selectorELNS0_4arch9wavefront6targetE0EEEvSY_.kd
    .uniform_work_group_size: 1
    .uses_dynamic_stack: false
    .vgpr_count:     0
    .vgpr_spill_count: 0
    .wavefront_size: 32
    .workgroup_processor_mode: 1
  - .args:
      - .offset:         0
        .size:           56
        .value_kind:     by_value
    .group_segment_fixed_size: 0
    .kernarg_segment_align: 8
    .kernarg_segment_size: 56
    .language:       OpenCL C
    .language_version:
      - 2
      - 0
    .max_flat_workgroup_size: 64
    .name:           _ZN7rocprim17ROCPRIM_400000_NS6detail17trampoline_kernelINS0_14default_configENS1_29binary_search_config_selectorItiEEZNS1_14transform_implILb0ES3_S5_N6thrust23THRUST_200600_302600_NS6detail15normal_iteratorINS8_7pointerItNS8_11hip_rocprim5par_tENS8_11use_defaultESE_EEEENSA_INSB_IiSD_SE_SE_EEEEZNS1_13binary_searchIS3_S5_NSA_INS8_10device_ptrItEEEESG_SI_NS1_16binary_search_opENS9_16wrapped_functionINS8_6system6detail7generic6detail18binary_search_lessEbEEEE10hipError_tPvRmT1_T2_T3_mmT4_T5_P12ihipStream_tbEUlRKtE_EESV_SZ_S10_mS11_S14_bEUlT_E_NS1_11comp_targetILNS1_3genE9ELNS1_11target_archE1100ELNS1_3gpuE3ELNS1_3repE0EEENS1_30default_config_static_selectorELNS0_4arch9wavefront6targetE0EEEvSY_
    .private_segment_fixed_size: 0
    .sgpr_count:     0
    .sgpr_spill_count: 0
    .symbol:         _ZN7rocprim17ROCPRIM_400000_NS6detail17trampoline_kernelINS0_14default_configENS1_29binary_search_config_selectorItiEEZNS1_14transform_implILb0ES3_S5_N6thrust23THRUST_200600_302600_NS6detail15normal_iteratorINS8_7pointerItNS8_11hip_rocprim5par_tENS8_11use_defaultESE_EEEENSA_INSB_IiSD_SE_SE_EEEEZNS1_13binary_searchIS3_S5_NSA_INS8_10device_ptrItEEEESG_SI_NS1_16binary_search_opENS9_16wrapped_functionINS8_6system6detail7generic6detail18binary_search_lessEbEEEE10hipError_tPvRmT1_T2_T3_mmT4_T5_P12ihipStream_tbEUlRKtE_EESV_SZ_S10_mS11_S14_bEUlT_E_NS1_11comp_targetILNS1_3genE9ELNS1_11target_archE1100ELNS1_3gpuE3ELNS1_3repE0EEENS1_30default_config_static_selectorELNS0_4arch9wavefront6targetE0EEEvSY_.kd
    .uniform_work_group_size: 1
    .uses_dynamic_stack: false
    .vgpr_count:     0
    .vgpr_spill_count: 0
    .wavefront_size: 32
    .workgroup_processor_mode: 1
  - .args:
      - .offset:         0
        .size:           56
        .value_kind:     by_value
      - .offset:         56
        .size:           4
        .value_kind:     hidden_block_count_x
      - .offset:         60
        .size:           4
        .value_kind:     hidden_block_count_y
      - .offset:         64
        .size:           4
        .value_kind:     hidden_block_count_z
      - .offset:         68
        .size:           2
        .value_kind:     hidden_group_size_x
      - .offset:         70
        .size:           2
        .value_kind:     hidden_group_size_y
      - .offset:         72
        .size:           2
        .value_kind:     hidden_group_size_z
      - .offset:         74
        .size:           2
        .value_kind:     hidden_remainder_x
      - .offset:         76
        .size:           2
        .value_kind:     hidden_remainder_y
      - .offset:         78
        .size:           2
        .value_kind:     hidden_remainder_z
      - .offset:         96
        .size:           8
        .value_kind:     hidden_global_offset_x
      - .offset:         104
        .size:           8
        .value_kind:     hidden_global_offset_y
      - .offset:         112
        .size:           8
        .value_kind:     hidden_global_offset_z
      - .offset:         120
        .size:           2
        .value_kind:     hidden_grid_dims
    .group_segment_fixed_size: 0
    .kernarg_segment_align: 8
    .kernarg_segment_size: 312
    .language:       OpenCL C
    .language_version:
      - 2
      - 0
    .max_flat_workgroup_size: 128
    .name:           _ZN7rocprim17ROCPRIM_400000_NS6detail17trampoline_kernelINS0_14default_configENS1_29binary_search_config_selectorItiEEZNS1_14transform_implILb0ES3_S5_N6thrust23THRUST_200600_302600_NS6detail15normal_iteratorINS8_7pointerItNS8_11hip_rocprim5par_tENS8_11use_defaultESE_EEEENSA_INSB_IiSD_SE_SE_EEEEZNS1_13binary_searchIS3_S5_NSA_INS8_10device_ptrItEEEESG_SI_NS1_16binary_search_opENS9_16wrapped_functionINS8_6system6detail7generic6detail18binary_search_lessEbEEEE10hipError_tPvRmT1_T2_T3_mmT4_T5_P12ihipStream_tbEUlRKtE_EESV_SZ_S10_mS11_S14_bEUlT_E_NS1_11comp_targetILNS1_3genE8ELNS1_11target_archE1030ELNS1_3gpuE2ELNS1_3repE0EEENS1_30default_config_static_selectorELNS0_4arch9wavefront6targetE0EEEvSY_
    .private_segment_fixed_size: 0
    .sgpr_count:     22
    .sgpr_spill_count: 0
    .symbol:         _ZN7rocprim17ROCPRIM_400000_NS6detail17trampoline_kernelINS0_14default_configENS1_29binary_search_config_selectorItiEEZNS1_14transform_implILb0ES3_S5_N6thrust23THRUST_200600_302600_NS6detail15normal_iteratorINS8_7pointerItNS8_11hip_rocprim5par_tENS8_11use_defaultESE_EEEENSA_INSB_IiSD_SE_SE_EEEEZNS1_13binary_searchIS3_S5_NSA_INS8_10device_ptrItEEEESG_SI_NS1_16binary_search_opENS9_16wrapped_functionINS8_6system6detail7generic6detail18binary_search_lessEbEEEE10hipError_tPvRmT1_T2_T3_mmT4_T5_P12ihipStream_tbEUlRKtE_EESV_SZ_S10_mS11_S14_bEUlT_E_NS1_11comp_targetILNS1_3genE8ELNS1_11target_archE1030ELNS1_3gpuE2ELNS1_3repE0EEENS1_30default_config_static_selectorELNS0_4arch9wavefront6targetE0EEEvSY_.kd
    .uniform_work_group_size: 1
    .uses_dynamic_stack: false
    .vgpr_count:     15
    .vgpr_spill_count: 0
    .wavefront_size: 32
    .workgroup_processor_mode: 1
  - .args:
      - .offset:         0
        .size:           56
        .value_kind:     by_value
    .group_segment_fixed_size: 0
    .kernarg_segment_align: 8
    .kernarg_segment_size: 56
    .language:       OpenCL C
    .language_version:
      - 2
      - 0
    .max_flat_workgroup_size: 256
    .name:           _ZN7rocprim17ROCPRIM_400000_NS6detail17trampoline_kernelINS0_14default_configENS1_29binary_search_config_selectorIxiEEZNS1_14transform_implILb0ES3_S5_N6thrust23THRUST_200600_302600_NS6detail15normal_iteratorINS8_7pointerIxNS8_11hip_rocprim5par_tENS8_11use_defaultESE_EEEENSA_INSB_IiSD_SE_SE_EEEEZNS1_13binary_searchIS3_S5_NSA_INS8_10device_ptrIxEEEESG_SI_NS1_16binary_search_opENS9_16wrapped_functionINS8_6system6detail7generic6detail18binary_search_lessEbEEEE10hipError_tPvRmT1_T2_T3_mmT4_T5_P12ihipStream_tbEUlRKxE_EESV_SZ_S10_mS11_S14_bEUlT_E_NS1_11comp_targetILNS1_3genE0ELNS1_11target_archE4294967295ELNS1_3gpuE0ELNS1_3repE0EEENS1_30default_config_static_selectorELNS0_4arch9wavefront6targetE0EEEvSY_
    .private_segment_fixed_size: 0
    .sgpr_count:     0
    .sgpr_spill_count: 0
    .symbol:         _ZN7rocprim17ROCPRIM_400000_NS6detail17trampoline_kernelINS0_14default_configENS1_29binary_search_config_selectorIxiEEZNS1_14transform_implILb0ES3_S5_N6thrust23THRUST_200600_302600_NS6detail15normal_iteratorINS8_7pointerIxNS8_11hip_rocprim5par_tENS8_11use_defaultESE_EEEENSA_INSB_IiSD_SE_SE_EEEEZNS1_13binary_searchIS3_S5_NSA_INS8_10device_ptrIxEEEESG_SI_NS1_16binary_search_opENS9_16wrapped_functionINS8_6system6detail7generic6detail18binary_search_lessEbEEEE10hipError_tPvRmT1_T2_T3_mmT4_T5_P12ihipStream_tbEUlRKxE_EESV_SZ_S10_mS11_S14_bEUlT_E_NS1_11comp_targetILNS1_3genE0ELNS1_11target_archE4294967295ELNS1_3gpuE0ELNS1_3repE0EEENS1_30default_config_static_selectorELNS0_4arch9wavefront6targetE0EEEvSY_.kd
    .uniform_work_group_size: 1
    .uses_dynamic_stack: false
    .vgpr_count:     0
    .vgpr_spill_count: 0
    .wavefront_size: 32
    .workgroup_processor_mode: 1
  - .args:
      - .offset:         0
        .size:           56
        .value_kind:     by_value
    .group_segment_fixed_size: 0
    .kernarg_segment_align: 8
    .kernarg_segment_size: 56
    .language:       OpenCL C
    .language_version:
      - 2
      - 0
    .max_flat_workgroup_size: 64
    .name:           _ZN7rocprim17ROCPRIM_400000_NS6detail17trampoline_kernelINS0_14default_configENS1_29binary_search_config_selectorIxiEEZNS1_14transform_implILb0ES3_S5_N6thrust23THRUST_200600_302600_NS6detail15normal_iteratorINS8_7pointerIxNS8_11hip_rocprim5par_tENS8_11use_defaultESE_EEEENSA_INSB_IiSD_SE_SE_EEEEZNS1_13binary_searchIS3_S5_NSA_INS8_10device_ptrIxEEEESG_SI_NS1_16binary_search_opENS9_16wrapped_functionINS8_6system6detail7generic6detail18binary_search_lessEbEEEE10hipError_tPvRmT1_T2_T3_mmT4_T5_P12ihipStream_tbEUlRKxE_EESV_SZ_S10_mS11_S14_bEUlT_E_NS1_11comp_targetILNS1_3genE5ELNS1_11target_archE942ELNS1_3gpuE9ELNS1_3repE0EEENS1_30default_config_static_selectorELNS0_4arch9wavefront6targetE0EEEvSY_
    .private_segment_fixed_size: 0
    .sgpr_count:     0
    .sgpr_spill_count: 0
    .symbol:         _ZN7rocprim17ROCPRIM_400000_NS6detail17trampoline_kernelINS0_14default_configENS1_29binary_search_config_selectorIxiEEZNS1_14transform_implILb0ES3_S5_N6thrust23THRUST_200600_302600_NS6detail15normal_iteratorINS8_7pointerIxNS8_11hip_rocprim5par_tENS8_11use_defaultESE_EEEENSA_INSB_IiSD_SE_SE_EEEEZNS1_13binary_searchIS3_S5_NSA_INS8_10device_ptrIxEEEESG_SI_NS1_16binary_search_opENS9_16wrapped_functionINS8_6system6detail7generic6detail18binary_search_lessEbEEEE10hipError_tPvRmT1_T2_T3_mmT4_T5_P12ihipStream_tbEUlRKxE_EESV_SZ_S10_mS11_S14_bEUlT_E_NS1_11comp_targetILNS1_3genE5ELNS1_11target_archE942ELNS1_3gpuE9ELNS1_3repE0EEENS1_30default_config_static_selectorELNS0_4arch9wavefront6targetE0EEEvSY_.kd
    .uniform_work_group_size: 1
    .uses_dynamic_stack: false
    .vgpr_count:     0
    .vgpr_spill_count: 0
    .wavefront_size: 32
    .workgroup_processor_mode: 1
  - .args:
      - .offset:         0
        .size:           56
        .value_kind:     by_value
    .group_segment_fixed_size: 0
    .kernarg_segment_align: 8
    .kernarg_segment_size: 56
    .language:       OpenCL C
    .language_version:
      - 2
      - 0
    .max_flat_workgroup_size: 64
    .name:           _ZN7rocprim17ROCPRIM_400000_NS6detail17trampoline_kernelINS0_14default_configENS1_29binary_search_config_selectorIxiEEZNS1_14transform_implILb0ES3_S5_N6thrust23THRUST_200600_302600_NS6detail15normal_iteratorINS8_7pointerIxNS8_11hip_rocprim5par_tENS8_11use_defaultESE_EEEENSA_INSB_IiSD_SE_SE_EEEEZNS1_13binary_searchIS3_S5_NSA_INS8_10device_ptrIxEEEESG_SI_NS1_16binary_search_opENS9_16wrapped_functionINS8_6system6detail7generic6detail18binary_search_lessEbEEEE10hipError_tPvRmT1_T2_T3_mmT4_T5_P12ihipStream_tbEUlRKxE_EESV_SZ_S10_mS11_S14_bEUlT_E_NS1_11comp_targetILNS1_3genE4ELNS1_11target_archE910ELNS1_3gpuE8ELNS1_3repE0EEENS1_30default_config_static_selectorELNS0_4arch9wavefront6targetE0EEEvSY_
    .private_segment_fixed_size: 0
    .sgpr_count:     0
    .sgpr_spill_count: 0
    .symbol:         _ZN7rocprim17ROCPRIM_400000_NS6detail17trampoline_kernelINS0_14default_configENS1_29binary_search_config_selectorIxiEEZNS1_14transform_implILb0ES3_S5_N6thrust23THRUST_200600_302600_NS6detail15normal_iteratorINS8_7pointerIxNS8_11hip_rocprim5par_tENS8_11use_defaultESE_EEEENSA_INSB_IiSD_SE_SE_EEEEZNS1_13binary_searchIS3_S5_NSA_INS8_10device_ptrIxEEEESG_SI_NS1_16binary_search_opENS9_16wrapped_functionINS8_6system6detail7generic6detail18binary_search_lessEbEEEE10hipError_tPvRmT1_T2_T3_mmT4_T5_P12ihipStream_tbEUlRKxE_EESV_SZ_S10_mS11_S14_bEUlT_E_NS1_11comp_targetILNS1_3genE4ELNS1_11target_archE910ELNS1_3gpuE8ELNS1_3repE0EEENS1_30default_config_static_selectorELNS0_4arch9wavefront6targetE0EEEvSY_.kd
    .uniform_work_group_size: 1
    .uses_dynamic_stack: false
    .vgpr_count:     0
    .vgpr_spill_count: 0
    .wavefront_size: 32
    .workgroup_processor_mode: 1
  - .args:
      - .offset:         0
        .size:           56
        .value_kind:     by_value
    .group_segment_fixed_size: 0
    .kernarg_segment_align: 8
    .kernarg_segment_size: 56
    .language:       OpenCL C
    .language_version:
      - 2
      - 0
    .max_flat_workgroup_size: 256
    .name:           _ZN7rocprim17ROCPRIM_400000_NS6detail17trampoline_kernelINS0_14default_configENS1_29binary_search_config_selectorIxiEEZNS1_14transform_implILb0ES3_S5_N6thrust23THRUST_200600_302600_NS6detail15normal_iteratorINS8_7pointerIxNS8_11hip_rocprim5par_tENS8_11use_defaultESE_EEEENSA_INSB_IiSD_SE_SE_EEEEZNS1_13binary_searchIS3_S5_NSA_INS8_10device_ptrIxEEEESG_SI_NS1_16binary_search_opENS9_16wrapped_functionINS8_6system6detail7generic6detail18binary_search_lessEbEEEE10hipError_tPvRmT1_T2_T3_mmT4_T5_P12ihipStream_tbEUlRKxE_EESV_SZ_S10_mS11_S14_bEUlT_E_NS1_11comp_targetILNS1_3genE3ELNS1_11target_archE908ELNS1_3gpuE7ELNS1_3repE0EEENS1_30default_config_static_selectorELNS0_4arch9wavefront6targetE0EEEvSY_
    .private_segment_fixed_size: 0
    .sgpr_count:     0
    .sgpr_spill_count: 0
    .symbol:         _ZN7rocprim17ROCPRIM_400000_NS6detail17trampoline_kernelINS0_14default_configENS1_29binary_search_config_selectorIxiEEZNS1_14transform_implILb0ES3_S5_N6thrust23THRUST_200600_302600_NS6detail15normal_iteratorINS8_7pointerIxNS8_11hip_rocprim5par_tENS8_11use_defaultESE_EEEENSA_INSB_IiSD_SE_SE_EEEEZNS1_13binary_searchIS3_S5_NSA_INS8_10device_ptrIxEEEESG_SI_NS1_16binary_search_opENS9_16wrapped_functionINS8_6system6detail7generic6detail18binary_search_lessEbEEEE10hipError_tPvRmT1_T2_T3_mmT4_T5_P12ihipStream_tbEUlRKxE_EESV_SZ_S10_mS11_S14_bEUlT_E_NS1_11comp_targetILNS1_3genE3ELNS1_11target_archE908ELNS1_3gpuE7ELNS1_3repE0EEENS1_30default_config_static_selectorELNS0_4arch9wavefront6targetE0EEEvSY_.kd
    .uniform_work_group_size: 1
    .uses_dynamic_stack: false
    .vgpr_count:     0
    .vgpr_spill_count: 0
    .wavefront_size: 32
    .workgroup_processor_mode: 1
  - .args:
      - .offset:         0
        .size:           56
        .value_kind:     by_value
    .group_segment_fixed_size: 0
    .kernarg_segment_align: 8
    .kernarg_segment_size: 56
    .language:       OpenCL C
    .language_version:
      - 2
      - 0
    .max_flat_workgroup_size: 256
    .name:           _ZN7rocprim17ROCPRIM_400000_NS6detail17trampoline_kernelINS0_14default_configENS1_29binary_search_config_selectorIxiEEZNS1_14transform_implILb0ES3_S5_N6thrust23THRUST_200600_302600_NS6detail15normal_iteratorINS8_7pointerIxNS8_11hip_rocprim5par_tENS8_11use_defaultESE_EEEENSA_INSB_IiSD_SE_SE_EEEEZNS1_13binary_searchIS3_S5_NSA_INS8_10device_ptrIxEEEESG_SI_NS1_16binary_search_opENS9_16wrapped_functionINS8_6system6detail7generic6detail18binary_search_lessEbEEEE10hipError_tPvRmT1_T2_T3_mmT4_T5_P12ihipStream_tbEUlRKxE_EESV_SZ_S10_mS11_S14_bEUlT_E_NS1_11comp_targetILNS1_3genE2ELNS1_11target_archE906ELNS1_3gpuE6ELNS1_3repE0EEENS1_30default_config_static_selectorELNS0_4arch9wavefront6targetE0EEEvSY_
    .private_segment_fixed_size: 0
    .sgpr_count:     0
    .sgpr_spill_count: 0
    .symbol:         _ZN7rocprim17ROCPRIM_400000_NS6detail17trampoline_kernelINS0_14default_configENS1_29binary_search_config_selectorIxiEEZNS1_14transform_implILb0ES3_S5_N6thrust23THRUST_200600_302600_NS6detail15normal_iteratorINS8_7pointerIxNS8_11hip_rocprim5par_tENS8_11use_defaultESE_EEEENSA_INSB_IiSD_SE_SE_EEEEZNS1_13binary_searchIS3_S5_NSA_INS8_10device_ptrIxEEEESG_SI_NS1_16binary_search_opENS9_16wrapped_functionINS8_6system6detail7generic6detail18binary_search_lessEbEEEE10hipError_tPvRmT1_T2_T3_mmT4_T5_P12ihipStream_tbEUlRKxE_EESV_SZ_S10_mS11_S14_bEUlT_E_NS1_11comp_targetILNS1_3genE2ELNS1_11target_archE906ELNS1_3gpuE6ELNS1_3repE0EEENS1_30default_config_static_selectorELNS0_4arch9wavefront6targetE0EEEvSY_.kd
    .uniform_work_group_size: 1
    .uses_dynamic_stack: false
    .vgpr_count:     0
    .vgpr_spill_count: 0
    .wavefront_size: 32
    .workgroup_processor_mode: 1
  - .args:
      - .offset:         0
        .size:           56
        .value_kind:     by_value
    .group_segment_fixed_size: 0
    .kernarg_segment_align: 8
    .kernarg_segment_size: 56
    .language:       OpenCL C
    .language_version:
      - 2
      - 0
    .max_flat_workgroup_size: 128
    .name:           _ZN7rocprim17ROCPRIM_400000_NS6detail17trampoline_kernelINS0_14default_configENS1_29binary_search_config_selectorIxiEEZNS1_14transform_implILb0ES3_S5_N6thrust23THRUST_200600_302600_NS6detail15normal_iteratorINS8_7pointerIxNS8_11hip_rocprim5par_tENS8_11use_defaultESE_EEEENSA_INSB_IiSD_SE_SE_EEEEZNS1_13binary_searchIS3_S5_NSA_INS8_10device_ptrIxEEEESG_SI_NS1_16binary_search_opENS9_16wrapped_functionINS8_6system6detail7generic6detail18binary_search_lessEbEEEE10hipError_tPvRmT1_T2_T3_mmT4_T5_P12ihipStream_tbEUlRKxE_EESV_SZ_S10_mS11_S14_bEUlT_E_NS1_11comp_targetILNS1_3genE10ELNS1_11target_archE1201ELNS1_3gpuE5ELNS1_3repE0EEENS1_30default_config_static_selectorELNS0_4arch9wavefront6targetE0EEEvSY_
    .private_segment_fixed_size: 0
    .sgpr_count:     0
    .sgpr_spill_count: 0
    .symbol:         _ZN7rocprim17ROCPRIM_400000_NS6detail17trampoline_kernelINS0_14default_configENS1_29binary_search_config_selectorIxiEEZNS1_14transform_implILb0ES3_S5_N6thrust23THRUST_200600_302600_NS6detail15normal_iteratorINS8_7pointerIxNS8_11hip_rocprim5par_tENS8_11use_defaultESE_EEEENSA_INSB_IiSD_SE_SE_EEEEZNS1_13binary_searchIS3_S5_NSA_INS8_10device_ptrIxEEEESG_SI_NS1_16binary_search_opENS9_16wrapped_functionINS8_6system6detail7generic6detail18binary_search_lessEbEEEE10hipError_tPvRmT1_T2_T3_mmT4_T5_P12ihipStream_tbEUlRKxE_EESV_SZ_S10_mS11_S14_bEUlT_E_NS1_11comp_targetILNS1_3genE10ELNS1_11target_archE1201ELNS1_3gpuE5ELNS1_3repE0EEENS1_30default_config_static_selectorELNS0_4arch9wavefront6targetE0EEEvSY_.kd
    .uniform_work_group_size: 1
    .uses_dynamic_stack: false
    .vgpr_count:     0
    .vgpr_spill_count: 0
    .wavefront_size: 32
    .workgroup_processor_mode: 1
  - .args:
      - .offset:         0
        .size:           56
        .value_kind:     by_value
    .group_segment_fixed_size: 0
    .kernarg_segment_align: 8
    .kernarg_segment_size: 56
    .language:       OpenCL C
    .language_version:
      - 2
      - 0
    .max_flat_workgroup_size: 128
    .name:           _ZN7rocprim17ROCPRIM_400000_NS6detail17trampoline_kernelINS0_14default_configENS1_29binary_search_config_selectorIxiEEZNS1_14transform_implILb0ES3_S5_N6thrust23THRUST_200600_302600_NS6detail15normal_iteratorINS8_7pointerIxNS8_11hip_rocprim5par_tENS8_11use_defaultESE_EEEENSA_INSB_IiSD_SE_SE_EEEEZNS1_13binary_searchIS3_S5_NSA_INS8_10device_ptrIxEEEESG_SI_NS1_16binary_search_opENS9_16wrapped_functionINS8_6system6detail7generic6detail18binary_search_lessEbEEEE10hipError_tPvRmT1_T2_T3_mmT4_T5_P12ihipStream_tbEUlRKxE_EESV_SZ_S10_mS11_S14_bEUlT_E_NS1_11comp_targetILNS1_3genE10ELNS1_11target_archE1200ELNS1_3gpuE4ELNS1_3repE0EEENS1_30default_config_static_selectorELNS0_4arch9wavefront6targetE0EEEvSY_
    .private_segment_fixed_size: 0
    .sgpr_count:     0
    .sgpr_spill_count: 0
    .symbol:         _ZN7rocprim17ROCPRIM_400000_NS6detail17trampoline_kernelINS0_14default_configENS1_29binary_search_config_selectorIxiEEZNS1_14transform_implILb0ES3_S5_N6thrust23THRUST_200600_302600_NS6detail15normal_iteratorINS8_7pointerIxNS8_11hip_rocprim5par_tENS8_11use_defaultESE_EEEENSA_INSB_IiSD_SE_SE_EEEEZNS1_13binary_searchIS3_S5_NSA_INS8_10device_ptrIxEEEESG_SI_NS1_16binary_search_opENS9_16wrapped_functionINS8_6system6detail7generic6detail18binary_search_lessEbEEEE10hipError_tPvRmT1_T2_T3_mmT4_T5_P12ihipStream_tbEUlRKxE_EESV_SZ_S10_mS11_S14_bEUlT_E_NS1_11comp_targetILNS1_3genE10ELNS1_11target_archE1200ELNS1_3gpuE4ELNS1_3repE0EEENS1_30default_config_static_selectorELNS0_4arch9wavefront6targetE0EEEvSY_.kd
    .uniform_work_group_size: 1
    .uses_dynamic_stack: false
    .vgpr_count:     0
    .vgpr_spill_count: 0
    .wavefront_size: 32
    .workgroup_processor_mode: 1
  - .args:
      - .offset:         0
        .size:           56
        .value_kind:     by_value
    .group_segment_fixed_size: 0
    .kernarg_segment_align: 8
    .kernarg_segment_size: 56
    .language:       OpenCL C
    .language_version:
      - 2
      - 0
    .max_flat_workgroup_size: 256
    .name:           _ZN7rocprim17ROCPRIM_400000_NS6detail17trampoline_kernelINS0_14default_configENS1_29binary_search_config_selectorIxiEEZNS1_14transform_implILb0ES3_S5_N6thrust23THRUST_200600_302600_NS6detail15normal_iteratorINS8_7pointerIxNS8_11hip_rocprim5par_tENS8_11use_defaultESE_EEEENSA_INSB_IiSD_SE_SE_EEEEZNS1_13binary_searchIS3_S5_NSA_INS8_10device_ptrIxEEEESG_SI_NS1_16binary_search_opENS9_16wrapped_functionINS8_6system6detail7generic6detail18binary_search_lessEbEEEE10hipError_tPvRmT1_T2_T3_mmT4_T5_P12ihipStream_tbEUlRKxE_EESV_SZ_S10_mS11_S14_bEUlT_E_NS1_11comp_targetILNS1_3genE9ELNS1_11target_archE1100ELNS1_3gpuE3ELNS1_3repE0EEENS1_30default_config_static_selectorELNS0_4arch9wavefront6targetE0EEEvSY_
    .private_segment_fixed_size: 0
    .sgpr_count:     0
    .sgpr_spill_count: 0
    .symbol:         _ZN7rocprim17ROCPRIM_400000_NS6detail17trampoline_kernelINS0_14default_configENS1_29binary_search_config_selectorIxiEEZNS1_14transform_implILb0ES3_S5_N6thrust23THRUST_200600_302600_NS6detail15normal_iteratorINS8_7pointerIxNS8_11hip_rocprim5par_tENS8_11use_defaultESE_EEEENSA_INSB_IiSD_SE_SE_EEEEZNS1_13binary_searchIS3_S5_NSA_INS8_10device_ptrIxEEEESG_SI_NS1_16binary_search_opENS9_16wrapped_functionINS8_6system6detail7generic6detail18binary_search_lessEbEEEE10hipError_tPvRmT1_T2_T3_mmT4_T5_P12ihipStream_tbEUlRKxE_EESV_SZ_S10_mS11_S14_bEUlT_E_NS1_11comp_targetILNS1_3genE9ELNS1_11target_archE1100ELNS1_3gpuE3ELNS1_3repE0EEENS1_30default_config_static_selectorELNS0_4arch9wavefront6targetE0EEEvSY_.kd
    .uniform_work_group_size: 1
    .uses_dynamic_stack: false
    .vgpr_count:     0
    .vgpr_spill_count: 0
    .wavefront_size: 32
    .workgroup_processor_mode: 1
  - .args:
      - .offset:         0
        .size:           56
        .value_kind:     by_value
      - .offset:         56
        .size:           4
        .value_kind:     hidden_block_count_x
      - .offset:         60
        .size:           4
        .value_kind:     hidden_block_count_y
      - .offset:         64
        .size:           4
        .value_kind:     hidden_block_count_z
      - .offset:         68
        .size:           2
        .value_kind:     hidden_group_size_x
      - .offset:         70
        .size:           2
        .value_kind:     hidden_group_size_y
      - .offset:         72
        .size:           2
        .value_kind:     hidden_group_size_z
      - .offset:         74
        .size:           2
        .value_kind:     hidden_remainder_x
      - .offset:         76
        .size:           2
        .value_kind:     hidden_remainder_y
      - .offset:         78
        .size:           2
        .value_kind:     hidden_remainder_z
      - .offset:         96
        .size:           8
        .value_kind:     hidden_global_offset_x
      - .offset:         104
        .size:           8
        .value_kind:     hidden_global_offset_y
      - .offset:         112
        .size:           8
        .value_kind:     hidden_global_offset_z
      - .offset:         120
        .size:           2
        .value_kind:     hidden_grid_dims
    .group_segment_fixed_size: 0
    .kernarg_segment_align: 8
    .kernarg_segment_size: 312
    .language:       OpenCL C
    .language_version:
      - 2
      - 0
    .max_flat_workgroup_size: 256
    .name:           _ZN7rocprim17ROCPRIM_400000_NS6detail17trampoline_kernelINS0_14default_configENS1_29binary_search_config_selectorIxiEEZNS1_14transform_implILb0ES3_S5_N6thrust23THRUST_200600_302600_NS6detail15normal_iteratorINS8_7pointerIxNS8_11hip_rocprim5par_tENS8_11use_defaultESE_EEEENSA_INSB_IiSD_SE_SE_EEEEZNS1_13binary_searchIS3_S5_NSA_INS8_10device_ptrIxEEEESG_SI_NS1_16binary_search_opENS9_16wrapped_functionINS8_6system6detail7generic6detail18binary_search_lessEbEEEE10hipError_tPvRmT1_T2_T3_mmT4_T5_P12ihipStream_tbEUlRKxE_EESV_SZ_S10_mS11_S14_bEUlT_E_NS1_11comp_targetILNS1_3genE8ELNS1_11target_archE1030ELNS1_3gpuE2ELNS1_3repE0EEENS1_30default_config_static_selectorELNS0_4arch9wavefront6targetE0EEEvSY_
    .private_segment_fixed_size: 0
    .sgpr_count:     22
    .sgpr_spill_count: 0
    .symbol:         _ZN7rocprim17ROCPRIM_400000_NS6detail17trampoline_kernelINS0_14default_configENS1_29binary_search_config_selectorIxiEEZNS1_14transform_implILb0ES3_S5_N6thrust23THRUST_200600_302600_NS6detail15normal_iteratorINS8_7pointerIxNS8_11hip_rocprim5par_tENS8_11use_defaultESE_EEEENSA_INSB_IiSD_SE_SE_EEEEZNS1_13binary_searchIS3_S5_NSA_INS8_10device_ptrIxEEEESG_SI_NS1_16binary_search_opENS9_16wrapped_functionINS8_6system6detail7generic6detail18binary_search_lessEbEEEE10hipError_tPvRmT1_T2_T3_mmT4_T5_P12ihipStream_tbEUlRKxE_EESV_SZ_S10_mS11_S14_bEUlT_E_NS1_11comp_targetILNS1_3genE8ELNS1_11target_archE1030ELNS1_3gpuE2ELNS1_3repE0EEENS1_30default_config_static_selectorELNS0_4arch9wavefront6targetE0EEEvSY_.kd
    .uniform_work_group_size: 1
    .uses_dynamic_stack: false
    .vgpr_count:     13
    .vgpr_spill_count: 0
    .wavefront_size: 32
    .workgroup_processor_mode: 1
  - .args:
      - .offset:         0
        .size:           56
        .value_kind:     by_value
    .group_segment_fixed_size: 0
    .kernarg_segment_align: 8
    .kernarg_segment_size: 56
    .language:       OpenCL C
    .language_version:
      - 2
      - 0
    .max_flat_workgroup_size: 256
    .name:           _ZN7rocprim17ROCPRIM_400000_NS6detail17trampoline_kernelINS0_14default_configENS1_29binary_search_config_selectorIiiEEZNS1_14transform_implILb0ES3_S5_N6thrust23THRUST_200600_302600_NS6detail15normal_iteratorINS8_7pointerIiNS8_11hip_rocprim12par_nosync_tENS8_11use_defaultESE_EEEESG_ZNS1_13binary_searchIS3_S5_NSA_INS8_10device_ptrIiEEEESG_SG_NS1_16binary_search_opENS9_16wrapped_functionINS8_6system6detail7generic6detail18binary_search_lessEbEEEE10hipError_tPvRmT1_T2_T3_mmT4_T5_P12ihipStream_tbEUlRKiE_EEST_SX_SY_mSZ_S12_bEUlT_E_NS1_11comp_targetILNS1_3genE0ELNS1_11target_archE4294967295ELNS1_3gpuE0ELNS1_3repE0EEENS1_30default_config_static_selectorELNS0_4arch9wavefront6targetE0EEEvSW_
    .private_segment_fixed_size: 0
    .sgpr_count:     0
    .sgpr_spill_count: 0
    .symbol:         _ZN7rocprim17ROCPRIM_400000_NS6detail17trampoline_kernelINS0_14default_configENS1_29binary_search_config_selectorIiiEEZNS1_14transform_implILb0ES3_S5_N6thrust23THRUST_200600_302600_NS6detail15normal_iteratorINS8_7pointerIiNS8_11hip_rocprim12par_nosync_tENS8_11use_defaultESE_EEEESG_ZNS1_13binary_searchIS3_S5_NSA_INS8_10device_ptrIiEEEESG_SG_NS1_16binary_search_opENS9_16wrapped_functionINS8_6system6detail7generic6detail18binary_search_lessEbEEEE10hipError_tPvRmT1_T2_T3_mmT4_T5_P12ihipStream_tbEUlRKiE_EEST_SX_SY_mSZ_S12_bEUlT_E_NS1_11comp_targetILNS1_3genE0ELNS1_11target_archE4294967295ELNS1_3gpuE0ELNS1_3repE0EEENS1_30default_config_static_selectorELNS0_4arch9wavefront6targetE0EEEvSW_.kd
    .uniform_work_group_size: 1
    .uses_dynamic_stack: false
    .vgpr_count:     0
    .vgpr_spill_count: 0
    .wavefront_size: 32
    .workgroup_processor_mode: 1
  - .args:
      - .offset:         0
        .size:           56
        .value_kind:     by_value
    .group_segment_fixed_size: 0
    .kernarg_segment_align: 8
    .kernarg_segment_size: 56
    .language:       OpenCL C
    .language_version:
      - 2
      - 0
    .max_flat_workgroup_size: 256
    .name:           _ZN7rocprim17ROCPRIM_400000_NS6detail17trampoline_kernelINS0_14default_configENS1_29binary_search_config_selectorIiiEEZNS1_14transform_implILb0ES3_S5_N6thrust23THRUST_200600_302600_NS6detail15normal_iteratorINS8_7pointerIiNS8_11hip_rocprim12par_nosync_tENS8_11use_defaultESE_EEEESG_ZNS1_13binary_searchIS3_S5_NSA_INS8_10device_ptrIiEEEESG_SG_NS1_16binary_search_opENS9_16wrapped_functionINS8_6system6detail7generic6detail18binary_search_lessEbEEEE10hipError_tPvRmT1_T2_T3_mmT4_T5_P12ihipStream_tbEUlRKiE_EEST_SX_SY_mSZ_S12_bEUlT_E_NS1_11comp_targetILNS1_3genE5ELNS1_11target_archE942ELNS1_3gpuE9ELNS1_3repE0EEENS1_30default_config_static_selectorELNS0_4arch9wavefront6targetE0EEEvSW_
    .private_segment_fixed_size: 0
    .sgpr_count:     0
    .sgpr_spill_count: 0
    .symbol:         _ZN7rocprim17ROCPRIM_400000_NS6detail17trampoline_kernelINS0_14default_configENS1_29binary_search_config_selectorIiiEEZNS1_14transform_implILb0ES3_S5_N6thrust23THRUST_200600_302600_NS6detail15normal_iteratorINS8_7pointerIiNS8_11hip_rocprim12par_nosync_tENS8_11use_defaultESE_EEEESG_ZNS1_13binary_searchIS3_S5_NSA_INS8_10device_ptrIiEEEESG_SG_NS1_16binary_search_opENS9_16wrapped_functionINS8_6system6detail7generic6detail18binary_search_lessEbEEEE10hipError_tPvRmT1_T2_T3_mmT4_T5_P12ihipStream_tbEUlRKiE_EEST_SX_SY_mSZ_S12_bEUlT_E_NS1_11comp_targetILNS1_3genE5ELNS1_11target_archE942ELNS1_3gpuE9ELNS1_3repE0EEENS1_30default_config_static_selectorELNS0_4arch9wavefront6targetE0EEEvSW_.kd
    .uniform_work_group_size: 1
    .uses_dynamic_stack: false
    .vgpr_count:     0
    .vgpr_spill_count: 0
    .wavefront_size: 32
    .workgroup_processor_mode: 1
  - .args:
      - .offset:         0
        .size:           56
        .value_kind:     by_value
    .group_segment_fixed_size: 0
    .kernarg_segment_align: 8
    .kernarg_segment_size: 56
    .language:       OpenCL C
    .language_version:
      - 2
      - 0
    .max_flat_workgroup_size: 256
    .name:           _ZN7rocprim17ROCPRIM_400000_NS6detail17trampoline_kernelINS0_14default_configENS1_29binary_search_config_selectorIiiEEZNS1_14transform_implILb0ES3_S5_N6thrust23THRUST_200600_302600_NS6detail15normal_iteratorINS8_7pointerIiNS8_11hip_rocprim12par_nosync_tENS8_11use_defaultESE_EEEESG_ZNS1_13binary_searchIS3_S5_NSA_INS8_10device_ptrIiEEEESG_SG_NS1_16binary_search_opENS9_16wrapped_functionINS8_6system6detail7generic6detail18binary_search_lessEbEEEE10hipError_tPvRmT1_T2_T3_mmT4_T5_P12ihipStream_tbEUlRKiE_EEST_SX_SY_mSZ_S12_bEUlT_E_NS1_11comp_targetILNS1_3genE4ELNS1_11target_archE910ELNS1_3gpuE8ELNS1_3repE0EEENS1_30default_config_static_selectorELNS0_4arch9wavefront6targetE0EEEvSW_
    .private_segment_fixed_size: 0
    .sgpr_count:     0
    .sgpr_spill_count: 0
    .symbol:         _ZN7rocprim17ROCPRIM_400000_NS6detail17trampoline_kernelINS0_14default_configENS1_29binary_search_config_selectorIiiEEZNS1_14transform_implILb0ES3_S5_N6thrust23THRUST_200600_302600_NS6detail15normal_iteratorINS8_7pointerIiNS8_11hip_rocprim12par_nosync_tENS8_11use_defaultESE_EEEESG_ZNS1_13binary_searchIS3_S5_NSA_INS8_10device_ptrIiEEEESG_SG_NS1_16binary_search_opENS9_16wrapped_functionINS8_6system6detail7generic6detail18binary_search_lessEbEEEE10hipError_tPvRmT1_T2_T3_mmT4_T5_P12ihipStream_tbEUlRKiE_EEST_SX_SY_mSZ_S12_bEUlT_E_NS1_11comp_targetILNS1_3genE4ELNS1_11target_archE910ELNS1_3gpuE8ELNS1_3repE0EEENS1_30default_config_static_selectorELNS0_4arch9wavefront6targetE0EEEvSW_.kd
    .uniform_work_group_size: 1
    .uses_dynamic_stack: false
    .vgpr_count:     0
    .vgpr_spill_count: 0
    .wavefront_size: 32
    .workgroup_processor_mode: 1
  - .args:
      - .offset:         0
        .size:           56
        .value_kind:     by_value
    .group_segment_fixed_size: 0
    .kernarg_segment_align: 8
    .kernarg_segment_size: 56
    .language:       OpenCL C
    .language_version:
      - 2
      - 0
    .max_flat_workgroup_size: 256
    .name:           _ZN7rocprim17ROCPRIM_400000_NS6detail17trampoline_kernelINS0_14default_configENS1_29binary_search_config_selectorIiiEEZNS1_14transform_implILb0ES3_S5_N6thrust23THRUST_200600_302600_NS6detail15normal_iteratorINS8_7pointerIiNS8_11hip_rocprim12par_nosync_tENS8_11use_defaultESE_EEEESG_ZNS1_13binary_searchIS3_S5_NSA_INS8_10device_ptrIiEEEESG_SG_NS1_16binary_search_opENS9_16wrapped_functionINS8_6system6detail7generic6detail18binary_search_lessEbEEEE10hipError_tPvRmT1_T2_T3_mmT4_T5_P12ihipStream_tbEUlRKiE_EEST_SX_SY_mSZ_S12_bEUlT_E_NS1_11comp_targetILNS1_3genE3ELNS1_11target_archE908ELNS1_3gpuE7ELNS1_3repE0EEENS1_30default_config_static_selectorELNS0_4arch9wavefront6targetE0EEEvSW_
    .private_segment_fixed_size: 0
    .sgpr_count:     0
    .sgpr_spill_count: 0
    .symbol:         _ZN7rocprim17ROCPRIM_400000_NS6detail17trampoline_kernelINS0_14default_configENS1_29binary_search_config_selectorIiiEEZNS1_14transform_implILb0ES3_S5_N6thrust23THRUST_200600_302600_NS6detail15normal_iteratorINS8_7pointerIiNS8_11hip_rocprim12par_nosync_tENS8_11use_defaultESE_EEEESG_ZNS1_13binary_searchIS3_S5_NSA_INS8_10device_ptrIiEEEESG_SG_NS1_16binary_search_opENS9_16wrapped_functionINS8_6system6detail7generic6detail18binary_search_lessEbEEEE10hipError_tPvRmT1_T2_T3_mmT4_T5_P12ihipStream_tbEUlRKiE_EEST_SX_SY_mSZ_S12_bEUlT_E_NS1_11comp_targetILNS1_3genE3ELNS1_11target_archE908ELNS1_3gpuE7ELNS1_3repE0EEENS1_30default_config_static_selectorELNS0_4arch9wavefront6targetE0EEEvSW_.kd
    .uniform_work_group_size: 1
    .uses_dynamic_stack: false
    .vgpr_count:     0
    .vgpr_spill_count: 0
    .wavefront_size: 32
    .workgroup_processor_mode: 1
  - .args:
      - .offset:         0
        .size:           56
        .value_kind:     by_value
    .group_segment_fixed_size: 0
    .kernarg_segment_align: 8
    .kernarg_segment_size: 56
    .language:       OpenCL C
    .language_version:
      - 2
      - 0
    .max_flat_workgroup_size: 256
    .name:           _ZN7rocprim17ROCPRIM_400000_NS6detail17trampoline_kernelINS0_14default_configENS1_29binary_search_config_selectorIiiEEZNS1_14transform_implILb0ES3_S5_N6thrust23THRUST_200600_302600_NS6detail15normal_iteratorINS8_7pointerIiNS8_11hip_rocprim12par_nosync_tENS8_11use_defaultESE_EEEESG_ZNS1_13binary_searchIS3_S5_NSA_INS8_10device_ptrIiEEEESG_SG_NS1_16binary_search_opENS9_16wrapped_functionINS8_6system6detail7generic6detail18binary_search_lessEbEEEE10hipError_tPvRmT1_T2_T3_mmT4_T5_P12ihipStream_tbEUlRKiE_EEST_SX_SY_mSZ_S12_bEUlT_E_NS1_11comp_targetILNS1_3genE2ELNS1_11target_archE906ELNS1_3gpuE6ELNS1_3repE0EEENS1_30default_config_static_selectorELNS0_4arch9wavefront6targetE0EEEvSW_
    .private_segment_fixed_size: 0
    .sgpr_count:     0
    .sgpr_spill_count: 0
    .symbol:         _ZN7rocprim17ROCPRIM_400000_NS6detail17trampoline_kernelINS0_14default_configENS1_29binary_search_config_selectorIiiEEZNS1_14transform_implILb0ES3_S5_N6thrust23THRUST_200600_302600_NS6detail15normal_iteratorINS8_7pointerIiNS8_11hip_rocprim12par_nosync_tENS8_11use_defaultESE_EEEESG_ZNS1_13binary_searchIS3_S5_NSA_INS8_10device_ptrIiEEEESG_SG_NS1_16binary_search_opENS9_16wrapped_functionINS8_6system6detail7generic6detail18binary_search_lessEbEEEE10hipError_tPvRmT1_T2_T3_mmT4_T5_P12ihipStream_tbEUlRKiE_EEST_SX_SY_mSZ_S12_bEUlT_E_NS1_11comp_targetILNS1_3genE2ELNS1_11target_archE906ELNS1_3gpuE6ELNS1_3repE0EEENS1_30default_config_static_selectorELNS0_4arch9wavefront6targetE0EEEvSW_.kd
    .uniform_work_group_size: 1
    .uses_dynamic_stack: false
    .vgpr_count:     0
    .vgpr_spill_count: 0
    .wavefront_size: 32
    .workgroup_processor_mode: 1
  - .args:
      - .offset:         0
        .size:           56
        .value_kind:     by_value
    .group_segment_fixed_size: 0
    .kernarg_segment_align: 8
    .kernarg_segment_size: 56
    .language:       OpenCL C
    .language_version:
      - 2
      - 0
    .max_flat_workgroup_size: 128
    .name:           _ZN7rocprim17ROCPRIM_400000_NS6detail17trampoline_kernelINS0_14default_configENS1_29binary_search_config_selectorIiiEEZNS1_14transform_implILb0ES3_S5_N6thrust23THRUST_200600_302600_NS6detail15normal_iteratorINS8_7pointerIiNS8_11hip_rocprim12par_nosync_tENS8_11use_defaultESE_EEEESG_ZNS1_13binary_searchIS3_S5_NSA_INS8_10device_ptrIiEEEESG_SG_NS1_16binary_search_opENS9_16wrapped_functionINS8_6system6detail7generic6detail18binary_search_lessEbEEEE10hipError_tPvRmT1_T2_T3_mmT4_T5_P12ihipStream_tbEUlRKiE_EEST_SX_SY_mSZ_S12_bEUlT_E_NS1_11comp_targetILNS1_3genE10ELNS1_11target_archE1201ELNS1_3gpuE5ELNS1_3repE0EEENS1_30default_config_static_selectorELNS0_4arch9wavefront6targetE0EEEvSW_
    .private_segment_fixed_size: 0
    .sgpr_count:     0
    .sgpr_spill_count: 0
    .symbol:         _ZN7rocprim17ROCPRIM_400000_NS6detail17trampoline_kernelINS0_14default_configENS1_29binary_search_config_selectorIiiEEZNS1_14transform_implILb0ES3_S5_N6thrust23THRUST_200600_302600_NS6detail15normal_iteratorINS8_7pointerIiNS8_11hip_rocprim12par_nosync_tENS8_11use_defaultESE_EEEESG_ZNS1_13binary_searchIS3_S5_NSA_INS8_10device_ptrIiEEEESG_SG_NS1_16binary_search_opENS9_16wrapped_functionINS8_6system6detail7generic6detail18binary_search_lessEbEEEE10hipError_tPvRmT1_T2_T3_mmT4_T5_P12ihipStream_tbEUlRKiE_EEST_SX_SY_mSZ_S12_bEUlT_E_NS1_11comp_targetILNS1_3genE10ELNS1_11target_archE1201ELNS1_3gpuE5ELNS1_3repE0EEENS1_30default_config_static_selectorELNS0_4arch9wavefront6targetE0EEEvSW_.kd
    .uniform_work_group_size: 1
    .uses_dynamic_stack: false
    .vgpr_count:     0
    .vgpr_spill_count: 0
    .wavefront_size: 32
    .workgroup_processor_mode: 1
  - .args:
      - .offset:         0
        .size:           56
        .value_kind:     by_value
    .group_segment_fixed_size: 0
    .kernarg_segment_align: 8
    .kernarg_segment_size: 56
    .language:       OpenCL C
    .language_version:
      - 2
      - 0
    .max_flat_workgroup_size: 128
    .name:           _ZN7rocprim17ROCPRIM_400000_NS6detail17trampoline_kernelINS0_14default_configENS1_29binary_search_config_selectorIiiEEZNS1_14transform_implILb0ES3_S5_N6thrust23THRUST_200600_302600_NS6detail15normal_iteratorINS8_7pointerIiNS8_11hip_rocprim12par_nosync_tENS8_11use_defaultESE_EEEESG_ZNS1_13binary_searchIS3_S5_NSA_INS8_10device_ptrIiEEEESG_SG_NS1_16binary_search_opENS9_16wrapped_functionINS8_6system6detail7generic6detail18binary_search_lessEbEEEE10hipError_tPvRmT1_T2_T3_mmT4_T5_P12ihipStream_tbEUlRKiE_EEST_SX_SY_mSZ_S12_bEUlT_E_NS1_11comp_targetILNS1_3genE10ELNS1_11target_archE1200ELNS1_3gpuE4ELNS1_3repE0EEENS1_30default_config_static_selectorELNS0_4arch9wavefront6targetE0EEEvSW_
    .private_segment_fixed_size: 0
    .sgpr_count:     0
    .sgpr_spill_count: 0
    .symbol:         _ZN7rocprim17ROCPRIM_400000_NS6detail17trampoline_kernelINS0_14default_configENS1_29binary_search_config_selectorIiiEEZNS1_14transform_implILb0ES3_S5_N6thrust23THRUST_200600_302600_NS6detail15normal_iteratorINS8_7pointerIiNS8_11hip_rocprim12par_nosync_tENS8_11use_defaultESE_EEEESG_ZNS1_13binary_searchIS3_S5_NSA_INS8_10device_ptrIiEEEESG_SG_NS1_16binary_search_opENS9_16wrapped_functionINS8_6system6detail7generic6detail18binary_search_lessEbEEEE10hipError_tPvRmT1_T2_T3_mmT4_T5_P12ihipStream_tbEUlRKiE_EEST_SX_SY_mSZ_S12_bEUlT_E_NS1_11comp_targetILNS1_3genE10ELNS1_11target_archE1200ELNS1_3gpuE4ELNS1_3repE0EEENS1_30default_config_static_selectorELNS0_4arch9wavefront6targetE0EEEvSW_.kd
    .uniform_work_group_size: 1
    .uses_dynamic_stack: false
    .vgpr_count:     0
    .vgpr_spill_count: 0
    .wavefront_size: 32
    .workgroup_processor_mode: 1
  - .args:
      - .offset:         0
        .size:           56
        .value_kind:     by_value
    .group_segment_fixed_size: 0
    .kernarg_segment_align: 8
    .kernarg_segment_size: 56
    .language:       OpenCL C
    .language_version:
      - 2
      - 0
    .max_flat_workgroup_size: 256
    .name:           _ZN7rocprim17ROCPRIM_400000_NS6detail17trampoline_kernelINS0_14default_configENS1_29binary_search_config_selectorIiiEEZNS1_14transform_implILb0ES3_S5_N6thrust23THRUST_200600_302600_NS6detail15normal_iteratorINS8_7pointerIiNS8_11hip_rocprim12par_nosync_tENS8_11use_defaultESE_EEEESG_ZNS1_13binary_searchIS3_S5_NSA_INS8_10device_ptrIiEEEESG_SG_NS1_16binary_search_opENS9_16wrapped_functionINS8_6system6detail7generic6detail18binary_search_lessEbEEEE10hipError_tPvRmT1_T2_T3_mmT4_T5_P12ihipStream_tbEUlRKiE_EEST_SX_SY_mSZ_S12_bEUlT_E_NS1_11comp_targetILNS1_3genE9ELNS1_11target_archE1100ELNS1_3gpuE3ELNS1_3repE0EEENS1_30default_config_static_selectorELNS0_4arch9wavefront6targetE0EEEvSW_
    .private_segment_fixed_size: 0
    .sgpr_count:     0
    .sgpr_spill_count: 0
    .symbol:         _ZN7rocprim17ROCPRIM_400000_NS6detail17trampoline_kernelINS0_14default_configENS1_29binary_search_config_selectorIiiEEZNS1_14transform_implILb0ES3_S5_N6thrust23THRUST_200600_302600_NS6detail15normal_iteratorINS8_7pointerIiNS8_11hip_rocprim12par_nosync_tENS8_11use_defaultESE_EEEESG_ZNS1_13binary_searchIS3_S5_NSA_INS8_10device_ptrIiEEEESG_SG_NS1_16binary_search_opENS9_16wrapped_functionINS8_6system6detail7generic6detail18binary_search_lessEbEEEE10hipError_tPvRmT1_T2_T3_mmT4_T5_P12ihipStream_tbEUlRKiE_EEST_SX_SY_mSZ_S12_bEUlT_E_NS1_11comp_targetILNS1_3genE9ELNS1_11target_archE1100ELNS1_3gpuE3ELNS1_3repE0EEENS1_30default_config_static_selectorELNS0_4arch9wavefront6targetE0EEEvSW_.kd
    .uniform_work_group_size: 1
    .uses_dynamic_stack: false
    .vgpr_count:     0
    .vgpr_spill_count: 0
    .wavefront_size: 32
    .workgroup_processor_mode: 1
  - .args:
      - .offset:         0
        .size:           56
        .value_kind:     by_value
      - .offset:         56
        .size:           4
        .value_kind:     hidden_block_count_x
      - .offset:         60
        .size:           4
        .value_kind:     hidden_block_count_y
      - .offset:         64
        .size:           4
        .value_kind:     hidden_block_count_z
      - .offset:         68
        .size:           2
        .value_kind:     hidden_group_size_x
      - .offset:         70
        .size:           2
        .value_kind:     hidden_group_size_y
      - .offset:         72
        .size:           2
        .value_kind:     hidden_group_size_z
      - .offset:         74
        .size:           2
        .value_kind:     hidden_remainder_x
      - .offset:         76
        .size:           2
        .value_kind:     hidden_remainder_y
      - .offset:         78
        .size:           2
        .value_kind:     hidden_remainder_z
      - .offset:         96
        .size:           8
        .value_kind:     hidden_global_offset_x
      - .offset:         104
        .size:           8
        .value_kind:     hidden_global_offset_y
      - .offset:         112
        .size:           8
        .value_kind:     hidden_global_offset_z
      - .offset:         120
        .size:           2
        .value_kind:     hidden_grid_dims
    .group_segment_fixed_size: 0
    .kernarg_segment_align: 8
    .kernarg_segment_size: 312
    .language:       OpenCL C
    .language_version:
      - 2
      - 0
    .max_flat_workgroup_size: 256
    .name:           _ZN7rocprim17ROCPRIM_400000_NS6detail17trampoline_kernelINS0_14default_configENS1_29binary_search_config_selectorIiiEEZNS1_14transform_implILb0ES3_S5_N6thrust23THRUST_200600_302600_NS6detail15normal_iteratorINS8_7pointerIiNS8_11hip_rocprim12par_nosync_tENS8_11use_defaultESE_EEEESG_ZNS1_13binary_searchIS3_S5_NSA_INS8_10device_ptrIiEEEESG_SG_NS1_16binary_search_opENS9_16wrapped_functionINS8_6system6detail7generic6detail18binary_search_lessEbEEEE10hipError_tPvRmT1_T2_T3_mmT4_T5_P12ihipStream_tbEUlRKiE_EEST_SX_SY_mSZ_S12_bEUlT_E_NS1_11comp_targetILNS1_3genE8ELNS1_11target_archE1030ELNS1_3gpuE2ELNS1_3repE0EEENS1_30default_config_static_selectorELNS0_4arch9wavefront6targetE0EEEvSW_
    .private_segment_fixed_size: 0
    .sgpr_count:     22
    .sgpr_spill_count: 0
    .symbol:         _ZN7rocprim17ROCPRIM_400000_NS6detail17trampoline_kernelINS0_14default_configENS1_29binary_search_config_selectorIiiEEZNS1_14transform_implILb0ES3_S5_N6thrust23THRUST_200600_302600_NS6detail15normal_iteratorINS8_7pointerIiNS8_11hip_rocprim12par_nosync_tENS8_11use_defaultESE_EEEESG_ZNS1_13binary_searchIS3_S5_NSA_INS8_10device_ptrIiEEEESG_SG_NS1_16binary_search_opENS9_16wrapped_functionINS8_6system6detail7generic6detail18binary_search_lessEbEEEE10hipError_tPvRmT1_T2_T3_mmT4_T5_P12ihipStream_tbEUlRKiE_EEST_SX_SY_mSZ_S12_bEUlT_E_NS1_11comp_targetILNS1_3genE8ELNS1_11target_archE1030ELNS1_3gpuE2ELNS1_3repE0EEENS1_30default_config_static_selectorELNS0_4arch9wavefront6targetE0EEEvSW_.kd
    .uniform_work_group_size: 1
    .uses_dynamic_stack: false
    .vgpr_count:     12
    .vgpr_spill_count: 0
    .wavefront_size: 32
    .workgroup_processor_mode: 1
  - .args:
      - .offset:         0
        .size:           56
        .value_kind:     by_value
    .group_segment_fixed_size: 0
    .kernarg_segment_align: 8
    .kernarg_segment_size: 56
    .language:       OpenCL C
    .language_version:
      - 2
      - 0
    .max_flat_workgroup_size: 256
    .name:           _ZN7rocprim17ROCPRIM_400000_NS6detail17trampoline_kernelINS0_14default_configENS1_29binary_search_config_selectorIiiEEZNS1_14transform_implILb0ES3_S5_N6thrust23THRUST_200600_302600_NS6detail15normal_iteratorINS8_7pointerIiNS8_11hip_rocprim5par_tENS8_11use_defaultESE_EEEESG_ZNS1_13binary_searchIS3_S5_NSA_INS8_10device_ptrIiEEEESG_SG_NS1_16binary_search_opENS9_16wrapped_functionINS8_6system6detail7generic6detail18binary_search_lessEbEEEE10hipError_tPvRmT1_T2_T3_mmT4_T5_P12ihipStream_tbEUlRKiE_EEST_SX_SY_mSZ_S12_bEUlT_E_NS1_11comp_targetILNS1_3genE0ELNS1_11target_archE4294967295ELNS1_3gpuE0ELNS1_3repE0EEENS1_30default_config_static_selectorELNS0_4arch9wavefront6targetE0EEEvSW_
    .private_segment_fixed_size: 0
    .sgpr_count:     0
    .sgpr_spill_count: 0
    .symbol:         _ZN7rocprim17ROCPRIM_400000_NS6detail17trampoline_kernelINS0_14default_configENS1_29binary_search_config_selectorIiiEEZNS1_14transform_implILb0ES3_S5_N6thrust23THRUST_200600_302600_NS6detail15normal_iteratorINS8_7pointerIiNS8_11hip_rocprim5par_tENS8_11use_defaultESE_EEEESG_ZNS1_13binary_searchIS3_S5_NSA_INS8_10device_ptrIiEEEESG_SG_NS1_16binary_search_opENS9_16wrapped_functionINS8_6system6detail7generic6detail18binary_search_lessEbEEEE10hipError_tPvRmT1_T2_T3_mmT4_T5_P12ihipStream_tbEUlRKiE_EEST_SX_SY_mSZ_S12_bEUlT_E_NS1_11comp_targetILNS1_3genE0ELNS1_11target_archE4294967295ELNS1_3gpuE0ELNS1_3repE0EEENS1_30default_config_static_selectorELNS0_4arch9wavefront6targetE0EEEvSW_.kd
    .uniform_work_group_size: 1
    .uses_dynamic_stack: false
    .vgpr_count:     0
    .vgpr_spill_count: 0
    .wavefront_size: 32
    .workgroup_processor_mode: 1
  - .args:
      - .offset:         0
        .size:           56
        .value_kind:     by_value
    .group_segment_fixed_size: 0
    .kernarg_segment_align: 8
    .kernarg_segment_size: 56
    .language:       OpenCL C
    .language_version:
      - 2
      - 0
    .max_flat_workgroup_size: 256
    .name:           _ZN7rocprim17ROCPRIM_400000_NS6detail17trampoline_kernelINS0_14default_configENS1_29binary_search_config_selectorIiiEEZNS1_14transform_implILb0ES3_S5_N6thrust23THRUST_200600_302600_NS6detail15normal_iteratorINS8_7pointerIiNS8_11hip_rocprim5par_tENS8_11use_defaultESE_EEEESG_ZNS1_13binary_searchIS3_S5_NSA_INS8_10device_ptrIiEEEESG_SG_NS1_16binary_search_opENS9_16wrapped_functionINS8_6system6detail7generic6detail18binary_search_lessEbEEEE10hipError_tPvRmT1_T2_T3_mmT4_T5_P12ihipStream_tbEUlRKiE_EEST_SX_SY_mSZ_S12_bEUlT_E_NS1_11comp_targetILNS1_3genE5ELNS1_11target_archE942ELNS1_3gpuE9ELNS1_3repE0EEENS1_30default_config_static_selectorELNS0_4arch9wavefront6targetE0EEEvSW_
    .private_segment_fixed_size: 0
    .sgpr_count:     0
    .sgpr_spill_count: 0
    .symbol:         _ZN7rocprim17ROCPRIM_400000_NS6detail17trampoline_kernelINS0_14default_configENS1_29binary_search_config_selectorIiiEEZNS1_14transform_implILb0ES3_S5_N6thrust23THRUST_200600_302600_NS6detail15normal_iteratorINS8_7pointerIiNS8_11hip_rocprim5par_tENS8_11use_defaultESE_EEEESG_ZNS1_13binary_searchIS3_S5_NSA_INS8_10device_ptrIiEEEESG_SG_NS1_16binary_search_opENS9_16wrapped_functionINS8_6system6detail7generic6detail18binary_search_lessEbEEEE10hipError_tPvRmT1_T2_T3_mmT4_T5_P12ihipStream_tbEUlRKiE_EEST_SX_SY_mSZ_S12_bEUlT_E_NS1_11comp_targetILNS1_3genE5ELNS1_11target_archE942ELNS1_3gpuE9ELNS1_3repE0EEENS1_30default_config_static_selectorELNS0_4arch9wavefront6targetE0EEEvSW_.kd
    .uniform_work_group_size: 1
    .uses_dynamic_stack: false
    .vgpr_count:     0
    .vgpr_spill_count: 0
    .wavefront_size: 32
    .workgroup_processor_mode: 1
  - .args:
      - .offset:         0
        .size:           56
        .value_kind:     by_value
    .group_segment_fixed_size: 0
    .kernarg_segment_align: 8
    .kernarg_segment_size: 56
    .language:       OpenCL C
    .language_version:
      - 2
      - 0
    .max_flat_workgroup_size: 256
    .name:           _ZN7rocprim17ROCPRIM_400000_NS6detail17trampoline_kernelINS0_14default_configENS1_29binary_search_config_selectorIiiEEZNS1_14transform_implILb0ES3_S5_N6thrust23THRUST_200600_302600_NS6detail15normal_iteratorINS8_7pointerIiNS8_11hip_rocprim5par_tENS8_11use_defaultESE_EEEESG_ZNS1_13binary_searchIS3_S5_NSA_INS8_10device_ptrIiEEEESG_SG_NS1_16binary_search_opENS9_16wrapped_functionINS8_6system6detail7generic6detail18binary_search_lessEbEEEE10hipError_tPvRmT1_T2_T3_mmT4_T5_P12ihipStream_tbEUlRKiE_EEST_SX_SY_mSZ_S12_bEUlT_E_NS1_11comp_targetILNS1_3genE4ELNS1_11target_archE910ELNS1_3gpuE8ELNS1_3repE0EEENS1_30default_config_static_selectorELNS0_4arch9wavefront6targetE0EEEvSW_
    .private_segment_fixed_size: 0
    .sgpr_count:     0
    .sgpr_spill_count: 0
    .symbol:         _ZN7rocprim17ROCPRIM_400000_NS6detail17trampoline_kernelINS0_14default_configENS1_29binary_search_config_selectorIiiEEZNS1_14transform_implILb0ES3_S5_N6thrust23THRUST_200600_302600_NS6detail15normal_iteratorINS8_7pointerIiNS8_11hip_rocprim5par_tENS8_11use_defaultESE_EEEESG_ZNS1_13binary_searchIS3_S5_NSA_INS8_10device_ptrIiEEEESG_SG_NS1_16binary_search_opENS9_16wrapped_functionINS8_6system6detail7generic6detail18binary_search_lessEbEEEE10hipError_tPvRmT1_T2_T3_mmT4_T5_P12ihipStream_tbEUlRKiE_EEST_SX_SY_mSZ_S12_bEUlT_E_NS1_11comp_targetILNS1_3genE4ELNS1_11target_archE910ELNS1_3gpuE8ELNS1_3repE0EEENS1_30default_config_static_selectorELNS0_4arch9wavefront6targetE0EEEvSW_.kd
    .uniform_work_group_size: 1
    .uses_dynamic_stack: false
    .vgpr_count:     0
    .vgpr_spill_count: 0
    .wavefront_size: 32
    .workgroup_processor_mode: 1
  - .args:
      - .offset:         0
        .size:           56
        .value_kind:     by_value
    .group_segment_fixed_size: 0
    .kernarg_segment_align: 8
    .kernarg_segment_size: 56
    .language:       OpenCL C
    .language_version:
      - 2
      - 0
    .max_flat_workgroup_size: 256
    .name:           _ZN7rocprim17ROCPRIM_400000_NS6detail17trampoline_kernelINS0_14default_configENS1_29binary_search_config_selectorIiiEEZNS1_14transform_implILb0ES3_S5_N6thrust23THRUST_200600_302600_NS6detail15normal_iteratorINS8_7pointerIiNS8_11hip_rocprim5par_tENS8_11use_defaultESE_EEEESG_ZNS1_13binary_searchIS3_S5_NSA_INS8_10device_ptrIiEEEESG_SG_NS1_16binary_search_opENS9_16wrapped_functionINS8_6system6detail7generic6detail18binary_search_lessEbEEEE10hipError_tPvRmT1_T2_T3_mmT4_T5_P12ihipStream_tbEUlRKiE_EEST_SX_SY_mSZ_S12_bEUlT_E_NS1_11comp_targetILNS1_3genE3ELNS1_11target_archE908ELNS1_3gpuE7ELNS1_3repE0EEENS1_30default_config_static_selectorELNS0_4arch9wavefront6targetE0EEEvSW_
    .private_segment_fixed_size: 0
    .sgpr_count:     0
    .sgpr_spill_count: 0
    .symbol:         _ZN7rocprim17ROCPRIM_400000_NS6detail17trampoline_kernelINS0_14default_configENS1_29binary_search_config_selectorIiiEEZNS1_14transform_implILb0ES3_S5_N6thrust23THRUST_200600_302600_NS6detail15normal_iteratorINS8_7pointerIiNS8_11hip_rocprim5par_tENS8_11use_defaultESE_EEEESG_ZNS1_13binary_searchIS3_S5_NSA_INS8_10device_ptrIiEEEESG_SG_NS1_16binary_search_opENS9_16wrapped_functionINS8_6system6detail7generic6detail18binary_search_lessEbEEEE10hipError_tPvRmT1_T2_T3_mmT4_T5_P12ihipStream_tbEUlRKiE_EEST_SX_SY_mSZ_S12_bEUlT_E_NS1_11comp_targetILNS1_3genE3ELNS1_11target_archE908ELNS1_3gpuE7ELNS1_3repE0EEENS1_30default_config_static_selectorELNS0_4arch9wavefront6targetE0EEEvSW_.kd
    .uniform_work_group_size: 1
    .uses_dynamic_stack: false
    .vgpr_count:     0
    .vgpr_spill_count: 0
    .wavefront_size: 32
    .workgroup_processor_mode: 1
  - .args:
      - .offset:         0
        .size:           56
        .value_kind:     by_value
    .group_segment_fixed_size: 0
    .kernarg_segment_align: 8
    .kernarg_segment_size: 56
    .language:       OpenCL C
    .language_version:
      - 2
      - 0
    .max_flat_workgroup_size: 256
    .name:           _ZN7rocprim17ROCPRIM_400000_NS6detail17trampoline_kernelINS0_14default_configENS1_29binary_search_config_selectorIiiEEZNS1_14transform_implILb0ES3_S5_N6thrust23THRUST_200600_302600_NS6detail15normal_iteratorINS8_7pointerIiNS8_11hip_rocprim5par_tENS8_11use_defaultESE_EEEESG_ZNS1_13binary_searchIS3_S5_NSA_INS8_10device_ptrIiEEEESG_SG_NS1_16binary_search_opENS9_16wrapped_functionINS8_6system6detail7generic6detail18binary_search_lessEbEEEE10hipError_tPvRmT1_T2_T3_mmT4_T5_P12ihipStream_tbEUlRKiE_EEST_SX_SY_mSZ_S12_bEUlT_E_NS1_11comp_targetILNS1_3genE2ELNS1_11target_archE906ELNS1_3gpuE6ELNS1_3repE0EEENS1_30default_config_static_selectorELNS0_4arch9wavefront6targetE0EEEvSW_
    .private_segment_fixed_size: 0
    .sgpr_count:     0
    .sgpr_spill_count: 0
    .symbol:         _ZN7rocprim17ROCPRIM_400000_NS6detail17trampoline_kernelINS0_14default_configENS1_29binary_search_config_selectorIiiEEZNS1_14transform_implILb0ES3_S5_N6thrust23THRUST_200600_302600_NS6detail15normal_iteratorINS8_7pointerIiNS8_11hip_rocprim5par_tENS8_11use_defaultESE_EEEESG_ZNS1_13binary_searchIS3_S5_NSA_INS8_10device_ptrIiEEEESG_SG_NS1_16binary_search_opENS9_16wrapped_functionINS8_6system6detail7generic6detail18binary_search_lessEbEEEE10hipError_tPvRmT1_T2_T3_mmT4_T5_P12ihipStream_tbEUlRKiE_EEST_SX_SY_mSZ_S12_bEUlT_E_NS1_11comp_targetILNS1_3genE2ELNS1_11target_archE906ELNS1_3gpuE6ELNS1_3repE0EEENS1_30default_config_static_selectorELNS0_4arch9wavefront6targetE0EEEvSW_.kd
    .uniform_work_group_size: 1
    .uses_dynamic_stack: false
    .vgpr_count:     0
    .vgpr_spill_count: 0
    .wavefront_size: 32
    .workgroup_processor_mode: 1
  - .args:
      - .offset:         0
        .size:           56
        .value_kind:     by_value
    .group_segment_fixed_size: 0
    .kernarg_segment_align: 8
    .kernarg_segment_size: 56
    .language:       OpenCL C
    .language_version:
      - 2
      - 0
    .max_flat_workgroup_size: 128
    .name:           _ZN7rocprim17ROCPRIM_400000_NS6detail17trampoline_kernelINS0_14default_configENS1_29binary_search_config_selectorIiiEEZNS1_14transform_implILb0ES3_S5_N6thrust23THRUST_200600_302600_NS6detail15normal_iteratorINS8_7pointerIiNS8_11hip_rocprim5par_tENS8_11use_defaultESE_EEEESG_ZNS1_13binary_searchIS3_S5_NSA_INS8_10device_ptrIiEEEESG_SG_NS1_16binary_search_opENS9_16wrapped_functionINS8_6system6detail7generic6detail18binary_search_lessEbEEEE10hipError_tPvRmT1_T2_T3_mmT4_T5_P12ihipStream_tbEUlRKiE_EEST_SX_SY_mSZ_S12_bEUlT_E_NS1_11comp_targetILNS1_3genE10ELNS1_11target_archE1201ELNS1_3gpuE5ELNS1_3repE0EEENS1_30default_config_static_selectorELNS0_4arch9wavefront6targetE0EEEvSW_
    .private_segment_fixed_size: 0
    .sgpr_count:     0
    .sgpr_spill_count: 0
    .symbol:         _ZN7rocprim17ROCPRIM_400000_NS6detail17trampoline_kernelINS0_14default_configENS1_29binary_search_config_selectorIiiEEZNS1_14transform_implILb0ES3_S5_N6thrust23THRUST_200600_302600_NS6detail15normal_iteratorINS8_7pointerIiNS8_11hip_rocprim5par_tENS8_11use_defaultESE_EEEESG_ZNS1_13binary_searchIS3_S5_NSA_INS8_10device_ptrIiEEEESG_SG_NS1_16binary_search_opENS9_16wrapped_functionINS8_6system6detail7generic6detail18binary_search_lessEbEEEE10hipError_tPvRmT1_T2_T3_mmT4_T5_P12ihipStream_tbEUlRKiE_EEST_SX_SY_mSZ_S12_bEUlT_E_NS1_11comp_targetILNS1_3genE10ELNS1_11target_archE1201ELNS1_3gpuE5ELNS1_3repE0EEENS1_30default_config_static_selectorELNS0_4arch9wavefront6targetE0EEEvSW_.kd
    .uniform_work_group_size: 1
    .uses_dynamic_stack: false
    .vgpr_count:     0
    .vgpr_spill_count: 0
    .wavefront_size: 32
    .workgroup_processor_mode: 1
  - .args:
      - .offset:         0
        .size:           56
        .value_kind:     by_value
    .group_segment_fixed_size: 0
    .kernarg_segment_align: 8
    .kernarg_segment_size: 56
    .language:       OpenCL C
    .language_version:
      - 2
      - 0
    .max_flat_workgroup_size: 128
    .name:           _ZN7rocprim17ROCPRIM_400000_NS6detail17trampoline_kernelINS0_14default_configENS1_29binary_search_config_selectorIiiEEZNS1_14transform_implILb0ES3_S5_N6thrust23THRUST_200600_302600_NS6detail15normal_iteratorINS8_7pointerIiNS8_11hip_rocprim5par_tENS8_11use_defaultESE_EEEESG_ZNS1_13binary_searchIS3_S5_NSA_INS8_10device_ptrIiEEEESG_SG_NS1_16binary_search_opENS9_16wrapped_functionINS8_6system6detail7generic6detail18binary_search_lessEbEEEE10hipError_tPvRmT1_T2_T3_mmT4_T5_P12ihipStream_tbEUlRKiE_EEST_SX_SY_mSZ_S12_bEUlT_E_NS1_11comp_targetILNS1_3genE10ELNS1_11target_archE1200ELNS1_3gpuE4ELNS1_3repE0EEENS1_30default_config_static_selectorELNS0_4arch9wavefront6targetE0EEEvSW_
    .private_segment_fixed_size: 0
    .sgpr_count:     0
    .sgpr_spill_count: 0
    .symbol:         _ZN7rocprim17ROCPRIM_400000_NS6detail17trampoline_kernelINS0_14default_configENS1_29binary_search_config_selectorIiiEEZNS1_14transform_implILb0ES3_S5_N6thrust23THRUST_200600_302600_NS6detail15normal_iteratorINS8_7pointerIiNS8_11hip_rocprim5par_tENS8_11use_defaultESE_EEEESG_ZNS1_13binary_searchIS3_S5_NSA_INS8_10device_ptrIiEEEESG_SG_NS1_16binary_search_opENS9_16wrapped_functionINS8_6system6detail7generic6detail18binary_search_lessEbEEEE10hipError_tPvRmT1_T2_T3_mmT4_T5_P12ihipStream_tbEUlRKiE_EEST_SX_SY_mSZ_S12_bEUlT_E_NS1_11comp_targetILNS1_3genE10ELNS1_11target_archE1200ELNS1_3gpuE4ELNS1_3repE0EEENS1_30default_config_static_selectorELNS0_4arch9wavefront6targetE0EEEvSW_.kd
    .uniform_work_group_size: 1
    .uses_dynamic_stack: false
    .vgpr_count:     0
    .vgpr_spill_count: 0
    .wavefront_size: 32
    .workgroup_processor_mode: 1
  - .args:
      - .offset:         0
        .size:           56
        .value_kind:     by_value
    .group_segment_fixed_size: 0
    .kernarg_segment_align: 8
    .kernarg_segment_size: 56
    .language:       OpenCL C
    .language_version:
      - 2
      - 0
    .max_flat_workgroup_size: 256
    .name:           _ZN7rocprim17ROCPRIM_400000_NS6detail17trampoline_kernelINS0_14default_configENS1_29binary_search_config_selectorIiiEEZNS1_14transform_implILb0ES3_S5_N6thrust23THRUST_200600_302600_NS6detail15normal_iteratorINS8_7pointerIiNS8_11hip_rocprim5par_tENS8_11use_defaultESE_EEEESG_ZNS1_13binary_searchIS3_S5_NSA_INS8_10device_ptrIiEEEESG_SG_NS1_16binary_search_opENS9_16wrapped_functionINS8_6system6detail7generic6detail18binary_search_lessEbEEEE10hipError_tPvRmT1_T2_T3_mmT4_T5_P12ihipStream_tbEUlRKiE_EEST_SX_SY_mSZ_S12_bEUlT_E_NS1_11comp_targetILNS1_3genE9ELNS1_11target_archE1100ELNS1_3gpuE3ELNS1_3repE0EEENS1_30default_config_static_selectorELNS0_4arch9wavefront6targetE0EEEvSW_
    .private_segment_fixed_size: 0
    .sgpr_count:     0
    .sgpr_spill_count: 0
    .symbol:         _ZN7rocprim17ROCPRIM_400000_NS6detail17trampoline_kernelINS0_14default_configENS1_29binary_search_config_selectorIiiEEZNS1_14transform_implILb0ES3_S5_N6thrust23THRUST_200600_302600_NS6detail15normal_iteratorINS8_7pointerIiNS8_11hip_rocprim5par_tENS8_11use_defaultESE_EEEESG_ZNS1_13binary_searchIS3_S5_NSA_INS8_10device_ptrIiEEEESG_SG_NS1_16binary_search_opENS9_16wrapped_functionINS8_6system6detail7generic6detail18binary_search_lessEbEEEE10hipError_tPvRmT1_T2_T3_mmT4_T5_P12ihipStream_tbEUlRKiE_EEST_SX_SY_mSZ_S12_bEUlT_E_NS1_11comp_targetILNS1_3genE9ELNS1_11target_archE1100ELNS1_3gpuE3ELNS1_3repE0EEENS1_30default_config_static_selectorELNS0_4arch9wavefront6targetE0EEEvSW_.kd
    .uniform_work_group_size: 1
    .uses_dynamic_stack: false
    .vgpr_count:     0
    .vgpr_spill_count: 0
    .wavefront_size: 32
    .workgroup_processor_mode: 1
  - .args:
      - .offset:         0
        .size:           56
        .value_kind:     by_value
      - .offset:         56
        .size:           4
        .value_kind:     hidden_block_count_x
      - .offset:         60
        .size:           4
        .value_kind:     hidden_block_count_y
      - .offset:         64
        .size:           4
        .value_kind:     hidden_block_count_z
      - .offset:         68
        .size:           2
        .value_kind:     hidden_group_size_x
      - .offset:         70
        .size:           2
        .value_kind:     hidden_group_size_y
      - .offset:         72
        .size:           2
        .value_kind:     hidden_group_size_z
      - .offset:         74
        .size:           2
        .value_kind:     hidden_remainder_x
      - .offset:         76
        .size:           2
        .value_kind:     hidden_remainder_y
      - .offset:         78
        .size:           2
        .value_kind:     hidden_remainder_z
      - .offset:         96
        .size:           8
        .value_kind:     hidden_global_offset_x
      - .offset:         104
        .size:           8
        .value_kind:     hidden_global_offset_y
      - .offset:         112
        .size:           8
        .value_kind:     hidden_global_offset_z
      - .offset:         120
        .size:           2
        .value_kind:     hidden_grid_dims
    .group_segment_fixed_size: 0
    .kernarg_segment_align: 8
    .kernarg_segment_size: 312
    .language:       OpenCL C
    .language_version:
      - 2
      - 0
    .max_flat_workgroup_size: 256
    .name:           _ZN7rocprim17ROCPRIM_400000_NS6detail17trampoline_kernelINS0_14default_configENS1_29binary_search_config_selectorIiiEEZNS1_14transform_implILb0ES3_S5_N6thrust23THRUST_200600_302600_NS6detail15normal_iteratorINS8_7pointerIiNS8_11hip_rocprim5par_tENS8_11use_defaultESE_EEEESG_ZNS1_13binary_searchIS3_S5_NSA_INS8_10device_ptrIiEEEESG_SG_NS1_16binary_search_opENS9_16wrapped_functionINS8_6system6detail7generic6detail18binary_search_lessEbEEEE10hipError_tPvRmT1_T2_T3_mmT4_T5_P12ihipStream_tbEUlRKiE_EEST_SX_SY_mSZ_S12_bEUlT_E_NS1_11comp_targetILNS1_3genE8ELNS1_11target_archE1030ELNS1_3gpuE2ELNS1_3repE0EEENS1_30default_config_static_selectorELNS0_4arch9wavefront6targetE0EEEvSW_
    .private_segment_fixed_size: 0
    .sgpr_count:     22
    .sgpr_spill_count: 0
    .symbol:         _ZN7rocprim17ROCPRIM_400000_NS6detail17trampoline_kernelINS0_14default_configENS1_29binary_search_config_selectorIiiEEZNS1_14transform_implILb0ES3_S5_N6thrust23THRUST_200600_302600_NS6detail15normal_iteratorINS8_7pointerIiNS8_11hip_rocprim5par_tENS8_11use_defaultESE_EEEESG_ZNS1_13binary_searchIS3_S5_NSA_INS8_10device_ptrIiEEEESG_SG_NS1_16binary_search_opENS9_16wrapped_functionINS8_6system6detail7generic6detail18binary_search_lessEbEEEE10hipError_tPvRmT1_T2_T3_mmT4_T5_P12ihipStream_tbEUlRKiE_EEST_SX_SY_mSZ_S12_bEUlT_E_NS1_11comp_targetILNS1_3genE8ELNS1_11target_archE1030ELNS1_3gpuE2ELNS1_3repE0EEENS1_30default_config_static_selectorELNS0_4arch9wavefront6targetE0EEEvSW_.kd
    .uniform_work_group_size: 1
    .uses_dynamic_stack: false
    .vgpr_count:     12
    .vgpr_spill_count: 0
    .wavefront_size: 32
    .workgroup_processor_mode: 1
  - .args:
      - .offset:         0
        .size:           56
        .value_kind:     by_value
    .group_segment_fixed_size: 0
    .kernarg_segment_align: 8
    .kernarg_segment_size: 56
    .language:       OpenCL C
    .language_version:
      - 2
      - 0
    .max_flat_workgroup_size: 128
    .name:           _ZN7rocprim17ROCPRIM_400000_NS6detail17trampoline_kernelINS0_14default_configENS1_29binary_search_config_selectorIsiEEZNS1_14transform_implILb0ES3_S5_N6thrust23THRUST_200600_302600_NS6detail15normal_iteratorINS8_7pointerIsNS8_11hip_rocprim5par_tENS8_11use_defaultESE_EEEENSA_INSB_IiSD_SE_SE_EEEEZNS1_13binary_searchIS3_S5_NSA_INS8_10device_ptrIsEEEESG_SI_NS1_16binary_search_opENS9_16wrapped_functionINS8_6system6detail7generic6detail18binary_search_lessEbEEEE10hipError_tPvRmT1_T2_T3_mmT4_T5_P12ihipStream_tbEUlRKsE_EESV_SZ_S10_mS11_S14_bEUlT_E_NS1_11comp_targetILNS1_3genE0ELNS1_11target_archE4294967295ELNS1_3gpuE0ELNS1_3repE0EEENS1_30default_config_static_selectorELNS0_4arch9wavefront6targetE0EEEvSY_
    .private_segment_fixed_size: 0
    .sgpr_count:     0
    .sgpr_spill_count: 0
    .symbol:         _ZN7rocprim17ROCPRIM_400000_NS6detail17trampoline_kernelINS0_14default_configENS1_29binary_search_config_selectorIsiEEZNS1_14transform_implILb0ES3_S5_N6thrust23THRUST_200600_302600_NS6detail15normal_iteratorINS8_7pointerIsNS8_11hip_rocprim5par_tENS8_11use_defaultESE_EEEENSA_INSB_IiSD_SE_SE_EEEEZNS1_13binary_searchIS3_S5_NSA_INS8_10device_ptrIsEEEESG_SI_NS1_16binary_search_opENS9_16wrapped_functionINS8_6system6detail7generic6detail18binary_search_lessEbEEEE10hipError_tPvRmT1_T2_T3_mmT4_T5_P12ihipStream_tbEUlRKsE_EESV_SZ_S10_mS11_S14_bEUlT_E_NS1_11comp_targetILNS1_3genE0ELNS1_11target_archE4294967295ELNS1_3gpuE0ELNS1_3repE0EEENS1_30default_config_static_selectorELNS0_4arch9wavefront6targetE0EEEvSY_.kd
    .uniform_work_group_size: 1
    .uses_dynamic_stack: false
    .vgpr_count:     0
    .vgpr_spill_count: 0
    .wavefront_size: 32
    .workgroup_processor_mode: 1
  - .args:
      - .offset:         0
        .size:           56
        .value_kind:     by_value
    .group_segment_fixed_size: 0
    .kernarg_segment_align: 8
    .kernarg_segment_size: 56
    .language:       OpenCL C
    .language_version:
      - 2
      - 0
    .max_flat_workgroup_size: 256
    .name:           _ZN7rocprim17ROCPRIM_400000_NS6detail17trampoline_kernelINS0_14default_configENS1_29binary_search_config_selectorIsiEEZNS1_14transform_implILb0ES3_S5_N6thrust23THRUST_200600_302600_NS6detail15normal_iteratorINS8_7pointerIsNS8_11hip_rocprim5par_tENS8_11use_defaultESE_EEEENSA_INSB_IiSD_SE_SE_EEEEZNS1_13binary_searchIS3_S5_NSA_INS8_10device_ptrIsEEEESG_SI_NS1_16binary_search_opENS9_16wrapped_functionINS8_6system6detail7generic6detail18binary_search_lessEbEEEE10hipError_tPvRmT1_T2_T3_mmT4_T5_P12ihipStream_tbEUlRKsE_EESV_SZ_S10_mS11_S14_bEUlT_E_NS1_11comp_targetILNS1_3genE5ELNS1_11target_archE942ELNS1_3gpuE9ELNS1_3repE0EEENS1_30default_config_static_selectorELNS0_4arch9wavefront6targetE0EEEvSY_
    .private_segment_fixed_size: 0
    .sgpr_count:     0
    .sgpr_spill_count: 0
    .symbol:         _ZN7rocprim17ROCPRIM_400000_NS6detail17trampoline_kernelINS0_14default_configENS1_29binary_search_config_selectorIsiEEZNS1_14transform_implILb0ES3_S5_N6thrust23THRUST_200600_302600_NS6detail15normal_iteratorINS8_7pointerIsNS8_11hip_rocprim5par_tENS8_11use_defaultESE_EEEENSA_INSB_IiSD_SE_SE_EEEEZNS1_13binary_searchIS3_S5_NSA_INS8_10device_ptrIsEEEESG_SI_NS1_16binary_search_opENS9_16wrapped_functionINS8_6system6detail7generic6detail18binary_search_lessEbEEEE10hipError_tPvRmT1_T2_T3_mmT4_T5_P12ihipStream_tbEUlRKsE_EESV_SZ_S10_mS11_S14_bEUlT_E_NS1_11comp_targetILNS1_3genE5ELNS1_11target_archE942ELNS1_3gpuE9ELNS1_3repE0EEENS1_30default_config_static_selectorELNS0_4arch9wavefront6targetE0EEEvSY_.kd
    .uniform_work_group_size: 1
    .uses_dynamic_stack: false
    .vgpr_count:     0
    .vgpr_spill_count: 0
    .wavefront_size: 32
    .workgroup_processor_mode: 1
  - .args:
      - .offset:         0
        .size:           56
        .value_kind:     by_value
    .group_segment_fixed_size: 0
    .kernarg_segment_align: 8
    .kernarg_segment_size: 56
    .language:       OpenCL C
    .language_version:
      - 2
      - 0
    .max_flat_workgroup_size: 256
    .name:           _ZN7rocprim17ROCPRIM_400000_NS6detail17trampoline_kernelINS0_14default_configENS1_29binary_search_config_selectorIsiEEZNS1_14transform_implILb0ES3_S5_N6thrust23THRUST_200600_302600_NS6detail15normal_iteratorINS8_7pointerIsNS8_11hip_rocprim5par_tENS8_11use_defaultESE_EEEENSA_INSB_IiSD_SE_SE_EEEEZNS1_13binary_searchIS3_S5_NSA_INS8_10device_ptrIsEEEESG_SI_NS1_16binary_search_opENS9_16wrapped_functionINS8_6system6detail7generic6detail18binary_search_lessEbEEEE10hipError_tPvRmT1_T2_T3_mmT4_T5_P12ihipStream_tbEUlRKsE_EESV_SZ_S10_mS11_S14_bEUlT_E_NS1_11comp_targetILNS1_3genE4ELNS1_11target_archE910ELNS1_3gpuE8ELNS1_3repE0EEENS1_30default_config_static_selectorELNS0_4arch9wavefront6targetE0EEEvSY_
    .private_segment_fixed_size: 0
    .sgpr_count:     0
    .sgpr_spill_count: 0
    .symbol:         _ZN7rocprim17ROCPRIM_400000_NS6detail17trampoline_kernelINS0_14default_configENS1_29binary_search_config_selectorIsiEEZNS1_14transform_implILb0ES3_S5_N6thrust23THRUST_200600_302600_NS6detail15normal_iteratorINS8_7pointerIsNS8_11hip_rocprim5par_tENS8_11use_defaultESE_EEEENSA_INSB_IiSD_SE_SE_EEEEZNS1_13binary_searchIS3_S5_NSA_INS8_10device_ptrIsEEEESG_SI_NS1_16binary_search_opENS9_16wrapped_functionINS8_6system6detail7generic6detail18binary_search_lessEbEEEE10hipError_tPvRmT1_T2_T3_mmT4_T5_P12ihipStream_tbEUlRKsE_EESV_SZ_S10_mS11_S14_bEUlT_E_NS1_11comp_targetILNS1_3genE4ELNS1_11target_archE910ELNS1_3gpuE8ELNS1_3repE0EEENS1_30default_config_static_selectorELNS0_4arch9wavefront6targetE0EEEvSY_.kd
    .uniform_work_group_size: 1
    .uses_dynamic_stack: false
    .vgpr_count:     0
    .vgpr_spill_count: 0
    .wavefront_size: 32
    .workgroup_processor_mode: 1
  - .args:
      - .offset:         0
        .size:           56
        .value_kind:     by_value
    .group_segment_fixed_size: 0
    .kernarg_segment_align: 8
    .kernarg_segment_size: 56
    .language:       OpenCL C
    .language_version:
      - 2
      - 0
    .max_flat_workgroup_size: 128
    .name:           _ZN7rocprim17ROCPRIM_400000_NS6detail17trampoline_kernelINS0_14default_configENS1_29binary_search_config_selectorIsiEEZNS1_14transform_implILb0ES3_S5_N6thrust23THRUST_200600_302600_NS6detail15normal_iteratorINS8_7pointerIsNS8_11hip_rocprim5par_tENS8_11use_defaultESE_EEEENSA_INSB_IiSD_SE_SE_EEEEZNS1_13binary_searchIS3_S5_NSA_INS8_10device_ptrIsEEEESG_SI_NS1_16binary_search_opENS9_16wrapped_functionINS8_6system6detail7generic6detail18binary_search_lessEbEEEE10hipError_tPvRmT1_T2_T3_mmT4_T5_P12ihipStream_tbEUlRKsE_EESV_SZ_S10_mS11_S14_bEUlT_E_NS1_11comp_targetILNS1_3genE3ELNS1_11target_archE908ELNS1_3gpuE7ELNS1_3repE0EEENS1_30default_config_static_selectorELNS0_4arch9wavefront6targetE0EEEvSY_
    .private_segment_fixed_size: 0
    .sgpr_count:     0
    .sgpr_spill_count: 0
    .symbol:         _ZN7rocprim17ROCPRIM_400000_NS6detail17trampoline_kernelINS0_14default_configENS1_29binary_search_config_selectorIsiEEZNS1_14transform_implILb0ES3_S5_N6thrust23THRUST_200600_302600_NS6detail15normal_iteratorINS8_7pointerIsNS8_11hip_rocprim5par_tENS8_11use_defaultESE_EEEENSA_INSB_IiSD_SE_SE_EEEEZNS1_13binary_searchIS3_S5_NSA_INS8_10device_ptrIsEEEESG_SI_NS1_16binary_search_opENS9_16wrapped_functionINS8_6system6detail7generic6detail18binary_search_lessEbEEEE10hipError_tPvRmT1_T2_T3_mmT4_T5_P12ihipStream_tbEUlRKsE_EESV_SZ_S10_mS11_S14_bEUlT_E_NS1_11comp_targetILNS1_3genE3ELNS1_11target_archE908ELNS1_3gpuE7ELNS1_3repE0EEENS1_30default_config_static_selectorELNS0_4arch9wavefront6targetE0EEEvSY_.kd
    .uniform_work_group_size: 1
    .uses_dynamic_stack: false
    .vgpr_count:     0
    .vgpr_spill_count: 0
    .wavefront_size: 32
    .workgroup_processor_mode: 1
  - .args:
      - .offset:         0
        .size:           56
        .value_kind:     by_value
    .group_segment_fixed_size: 0
    .kernarg_segment_align: 8
    .kernarg_segment_size: 56
    .language:       OpenCL C
    .language_version:
      - 2
      - 0
    .max_flat_workgroup_size: 256
    .name:           _ZN7rocprim17ROCPRIM_400000_NS6detail17trampoline_kernelINS0_14default_configENS1_29binary_search_config_selectorIsiEEZNS1_14transform_implILb0ES3_S5_N6thrust23THRUST_200600_302600_NS6detail15normal_iteratorINS8_7pointerIsNS8_11hip_rocprim5par_tENS8_11use_defaultESE_EEEENSA_INSB_IiSD_SE_SE_EEEEZNS1_13binary_searchIS3_S5_NSA_INS8_10device_ptrIsEEEESG_SI_NS1_16binary_search_opENS9_16wrapped_functionINS8_6system6detail7generic6detail18binary_search_lessEbEEEE10hipError_tPvRmT1_T2_T3_mmT4_T5_P12ihipStream_tbEUlRKsE_EESV_SZ_S10_mS11_S14_bEUlT_E_NS1_11comp_targetILNS1_3genE2ELNS1_11target_archE906ELNS1_3gpuE6ELNS1_3repE0EEENS1_30default_config_static_selectorELNS0_4arch9wavefront6targetE0EEEvSY_
    .private_segment_fixed_size: 0
    .sgpr_count:     0
    .sgpr_spill_count: 0
    .symbol:         _ZN7rocprim17ROCPRIM_400000_NS6detail17trampoline_kernelINS0_14default_configENS1_29binary_search_config_selectorIsiEEZNS1_14transform_implILb0ES3_S5_N6thrust23THRUST_200600_302600_NS6detail15normal_iteratorINS8_7pointerIsNS8_11hip_rocprim5par_tENS8_11use_defaultESE_EEEENSA_INSB_IiSD_SE_SE_EEEEZNS1_13binary_searchIS3_S5_NSA_INS8_10device_ptrIsEEEESG_SI_NS1_16binary_search_opENS9_16wrapped_functionINS8_6system6detail7generic6detail18binary_search_lessEbEEEE10hipError_tPvRmT1_T2_T3_mmT4_T5_P12ihipStream_tbEUlRKsE_EESV_SZ_S10_mS11_S14_bEUlT_E_NS1_11comp_targetILNS1_3genE2ELNS1_11target_archE906ELNS1_3gpuE6ELNS1_3repE0EEENS1_30default_config_static_selectorELNS0_4arch9wavefront6targetE0EEEvSY_.kd
    .uniform_work_group_size: 1
    .uses_dynamic_stack: false
    .vgpr_count:     0
    .vgpr_spill_count: 0
    .wavefront_size: 32
    .workgroup_processor_mode: 1
  - .args:
      - .offset:         0
        .size:           56
        .value_kind:     by_value
    .group_segment_fixed_size: 0
    .kernarg_segment_align: 8
    .kernarg_segment_size: 56
    .language:       OpenCL C
    .language_version:
      - 2
      - 0
    .max_flat_workgroup_size: 256
    .name:           _ZN7rocprim17ROCPRIM_400000_NS6detail17trampoline_kernelINS0_14default_configENS1_29binary_search_config_selectorIsiEEZNS1_14transform_implILb0ES3_S5_N6thrust23THRUST_200600_302600_NS6detail15normal_iteratorINS8_7pointerIsNS8_11hip_rocprim5par_tENS8_11use_defaultESE_EEEENSA_INSB_IiSD_SE_SE_EEEEZNS1_13binary_searchIS3_S5_NSA_INS8_10device_ptrIsEEEESG_SI_NS1_16binary_search_opENS9_16wrapped_functionINS8_6system6detail7generic6detail18binary_search_lessEbEEEE10hipError_tPvRmT1_T2_T3_mmT4_T5_P12ihipStream_tbEUlRKsE_EESV_SZ_S10_mS11_S14_bEUlT_E_NS1_11comp_targetILNS1_3genE10ELNS1_11target_archE1201ELNS1_3gpuE5ELNS1_3repE0EEENS1_30default_config_static_selectorELNS0_4arch9wavefront6targetE0EEEvSY_
    .private_segment_fixed_size: 0
    .sgpr_count:     0
    .sgpr_spill_count: 0
    .symbol:         _ZN7rocprim17ROCPRIM_400000_NS6detail17trampoline_kernelINS0_14default_configENS1_29binary_search_config_selectorIsiEEZNS1_14transform_implILb0ES3_S5_N6thrust23THRUST_200600_302600_NS6detail15normal_iteratorINS8_7pointerIsNS8_11hip_rocprim5par_tENS8_11use_defaultESE_EEEENSA_INSB_IiSD_SE_SE_EEEEZNS1_13binary_searchIS3_S5_NSA_INS8_10device_ptrIsEEEESG_SI_NS1_16binary_search_opENS9_16wrapped_functionINS8_6system6detail7generic6detail18binary_search_lessEbEEEE10hipError_tPvRmT1_T2_T3_mmT4_T5_P12ihipStream_tbEUlRKsE_EESV_SZ_S10_mS11_S14_bEUlT_E_NS1_11comp_targetILNS1_3genE10ELNS1_11target_archE1201ELNS1_3gpuE5ELNS1_3repE0EEENS1_30default_config_static_selectorELNS0_4arch9wavefront6targetE0EEEvSY_.kd
    .uniform_work_group_size: 1
    .uses_dynamic_stack: false
    .vgpr_count:     0
    .vgpr_spill_count: 0
    .wavefront_size: 32
    .workgroup_processor_mode: 1
  - .args:
      - .offset:         0
        .size:           56
        .value_kind:     by_value
    .group_segment_fixed_size: 0
    .kernarg_segment_align: 8
    .kernarg_segment_size: 56
    .language:       OpenCL C
    .language_version:
      - 2
      - 0
    .max_flat_workgroup_size: 256
    .name:           _ZN7rocprim17ROCPRIM_400000_NS6detail17trampoline_kernelINS0_14default_configENS1_29binary_search_config_selectorIsiEEZNS1_14transform_implILb0ES3_S5_N6thrust23THRUST_200600_302600_NS6detail15normal_iteratorINS8_7pointerIsNS8_11hip_rocprim5par_tENS8_11use_defaultESE_EEEENSA_INSB_IiSD_SE_SE_EEEEZNS1_13binary_searchIS3_S5_NSA_INS8_10device_ptrIsEEEESG_SI_NS1_16binary_search_opENS9_16wrapped_functionINS8_6system6detail7generic6detail18binary_search_lessEbEEEE10hipError_tPvRmT1_T2_T3_mmT4_T5_P12ihipStream_tbEUlRKsE_EESV_SZ_S10_mS11_S14_bEUlT_E_NS1_11comp_targetILNS1_3genE10ELNS1_11target_archE1200ELNS1_3gpuE4ELNS1_3repE0EEENS1_30default_config_static_selectorELNS0_4arch9wavefront6targetE0EEEvSY_
    .private_segment_fixed_size: 0
    .sgpr_count:     0
    .sgpr_spill_count: 0
    .symbol:         _ZN7rocprim17ROCPRIM_400000_NS6detail17trampoline_kernelINS0_14default_configENS1_29binary_search_config_selectorIsiEEZNS1_14transform_implILb0ES3_S5_N6thrust23THRUST_200600_302600_NS6detail15normal_iteratorINS8_7pointerIsNS8_11hip_rocprim5par_tENS8_11use_defaultESE_EEEENSA_INSB_IiSD_SE_SE_EEEEZNS1_13binary_searchIS3_S5_NSA_INS8_10device_ptrIsEEEESG_SI_NS1_16binary_search_opENS9_16wrapped_functionINS8_6system6detail7generic6detail18binary_search_lessEbEEEE10hipError_tPvRmT1_T2_T3_mmT4_T5_P12ihipStream_tbEUlRKsE_EESV_SZ_S10_mS11_S14_bEUlT_E_NS1_11comp_targetILNS1_3genE10ELNS1_11target_archE1200ELNS1_3gpuE4ELNS1_3repE0EEENS1_30default_config_static_selectorELNS0_4arch9wavefront6targetE0EEEvSY_.kd
    .uniform_work_group_size: 1
    .uses_dynamic_stack: false
    .vgpr_count:     0
    .vgpr_spill_count: 0
    .wavefront_size: 32
    .workgroup_processor_mode: 1
  - .args:
      - .offset:         0
        .size:           56
        .value_kind:     by_value
    .group_segment_fixed_size: 0
    .kernarg_segment_align: 8
    .kernarg_segment_size: 56
    .language:       OpenCL C
    .language_version:
      - 2
      - 0
    .max_flat_workgroup_size: 64
    .name:           _ZN7rocprim17ROCPRIM_400000_NS6detail17trampoline_kernelINS0_14default_configENS1_29binary_search_config_selectorIsiEEZNS1_14transform_implILb0ES3_S5_N6thrust23THRUST_200600_302600_NS6detail15normal_iteratorINS8_7pointerIsNS8_11hip_rocprim5par_tENS8_11use_defaultESE_EEEENSA_INSB_IiSD_SE_SE_EEEEZNS1_13binary_searchIS3_S5_NSA_INS8_10device_ptrIsEEEESG_SI_NS1_16binary_search_opENS9_16wrapped_functionINS8_6system6detail7generic6detail18binary_search_lessEbEEEE10hipError_tPvRmT1_T2_T3_mmT4_T5_P12ihipStream_tbEUlRKsE_EESV_SZ_S10_mS11_S14_bEUlT_E_NS1_11comp_targetILNS1_3genE9ELNS1_11target_archE1100ELNS1_3gpuE3ELNS1_3repE0EEENS1_30default_config_static_selectorELNS0_4arch9wavefront6targetE0EEEvSY_
    .private_segment_fixed_size: 0
    .sgpr_count:     0
    .sgpr_spill_count: 0
    .symbol:         _ZN7rocprim17ROCPRIM_400000_NS6detail17trampoline_kernelINS0_14default_configENS1_29binary_search_config_selectorIsiEEZNS1_14transform_implILb0ES3_S5_N6thrust23THRUST_200600_302600_NS6detail15normal_iteratorINS8_7pointerIsNS8_11hip_rocprim5par_tENS8_11use_defaultESE_EEEENSA_INSB_IiSD_SE_SE_EEEEZNS1_13binary_searchIS3_S5_NSA_INS8_10device_ptrIsEEEESG_SI_NS1_16binary_search_opENS9_16wrapped_functionINS8_6system6detail7generic6detail18binary_search_lessEbEEEE10hipError_tPvRmT1_T2_T3_mmT4_T5_P12ihipStream_tbEUlRKsE_EESV_SZ_S10_mS11_S14_bEUlT_E_NS1_11comp_targetILNS1_3genE9ELNS1_11target_archE1100ELNS1_3gpuE3ELNS1_3repE0EEENS1_30default_config_static_selectorELNS0_4arch9wavefront6targetE0EEEvSY_.kd
    .uniform_work_group_size: 1
    .uses_dynamic_stack: false
    .vgpr_count:     0
    .vgpr_spill_count: 0
    .wavefront_size: 32
    .workgroup_processor_mode: 1
  - .args:
      - .offset:         0
        .size:           56
        .value_kind:     by_value
      - .offset:         56
        .size:           4
        .value_kind:     hidden_block_count_x
      - .offset:         60
        .size:           4
        .value_kind:     hidden_block_count_y
      - .offset:         64
        .size:           4
        .value_kind:     hidden_block_count_z
      - .offset:         68
        .size:           2
        .value_kind:     hidden_group_size_x
      - .offset:         70
        .size:           2
        .value_kind:     hidden_group_size_y
      - .offset:         72
        .size:           2
        .value_kind:     hidden_group_size_z
      - .offset:         74
        .size:           2
        .value_kind:     hidden_remainder_x
      - .offset:         76
        .size:           2
        .value_kind:     hidden_remainder_y
      - .offset:         78
        .size:           2
        .value_kind:     hidden_remainder_z
      - .offset:         96
        .size:           8
        .value_kind:     hidden_global_offset_x
      - .offset:         104
        .size:           8
        .value_kind:     hidden_global_offset_y
      - .offset:         112
        .size:           8
        .value_kind:     hidden_global_offset_z
      - .offset:         120
        .size:           2
        .value_kind:     hidden_grid_dims
    .group_segment_fixed_size: 0
    .kernarg_segment_align: 8
    .kernarg_segment_size: 312
    .language:       OpenCL C
    .language_version:
      - 2
      - 0
    .max_flat_workgroup_size: 128
    .name:           _ZN7rocprim17ROCPRIM_400000_NS6detail17trampoline_kernelINS0_14default_configENS1_29binary_search_config_selectorIsiEEZNS1_14transform_implILb0ES3_S5_N6thrust23THRUST_200600_302600_NS6detail15normal_iteratorINS8_7pointerIsNS8_11hip_rocprim5par_tENS8_11use_defaultESE_EEEENSA_INSB_IiSD_SE_SE_EEEEZNS1_13binary_searchIS3_S5_NSA_INS8_10device_ptrIsEEEESG_SI_NS1_16binary_search_opENS9_16wrapped_functionINS8_6system6detail7generic6detail18binary_search_lessEbEEEE10hipError_tPvRmT1_T2_T3_mmT4_T5_P12ihipStream_tbEUlRKsE_EESV_SZ_S10_mS11_S14_bEUlT_E_NS1_11comp_targetILNS1_3genE8ELNS1_11target_archE1030ELNS1_3gpuE2ELNS1_3repE0EEENS1_30default_config_static_selectorELNS0_4arch9wavefront6targetE0EEEvSY_
    .private_segment_fixed_size: 0
    .sgpr_count:     22
    .sgpr_spill_count: 0
    .symbol:         _ZN7rocprim17ROCPRIM_400000_NS6detail17trampoline_kernelINS0_14default_configENS1_29binary_search_config_selectorIsiEEZNS1_14transform_implILb0ES3_S5_N6thrust23THRUST_200600_302600_NS6detail15normal_iteratorINS8_7pointerIsNS8_11hip_rocprim5par_tENS8_11use_defaultESE_EEEENSA_INSB_IiSD_SE_SE_EEEEZNS1_13binary_searchIS3_S5_NSA_INS8_10device_ptrIsEEEESG_SI_NS1_16binary_search_opENS9_16wrapped_functionINS8_6system6detail7generic6detail18binary_search_lessEbEEEE10hipError_tPvRmT1_T2_T3_mmT4_T5_P12ihipStream_tbEUlRKsE_EESV_SZ_S10_mS11_S14_bEUlT_E_NS1_11comp_targetILNS1_3genE8ELNS1_11target_archE1030ELNS1_3gpuE2ELNS1_3repE0EEENS1_30default_config_static_selectorELNS0_4arch9wavefront6targetE0EEEvSY_.kd
    .uniform_work_group_size: 1
    .uses_dynamic_stack: false
    .vgpr_count:     15
    .vgpr_spill_count: 0
    .wavefront_size: 32
    .workgroup_processor_mode: 1
  - .args:
      - .offset:         0
        .size:           56
        .value_kind:     by_value
    .group_segment_fixed_size: 0
    .kernarg_segment_align: 8
    .kernarg_segment_size: 56
    .language:       OpenCL C
    .language_version:
      - 2
      - 0
    .max_flat_workgroup_size: 256
    .name:           _ZN7rocprim17ROCPRIM_400000_NS6detail17trampoline_kernelINS0_14default_configENS1_29binary_search_config_selectorIN6thrust23THRUST_200600_302600_NS5tupleIiiNS6_9null_typeES8_S8_S8_S8_S8_S8_S8_EEiEEZNS1_14transform_implILb0ES3_SA_NS6_6detail15normal_iteratorINS6_7pointerIS9_NS6_11hip_rocprim5par_tENS6_11use_defaultESH_EEEENSD_INSE_IiSG_SH_SH_EEEEZNS1_13binary_searchIS3_SA_NSD_INS6_10device_ptrIS9_EEEESJ_SL_NS1_16binary_search_opENSC_16wrapped_functionINS6_6system6detail7generic6detail18binary_search_lessEbEEEE10hipError_tPvRmT1_T2_T3_mmT4_T5_P12ihipStream_tbEUlRKS9_E_EESY_S12_S13_mS14_S17_bEUlT_E_NS1_11comp_targetILNS1_3genE0ELNS1_11target_archE4294967295ELNS1_3gpuE0ELNS1_3repE0EEENS1_30default_config_static_selectorELNS0_4arch9wavefront6targetE0EEEvS11_
    .private_segment_fixed_size: 0
    .sgpr_count:     0
    .sgpr_spill_count: 0
    .symbol:         _ZN7rocprim17ROCPRIM_400000_NS6detail17trampoline_kernelINS0_14default_configENS1_29binary_search_config_selectorIN6thrust23THRUST_200600_302600_NS5tupleIiiNS6_9null_typeES8_S8_S8_S8_S8_S8_S8_EEiEEZNS1_14transform_implILb0ES3_SA_NS6_6detail15normal_iteratorINS6_7pointerIS9_NS6_11hip_rocprim5par_tENS6_11use_defaultESH_EEEENSD_INSE_IiSG_SH_SH_EEEEZNS1_13binary_searchIS3_SA_NSD_INS6_10device_ptrIS9_EEEESJ_SL_NS1_16binary_search_opENSC_16wrapped_functionINS6_6system6detail7generic6detail18binary_search_lessEbEEEE10hipError_tPvRmT1_T2_T3_mmT4_T5_P12ihipStream_tbEUlRKS9_E_EESY_S12_S13_mS14_S17_bEUlT_E_NS1_11comp_targetILNS1_3genE0ELNS1_11target_archE4294967295ELNS1_3gpuE0ELNS1_3repE0EEENS1_30default_config_static_selectorELNS0_4arch9wavefront6targetE0EEEvS11_.kd
    .uniform_work_group_size: 1
    .uses_dynamic_stack: false
    .vgpr_count:     0
    .vgpr_spill_count: 0
    .wavefront_size: 32
    .workgroup_processor_mode: 1
  - .args:
      - .offset:         0
        .size:           56
        .value_kind:     by_value
    .group_segment_fixed_size: 0
    .kernarg_segment_align: 8
    .kernarg_segment_size: 56
    .language:       OpenCL C
    .language_version:
      - 2
      - 0
    .max_flat_workgroup_size: 64
    .name:           _ZN7rocprim17ROCPRIM_400000_NS6detail17trampoline_kernelINS0_14default_configENS1_29binary_search_config_selectorIN6thrust23THRUST_200600_302600_NS5tupleIiiNS6_9null_typeES8_S8_S8_S8_S8_S8_S8_EEiEEZNS1_14transform_implILb0ES3_SA_NS6_6detail15normal_iteratorINS6_7pointerIS9_NS6_11hip_rocprim5par_tENS6_11use_defaultESH_EEEENSD_INSE_IiSG_SH_SH_EEEEZNS1_13binary_searchIS3_SA_NSD_INS6_10device_ptrIS9_EEEESJ_SL_NS1_16binary_search_opENSC_16wrapped_functionINS6_6system6detail7generic6detail18binary_search_lessEbEEEE10hipError_tPvRmT1_T2_T3_mmT4_T5_P12ihipStream_tbEUlRKS9_E_EESY_S12_S13_mS14_S17_bEUlT_E_NS1_11comp_targetILNS1_3genE5ELNS1_11target_archE942ELNS1_3gpuE9ELNS1_3repE0EEENS1_30default_config_static_selectorELNS0_4arch9wavefront6targetE0EEEvS11_
    .private_segment_fixed_size: 0
    .sgpr_count:     0
    .sgpr_spill_count: 0
    .symbol:         _ZN7rocprim17ROCPRIM_400000_NS6detail17trampoline_kernelINS0_14default_configENS1_29binary_search_config_selectorIN6thrust23THRUST_200600_302600_NS5tupleIiiNS6_9null_typeES8_S8_S8_S8_S8_S8_S8_EEiEEZNS1_14transform_implILb0ES3_SA_NS6_6detail15normal_iteratorINS6_7pointerIS9_NS6_11hip_rocprim5par_tENS6_11use_defaultESH_EEEENSD_INSE_IiSG_SH_SH_EEEEZNS1_13binary_searchIS3_SA_NSD_INS6_10device_ptrIS9_EEEESJ_SL_NS1_16binary_search_opENSC_16wrapped_functionINS6_6system6detail7generic6detail18binary_search_lessEbEEEE10hipError_tPvRmT1_T2_T3_mmT4_T5_P12ihipStream_tbEUlRKS9_E_EESY_S12_S13_mS14_S17_bEUlT_E_NS1_11comp_targetILNS1_3genE5ELNS1_11target_archE942ELNS1_3gpuE9ELNS1_3repE0EEENS1_30default_config_static_selectorELNS0_4arch9wavefront6targetE0EEEvS11_.kd
    .uniform_work_group_size: 1
    .uses_dynamic_stack: false
    .vgpr_count:     0
    .vgpr_spill_count: 0
    .wavefront_size: 32
    .workgroup_processor_mode: 1
  - .args:
      - .offset:         0
        .size:           56
        .value_kind:     by_value
    .group_segment_fixed_size: 0
    .kernarg_segment_align: 8
    .kernarg_segment_size: 56
    .language:       OpenCL C
    .language_version:
      - 2
      - 0
    .max_flat_workgroup_size: 64
    .name:           _ZN7rocprim17ROCPRIM_400000_NS6detail17trampoline_kernelINS0_14default_configENS1_29binary_search_config_selectorIN6thrust23THRUST_200600_302600_NS5tupleIiiNS6_9null_typeES8_S8_S8_S8_S8_S8_S8_EEiEEZNS1_14transform_implILb0ES3_SA_NS6_6detail15normal_iteratorINS6_7pointerIS9_NS6_11hip_rocprim5par_tENS6_11use_defaultESH_EEEENSD_INSE_IiSG_SH_SH_EEEEZNS1_13binary_searchIS3_SA_NSD_INS6_10device_ptrIS9_EEEESJ_SL_NS1_16binary_search_opENSC_16wrapped_functionINS6_6system6detail7generic6detail18binary_search_lessEbEEEE10hipError_tPvRmT1_T2_T3_mmT4_T5_P12ihipStream_tbEUlRKS9_E_EESY_S12_S13_mS14_S17_bEUlT_E_NS1_11comp_targetILNS1_3genE4ELNS1_11target_archE910ELNS1_3gpuE8ELNS1_3repE0EEENS1_30default_config_static_selectorELNS0_4arch9wavefront6targetE0EEEvS11_
    .private_segment_fixed_size: 0
    .sgpr_count:     0
    .sgpr_spill_count: 0
    .symbol:         _ZN7rocprim17ROCPRIM_400000_NS6detail17trampoline_kernelINS0_14default_configENS1_29binary_search_config_selectorIN6thrust23THRUST_200600_302600_NS5tupleIiiNS6_9null_typeES8_S8_S8_S8_S8_S8_S8_EEiEEZNS1_14transform_implILb0ES3_SA_NS6_6detail15normal_iteratorINS6_7pointerIS9_NS6_11hip_rocprim5par_tENS6_11use_defaultESH_EEEENSD_INSE_IiSG_SH_SH_EEEEZNS1_13binary_searchIS3_SA_NSD_INS6_10device_ptrIS9_EEEESJ_SL_NS1_16binary_search_opENSC_16wrapped_functionINS6_6system6detail7generic6detail18binary_search_lessEbEEEE10hipError_tPvRmT1_T2_T3_mmT4_T5_P12ihipStream_tbEUlRKS9_E_EESY_S12_S13_mS14_S17_bEUlT_E_NS1_11comp_targetILNS1_3genE4ELNS1_11target_archE910ELNS1_3gpuE8ELNS1_3repE0EEENS1_30default_config_static_selectorELNS0_4arch9wavefront6targetE0EEEvS11_.kd
    .uniform_work_group_size: 1
    .uses_dynamic_stack: false
    .vgpr_count:     0
    .vgpr_spill_count: 0
    .wavefront_size: 32
    .workgroup_processor_mode: 1
  - .args:
      - .offset:         0
        .size:           56
        .value_kind:     by_value
    .group_segment_fixed_size: 0
    .kernarg_segment_align: 8
    .kernarg_segment_size: 56
    .language:       OpenCL C
    .language_version:
      - 2
      - 0
    .max_flat_workgroup_size: 256
    .name:           _ZN7rocprim17ROCPRIM_400000_NS6detail17trampoline_kernelINS0_14default_configENS1_29binary_search_config_selectorIN6thrust23THRUST_200600_302600_NS5tupleIiiNS6_9null_typeES8_S8_S8_S8_S8_S8_S8_EEiEEZNS1_14transform_implILb0ES3_SA_NS6_6detail15normal_iteratorINS6_7pointerIS9_NS6_11hip_rocprim5par_tENS6_11use_defaultESH_EEEENSD_INSE_IiSG_SH_SH_EEEEZNS1_13binary_searchIS3_SA_NSD_INS6_10device_ptrIS9_EEEESJ_SL_NS1_16binary_search_opENSC_16wrapped_functionINS6_6system6detail7generic6detail18binary_search_lessEbEEEE10hipError_tPvRmT1_T2_T3_mmT4_T5_P12ihipStream_tbEUlRKS9_E_EESY_S12_S13_mS14_S17_bEUlT_E_NS1_11comp_targetILNS1_3genE3ELNS1_11target_archE908ELNS1_3gpuE7ELNS1_3repE0EEENS1_30default_config_static_selectorELNS0_4arch9wavefront6targetE0EEEvS11_
    .private_segment_fixed_size: 0
    .sgpr_count:     0
    .sgpr_spill_count: 0
    .symbol:         _ZN7rocprim17ROCPRIM_400000_NS6detail17trampoline_kernelINS0_14default_configENS1_29binary_search_config_selectorIN6thrust23THRUST_200600_302600_NS5tupleIiiNS6_9null_typeES8_S8_S8_S8_S8_S8_S8_EEiEEZNS1_14transform_implILb0ES3_SA_NS6_6detail15normal_iteratorINS6_7pointerIS9_NS6_11hip_rocprim5par_tENS6_11use_defaultESH_EEEENSD_INSE_IiSG_SH_SH_EEEEZNS1_13binary_searchIS3_SA_NSD_INS6_10device_ptrIS9_EEEESJ_SL_NS1_16binary_search_opENSC_16wrapped_functionINS6_6system6detail7generic6detail18binary_search_lessEbEEEE10hipError_tPvRmT1_T2_T3_mmT4_T5_P12ihipStream_tbEUlRKS9_E_EESY_S12_S13_mS14_S17_bEUlT_E_NS1_11comp_targetILNS1_3genE3ELNS1_11target_archE908ELNS1_3gpuE7ELNS1_3repE0EEENS1_30default_config_static_selectorELNS0_4arch9wavefront6targetE0EEEvS11_.kd
    .uniform_work_group_size: 1
    .uses_dynamic_stack: false
    .vgpr_count:     0
    .vgpr_spill_count: 0
    .wavefront_size: 32
    .workgroup_processor_mode: 1
  - .args:
      - .offset:         0
        .size:           56
        .value_kind:     by_value
    .group_segment_fixed_size: 0
    .kernarg_segment_align: 8
    .kernarg_segment_size: 56
    .language:       OpenCL C
    .language_version:
      - 2
      - 0
    .max_flat_workgroup_size: 256
    .name:           _ZN7rocprim17ROCPRIM_400000_NS6detail17trampoline_kernelINS0_14default_configENS1_29binary_search_config_selectorIN6thrust23THRUST_200600_302600_NS5tupleIiiNS6_9null_typeES8_S8_S8_S8_S8_S8_S8_EEiEEZNS1_14transform_implILb0ES3_SA_NS6_6detail15normal_iteratorINS6_7pointerIS9_NS6_11hip_rocprim5par_tENS6_11use_defaultESH_EEEENSD_INSE_IiSG_SH_SH_EEEEZNS1_13binary_searchIS3_SA_NSD_INS6_10device_ptrIS9_EEEESJ_SL_NS1_16binary_search_opENSC_16wrapped_functionINS6_6system6detail7generic6detail18binary_search_lessEbEEEE10hipError_tPvRmT1_T2_T3_mmT4_T5_P12ihipStream_tbEUlRKS9_E_EESY_S12_S13_mS14_S17_bEUlT_E_NS1_11comp_targetILNS1_3genE2ELNS1_11target_archE906ELNS1_3gpuE6ELNS1_3repE0EEENS1_30default_config_static_selectorELNS0_4arch9wavefront6targetE0EEEvS11_
    .private_segment_fixed_size: 0
    .sgpr_count:     0
    .sgpr_spill_count: 0
    .symbol:         _ZN7rocprim17ROCPRIM_400000_NS6detail17trampoline_kernelINS0_14default_configENS1_29binary_search_config_selectorIN6thrust23THRUST_200600_302600_NS5tupleIiiNS6_9null_typeES8_S8_S8_S8_S8_S8_S8_EEiEEZNS1_14transform_implILb0ES3_SA_NS6_6detail15normal_iteratorINS6_7pointerIS9_NS6_11hip_rocprim5par_tENS6_11use_defaultESH_EEEENSD_INSE_IiSG_SH_SH_EEEEZNS1_13binary_searchIS3_SA_NSD_INS6_10device_ptrIS9_EEEESJ_SL_NS1_16binary_search_opENSC_16wrapped_functionINS6_6system6detail7generic6detail18binary_search_lessEbEEEE10hipError_tPvRmT1_T2_T3_mmT4_T5_P12ihipStream_tbEUlRKS9_E_EESY_S12_S13_mS14_S17_bEUlT_E_NS1_11comp_targetILNS1_3genE2ELNS1_11target_archE906ELNS1_3gpuE6ELNS1_3repE0EEENS1_30default_config_static_selectorELNS0_4arch9wavefront6targetE0EEEvS11_.kd
    .uniform_work_group_size: 1
    .uses_dynamic_stack: false
    .vgpr_count:     0
    .vgpr_spill_count: 0
    .wavefront_size: 32
    .workgroup_processor_mode: 1
  - .args:
      - .offset:         0
        .size:           56
        .value_kind:     by_value
    .group_segment_fixed_size: 0
    .kernarg_segment_align: 8
    .kernarg_segment_size: 56
    .language:       OpenCL C
    .language_version:
      - 2
      - 0
    .max_flat_workgroup_size: 128
    .name:           _ZN7rocprim17ROCPRIM_400000_NS6detail17trampoline_kernelINS0_14default_configENS1_29binary_search_config_selectorIN6thrust23THRUST_200600_302600_NS5tupleIiiNS6_9null_typeES8_S8_S8_S8_S8_S8_S8_EEiEEZNS1_14transform_implILb0ES3_SA_NS6_6detail15normal_iteratorINS6_7pointerIS9_NS6_11hip_rocprim5par_tENS6_11use_defaultESH_EEEENSD_INSE_IiSG_SH_SH_EEEEZNS1_13binary_searchIS3_SA_NSD_INS6_10device_ptrIS9_EEEESJ_SL_NS1_16binary_search_opENSC_16wrapped_functionINS6_6system6detail7generic6detail18binary_search_lessEbEEEE10hipError_tPvRmT1_T2_T3_mmT4_T5_P12ihipStream_tbEUlRKS9_E_EESY_S12_S13_mS14_S17_bEUlT_E_NS1_11comp_targetILNS1_3genE10ELNS1_11target_archE1201ELNS1_3gpuE5ELNS1_3repE0EEENS1_30default_config_static_selectorELNS0_4arch9wavefront6targetE0EEEvS11_
    .private_segment_fixed_size: 0
    .sgpr_count:     0
    .sgpr_spill_count: 0
    .symbol:         _ZN7rocprim17ROCPRIM_400000_NS6detail17trampoline_kernelINS0_14default_configENS1_29binary_search_config_selectorIN6thrust23THRUST_200600_302600_NS5tupleIiiNS6_9null_typeES8_S8_S8_S8_S8_S8_S8_EEiEEZNS1_14transform_implILb0ES3_SA_NS6_6detail15normal_iteratorINS6_7pointerIS9_NS6_11hip_rocprim5par_tENS6_11use_defaultESH_EEEENSD_INSE_IiSG_SH_SH_EEEEZNS1_13binary_searchIS3_SA_NSD_INS6_10device_ptrIS9_EEEESJ_SL_NS1_16binary_search_opENSC_16wrapped_functionINS6_6system6detail7generic6detail18binary_search_lessEbEEEE10hipError_tPvRmT1_T2_T3_mmT4_T5_P12ihipStream_tbEUlRKS9_E_EESY_S12_S13_mS14_S17_bEUlT_E_NS1_11comp_targetILNS1_3genE10ELNS1_11target_archE1201ELNS1_3gpuE5ELNS1_3repE0EEENS1_30default_config_static_selectorELNS0_4arch9wavefront6targetE0EEEvS11_.kd
    .uniform_work_group_size: 1
    .uses_dynamic_stack: false
    .vgpr_count:     0
    .vgpr_spill_count: 0
    .wavefront_size: 32
    .workgroup_processor_mode: 1
  - .args:
      - .offset:         0
        .size:           56
        .value_kind:     by_value
    .group_segment_fixed_size: 0
    .kernarg_segment_align: 8
    .kernarg_segment_size: 56
    .language:       OpenCL C
    .language_version:
      - 2
      - 0
    .max_flat_workgroup_size: 128
    .name:           _ZN7rocprim17ROCPRIM_400000_NS6detail17trampoline_kernelINS0_14default_configENS1_29binary_search_config_selectorIN6thrust23THRUST_200600_302600_NS5tupleIiiNS6_9null_typeES8_S8_S8_S8_S8_S8_S8_EEiEEZNS1_14transform_implILb0ES3_SA_NS6_6detail15normal_iteratorINS6_7pointerIS9_NS6_11hip_rocprim5par_tENS6_11use_defaultESH_EEEENSD_INSE_IiSG_SH_SH_EEEEZNS1_13binary_searchIS3_SA_NSD_INS6_10device_ptrIS9_EEEESJ_SL_NS1_16binary_search_opENSC_16wrapped_functionINS6_6system6detail7generic6detail18binary_search_lessEbEEEE10hipError_tPvRmT1_T2_T3_mmT4_T5_P12ihipStream_tbEUlRKS9_E_EESY_S12_S13_mS14_S17_bEUlT_E_NS1_11comp_targetILNS1_3genE10ELNS1_11target_archE1200ELNS1_3gpuE4ELNS1_3repE0EEENS1_30default_config_static_selectorELNS0_4arch9wavefront6targetE0EEEvS11_
    .private_segment_fixed_size: 0
    .sgpr_count:     0
    .sgpr_spill_count: 0
    .symbol:         _ZN7rocprim17ROCPRIM_400000_NS6detail17trampoline_kernelINS0_14default_configENS1_29binary_search_config_selectorIN6thrust23THRUST_200600_302600_NS5tupleIiiNS6_9null_typeES8_S8_S8_S8_S8_S8_S8_EEiEEZNS1_14transform_implILb0ES3_SA_NS6_6detail15normal_iteratorINS6_7pointerIS9_NS6_11hip_rocprim5par_tENS6_11use_defaultESH_EEEENSD_INSE_IiSG_SH_SH_EEEEZNS1_13binary_searchIS3_SA_NSD_INS6_10device_ptrIS9_EEEESJ_SL_NS1_16binary_search_opENSC_16wrapped_functionINS6_6system6detail7generic6detail18binary_search_lessEbEEEE10hipError_tPvRmT1_T2_T3_mmT4_T5_P12ihipStream_tbEUlRKS9_E_EESY_S12_S13_mS14_S17_bEUlT_E_NS1_11comp_targetILNS1_3genE10ELNS1_11target_archE1200ELNS1_3gpuE4ELNS1_3repE0EEENS1_30default_config_static_selectorELNS0_4arch9wavefront6targetE0EEEvS11_.kd
    .uniform_work_group_size: 1
    .uses_dynamic_stack: false
    .vgpr_count:     0
    .vgpr_spill_count: 0
    .wavefront_size: 32
    .workgroup_processor_mode: 1
  - .args:
      - .offset:         0
        .size:           56
        .value_kind:     by_value
    .group_segment_fixed_size: 0
    .kernarg_segment_align: 8
    .kernarg_segment_size: 56
    .language:       OpenCL C
    .language_version:
      - 2
      - 0
    .max_flat_workgroup_size: 256
    .name:           _ZN7rocprim17ROCPRIM_400000_NS6detail17trampoline_kernelINS0_14default_configENS1_29binary_search_config_selectorIN6thrust23THRUST_200600_302600_NS5tupleIiiNS6_9null_typeES8_S8_S8_S8_S8_S8_S8_EEiEEZNS1_14transform_implILb0ES3_SA_NS6_6detail15normal_iteratorINS6_7pointerIS9_NS6_11hip_rocprim5par_tENS6_11use_defaultESH_EEEENSD_INSE_IiSG_SH_SH_EEEEZNS1_13binary_searchIS3_SA_NSD_INS6_10device_ptrIS9_EEEESJ_SL_NS1_16binary_search_opENSC_16wrapped_functionINS6_6system6detail7generic6detail18binary_search_lessEbEEEE10hipError_tPvRmT1_T2_T3_mmT4_T5_P12ihipStream_tbEUlRKS9_E_EESY_S12_S13_mS14_S17_bEUlT_E_NS1_11comp_targetILNS1_3genE9ELNS1_11target_archE1100ELNS1_3gpuE3ELNS1_3repE0EEENS1_30default_config_static_selectorELNS0_4arch9wavefront6targetE0EEEvS11_
    .private_segment_fixed_size: 0
    .sgpr_count:     0
    .sgpr_spill_count: 0
    .symbol:         _ZN7rocprim17ROCPRIM_400000_NS6detail17trampoline_kernelINS0_14default_configENS1_29binary_search_config_selectorIN6thrust23THRUST_200600_302600_NS5tupleIiiNS6_9null_typeES8_S8_S8_S8_S8_S8_S8_EEiEEZNS1_14transform_implILb0ES3_SA_NS6_6detail15normal_iteratorINS6_7pointerIS9_NS6_11hip_rocprim5par_tENS6_11use_defaultESH_EEEENSD_INSE_IiSG_SH_SH_EEEEZNS1_13binary_searchIS3_SA_NSD_INS6_10device_ptrIS9_EEEESJ_SL_NS1_16binary_search_opENSC_16wrapped_functionINS6_6system6detail7generic6detail18binary_search_lessEbEEEE10hipError_tPvRmT1_T2_T3_mmT4_T5_P12ihipStream_tbEUlRKS9_E_EESY_S12_S13_mS14_S17_bEUlT_E_NS1_11comp_targetILNS1_3genE9ELNS1_11target_archE1100ELNS1_3gpuE3ELNS1_3repE0EEENS1_30default_config_static_selectorELNS0_4arch9wavefront6targetE0EEEvS11_.kd
    .uniform_work_group_size: 1
    .uses_dynamic_stack: false
    .vgpr_count:     0
    .vgpr_spill_count: 0
    .wavefront_size: 32
    .workgroup_processor_mode: 1
  - .args:
      - .offset:         0
        .size:           56
        .value_kind:     by_value
      - .offset:         56
        .size:           4
        .value_kind:     hidden_block_count_x
      - .offset:         60
        .size:           4
        .value_kind:     hidden_block_count_y
      - .offset:         64
        .size:           4
        .value_kind:     hidden_block_count_z
      - .offset:         68
        .size:           2
        .value_kind:     hidden_group_size_x
      - .offset:         70
        .size:           2
        .value_kind:     hidden_group_size_y
      - .offset:         72
        .size:           2
        .value_kind:     hidden_group_size_z
      - .offset:         74
        .size:           2
        .value_kind:     hidden_remainder_x
      - .offset:         76
        .size:           2
        .value_kind:     hidden_remainder_y
      - .offset:         78
        .size:           2
        .value_kind:     hidden_remainder_z
      - .offset:         96
        .size:           8
        .value_kind:     hidden_global_offset_x
      - .offset:         104
        .size:           8
        .value_kind:     hidden_global_offset_y
      - .offset:         112
        .size:           8
        .value_kind:     hidden_global_offset_z
      - .offset:         120
        .size:           2
        .value_kind:     hidden_grid_dims
    .group_segment_fixed_size: 0
    .kernarg_segment_align: 8
    .kernarg_segment_size: 312
    .language:       OpenCL C
    .language_version:
      - 2
      - 0
    .max_flat_workgroup_size: 256
    .name:           _ZN7rocprim17ROCPRIM_400000_NS6detail17trampoline_kernelINS0_14default_configENS1_29binary_search_config_selectorIN6thrust23THRUST_200600_302600_NS5tupleIiiNS6_9null_typeES8_S8_S8_S8_S8_S8_S8_EEiEEZNS1_14transform_implILb0ES3_SA_NS6_6detail15normal_iteratorINS6_7pointerIS9_NS6_11hip_rocprim5par_tENS6_11use_defaultESH_EEEENSD_INSE_IiSG_SH_SH_EEEEZNS1_13binary_searchIS3_SA_NSD_INS6_10device_ptrIS9_EEEESJ_SL_NS1_16binary_search_opENSC_16wrapped_functionINS6_6system6detail7generic6detail18binary_search_lessEbEEEE10hipError_tPvRmT1_T2_T3_mmT4_T5_P12ihipStream_tbEUlRKS9_E_EESY_S12_S13_mS14_S17_bEUlT_E_NS1_11comp_targetILNS1_3genE8ELNS1_11target_archE1030ELNS1_3gpuE2ELNS1_3repE0EEENS1_30default_config_static_selectorELNS0_4arch9wavefront6targetE0EEEvS11_
    .private_segment_fixed_size: 0
    .sgpr_count:     20
    .sgpr_spill_count: 0
    .symbol:         _ZN7rocprim17ROCPRIM_400000_NS6detail17trampoline_kernelINS0_14default_configENS1_29binary_search_config_selectorIN6thrust23THRUST_200600_302600_NS5tupleIiiNS6_9null_typeES8_S8_S8_S8_S8_S8_S8_EEiEEZNS1_14transform_implILb0ES3_SA_NS6_6detail15normal_iteratorINS6_7pointerIS9_NS6_11hip_rocprim5par_tENS6_11use_defaultESH_EEEENSD_INSE_IiSG_SH_SH_EEEEZNS1_13binary_searchIS3_SA_NSD_INS6_10device_ptrIS9_EEEESJ_SL_NS1_16binary_search_opENSC_16wrapped_functionINS6_6system6detail7generic6detail18binary_search_lessEbEEEE10hipError_tPvRmT1_T2_T3_mmT4_T5_P12ihipStream_tbEUlRKS9_E_EESY_S12_S13_mS14_S17_bEUlT_E_NS1_11comp_targetILNS1_3genE8ELNS1_11target_archE1030ELNS1_3gpuE2ELNS1_3repE0EEENS1_30default_config_static_selectorELNS0_4arch9wavefront6targetE0EEEvS11_.kd
    .uniform_work_group_size: 1
    .uses_dynamic_stack: false
    .vgpr_count:     14
    .vgpr_spill_count: 0
    .wavefront_size: 32
    .workgroup_processor_mode: 1
  - .args:
      - .offset:         0
        .size:           56
        .value_kind:     by_value
    .group_segment_fixed_size: 0
    .kernarg_segment_align: 8
    .kernarg_segment_size: 56
    .language:       OpenCL C
    .language_version:
      - 2
      - 0
    .max_flat_workgroup_size: 256
    .name:           _ZN7rocprim17ROCPRIM_400000_NS6detail17trampoline_kernelINS0_14default_configENS1_29binary_search_config_selectorIibEEZNS1_14transform_implILb0ES3_S5_N6thrust23THRUST_200600_302600_NS6detail15normal_iteratorINS8_10device_ptrIiEEEENSA_INSB_IbEEEEZNS1_13binary_searchIS3_S5_SD_SD_SF_NS1_16binary_search_opENS9_16wrapped_functionINS0_4lessIvEEbEEEE10hipError_tPvRmT1_T2_T3_mmT4_T5_P12ihipStream_tbEUlRKiE_EESM_SQ_SR_mSS_SV_bEUlT_E_NS1_11comp_targetILNS1_3genE0ELNS1_11target_archE4294967295ELNS1_3gpuE0ELNS1_3repE0EEENS1_30default_config_static_selectorELNS0_4arch9wavefront6targetE0EEEvSP_
    .private_segment_fixed_size: 0
    .sgpr_count:     0
    .sgpr_spill_count: 0
    .symbol:         _ZN7rocprim17ROCPRIM_400000_NS6detail17trampoline_kernelINS0_14default_configENS1_29binary_search_config_selectorIibEEZNS1_14transform_implILb0ES3_S5_N6thrust23THRUST_200600_302600_NS6detail15normal_iteratorINS8_10device_ptrIiEEEENSA_INSB_IbEEEEZNS1_13binary_searchIS3_S5_SD_SD_SF_NS1_16binary_search_opENS9_16wrapped_functionINS0_4lessIvEEbEEEE10hipError_tPvRmT1_T2_T3_mmT4_T5_P12ihipStream_tbEUlRKiE_EESM_SQ_SR_mSS_SV_bEUlT_E_NS1_11comp_targetILNS1_3genE0ELNS1_11target_archE4294967295ELNS1_3gpuE0ELNS1_3repE0EEENS1_30default_config_static_selectorELNS0_4arch9wavefront6targetE0EEEvSP_.kd
    .uniform_work_group_size: 1
    .uses_dynamic_stack: false
    .vgpr_count:     0
    .vgpr_spill_count: 0
    .wavefront_size: 32
    .workgroup_processor_mode: 1
  - .args:
      - .offset:         0
        .size:           56
        .value_kind:     by_value
    .group_segment_fixed_size: 0
    .kernarg_segment_align: 8
    .kernarg_segment_size: 56
    .language:       OpenCL C
    .language_version:
      - 2
      - 0
    .max_flat_workgroup_size: 256
    .name:           _ZN7rocprim17ROCPRIM_400000_NS6detail17trampoline_kernelINS0_14default_configENS1_29binary_search_config_selectorIibEEZNS1_14transform_implILb0ES3_S5_N6thrust23THRUST_200600_302600_NS6detail15normal_iteratorINS8_10device_ptrIiEEEENSA_INSB_IbEEEEZNS1_13binary_searchIS3_S5_SD_SD_SF_NS1_16binary_search_opENS9_16wrapped_functionINS0_4lessIvEEbEEEE10hipError_tPvRmT1_T2_T3_mmT4_T5_P12ihipStream_tbEUlRKiE_EESM_SQ_SR_mSS_SV_bEUlT_E_NS1_11comp_targetILNS1_3genE5ELNS1_11target_archE942ELNS1_3gpuE9ELNS1_3repE0EEENS1_30default_config_static_selectorELNS0_4arch9wavefront6targetE0EEEvSP_
    .private_segment_fixed_size: 0
    .sgpr_count:     0
    .sgpr_spill_count: 0
    .symbol:         _ZN7rocprim17ROCPRIM_400000_NS6detail17trampoline_kernelINS0_14default_configENS1_29binary_search_config_selectorIibEEZNS1_14transform_implILb0ES3_S5_N6thrust23THRUST_200600_302600_NS6detail15normal_iteratorINS8_10device_ptrIiEEEENSA_INSB_IbEEEEZNS1_13binary_searchIS3_S5_SD_SD_SF_NS1_16binary_search_opENS9_16wrapped_functionINS0_4lessIvEEbEEEE10hipError_tPvRmT1_T2_T3_mmT4_T5_P12ihipStream_tbEUlRKiE_EESM_SQ_SR_mSS_SV_bEUlT_E_NS1_11comp_targetILNS1_3genE5ELNS1_11target_archE942ELNS1_3gpuE9ELNS1_3repE0EEENS1_30default_config_static_selectorELNS0_4arch9wavefront6targetE0EEEvSP_.kd
    .uniform_work_group_size: 1
    .uses_dynamic_stack: false
    .vgpr_count:     0
    .vgpr_spill_count: 0
    .wavefront_size: 32
    .workgroup_processor_mode: 1
  - .args:
      - .offset:         0
        .size:           56
        .value_kind:     by_value
    .group_segment_fixed_size: 0
    .kernarg_segment_align: 8
    .kernarg_segment_size: 56
    .language:       OpenCL C
    .language_version:
      - 2
      - 0
    .max_flat_workgroup_size: 256
    .name:           _ZN7rocprim17ROCPRIM_400000_NS6detail17trampoline_kernelINS0_14default_configENS1_29binary_search_config_selectorIibEEZNS1_14transform_implILb0ES3_S5_N6thrust23THRUST_200600_302600_NS6detail15normal_iteratorINS8_10device_ptrIiEEEENSA_INSB_IbEEEEZNS1_13binary_searchIS3_S5_SD_SD_SF_NS1_16binary_search_opENS9_16wrapped_functionINS0_4lessIvEEbEEEE10hipError_tPvRmT1_T2_T3_mmT4_T5_P12ihipStream_tbEUlRKiE_EESM_SQ_SR_mSS_SV_bEUlT_E_NS1_11comp_targetILNS1_3genE4ELNS1_11target_archE910ELNS1_3gpuE8ELNS1_3repE0EEENS1_30default_config_static_selectorELNS0_4arch9wavefront6targetE0EEEvSP_
    .private_segment_fixed_size: 0
    .sgpr_count:     0
    .sgpr_spill_count: 0
    .symbol:         _ZN7rocprim17ROCPRIM_400000_NS6detail17trampoline_kernelINS0_14default_configENS1_29binary_search_config_selectorIibEEZNS1_14transform_implILb0ES3_S5_N6thrust23THRUST_200600_302600_NS6detail15normal_iteratorINS8_10device_ptrIiEEEENSA_INSB_IbEEEEZNS1_13binary_searchIS3_S5_SD_SD_SF_NS1_16binary_search_opENS9_16wrapped_functionINS0_4lessIvEEbEEEE10hipError_tPvRmT1_T2_T3_mmT4_T5_P12ihipStream_tbEUlRKiE_EESM_SQ_SR_mSS_SV_bEUlT_E_NS1_11comp_targetILNS1_3genE4ELNS1_11target_archE910ELNS1_3gpuE8ELNS1_3repE0EEENS1_30default_config_static_selectorELNS0_4arch9wavefront6targetE0EEEvSP_.kd
    .uniform_work_group_size: 1
    .uses_dynamic_stack: false
    .vgpr_count:     0
    .vgpr_spill_count: 0
    .wavefront_size: 32
    .workgroup_processor_mode: 1
  - .args:
      - .offset:         0
        .size:           56
        .value_kind:     by_value
    .group_segment_fixed_size: 0
    .kernarg_segment_align: 8
    .kernarg_segment_size: 56
    .language:       OpenCL C
    .language_version:
      - 2
      - 0
    .max_flat_workgroup_size: 256
    .name:           _ZN7rocprim17ROCPRIM_400000_NS6detail17trampoline_kernelINS0_14default_configENS1_29binary_search_config_selectorIibEEZNS1_14transform_implILb0ES3_S5_N6thrust23THRUST_200600_302600_NS6detail15normal_iteratorINS8_10device_ptrIiEEEENSA_INSB_IbEEEEZNS1_13binary_searchIS3_S5_SD_SD_SF_NS1_16binary_search_opENS9_16wrapped_functionINS0_4lessIvEEbEEEE10hipError_tPvRmT1_T2_T3_mmT4_T5_P12ihipStream_tbEUlRKiE_EESM_SQ_SR_mSS_SV_bEUlT_E_NS1_11comp_targetILNS1_3genE3ELNS1_11target_archE908ELNS1_3gpuE7ELNS1_3repE0EEENS1_30default_config_static_selectorELNS0_4arch9wavefront6targetE0EEEvSP_
    .private_segment_fixed_size: 0
    .sgpr_count:     0
    .sgpr_spill_count: 0
    .symbol:         _ZN7rocprim17ROCPRIM_400000_NS6detail17trampoline_kernelINS0_14default_configENS1_29binary_search_config_selectorIibEEZNS1_14transform_implILb0ES3_S5_N6thrust23THRUST_200600_302600_NS6detail15normal_iteratorINS8_10device_ptrIiEEEENSA_INSB_IbEEEEZNS1_13binary_searchIS3_S5_SD_SD_SF_NS1_16binary_search_opENS9_16wrapped_functionINS0_4lessIvEEbEEEE10hipError_tPvRmT1_T2_T3_mmT4_T5_P12ihipStream_tbEUlRKiE_EESM_SQ_SR_mSS_SV_bEUlT_E_NS1_11comp_targetILNS1_3genE3ELNS1_11target_archE908ELNS1_3gpuE7ELNS1_3repE0EEENS1_30default_config_static_selectorELNS0_4arch9wavefront6targetE0EEEvSP_.kd
    .uniform_work_group_size: 1
    .uses_dynamic_stack: false
    .vgpr_count:     0
    .vgpr_spill_count: 0
    .wavefront_size: 32
    .workgroup_processor_mode: 1
  - .args:
      - .offset:         0
        .size:           56
        .value_kind:     by_value
    .group_segment_fixed_size: 0
    .kernarg_segment_align: 8
    .kernarg_segment_size: 56
    .language:       OpenCL C
    .language_version:
      - 2
      - 0
    .max_flat_workgroup_size: 256
    .name:           _ZN7rocprim17ROCPRIM_400000_NS6detail17trampoline_kernelINS0_14default_configENS1_29binary_search_config_selectorIibEEZNS1_14transform_implILb0ES3_S5_N6thrust23THRUST_200600_302600_NS6detail15normal_iteratorINS8_10device_ptrIiEEEENSA_INSB_IbEEEEZNS1_13binary_searchIS3_S5_SD_SD_SF_NS1_16binary_search_opENS9_16wrapped_functionINS0_4lessIvEEbEEEE10hipError_tPvRmT1_T2_T3_mmT4_T5_P12ihipStream_tbEUlRKiE_EESM_SQ_SR_mSS_SV_bEUlT_E_NS1_11comp_targetILNS1_3genE2ELNS1_11target_archE906ELNS1_3gpuE6ELNS1_3repE0EEENS1_30default_config_static_selectorELNS0_4arch9wavefront6targetE0EEEvSP_
    .private_segment_fixed_size: 0
    .sgpr_count:     0
    .sgpr_spill_count: 0
    .symbol:         _ZN7rocprim17ROCPRIM_400000_NS6detail17trampoline_kernelINS0_14default_configENS1_29binary_search_config_selectorIibEEZNS1_14transform_implILb0ES3_S5_N6thrust23THRUST_200600_302600_NS6detail15normal_iteratorINS8_10device_ptrIiEEEENSA_INSB_IbEEEEZNS1_13binary_searchIS3_S5_SD_SD_SF_NS1_16binary_search_opENS9_16wrapped_functionINS0_4lessIvEEbEEEE10hipError_tPvRmT1_T2_T3_mmT4_T5_P12ihipStream_tbEUlRKiE_EESM_SQ_SR_mSS_SV_bEUlT_E_NS1_11comp_targetILNS1_3genE2ELNS1_11target_archE906ELNS1_3gpuE6ELNS1_3repE0EEENS1_30default_config_static_selectorELNS0_4arch9wavefront6targetE0EEEvSP_.kd
    .uniform_work_group_size: 1
    .uses_dynamic_stack: false
    .vgpr_count:     0
    .vgpr_spill_count: 0
    .wavefront_size: 32
    .workgroup_processor_mode: 1
  - .args:
      - .offset:         0
        .size:           56
        .value_kind:     by_value
    .group_segment_fixed_size: 0
    .kernarg_segment_align: 8
    .kernarg_segment_size: 56
    .language:       OpenCL C
    .language_version:
      - 2
      - 0
    .max_flat_workgroup_size: 128
    .name:           _ZN7rocprim17ROCPRIM_400000_NS6detail17trampoline_kernelINS0_14default_configENS1_29binary_search_config_selectorIibEEZNS1_14transform_implILb0ES3_S5_N6thrust23THRUST_200600_302600_NS6detail15normal_iteratorINS8_10device_ptrIiEEEENSA_INSB_IbEEEEZNS1_13binary_searchIS3_S5_SD_SD_SF_NS1_16binary_search_opENS9_16wrapped_functionINS0_4lessIvEEbEEEE10hipError_tPvRmT1_T2_T3_mmT4_T5_P12ihipStream_tbEUlRKiE_EESM_SQ_SR_mSS_SV_bEUlT_E_NS1_11comp_targetILNS1_3genE10ELNS1_11target_archE1201ELNS1_3gpuE5ELNS1_3repE0EEENS1_30default_config_static_selectorELNS0_4arch9wavefront6targetE0EEEvSP_
    .private_segment_fixed_size: 0
    .sgpr_count:     0
    .sgpr_spill_count: 0
    .symbol:         _ZN7rocprim17ROCPRIM_400000_NS6detail17trampoline_kernelINS0_14default_configENS1_29binary_search_config_selectorIibEEZNS1_14transform_implILb0ES3_S5_N6thrust23THRUST_200600_302600_NS6detail15normal_iteratorINS8_10device_ptrIiEEEENSA_INSB_IbEEEEZNS1_13binary_searchIS3_S5_SD_SD_SF_NS1_16binary_search_opENS9_16wrapped_functionINS0_4lessIvEEbEEEE10hipError_tPvRmT1_T2_T3_mmT4_T5_P12ihipStream_tbEUlRKiE_EESM_SQ_SR_mSS_SV_bEUlT_E_NS1_11comp_targetILNS1_3genE10ELNS1_11target_archE1201ELNS1_3gpuE5ELNS1_3repE0EEENS1_30default_config_static_selectorELNS0_4arch9wavefront6targetE0EEEvSP_.kd
    .uniform_work_group_size: 1
    .uses_dynamic_stack: false
    .vgpr_count:     0
    .vgpr_spill_count: 0
    .wavefront_size: 32
    .workgroup_processor_mode: 1
  - .args:
      - .offset:         0
        .size:           56
        .value_kind:     by_value
    .group_segment_fixed_size: 0
    .kernarg_segment_align: 8
    .kernarg_segment_size: 56
    .language:       OpenCL C
    .language_version:
      - 2
      - 0
    .max_flat_workgroup_size: 128
    .name:           _ZN7rocprim17ROCPRIM_400000_NS6detail17trampoline_kernelINS0_14default_configENS1_29binary_search_config_selectorIibEEZNS1_14transform_implILb0ES3_S5_N6thrust23THRUST_200600_302600_NS6detail15normal_iteratorINS8_10device_ptrIiEEEENSA_INSB_IbEEEEZNS1_13binary_searchIS3_S5_SD_SD_SF_NS1_16binary_search_opENS9_16wrapped_functionINS0_4lessIvEEbEEEE10hipError_tPvRmT1_T2_T3_mmT4_T5_P12ihipStream_tbEUlRKiE_EESM_SQ_SR_mSS_SV_bEUlT_E_NS1_11comp_targetILNS1_3genE10ELNS1_11target_archE1200ELNS1_3gpuE4ELNS1_3repE0EEENS1_30default_config_static_selectorELNS0_4arch9wavefront6targetE0EEEvSP_
    .private_segment_fixed_size: 0
    .sgpr_count:     0
    .sgpr_spill_count: 0
    .symbol:         _ZN7rocprim17ROCPRIM_400000_NS6detail17trampoline_kernelINS0_14default_configENS1_29binary_search_config_selectorIibEEZNS1_14transform_implILb0ES3_S5_N6thrust23THRUST_200600_302600_NS6detail15normal_iteratorINS8_10device_ptrIiEEEENSA_INSB_IbEEEEZNS1_13binary_searchIS3_S5_SD_SD_SF_NS1_16binary_search_opENS9_16wrapped_functionINS0_4lessIvEEbEEEE10hipError_tPvRmT1_T2_T3_mmT4_T5_P12ihipStream_tbEUlRKiE_EESM_SQ_SR_mSS_SV_bEUlT_E_NS1_11comp_targetILNS1_3genE10ELNS1_11target_archE1200ELNS1_3gpuE4ELNS1_3repE0EEENS1_30default_config_static_selectorELNS0_4arch9wavefront6targetE0EEEvSP_.kd
    .uniform_work_group_size: 1
    .uses_dynamic_stack: false
    .vgpr_count:     0
    .vgpr_spill_count: 0
    .wavefront_size: 32
    .workgroup_processor_mode: 1
  - .args:
      - .offset:         0
        .size:           56
        .value_kind:     by_value
    .group_segment_fixed_size: 0
    .kernarg_segment_align: 8
    .kernarg_segment_size: 56
    .language:       OpenCL C
    .language_version:
      - 2
      - 0
    .max_flat_workgroup_size: 256
    .name:           _ZN7rocprim17ROCPRIM_400000_NS6detail17trampoline_kernelINS0_14default_configENS1_29binary_search_config_selectorIibEEZNS1_14transform_implILb0ES3_S5_N6thrust23THRUST_200600_302600_NS6detail15normal_iteratorINS8_10device_ptrIiEEEENSA_INSB_IbEEEEZNS1_13binary_searchIS3_S5_SD_SD_SF_NS1_16binary_search_opENS9_16wrapped_functionINS0_4lessIvEEbEEEE10hipError_tPvRmT1_T2_T3_mmT4_T5_P12ihipStream_tbEUlRKiE_EESM_SQ_SR_mSS_SV_bEUlT_E_NS1_11comp_targetILNS1_3genE9ELNS1_11target_archE1100ELNS1_3gpuE3ELNS1_3repE0EEENS1_30default_config_static_selectorELNS0_4arch9wavefront6targetE0EEEvSP_
    .private_segment_fixed_size: 0
    .sgpr_count:     0
    .sgpr_spill_count: 0
    .symbol:         _ZN7rocprim17ROCPRIM_400000_NS6detail17trampoline_kernelINS0_14default_configENS1_29binary_search_config_selectorIibEEZNS1_14transform_implILb0ES3_S5_N6thrust23THRUST_200600_302600_NS6detail15normal_iteratorINS8_10device_ptrIiEEEENSA_INSB_IbEEEEZNS1_13binary_searchIS3_S5_SD_SD_SF_NS1_16binary_search_opENS9_16wrapped_functionINS0_4lessIvEEbEEEE10hipError_tPvRmT1_T2_T3_mmT4_T5_P12ihipStream_tbEUlRKiE_EESM_SQ_SR_mSS_SV_bEUlT_E_NS1_11comp_targetILNS1_3genE9ELNS1_11target_archE1100ELNS1_3gpuE3ELNS1_3repE0EEENS1_30default_config_static_selectorELNS0_4arch9wavefront6targetE0EEEvSP_.kd
    .uniform_work_group_size: 1
    .uses_dynamic_stack: false
    .vgpr_count:     0
    .vgpr_spill_count: 0
    .wavefront_size: 32
    .workgroup_processor_mode: 1
  - .args:
      - .offset:         0
        .size:           56
        .value_kind:     by_value
      - .offset:         56
        .size:           4
        .value_kind:     hidden_block_count_x
      - .offset:         60
        .size:           4
        .value_kind:     hidden_block_count_y
      - .offset:         64
        .size:           4
        .value_kind:     hidden_block_count_z
      - .offset:         68
        .size:           2
        .value_kind:     hidden_group_size_x
      - .offset:         70
        .size:           2
        .value_kind:     hidden_group_size_y
      - .offset:         72
        .size:           2
        .value_kind:     hidden_group_size_z
      - .offset:         74
        .size:           2
        .value_kind:     hidden_remainder_x
      - .offset:         76
        .size:           2
        .value_kind:     hidden_remainder_y
      - .offset:         78
        .size:           2
        .value_kind:     hidden_remainder_z
      - .offset:         96
        .size:           8
        .value_kind:     hidden_global_offset_x
      - .offset:         104
        .size:           8
        .value_kind:     hidden_global_offset_y
      - .offset:         112
        .size:           8
        .value_kind:     hidden_global_offset_z
      - .offset:         120
        .size:           2
        .value_kind:     hidden_grid_dims
    .group_segment_fixed_size: 0
    .kernarg_segment_align: 8
    .kernarg_segment_size: 312
    .language:       OpenCL C
    .language_version:
      - 2
      - 0
    .max_flat_workgroup_size: 256
    .name:           _ZN7rocprim17ROCPRIM_400000_NS6detail17trampoline_kernelINS0_14default_configENS1_29binary_search_config_selectorIibEEZNS1_14transform_implILb0ES3_S5_N6thrust23THRUST_200600_302600_NS6detail15normal_iteratorINS8_10device_ptrIiEEEENSA_INSB_IbEEEEZNS1_13binary_searchIS3_S5_SD_SD_SF_NS1_16binary_search_opENS9_16wrapped_functionINS0_4lessIvEEbEEEE10hipError_tPvRmT1_T2_T3_mmT4_T5_P12ihipStream_tbEUlRKiE_EESM_SQ_SR_mSS_SV_bEUlT_E_NS1_11comp_targetILNS1_3genE8ELNS1_11target_archE1030ELNS1_3gpuE2ELNS1_3repE0EEENS1_30default_config_static_selectorELNS0_4arch9wavefront6targetE0EEEvSP_
    .private_segment_fixed_size: 0
    .sgpr_count:     20
    .sgpr_spill_count: 0
    .symbol:         _ZN7rocprim17ROCPRIM_400000_NS6detail17trampoline_kernelINS0_14default_configENS1_29binary_search_config_selectorIibEEZNS1_14transform_implILb0ES3_S5_N6thrust23THRUST_200600_302600_NS6detail15normal_iteratorINS8_10device_ptrIiEEEENSA_INSB_IbEEEEZNS1_13binary_searchIS3_S5_SD_SD_SF_NS1_16binary_search_opENS9_16wrapped_functionINS0_4lessIvEEbEEEE10hipError_tPvRmT1_T2_T3_mmT4_T5_P12ihipStream_tbEUlRKiE_EESM_SQ_SR_mSS_SV_bEUlT_E_NS1_11comp_targetILNS1_3genE8ELNS1_11target_archE1030ELNS1_3gpuE2ELNS1_3repE0EEENS1_30default_config_static_selectorELNS0_4arch9wavefront6targetE0EEEvSP_.kd
    .uniform_work_group_size: 1
    .uses_dynamic_stack: false
    .vgpr_count:     12
    .vgpr_spill_count: 0
    .wavefront_size: 32
    .workgroup_processor_mode: 1
  - .args:
      - .offset:         0
        .size:           104
        .value_kind:     by_value
    .group_segment_fixed_size: 0
    .kernarg_segment_align: 8
    .kernarg_segment_size: 104
    .language:       OpenCL C
    .language_version:
      - 2
      - 0
    .max_flat_workgroup_size: 128
    .name:           _ZN7rocprim17ROCPRIM_400000_NS6detail17trampoline_kernelINS0_14default_configENS1_22reduce_config_selectorIN6thrust23THRUST_200600_302600_NS5tupleIblNS6_9null_typeES8_S8_S8_S8_S8_S8_S8_EEEEZNS1_11reduce_implILb1ES3_NS6_12zip_iteratorINS7_INS6_11hip_rocprim26transform_input_iterator_tIbNSD_35transform_pair_of_input_iterators_tIbNS6_6detail15normal_iteratorINS6_10device_ptrIKbEEEESL_NS6_8equal_toIbEEEENSG_9not_fun_tINSD_8identityEEEEENSD_19counting_iterator_tIlEES8_S8_S8_S8_S8_S8_S8_S8_EEEEPS9_S9_NSD_9__find_if7functorIS9_EEEE10hipError_tPvRmT1_T2_T3_mT4_P12ihipStream_tbEUlT_E0_NS1_11comp_targetILNS1_3genE0ELNS1_11target_archE4294967295ELNS1_3gpuE0ELNS1_3repE0EEENS1_30default_config_static_selectorELNS0_4arch9wavefront6targetE0EEEvS14_
    .private_segment_fixed_size: 0
    .sgpr_count:     0
    .sgpr_spill_count: 0
    .symbol:         _ZN7rocprim17ROCPRIM_400000_NS6detail17trampoline_kernelINS0_14default_configENS1_22reduce_config_selectorIN6thrust23THRUST_200600_302600_NS5tupleIblNS6_9null_typeES8_S8_S8_S8_S8_S8_S8_EEEEZNS1_11reduce_implILb1ES3_NS6_12zip_iteratorINS7_INS6_11hip_rocprim26transform_input_iterator_tIbNSD_35transform_pair_of_input_iterators_tIbNS6_6detail15normal_iteratorINS6_10device_ptrIKbEEEESL_NS6_8equal_toIbEEEENSG_9not_fun_tINSD_8identityEEEEENSD_19counting_iterator_tIlEES8_S8_S8_S8_S8_S8_S8_S8_EEEEPS9_S9_NSD_9__find_if7functorIS9_EEEE10hipError_tPvRmT1_T2_T3_mT4_P12ihipStream_tbEUlT_E0_NS1_11comp_targetILNS1_3genE0ELNS1_11target_archE4294967295ELNS1_3gpuE0ELNS1_3repE0EEENS1_30default_config_static_selectorELNS0_4arch9wavefront6targetE0EEEvS14_.kd
    .uniform_work_group_size: 1
    .uses_dynamic_stack: false
    .vgpr_count:     0
    .vgpr_spill_count: 0
    .wavefront_size: 32
    .workgroup_processor_mode: 1
  - .args:
      - .offset:         0
        .size:           104
        .value_kind:     by_value
    .group_segment_fixed_size: 0
    .kernarg_segment_align: 8
    .kernarg_segment_size: 104
    .language:       OpenCL C
    .language_version:
      - 2
      - 0
    .max_flat_workgroup_size: 256
    .name:           _ZN7rocprim17ROCPRIM_400000_NS6detail17trampoline_kernelINS0_14default_configENS1_22reduce_config_selectorIN6thrust23THRUST_200600_302600_NS5tupleIblNS6_9null_typeES8_S8_S8_S8_S8_S8_S8_EEEEZNS1_11reduce_implILb1ES3_NS6_12zip_iteratorINS7_INS6_11hip_rocprim26transform_input_iterator_tIbNSD_35transform_pair_of_input_iterators_tIbNS6_6detail15normal_iteratorINS6_10device_ptrIKbEEEESL_NS6_8equal_toIbEEEENSG_9not_fun_tINSD_8identityEEEEENSD_19counting_iterator_tIlEES8_S8_S8_S8_S8_S8_S8_S8_EEEEPS9_S9_NSD_9__find_if7functorIS9_EEEE10hipError_tPvRmT1_T2_T3_mT4_P12ihipStream_tbEUlT_E0_NS1_11comp_targetILNS1_3genE5ELNS1_11target_archE942ELNS1_3gpuE9ELNS1_3repE0EEENS1_30default_config_static_selectorELNS0_4arch9wavefront6targetE0EEEvS14_
    .private_segment_fixed_size: 0
    .sgpr_count:     0
    .sgpr_spill_count: 0
    .symbol:         _ZN7rocprim17ROCPRIM_400000_NS6detail17trampoline_kernelINS0_14default_configENS1_22reduce_config_selectorIN6thrust23THRUST_200600_302600_NS5tupleIblNS6_9null_typeES8_S8_S8_S8_S8_S8_S8_EEEEZNS1_11reduce_implILb1ES3_NS6_12zip_iteratorINS7_INS6_11hip_rocprim26transform_input_iterator_tIbNSD_35transform_pair_of_input_iterators_tIbNS6_6detail15normal_iteratorINS6_10device_ptrIKbEEEESL_NS6_8equal_toIbEEEENSG_9not_fun_tINSD_8identityEEEEENSD_19counting_iterator_tIlEES8_S8_S8_S8_S8_S8_S8_S8_EEEEPS9_S9_NSD_9__find_if7functorIS9_EEEE10hipError_tPvRmT1_T2_T3_mT4_P12ihipStream_tbEUlT_E0_NS1_11comp_targetILNS1_3genE5ELNS1_11target_archE942ELNS1_3gpuE9ELNS1_3repE0EEENS1_30default_config_static_selectorELNS0_4arch9wavefront6targetE0EEEvS14_.kd
    .uniform_work_group_size: 1
    .uses_dynamic_stack: false
    .vgpr_count:     0
    .vgpr_spill_count: 0
    .wavefront_size: 32
    .workgroup_processor_mode: 1
  - .args:
      - .offset:         0
        .size:           104
        .value_kind:     by_value
    .group_segment_fixed_size: 0
    .kernarg_segment_align: 8
    .kernarg_segment_size: 104
    .language:       OpenCL C
    .language_version:
      - 2
      - 0
    .max_flat_workgroup_size: 256
    .name:           _ZN7rocprim17ROCPRIM_400000_NS6detail17trampoline_kernelINS0_14default_configENS1_22reduce_config_selectorIN6thrust23THRUST_200600_302600_NS5tupleIblNS6_9null_typeES8_S8_S8_S8_S8_S8_S8_EEEEZNS1_11reduce_implILb1ES3_NS6_12zip_iteratorINS7_INS6_11hip_rocprim26transform_input_iterator_tIbNSD_35transform_pair_of_input_iterators_tIbNS6_6detail15normal_iteratorINS6_10device_ptrIKbEEEESL_NS6_8equal_toIbEEEENSG_9not_fun_tINSD_8identityEEEEENSD_19counting_iterator_tIlEES8_S8_S8_S8_S8_S8_S8_S8_EEEEPS9_S9_NSD_9__find_if7functorIS9_EEEE10hipError_tPvRmT1_T2_T3_mT4_P12ihipStream_tbEUlT_E0_NS1_11comp_targetILNS1_3genE4ELNS1_11target_archE910ELNS1_3gpuE8ELNS1_3repE0EEENS1_30default_config_static_selectorELNS0_4arch9wavefront6targetE0EEEvS14_
    .private_segment_fixed_size: 0
    .sgpr_count:     0
    .sgpr_spill_count: 0
    .symbol:         _ZN7rocprim17ROCPRIM_400000_NS6detail17trampoline_kernelINS0_14default_configENS1_22reduce_config_selectorIN6thrust23THRUST_200600_302600_NS5tupleIblNS6_9null_typeES8_S8_S8_S8_S8_S8_S8_EEEEZNS1_11reduce_implILb1ES3_NS6_12zip_iteratorINS7_INS6_11hip_rocprim26transform_input_iterator_tIbNSD_35transform_pair_of_input_iterators_tIbNS6_6detail15normal_iteratorINS6_10device_ptrIKbEEEESL_NS6_8equal_toIbEEEENSG_9not_fun_tINSD_8identityEEEEENSD_19counting_iterator_tIlEES8_S8_S8_S8_S8_S8_S8_S8_EEEEPS9_S9_NSD_9__find_if7functorIS9_EEEE10hipError_tPvRmT1_T2_T3_mT4_P12ihipStream_tbEUlT_E0_NS1_11comp_targetILNS1_3genE4ELNS1_11target_archE910ELNS1_3gpuE8ELNS1_3repE0EEENS1_30default_config_static_selectorELNS0_4arch9wavefront6targetE0EEEvS14_.kd
    .uniform_work_group_size: 1
    .uses_dynamic_stack: false
    .vgpr_count:     0
    .vgpr_spill_count: 0
    .wavefront_size: 32
    .workgroup_processor_mode: 1
  - .args:
      - .offset:         0
        .size:           104
        .value_kind:     by_value
    .group_segment_fixed_size: 0
    .kernarg_segment_align: 8
    .kernarg_segment_size: 104
    .language:       OpenCL C
    .language_version:
      - 2
      - 0
    .max_flat_workgroup_size: 128
    .name:           _ZN7rocprim17ROCPRIM_400000_NS6detail17trampoline_kernelINS0_14default_configENS1_22reduce_config_selectorIN6thrust23THRUST_200600_302600_NS5tupleIblNS6_9null_typeES8_S8_S8_S8_S8_S8_S8_EEEEZNS1_11reduce_implILb1ES3_NS6_12zip_iteratorINS7_INS6_11hip_rocprim26transform_input_iterator_tIbNSD_35transform_pair_of_input_iterators_tIbNS6_6detail15normal_iteratorINS6_10device_ptrIKbEEEESL_NS6_8equal_toIbEEEENSG_9not_fun_tINSD_8identityEEEEENSD_19counting_iterator_tIlEES8_S8_S8_S8_S8_S8_S8_S8_EEEEPS9_S9_NSD_9__find_if7functorIS9_EEEE10hipError_tPvRmT1_T2_T3_mT4_P12ihipStream_tbEUlT_E0_NS1_11comp_targetILNS1_3genE3ELNS1_11target_archE908ELNS1_3gpuE7ELNS1_3repE0EEENS1_30default_config_static_selectorELNS0_4arch9wavefront6targetE0EEEvS14_
    .private_segment_fixed_size: 0
    .sgpr_count:     0
    .sgpr_spill_count: 0
    .symbol:         _ZN7rocprim17ROCPRIM_400000_NS6detail17trampoline_kernelINS0_14default_configENS1_22reduce_config_selectorIN6thrust23THRUST_200600_302600_NS5tupleIblNS6_9null_typeES8_S8_S8_S8_S8_S8_S8_EEEEZNS1_11reduce_implILb1ES3_NS6_12zip_iteratorINS7_INS6_11hip_rocprim26transform_input_iterator_tIbNSD_35transform_pair_of_input_iterators_tIbNS6_6detail15normal_iteratorINS6_10device_ptrIKbEEEESL_NS6_8equal_toIbEEEENSG_9not_fun_tINSD_8identityEEEEENSD_19counting_iterator_tIlEES8_S8_S8_S8_S8_S8_S8_S8_EEEEPS9_S9_NSD_9__find_if7functorIS9_EEEE10hipError_tPvRmT1_T2_T3_mT4_P12ihipStream_tbEUlT_E0_NS1_11comp_targetILNS1_3genE3ELNS1_11target_archE908ELNS1_3gpuE7ELNS1_3repE0EEENS1_30default_config_static_selectorELNS0_4arch9wavefront6targetE0EEEvS14_.kd
    .uniform_work_group_size: 1
    .uses_dynamic_stack: false
    .vgpr_count:     0
    .vgpr_spill_count: 0
    .wavefront_size: 32
    .workgroup_processor_mode: 1
  - .args:
      - .offset:         0
        .size:           104
        .value_kind:     by_value
    .group_segment_fixed_size: 0
    .kernarg_segment_align: 8
    .kernarg_segment_size: 104
    .language:       OpenCL C
    .language_version:
      - 2
      - 0
    .max_flat_workgroup_size: 128
    .name:           _ZN7rocprim17ROCPRIM_400000_NS6detail17trampoline_kernelINS0_14default_configENS1_22reduce_config_selectorIN6thrust23THRUST_200600_302600_NS5tupleIblNS6_9null_typeES8_S8_S8_S8_S8_S8_S8_EEEEZNS1_11reduce_implILb1ES3_NS6_12zip_iteratorINS7_INS6_11hip_rocprim26transform_input_iterator_tIbNSD_35transform_pair_of_input_iterators_tIbNS6_6detail15normal_iteratorINS6_10device_ptrIKbEEEESL_NS6_8equal_toIbEEEENSG_9not_fun_tINSD_8identityEEEEENSD_19counting_iterator_tIlEES8_S8_S8_S8_S8_S8_S8_S8_EEEEPS9_S9_NSD_9__find_if7functorIS9_EEEE10hipError_tPvRmT1_T2_T3_mT4_P12ihipStream_tbEUlT_E0_NS1_11comp_targetILNS1_3genE2ELNS1_11target_archE906ELNS1_3gpuE6ELNS1_3repE0EEENS1_30default_config_static_selectorELNS0_4arch9wavefront6targetE0EEEvS14_
    .private_segment_fixed_size: 0
    .sgpr_count:     0
    .sgpr_spill_count: 0
    .symbol:         _ZN7rocprim17ROCPRIM_400000_NS6detail17trampoline_kernelINS0_14default_configENS1_22reduce_config_selectorIN6thrust23THRUST_200600_302600_NS5tupleIblNS6_9null_typeES8_S8_S8_S8_S8_S8_S8_EEEEZNS1_11reduce_implILb1ES3_NS6_12zip_iteratorINS7_INS6_11hip_rocprim26transform_input_iterator_tIbNSD_35transform_pair_of_input_iterators_tIbNS6_6detail15normal_iteratorINS6_10device_ptrIKbEEEESL_NS6_8equal_toIbEEEENSG_9not_fun_tINSD_8identityEEEEENSD_19counting_iterator_tIlEES8_S8_S8_S8_S8_S8_S8_S8_EEEEPS9_S9_NSD_9__find_if7functorIS9_EEEE10hipError_tPvRmT1_T2_T3_mT4_P12ihipStream_tbEUlT_E0_NS1_11comp_targetILNS1_3genE2ELNS1_11target_archE906ELNS1_3gpuE6ELNS1_3repE0EEENS1_30default_config_static_selectorELNS0_4arch9wavefront6targetE0EEEvS14_.kd
    .uniform_work_group_size: 1
    .uses_dynamic_stack: false
    .vgpr_count:     0
    .vgpr_spill_count: 0
    .wavefront_size: 32
    .workgroup_processor_mode: 1
  - .args:
      - .offset:         0
        .size:           104
        .value_kind:     by_value
    .group_segment_fixed_size: 0
    .kernarg_segment_align: 8
    .kernarg_segment_size: 104
    .language:       OpenCL C
    .language_version:
      - 2
      - 0
    .max_flat_workgroup_size: 256
    .name:           _ZN7rocprim17ROCPRIM_400000_NS6detail17trampoline_kernelINS0_14default_configENS1_22reduce_config_selectorIN6thrust23THRUST_200600_302600_NS5tupleIblNS6_9null_typeES8_S8_S8_S8_S8_S8_S8_EEEEZNS1_11reduce_implILb1ES3_NS6_12zip_iteratorINS7_INS6_11hip_rocprim26transform_input_iterator_tIbNSD_35transform_pair_of_input_iterators_tIbNS6_6detail15normal_iteratorINS6_10device_ptrIKbEEEESL_NS6_8equal_toIbEEEENSG_9not_fun_tINSD_8identityEEEEENSD_19counting_iterator_tIlEES8_S8_S8_S8_S8_S8_S8_S8_EEEEPS9_S9_NSD_9__find_if7functorIS9_EEEE10hipError_tPvRmT1_T2_T3_mT4_P12ihipStream_tbEUlT_E0_NS1_11comp_targetILNS1_3genE10ELNS1_11target_archE1201ELNS1_3gpuE5ELNS1_3repE0EEENS1_30default_config_static_selectorELNS0_4arch9wavefront6targetE0EEEvS14_
    .private_segment_fixed_size: 0
    .sgpr_count:     0
    .sgpr_spill_count: 0
    .symbol:         _ZN7rocprim17ROCPRIM_400000_NS6detail17trampoline_kernelINS0_14default_configENS1_22reduce_config_selectorIN6thrust23THRUST_200600_302600_NS5tupleIblNS6_9null_typeES8_S8_S8_S8_S8_S8_S8_EEEEZNS1_11reduce_implILb1ES3_NS6_12zip_iteratorINS7_INS6_11hip_rocprim26transform_input_iterator_tIbNSD_35transform_pair_of_input_iterators_tIbNS6_6detail15normal_iteratorINS6_10device_ptrIKbEEEESL_NS6_8equal_toIbEEEENSG_9not_fun_tINSD_8identityEEEEENSD_19counting_iterator_tIlEES8_S8_S8_S8_S8_S8_S8_S8_EEEEPS9_S9_NSD_9__find_if7functorIS9_EEEE10hipError_tPvRmT1_T2_T3_mT4_P12ihipStream_tbEUlT_E0_NS1_11comp_targetILNS1_3genE10ELNS1_11target_archE1201ELNS1_3gpuE5ELNS1_3repE0EEENS1_30default_config_static_selectorELNS0_4arch9wavefront6targetE0EEEvS14_.kd
    .uniform_work_group_size: 1
    .uses_dynamic_stack: false
    .vgpr_count:     0
    .vgpr_spill_count: 0
    .wavefront_size: 32
    .workgroup_processor_mode: 1
  - .args:
      - .offset:         0
        .size:           104
        .value_kind:     by_value
    .group_segment_fixed_size: 0
    .kernarg_segment_align: 8
    .kernarg_segment_size: 104
    .language:       OpenCL C
    .language_version:
      - 2
      - 0
    .max_flat_workgroup_size: 256
    .name:           _ZN7rocprim17ROCPRIM_400000_NS6detail17trampoline_kernelINS0_14default_configENS1_22reduce_config_selectorIN6thrust23THRUST_200600_302600_NS5tupleIblNS6_9null_typeES8_S8_S8_S8_S8_S8_S8_EEEEZNS1_11reduce_implILb1ES3_NS6_12zip_iteratorINS7_INS6_11hip_rocprim26transform_input_iterator_tIbNSD_35transform_pair_of_input_iterators_tIbNS6_6detail15normal_iteratorINS6_10device_ptrIKbEEEESL_NS6_8equal_toIbEEEENSG_9not_fun_tINSD_8identityEEEEENSD_19counting_iterator_tIlEES8_S8_S8_S8_S8_S8_S8_S8_EEEEPS9_S9_NSD_9__find_if7functorIS9_EEEE10hipError_tPvRmT1_T2_T3_mT4_P12ihipStream_tbEUlT_E0_NS1_11comp_targetILNS1_3genE10ELNS1_11target_archE1200ELNS1_3gpuE4ELNS1_3repE0EEENS1_30default_config_static_selectorELNS0_4arch9wavefront6targetE0EEEvS14_
    .private_segment_fixed_size: 0
    .sgpr_count:     0
    .sgpr_spill_count: 0
    .symbol:         _ZN7rocprim17ROCPRIM_400000_NS6detail17trampoline_kernelINS0_14default_configENS1_22reduce_config_selectorIN6thrust23THRUST_200600_302600_NS5tupleIblNS6_9null_typeES8_S8_S8_S8_S8_S8_S8_EEEEZNS1_11reduce_implILb1ES3_NS6_12zip_iteratorINS7_INS6_11hip_rocprim26transform_input_iterator_tIbNSD_35transform_pair_of_input_iterators_tIbNS6_6detail15normal_iteratorINS6_10device_ptrIKbEEEESL_NS6_8equal_toIbEEEENSG_9not_fun_tINSD_8identityEEEEENSD_19counting_iterator_tIlEES8_S8_S8_S8_S8_S8_S8_S8_EEEEPS9_S9_NSD_9__find_if7functorIS9_EEEE10hipError_tPvRmT1_T2_T3_mT4_P12ihipStream_tbEUlT_E0_NS1_11comp_targetILNS1_3genE10ELNS1_11target_archE1200ELNS1_3gpuE4ELNS1_3repE0EEENS1_30default_config_static_selectorELNS0_4arch9wavefront6targetE0EEEvS14_.kd
    .uniform_work_group_size: 1
    .uses_dynamic_stack: false
    .vgpr_count:     0
    .vgpr_spill_count: 0
    .wavefront_size: 32
    .workgroup_processor_mode: 1
  - .args:
      - .offset:         0
        .size:           104
        .value_kind:     by_value
    .group_segment_fixed_size: 0
    .kernarg_segment_align: 8
    .kernarg_segment_size: 104
    .language:       OpenCL C
    .language_version:
      - 2
      - 0
    .max_flat_workgroup_size: 256
    .name:           _ZN7rocprim17ROCPRIM_400000_NS6detail17trampoline_kernelINS0_14default_configENS1_22reduce_config_selectorIN6thrust23THRUST_200600_302600_NS5tupleIblNS6_9null_typeES8_S8_S8_S8_S8_S8_S8_EEEEZNS1_11reduce_implILb1ES3_NS6_12zip_iteratorINS7_INS6_11hip_rocprim26transform_input_iterator_tIbNSD_35transform_pair_of_input_iterators_tIbNS6_6detail15normal_iteratorINS6_10device_ptrIKbEEEESL_NS6_8equal_toIbEEEENSG_9not_fun_tINSD_8identityEEEEENSD_19counting_iterator_tIlEES8_S8_S8_S8_S8_S8_S8_S8_EEEEPS9_S9_NSD_9__find_if7functorIS9_EEEE10hipError_tPvRmT1_T2_T3_mT4_P12ihipStream_tbEUlT_E0_NS1_11comp_targetILNS1_3genE9ELNS1_11target_archE1100ELNS1_3gpuE3ELNS1_3repE0EEENS1_30default_config_static_selectorELNS0_4arch9wavefront6targetE0EEEvS14_
    .private_segment_fixed_size: 0
    .sgpr_count:     0
    .sgpr_spill_count: 0
    .symbol:         _ZN7rocprim17ROCPRIM_400000_NS6detail17trampoline_kernelINS0_14default_configENS1_22reduce_config_selectorIN6thrust23THRUST_200600_302600_NS5tupleIblNS6_9null_typeES8_S8_S8_S8_S8_S8_S8_EEEEZNS1_11reduce_implILb1ES3_NS6_12zip_iteratorINS7_INS6_11hip_rocprim26transform_input_iterator_tIbNSD_35transform_pair_of_input_iterators_tIbNS6_6detail15normal_iteratorINS6_10device_ptrIKbEEEESL_NS6_8equal_toIbEEEENSG_9not_fun_tINSD_8identityEEEEENSD_19counting_iterator_tIlEES8_S8_S8_S8_S8_S8_S8_S8_EEEEPS9_S9_NSD_9__find_if7functorIS9_EEEE10hipError_tPvRmT1_T2_T3_mT4_P12ihipStream_tbEUlT_E0_NS1_11comp_targetILNS1_3genE9ELNS1_11target_archE1100ELNS1_3gpuE3ELNS1_3repE0EEENS1_30default_config_static_selectorELNS0_4arch9wavefront6targetE0EEEvS14_.kd
    .uniform_work_group_size: 1
    .uses_dynamic_stack: false
    .vgpr_count:     0
    .vgpr_spill_count: 0
    .wavefront_size: 32
    .workgroup_processor_mode: 1
  - .args:
      - .offset:         0
        .size:           104
        .value_kind:     by_value
    .group_segment_fixed_size: 256
    .kernarg_segment_align: 8
    .kernarg_segment_size: 104
    .language:       OpenCL C
    .language_version:
      - 2
      - 0
    .max_flat_workgroup_size: 256
    .name:           _ZN7rocprim17ROCPRIM_400000_NS6detail17trampoline_kernelINS0_14default_configENS1_22reduce_config_selectorIN6thrust23THRUST_200600_302600_NS5tupleIblNS6_9null_typeES8_S8_S8_S8_S8_S8_S8_EEEEZNS1_11reduce_implILb1ES3_NS6_12zip_iteratorINS7_INS6_11hip_rocprim26transform_input_iterator_tIbNSD_35transform_pair_of_input_iterators_tIbNS6_6detail15normal_iteratorINS6_10device_ptrIKbEEEESL_NS6_8equal_toIbEEEENSG_9not_fun_tINSD_8identityEEEEENSD_19counting_iterator_tIlEES8_S8_S8_S8_S8_S8_S8_S8_EEEEPS9_S9_NSD_9__find_if7functorIS9_EEEE10hipError_tPvRmT1_T2_T3_mT4_P12ihipStream_tbEUlT_E0_NS1_11comp_targetILNS1_3genE8ELNS1_11target_archE1030ELNS1_3gpuE2ELNS1_3repE0EEENS1_30default_config_static_selectorELNS0_4arch9wavefront6targetE0EEEvS14_
    .private_segment_fixed_size: 0
    .sgpr_count:     27
    .sgpr_spill_count: 0
    .symbol:         _ZN7rocprim17ROCPRIM_400000_NS6detail17trampoline_kernelINS0_14default_configENS1_22reduce_config_selectorIN6thrust23THRUST_200600_302600_NS5tupleIblNS6_9null_typeES8_S8_S8_S8_S8_S8_S8_EEEEZNS1_11reduce_implILb1ES3_NS6_12zip_iteratorINS7_INS6_11hip_rocprim26transform_input_iterator_tIbNSD_35transform_pair_of_input_iterators_tIbNS6_6detail15normal_iteratorINS6_10device_ptrIKbEEEESL_NS6_8equal_toIbEEEENSG_9not_fun_tINSD_8identityEEEEENSD_19counting_iterator_tIlEES8_S8_S8_S8_S8_S8_S8_S8_EEEEPS9_S9_NSD_9__find_if7functorIS9_EEEE10hipError_tPvRmT1_T2_T3_mT4_P12ihipStream_tbEUlT_E0_NS1_11comp_targetILNS1_3genE8ELNS1_11target_archE1030ELNS1_3gpuE2ELNS1_3repE0EEENS1_30default_config_static_selectorELNS0_4arch9wavefront6targetE0EEEvS14_.kd
    .uniform_work_group_size: 1
    .uses_dynamic_stack: false
    .vgpr_count:     12
    .vgpr_spill_count: 0
    .wavefront_size: 32
    .workgroup_processor_mode: 1
  - .args:
      - .offset:         0
        .size:           88
        .value_kind:     by_value
    .group_segment_fixed_size: 0
    .kernarg_segment_align: 8
    .kernarg_segment_size: 88
    .language:       OpenCL C
    .language_version:
      - 2
      - 0
    .max_flat_workgroup_size: 128
    .name:           _ZN7rocprim17ROCPRIM_400000_NS6detail17trampoline_kernelINS0_14default_configENS1_22reduce_config_selectorIN6thrust23THRUST_200600_302600_NS5tupleIblNS6_9null_typeES8_S8_S8_S8_S8_S8_S8_EEEEZNS1_11reduce_implILb1ES3_NS6_12zip_iteratorINS7_INS6_11hip_rocprim26transform_input_iterator_tIbNSD_35transform_pair_of_input_iterators_tIbNS6_6detail15normal_iteratorINS6_10device_ptrIKbEEEESL_NS6_8equal_toIbEEEENSG_9not_fun_tINSD_8identityEEEEENSD_19counting_iterator_tIlEES8_S8_S8_S8_S8_S8_S8_S8_EEEEPS9_S9_NSD_9__find_if7functorIS9_EEEE10hipError_tPvRmT1_T2_T3_mT4_P12ihipStream_tbEUlT_E1_NS1_11comp_targetILNS1_3genE0ELNS1_11target_archE4294967295ELNS1_3gpuE0ELNS1_3repE0EEENS1_30default_config_static_selectorELNS0_4arch9wavefront6targetE0EEEvS14_
    .private_segment_fixed_size: 0
    .sgpr_count:     0
    .sgpr_spill_count: 0
    .symbol:         _ZN7rocprim17ROCPRIM_400000_NS6detail17trampoline_kernelINS0_14default_configENS1_22reduce_config_selectorIN6thrust23THRUST_200600_302600_NS5tupleIblNS6_9null_typeES8_S8_S8_S8_S8_S8_S8_EEEEZNS1_11reduce_implILb1ES3_NS6_12zip_iteratorINS7_INS6_11hip_rocprim26transform_input_iterator_tIbNSD_35transform_pair_of_input_iterators_tIbNS6_6detail15normal_iteratorINS6_10device_ptrIKbEEEESL_NS6_8equal_toIbEEEENSG_9not_fun_tINSD_8identityEEEEENSD_19counting_iterator_tIlEES8_S8_S8_S8_S8_S8_S8_S8_EEEEPS9_S9_NSD_9__find_if7functorIS9_EEEE10hipError_tPvRmT1_T2_T3_mT4_P12ihipStream_tbEUlT_E1_NS1_11comp_targetILNS1_3genE0ELNS1_11target_archE4294967295ELNS1_3gpuE0ELNS1_3repE0EEENS1_30default_config_static_selectorELNS0_4arch9wavefront6targetE0EEEvS14_.kd
    .uniform_work_group_size: 1
    .uses_dynamic_stack: false
    .vgpr_count:     0
    .vgpr_spill_count: 0
    .wavefront_size: 32
    .workgroup_processor_mode: 1
  - .args:
      - .offset:         0
        .size:           88
        .value_kind:     by_value
    .group_segment_fixed_size: 0
    .kernarg_segment_align: 8
    .kernarg_segment_size: 88
    .language:       OpenCL C
    .language_version:
      - 2
      - 0
    .max_flat_workgroup_size: 256
    .name:           _ZN7rocprim17ROCPRIM_400000_NS6detail17trampoline_kernelINS0_14default_configENS1_22reduce_config_selectorIN6thrust23THRUST_200600_302600_NS5tupleIblNS6_9null_typeES8_S8_S8_S8_S8_S8_S8_EEEEZNS1_11reduce_implILb1ES3_NS6_12zip_iteratorINS7_INS6_11hip_rocprim26transform_input_iterator_tIbNSD_35transform_pair_of_input_iterators_tIbNS6_6detail15normal_iteratorINS6_10device_ptrIKbEEEESL_NS6_8equal_toIbEEEENSG_9not_fun_tINSD_8identityEEEEENSD_19counting_iterator_tIlEES8_S8_S8_S8_S8_S8_S8_S8_EEEEPS9_S9_NSD_9__find_if7functorIS9_EEEE10hipError_tPvRmT1_T2_T3_mT4_P12ihipStream_tbEUlT_E1_NS1_11comp_targetILNS1_3genE5ELNS1_11target_archE942ELNS1_3gpuE9ELNS1_3repE0EEENS1_30default_config_static_selectorELNS0_4arch9wavefront6targetE0EEEvS14_
    .private_segment_fixed_size: 0
    .sgpr_count:     0
    .sgpr_spill_count: 0
    .symbol:         _ZN7rocprim17ROCPRIM_400000_NS6detail17trampoline_kernelINS0_14default_configENS1_22reduce_config_selectorIN6thrust23THRUST_200600_302600_NS5tupleIblNS6_9null_typeES8_S8_S8_S8_S8_S8_S8_EEEEZNS1_11reduce_implILb1ES3_NS6_12zip_iteratorINS7_INS6_11hip_rocprim26transform_input_iterator_tIbNSD_35transform_pair_of_input_iterators_tIbNS6_6detail15normal_iteratorINS6_10device_ptrIKbEEEESL_NS6_8equal_toIbEEEENSG_9not_fun_tINSD_8identityEEEEENSD_19counting_iterator_tIlEES8_S8_S8_S8_S8_S8_S8_S8_EEEEPS9_S9_NSD_9__find_if7functorIS9_EEEE10hipError_tPvRmT1_T2_T3_mT4_P12ihipStream_tbEUlT_E1_NS1_11comp_targetILNS1_3genE5ELNS1_11target_archE942ELNS1_3gpuE9ELNS1_3repE0EEENS1_30default_config_static_selectorELNS0_4arch9wavefront6targetE0EEEvS14_.kd
    .uniform_work_group_size: 1
    .uses_dynamic_stack: false
    .vgpr_count:     0
    .vgpr_spill_count: 0
    .wavefront_size: 32
    .workgroup_processor_mode: 1
  - .args:
      - .offset:         0
        .size:           88
        .value_kind:     by_value
    .group_segment_fixed_size: 0
    .kernarg_segment_align: 8
    .kernarg_segment_size: 88
    .language:       OpenCL C
    .language_version:
      - 2
      - 0
    .max_flat_workgroup_size: 256
    .name:           _ZN7rocprim17ROCPRIM_400000_NS6detail17trampoline_kernelINS0_14default_configENS1_22reduce_config_selectorIN6thrust23THRUST_200600_302600_NS5tupleIblNS6_9null_typeES8_S8_S8_S8_S8_S8_S8_EEEEZNS1_11reduce_implILb1ES3_NS6_12zip_iteratorINS7_INS6_11hip_rocprim26transform_input_iterator_tIbNSD_35transform_pair_of_input_iterators_tIbNS6_6detail15normal_iteratorINS6_10device_ptrIKbEEEESL_NS6_8equal_toIbEEEENSG_9not_fun_tINSD_8identityEEEEENSD_19counting_iterator_tIlEES8_S8_S8_S8_S8_S8_S8_S8_EEEEPS9_S9_NSD_9__find_if7functorIS9_EEEE10hipError_tPvRmT1_T2_T3_mT4_P12ihipStream_tbEUlT_E1_NS1_11comp_targetILNS1_3genE4ELNS1_11target_archE910ELNS1_3gpuE8ELNS1_3repE0EEENS1_30default_config_static_selectorELNS0_4arch9wavefront6targetE0EEEvS14_
    .private_segment_fixed_size: 0
    .sgpr_count:     0
    .sgpr_spill_count: 0
    .symbol:         _ZN7rocprim17ROCPRIM_400000_NS6detail17trampoline_kernelINS0_14default_configENS1_22reduce_config_selectorIN6thrust23THRUST_200600_302600_NS5tupleIblNS6_9null_typeES8_S8_S8_S8_S8_S8_S8_EEEEZNS1_11reduce_implILb1ES3_NS6_12zip_iteratorINS7_INS6_11hip_rocprim26transform_input_iterator_tIbNSD_35transform_pair_of_input_iterators_tIbNS6_6detail15normal_iteratorINS6_10device_ptrIKbEEEESL_NS6_8equal_toIbEEEENSG_9not_fun_tINSD_8identityEEEEENSD_19counting_iterator_tIlEES8_S8_S8_S8_S8_S8_S8_S8_EEEEPS9_S9_NSD_9__find_if7functorIS9_EEEE10hipError_tPvRmT1_T2_T3_mT4_P12ihipStream_tbEUlT_E1_NS1_11comp_targetILNS1_3genE4ELNS1_11target_archE910ELNS1_3gpuE8ELNS1_3repE0EEENS1_30default_config_static_selectorELNS0_4arch9wavefront6targetE0EEEvS14_.kd
    .uniform_work_group_size: 1
    .uses_dynamic_stack: false
    .vgpr_count:     0
    .vgpr_spill_count: 0
    .wavefront_size: 32
    .workgroup_processor_mode: 1
  - .args:
      - .offset:         0
        .size:           88
        .value_kind:     by_value
    .group_segment_fixed_size: 0
    .kernarg_segment_align: 8
    .kernarg_segment_size: 88
    .language:       OpenCL C
    .language_version:
      - 2
      - 0
    .max_flat_workgroup_size: 128
    .name:           _ZN7rocprim17ROCPRIM_400000_NS6detail17trampoline_kernelINS0_14default_configENS1_22reduce_config_selectorIN6thrust23THRUST_200600_302600_NS5tupleIblNS6_9null_typeES8_S8_S8_S8_S8_S8_S8_EEEEZNS1_11reduce_implILb1ES3_NS6_12zip_iteratorINS7_INS6_11hip_rocprim26transform_input_iterator_tIbNSD_35transform_pair_of_input_iterators_tIbNS6_6detail15normal_iteratorINS6_10device_ptrIKbEEEESL_NS6_8equal_toIbEEEENSG_9not_fun_tINSD_8identityEEEEENSD_19counting_iterator_tIlEES8_S8_S8_S8_S8_S8_S8_S8_EEEEPS9_S9_NSD_9__find_if7functorIS9_EEEE10hipError_tPvRmT1_T2_T3_mT4_P12ihipStream_tbEUlT_E1_NS1_11comp_targetILNS1_3genE3ELNS1_11target_archE908ELNS1_3gpuE7ELNS1_3repE0EEENS1_30default_config_static_selectorELNS0_4arch9wavefront6targetE0EEEvS14_
    .private_segment_fixed_size: 0
    .sgpr_count:     0
    .sgpr_spill_count: 0
    .symbol:         _ZN7rocprim17ROCPRIM_400000_NS6detail17trampoline_kernelINS0_14default_configENS1_22reduce_config_selectorIN6thrust23THRUST_200600_302600_NS5tupleIblNS6_9null_typeES8_S8_S8_S8_S8_S8_S8_EEEEZNS1_11reduce_implILb1ES3_NS6_12zip_iteratorINS7_INS6_11hip_rocprim26transform_input_iterator_tIbNSD_35transform_pair_of_input_iterators_tIbNS6_6detail15normal_iteratorINS6_10device_ptrIKbEEEESL_NS6_8equal_toIbEEEENSG_9not_fun_tINSD_8identityEEEEENSD_19counting_iterator_tIlEES8_S8_S8_S8_S8_S8_S8_S8_EEEEPS9_S9_NSD_9__find_if7functorIS9_EEEE10hipError_tPvRmT1_T2_T3_mT4_P12ihipStream_tbEUlT_E1_NS1_11comp_targetILNS1_3genE3ELNS1_11target_archE908ELNS1_3gpuE7ELNS1_3repE0EEENS1_30default_config_static_selectorELNS0_4arch9wavefront6targetE0EEEvS14_.kd
    .uniform_work_group_size: 1
    .uses_dynamic_stack: false
    .vgpr_count:     0
    .vgpr_spill_count: 0
    .wavefront_size: 32
    .workgroup_processor_mode: 1
  - .args:
      - .offset:         0
        .size:           88
        .value_kind:     by_value
    .group_segment_fixed_size: 0
    .kernarg_segment_align: 8
    .kernarg_segment_size: 88
    .language:       OpenCL C
    .language_version:
      - 2
      - 0
    .max_flat_workgroup_size: 128
    .name:           _ZN7rocprim17ROCPRIM_400000_NS6detail17trampoline_kernelINS0_14default_configENS1_22reduce_config_selectorIN6thrust23THRUST_200600_302600_NS5tupleIblNS6_9null_typeES8_S8_S8_S8_S8_S8_S8_EEEEZNS1_11reduce_implILb1ES3_NS6_12zip_iteratorINS7_INS6_11hip_rocprim26transform_input_iterator_tIbNSD_35transform_pair_of_input_iterators_tIbNS6_6detail15normal_iteratorINS6_10device_ptrIKbEEEESL_NS6_8equal_toIbEEEENSG_9not_fun_tINSD_8identityEEEEENSD_19counting_iterator_tIlEES8_S8_S8_S8_S8_S8_S8_S8_EEEEPS9_S9_NSD_9__find_if7functorIS9_EEEE10hipError_tPvRmT1_T2_T3_mT4_P12ihipStream_tbEUlT_E1_NS1_11comp_targetILNS1_3genE2ELNS1_11target_archE906ELNS1_3gpuE6ELNS1_3repE0EEENS1_30default_config_static_selectorELNS0_4arch9wavefront6targetE0EEEvS14_
    .private_segment_fixed_size: 0
    .sgpr_count:     0
    .sgpr_spill_count: 0
    .symbol:         _ZN7rocprim17ROCPRIM_400000_NS6detail17trampoline_kernelINS0_14default_configENS1_22reduce_config_selectorIN6thrust23THRUST_200600_302600_NS5tupleIblNS6_9null_typeES8_S8_S8_S8_S8_S8_S8_EEEEZNS1_11reduce_implILb1ES3_NS6_12zip_iteratorINS7_INS6_11hip_rocprim26transform_input_iterator_tIbNSD_35transform_pair_of_input_iterators_tIbNS6_6detail15normal_iteratorINS6_10device_ptrIKbEEEESL_NS6_8equal_toIbEEEENSG_9not_fun_tINSD_8identityEEEEENSD_19counting_iterator_tIlEES8_S8_S8_S8_S8_S8_S8_S8_EEEEPS9_S9_NSD_9__find_if7functorIS9_EEEE10hipError_tPvRmT1_T2_T3_mT4_P12ihipStream_tbEUlT_E1_NS1_11comp_targetILNS1_3genE2ELNS1_11target_archE906ELNS1_3gpuE6ELNS1_3repE0EEENS1_30default_config_static_selectorELNS0_4arch9wavefront6targetE0EEEvS14_.kd
    .uniform_work_group_size: 1
    .uses_dynamic_stack: false
    .vgpr_count:     0
    .vgpr_spill_count: 0
    .wavefront_size: 32
    .workgroup_processor_mode: 1
  - .args:
      - .offset:         0
        .size:           88
        .value_kind:     by_value
    .group_segment_fixed_size: 0
    .kernarg_segment_align: 8
    .kernarg_segment_size: 88
    .language:       OpenCL C
    .language_version:
      - 2
      - 0
    .max_flat_workgroup_size: 256
    .name:           _ZN7rocprim17ROCPRIM_400000_NS6detail17trampoline_kernelINS0_14default_configENS1_22reduce_config_selectorIN6thrust23THRUST_200600_302600_NS5tupleIblNS6_9null_typeES8_S8_S8_S8_S8_S8_S8_EEEEZNS1_11reduce_implILb1ES3_NS6_12zip_iteratorINS7_INS6_11hip_rocprim26transform_input_iterator_tIbNSD_35transform_pair_of_input_iterators_tIbNS6_6detail15normal_iteratorINS6_10device_ptrIKbEEEESL_NS6_8equal_toIbEEEENSG_9not_fun_tINSD_8identityEEEEENSD_19counting_iterator_tIlEES8_S8_S8_S8_S8_S8_S8_S8_EEEEPS9_S9_NSD_9__find_if7functorIS9_EEEE10hipError_tPvRmT1_T2_T3_mT4_P12ihipStream_tbEUlT_E1_NS1_11comp_targetILNS1_3genE10ELNS1_11target_archE1201ELNS1_3gpuE5ELNS1_3repE0EEENS1_30default_config_static_selectorELNS0_4arch9wavefront6targetE0EEEvS14_
    .private_segment_fixed_size: 0
    .sgpr_count:     0
    .sgpr_spill_count: 0
    .symbol:         _ZN7rocprim17ROCPRIM_400000_NS6detail17trampoline_kernelINS0_14default_configENS1_22reduce_config_selectorIN6thrust23THRUST_200600_302600_NS5tupleIblNS6_9null_typeES8_S8_S8_S8_S8_S8_S8_EEEEZNS1_11reduce_implILb1ES3_NS6_12zip_iteratorINS7_INS6_11hip_rocprim26transform_input_iterator_tIbNSD_35transform_pair_of_input_iterators_tIbNS6_6detail15normal_iteratorINS6_10device_ptrIKbEEEESL_NS6_8equal_toIbEEEENSG_9not_fun_tINSD_8identityEEEEENSD_19counting_iterator_tIlEES8_S8_S8_S8_S8_S8_S8_S8_EEEEPS9_S9_NSD_9__find_if7functorIS9_EEEE10hipError_tPvRmT1_T2_T3_mT4_P12ihipStream_tbEUlT_E1_NS1_11comp_targetILNS1_3genE10ELNS1_11target_archE1201ELNS1_3gpuE5ELNS1_3repE0EEENS1_30default_config_static_selectorELNS0_4arch9wavefront6targetE0EEEvS14_.kd
    .uniform_work_group_size: 1
    .uses_dynamic_stack: false
    .vgpr_count:     0
    .vgpr_spill_count: 0
    .wavefront_size: 32
    .workgroup_processor_mode: 1
  - .args:
      - .offset:         0
        .size:           88
        .value_kind:     by_value
    .group_segment_fixed_size: 0
    .kernarg_segment_align: 8
    .kernarg_segment_size: 88
    .language:       OpenCL C
    .language_version:
      - 2
      - 0
    .max_flat_workgroup_size: 256
    .name:           _ZN7rocprim17ROCPRIM_400000_NS6detail17trampoline_kernelINS0_14default_configENS1_22reduce_config_selectorIN6thrust23THRUST_200600_302600_NS5tupleIblNS6_9null_typeES8_S8_S8_S8_S8_S8_S8_EEEEZNS1_11reduce_implILb1ES3_NS6_12zip_iteratorINS7_INS6_11hip_rocprim26transform_input_iterator_tIbNSD_35transform_pair_of_input_iterators_tIbNS6_6detail15normal_iteratorINS6_10device_ptrIKbEEEESL_NS6_8equal_toIbEEEENSG_9not_fun_tINSD_8identityEEEEENSD_19counting_iterator_tIlEES8_S8_S8_S8_S8_S8_S8_S8_EEEEPS9_S9_NSD_9__find_if7functorIS9_EEEE10hipError_tPvRmT1_T2_T3_mT4_P12ihipStream_tbEUlT_E1_NS1_11comp_targetILNS1_3genE10ELNS1_11target_archE1200ELNS1_3gpuE4ELNS1_3repE0EEENS1_30default_config_static_selectorELNS0_4arch9wavefront6targetE0EEEvS14_
    .private_segment_fixed_size: 0
    .sgpr_count:     0
    .sgpr_spill_count: 0
    .symbol:         _ZN7rocprim17ROCPRIM_400000_NS6detail17trampoline_kernelINS0_14default_configENS1_22reduce_config_selectorIN6thrust23THRUST_200600_302600_NS5tupleIblNS6_9null_typeES8_S8_S8_S8_S8_S8_S8_EEEEZNS1_11reduce_implILb1ES3_NS6_12zip_iteratorINS7_INS6_11hip_rocprim26transform_input_iterator_tIbNSD_35transform_pair_of_input_iterators_tIbNS6_6detail15normal_iteratorINS6_10device_ptrIKbEEEESL_NS6_8equal_toIbEEEENSG_9not_fun_tINSD_8identityEEEEENSD_19counting_iterator_tIlEES8_S8_S8_S8_S8_S8_S8_S8_EEEEPS9_S9_NSD_9__find_if7functorIS9_EEEE10hipError_tPvRmT1_T2_T3_mT4_P12ihipStream_tbEUlT_E1_NS1_11comp_targetILNS1_3genE10ELNS1_11target_archE1200ELNS1_3gpuE4ELNS1_3repE0EEENS1_30default_config_static_selectorELNS0_4arch9wavefront6targetE0EEEvS14_.kd
    .uniform_work_group_size: 1
    .uses_dynamic_stack: false
    .vgpr_count:     0
    .vgpr_spill_count: 0
    .wavefront_size: 32
    .workgroup_processor_mode: 1
  - .args:
      - .offset:         0
        .size:           88
        .value_kind:     by_value
    .group_segment_fixed_size: 0
    .kernarg_segment_align: 8
    .kernarg_segment_size: 88
    .language:       OpenCL C
    .language_version:
      - 2
      - 0
    .max_flat_workgroup_size: 256
    .name:           _ZN7rocprim17ROCPRIM_400000_NS6detail17trampoline_kernelINS0_14default_configENS1_22reduce_config_selectorIN6thrust23THRUST_200600_302600_NS5tupleIblNS6_9null_typeES8_S8_S8_S8_S8_S8_S8_EEEEZNS1_11reduce_implILb1ES3_NS6_12zip_iteratorINS7_INS6_11hip_rocprim26transform_input_iterator_tIbNSD_35transform_pair_of_input_iterators_tIbNS6_6detail15normal_iteratorINS6_10device_ptrIKbEEEESL_NS6_8equal_toIbEEEENSG_9not_fun_tINSD_8identityEEEEENSD_19counting_iterator_tIlEES8_S8_S8_S8_S8_S8_S8_S8_EEEEPS9_S9_NSD_9__find_if7functorIS9_EEEE10hipError_tPvRmT1_T2_T3_mT4_P12ihipStream_tbEUlT_E1_NS1_11comp_targetILNS1_3genE9ELNS1_11target_archE1100ELNS1_3gpuE3ELNS1_3repE0EEENS1_30default_config_static_selectorELNS0_4arch9wavefront6targetE0EEEvS14_
    .private_segment_fixed_size: 0
    .sgpr_count:     0
    .sgpr_spill_count: 0
    .symbol:         _ZN7rocprim17ROCPRIM_400000_NS6detail17trampoline_kernelINS0_14default_configENS1_22reduce_config_selectorIN6thrust23THRUST_200600_302600_NS5tupleIblNS6_9null_typeES8_S8_S8_S8_S8_S8_S8_EEEEZNS1_11reduce_implILb1ES3_NS6_12zip_iteratorINS7_INS6_11hip_rocprim26transform_input_iterator_tIbNSD_35transform_pair_of_input_iterators_tIbNS6_6detail15normal_iteratorINS6_10device_ptrIKbEEEESL_NS6_8equal_toIbEEEENSG_9not_fun_tINSD_8identityEEEEENSD_19counting_iterator_tIlEES8_S8_S8_S8_S8_S8_S8_S8_EEEEPS9_S9_NSD_9__find_if7functorIS9_EEEE10hipError_tPvRmT1_T2_T3_mT4_P12ihipStream_tbEUlT_E1_NS1_11comp_targetILNS1_3genE9ELNS1_11target_archE1100ELNS1_3gpuE3ELNS1_3repE0EEENS1_30default_config_static_selectorELNS0_4arch9wavefront6targetE0EEEvS14_.kd
    .uniform_work_group_size: 1
    .uses_dynamic_stack: false
    .vgpr_count:     0
    .vgpr_spill_count: 0
    .wavefront_size: 32
    .workgroup_processor_mode: 1
  - .args:
      - .offset:         0
        .size:           88
        .value_kind:     by_value
    .group_segment_fixed_size: 640
    .kernarg_segment_align: 8
    .kernarg_segment_size: 88
    .language:       OpenCL C
    .language_version:
      - 2
      - 0
    .max_flat_workgroup_size: 256
    .name:           _ZN7rocprim17ROCPRIM_400000_NS6detail17trampoline_kernelINS0_14default_configENS1_22reduce_config_selectorIN6thrust23THRUST_200600_302600_NS5tupleIblNS6_9null_typeES8_S8_S8_S8_S8_S8_S8_EEEEZNS1_11reduce_implILb1ES3_NS6_12zip_iteratorINS7_INS6_11hip_rocprim26transform_input_iterator_tIbNSD_35transform_pair_of_input_iterators_tIbNS6_6detail15normal_iteratorINS6_10device_ptrIKbEEEESL_NS6_8equal_toIbEEEENSG_9not_fun_tINSD_8identityEEEEENSD_19counting_iterator_tIlEES8_S8_S8_S8_S8_S8_S8_S8_EEEEPS9_S9_NSD_9__find_if7functorIS9_EEEE10hipError_tPvRmT1_T2_T3_mT4_P12ihipStream_tbEUlT_E1_NS1_11comp_targetILNS1_3genE8ELNS1_11target_archE1030ELNS1_3gpuE2ELNS1_3repE0EEENS1_30default_config_static_selectorELNS0_4arch9wavefront6targetE0EEEvS14_
    .private_segment_fixed_size: 0
    .sgpr_count:     34
    .sgpr_spill_count: 0
    .symbol:         _ZN7rocprim17ROCPRIM_400000_NS6detail17trampoline_kernelINS0_14default_configENS1_22reduce_config_selectorIN6thrust23THRUST_200600_302600_NS5tupleIblNS6_9null_typeES8_S8_S8_S8_S8_S8_S8_EEEEZNS1_11reduce_implILb1ES3_NS6_12zip_iteratorINS7_INS6_11hip_rocprim26transform_input_iterator_tIbNSD_35transform_pair_of_input_iterators_tIbNS6_6detail15normal_iteratorINS6_10device_ptrIKbEEEESL_NS6_8equal_toIbEEEENSG_9not_fun_tINSD_8identityEEEEENSD_19counting_iterator_tIlEES8_S8_S8_S8_S8_S8_S8_S8_EEEEPS9_S9_NSD_9__find_if7functorIS9_EEEE10hipError_tPvRmT1_T2_T3_mT4_P12ihipStream_tbEUlT_E1_NS1_11comp_targetILNS1_3genE8ELNS1_11target_archE1030ELNS1_3gpuE2ELNS1_3repE0EEENS1_30default_config_static_selectorELNS0_4arch9wavefront6targetE0EEEvS14_.kd
    .uniform_work_group_size: 1
    .uses_dynamic_stack: false
    .vgpr_count:     27
    .vgpr_spill_count: 0
    .wavefront_size: 32
    .workgroup_processor_mode: 1
  - .args:
      - .offset:         0
        .size:           56
        .value_kind:     by_value
    .group_segment_fixed_size: 0
    .kernarg_segment_align: 8
    .kernarg_segment_size: 56
    .language:       OpenCL C
    .language_version:
      - 2
      - 0
    .max_flat_workgroup_size: 256
    .name:           _ZN7rocprim17ROCPRIM_400000_NS6detail17trampoline_kernelINS0_14default_configENS1_29binary_search_config_selectorIN6thrust23THRUST_200600_302600_NS5tupleIiiNS6_9null_typeES8_S8_S8_S8_S8_S8_S8_EEbEEZNS1_14transform_implILb0ES3_SA_NS6_6detail15normal_iteratorINS6_10device_ptrIS9_EEEENSD_INSE_IbEEEEZNS1_13binary_searchIS3_SA_SG_SG_SI_NS1_16binary_search_opENSC_16wrapped_functionINS0_4lessIvEEbEEEE10hipError_tPvRmT1_T2_T3_mmT4_T5_P12ihipStream_tbEUlRKS9_E_EESP_ST_SU_mSV_SY_bEUlT_E_NS1_11comp_targetILNS1_3genE0ELNS1_11target_archE4294967295ELNS1_3gpuE0ELNS1_3repE0EEENS1_30default_config_static_selectorELNS0_4arch9wavefront6targetE0EEEvSS_
    .private_segment_fixed_size: 0
    .sgpr_count:     0
    .sgpr_spill_count: 0
    .symbol:         _ZN7rocprim17ROCPRIM_400000_NS6detail17trampoline_kernelINS0_14default_configENS1_29binary_search_config_selectorIN6thrust23THRUST_200600_302600_NS5tupleIiiNS6_9null_typeES8_S8_S8_S8_S8_S8_S8_EEbEEZNS1_14transform_implILb0ES3_SA_NS6_6detail15normal_iteratorINS6_10device_ptrIS9_EEEENSD_INSE_IbEEEEZNS1_13binary_searchIS3_SA_SG_SG_SI_NS1_16binary_search_opENSC_16wrapped_functionINS0_4lessIvEEbEEEE10hipError_tPvRmT1_T2_T3_mmT4_T5_P12ihipStream_tbEUlRKS9_E_EESP_ST_SU_mSV_SY_bEUlT_E_NS1_11comp_targetILNS1_3genE0ELNS1_11target_archE4294967295ELNS1_3gpuE0ELNS1_3repE0EEENS1_30default_config_static_selectorELNS0_4arch9wavefront6targetE0EEEvSS_.kd
    .uniform_work_group_size: 1
    .uses_dynamic_stack: false
    .vgpr_count:     0
    .vgpr_spill_count: 0
    .wavefront_size: 32
    .workgroup_processor_mode: 1
  - .args:
      - .offset:         0
        .size:           56
        .value_kind:     by_value
    .group_segment_fixed_size: 0
    .kernarg_segment_align: 8
    .kernarg_segment_size: 56
    .language:       OpenCL C
    .language_version:
      - 2
      - 0
    .max_flat_workgroup_size: 64
    .name:           _ZN7rocprim17ROCPRIM_400000_NS6detail17trampoline_kernelINS0_14default_configENS1_29binary_search_config_selectorIN6thrust23THRUST_200600_302600_NS5tupleIiiNS6_9null_typeES8_S8_S8_S8_S8_S8_S8_EEbEEZNS1_14transform_implILb0ES3_SA_NS6_6detail15normal_iteratorINS6_10device_ptrIS9_EEEENSD_INSE_IbEEEEZNS1_13binary_searchIS3_SA_SG_SG_SI_NS1_16binary_search_opENSC_16wrapped_functionINS0_4lessIvEEbEEEE10hipError_tPvRmT1_T2_T3_mmT4_T5_P12ihipStream_tbEUlRKS9_E_EESP_ST_SU_mSV_SY_bEUlT_E_NS1_11comp_targetILNS1_3genE5ELNS1_11target_archE942ELNS1_3gpuE9ELNS1_3repE0EEENS1_30default_config_static_selectorELNS0_4arch9wavefront6targetE0EEEvSS_
    .private_segment_fixed_size: 0
    .sgpr_count:     0
    .sgpr_spill_count: 0
    .symbol:         _ZN7rocprim17ROCPRIM_400000_NS6detail17trampoline_kernelINS0_14default_configENS1_29binary_search_config_selectorIN6thrust23THRUST_200600_302600_NS5tupleIiiNS6_9null_typeES8_S8_S8_S8_S8_S8_S8_EEbEEZNS1_14transform_implILb0ES3_SA_NS6_6detail15normal_iteratorINS6_10device_ptrIS9_EEEENSD_INSE_IbEEEEZNS1_13binary_searchIS3_SA_SG_SG_SI_NS1_16binary_search_opENSC_16wrapped_functionINS0_4lessIvEEbEEEE10hipError_tPvRmT1_T2_T3_mmT4_T5_P12ihipStream_tbEUlRKS9_E_EESP_ST_SU_mSV_SY_bEUlT_E_NS1_11comp_targetILNS1_3genE5ELNS1_11target_archE942ELNS1_3gpuE9ELNS1_3repE0EEENS1_30default_config_static_selectorELNS0_4arch9wavefront6targetE0EEEvSS_.kd
    .uniform_work_group_size: 1
    .uses_dynamic_stack: false
    .vgpr_count:     0
    .vgpr_spill_count: 0
    .wavefront_size: 32
    .workgroup_processor_mode: 1
  - .args:
      - .offset:         0
        .size:           56
        .value_kind:     by_value
    .group_segment_fixed_size: 0
    .kernarg_segment_align: 8
    .kernarg_segment_size: 56
    .language:       OpenCL C
    .language_version:
      - 2
      - 0
    .max_flat_workgroup_size: 64
    .name:           _ZN7rocprim17ROCPRIM_400000_NS6detail17trampoline_kernelINS0_14default_configENS1_29binary_search_config_selectorIN6thrust23THRUST_200600_302600_NS5tupleIiiNS6_9null_typeES8_S8_S8_S8_S8_S8_S8_EEbEEZNS1_14transform_implILb0ES3_SA_NS6_6detail15normal_iteratorINS6_10device_ptrIS9_EEEENSD_INSE_IbEEEEZNS1_13binary_searchIS3_SA_SG_SG_SI_NS1_16binary_search_opENSC_16wrapped_functionINS0_4lessIvEEbEEEE10hipError_tPvRmT1_T2_T3_mmT4_T5_P12ihipStream_tbEUlRKS9_E_EESP_ST_SU_mSV_SY_bEUlT_E_NS1_11comp_targetILNS1_3genE4ELNS1_11target_archE910ELNS1_3gpuE8ELNS1_3repE0EEENS1_30default_config_static_selectorELNS0_4arch9wavefront6targetE0EEEvSS_
    .private_segment_fixed_size: 0
    .sgpr_count:     0
    .sgpr_spill_count: 0
    .symbol:         _ZN7rocprim17ROCPRIM_400000_NS6detail17trampoline_kernelINS0_14default_configENS1_29binary_search_config_selectorIN6thrust23THRUST_200600_302600_NS5tupleIiiNS6_9null_typeES8_S8_S8_S8_S8_S8_S8_EEbEEZNS1_14transform_implILb0ES3_SA_NS6_6detail15normal_iteratorINS6_10device_ptrIS9_EEEENSD_INSE_IbEEEEZNS1_13binary_searchIS3_SA_SG_SG_SI_NS1_16binary_search_opENSC_16wrapped_functionINS0_4lessIvEEbEEEE10hipError_tPvRmT1_T2_T3_mmT4_T5_P12ihipStream_tbEUlRKS9_E_EESP_ST_SU_mSV_SY_bEUlT_E_NS1_11comp_targetILNS1_3genE4ELNS1_11target_archE910ELNS1_3gpuE8ELNS1_3repE0EEENS1_30default_config_static_selectorELNS0_4arch9wavefront6targetE0EEEvSS_.kd
    .uniform_work_group_size: 1
    .uses_dynamic_stack: false
    .vgpr_count:     0
    .vgpr_spill_count: 0
    .wavefront_size: 32
    .workgroup_processor_mode: 1
  - .args:
      - .offset:         0
        .size:           56
        .value_kind:     by_value
    .group_segment_fixed_size: 0
    .kernarg_segment_align: 8
    .kernarg_segment_size: 56
    .language:       OpenCL C
    .language_version:
      - 2
      - 0
    .max_flat_workgroup_size: 256
    .name:           _ZN7rocprim17ROCPRIM_400000_NS6detail17trampoline_kernelINS0_14default_configENS1_29binary_search_config_selectorIN6thrust23THRUST_200600_302600_NS5tupleIiiNS6_9null_typeES8_S8_S8_S8_S8_S8_S8_EEbEEZNS1_14transform_implILb0ES3_SA_NS6_6detail15normal_iteratorINS6_10device_ptrIS9_EEEENSD_INSE_IbEEEEZNS1_13binary_searchIS3_SA_SG_SG_SI_NS1_16binary_search_opENSC_16wrapped_functionINS0_4lessIvEEbEEEE10hipError_tPvRmT1_T2_T3_mmT4_T5_P12ihipStream_tbEUlRKS9_E_EESP_ST_SU_mSV_SY_bEUlT_E_NS1_11comp_targetILNS1_3genE3ELNS1_11target_archE908ELNS1_3gpuE7ELNS1_3repE0EEENS1_30default_config_static_selectorELNS0_4arch9wavefront6targetE0EEEvSS_
    .private_segment_fixed_size: 0
    .sgpr_count:     0
    .sgpr_spill_count: 0
    .symbol:         _ZN7rocprim17ROCPRIM_400000_NS6detail17trampoline_kernelINS0_14default_configENS1_29binary_search_config_selectorIN6thrust23THRUST_200600_302600_NS5tupleIiiNS6_9null_typeES8_S8_S8_S8_S8_S8_S8_EEbEEZNS1_14transform_implILb0ES3_SA_NS6_6detail15normal_iteratorINS6_10device_ptrIS9_EEEENSD_INSE_IbEEEEZNS1_13binary_searchIS3_SA_SG_SG_SI_NS1_16binary_search_opENSC_16wrapped_functionINS0_4lessIvEEbEEEE10hipError_tPvRmT1_T2_T3_mmT4_T5_P12ihipStream_tbEUlRKS9_E_EESP_ST_SU_mSV_SY_bEUlT_E_NS1_11comp_targetILNS1_3genE3ELNS1_11target_archE908ELNS1_3gpuE7ELNS1_3repE0EEENS1_30default_config_static_selectorELNS0_4arch9wavefront6targetE0EEEvSS_.kd
    .uniform_work_group_size: 1
    .uses_dynamic_stack: false
    .vgpr_count:     0
    .vgpr_spill_count: 0
    .wavefront_size: 32
    .workgroup_processor_mode: 1
  - .args:
      - .offset:         0
        .size:           56
        .value_kind:     by_value
    .group_segment_fixed_size: 0
    .kernarg_segment_align: 8
    .kernarg_segment_size: 56
    .language:       OpenCL C
    .language_version:
      - 2
      - 0
    .max_flat_workgroup_size: 256
    .name:           _ZN7rocprim17ROCPRIM_400000_NS6detail17trampoline_kernelINS0_14default_configENS1_29binary_search_config_selectorIN6thrust23THRUST_200600_302600_NS5tupleIiiNS6_9null_typeES8_S8_S8_S8_S8_S8_S8_EEbEEZNS1_14transform_implILb0ES3_SA_NS6_6detail15normal_iteratorINS6_10device_ptrIS9_EEEENSD_INSE_IbEEEEZNS1_13binary_searchIS3_SA_SG_SG_SI_NS1_16binary_search_opENSC_16wrapped_functionINS0_4lessIvEEbEEEE10hipError_tPvRmT1_T2_T3_mmT4_T5_P12ihipStream_tbEUlRKS9_E_EESP_ST_SU_mSV_SY_bEUlT_E_NS1_11comp_targetILNS1_3genE2ELNS1_11target_archE906ELNS1_3gpuE6ELNS1_3repE0EEENS1_30default_config_static_selectorELNS0_4arch9wavefront6targetE0EEEvSS_
    .private_segment_fixed_size: 0
    .sgpr_count:     0
    .sgpr_spill_count: 0
    .symbol:         _ZN7rocprim17ROCPRIM_400000_NS6detail17trampoline_kernelINS0_14default_configENS1_29binary_search_config_selectorIN6thrust23THRUST_200600_302600_NS5tupleIiiNS6_9null_typeES8_S8_S8_S8_S8_S8_S8_EEbEEZNS1_14transform_implILb0ES3_SA_NS6_6detail15normal_iteratorINS6_10device_ptrIS9_EEEENSD_INSE_IbEEEEZNS1_13binary_searchIS3_SA_SG_SG_SI_NS1_16binary_search_opENSC_16wrapped_functionINS0_4lessIvEEbEEEE10hipError_tPvRmT1_T2_T3_mmT4_T5_P12ihipStream_tbEUlRKS9_E_EESP_ST_SU_mSV_SY_bEUlT_E_NS1_11comp_targetILNS1_3genE2ELNS1_11target_archE906ELNS1_3gpuE6ELNS1_3repE0EEENS1_30default_config_static_selectorELNS0_4arch9wavefront6targetE0EEEvSS_.kd
    .uniform_work_group_size: 1
    .uses_dynamic_stack: false
    .vgpr_count:     0
    .vgpr_spill_count: 0
    .wavefront_size: 32
    .workgroup_processor_mode: 1
  - .args:
      - .offset:         0
        .size:           56
        .value_kind:     by_value
    .group_segment_fixed_size: 0
    .kernarg_segment_align: 8
    .kernarg_segment_size: 56
    .language:       OpenCL C
    .language_version:
      - 2
      - 0
    .max_flat_workgroup_size: 256
    .name:           _ZN7rocprim17ROCPRIM_400000_NS6detail17trampoline_kernelINS0_14default_configENS1_29binary_search_config_selectorIN6thrust23THRUST_200600_302600_NS5tupleIiiNS6_9null_typeES8_S8_S8_S8_S8_S8_S8_EEbEEZNS1_14transform_implILb0ES3_SA_NS6_6detail15normal_iteratorINS6_10device_ptrIS9_EEEENSD_INSE_IbEEEEZNS1_13binary_searchIS3_SA_SG_SG_SI_NS1_16binary_search_opENSC_16wrapped_functionINS0_4lessIvEEbEEEE10hipError_tPvRmT1_T2_T3_mmT4_T5_P12ihipStream_tbEUlRKS9_E_EESP_ST_SU_mSV_SY_bEUlT_E_NS1_11comp_targetILNS1_3genE10ELNS1_11target_archE1201ELNS1_3gpuE5ELNS1_3repE0EEENS1_30default_config_static_selectorELNS0_4arch9wavefront6targetE0EEEvSS_
    .private_segment_fixed_size: 0
    .sgpr_count:     0
    .sgpr_spill_count: 0
    .symbol:         _ZN7rocprim17ROCPRIM_400000_NS6detail17trampoline_kernelINS0_14default_configENS1_29binary_search_config_selectorIN6thrust23THRUST_200600_302600_NS5tupleIiiNS6_9null_typeES8_S8_S8_S8_S8_S8_S8_EEbEEZNS1_14transform_implILb0ES3_SA_NS6_6detail15normal_iteratorINS6_10device_ptrIS9_EEEENSD_INSE_IbEEEEZNS1_13binary_searchIS3_SA_SG_SG_SI_NS1_16binary_search_opENSC_16wrapped_functionINS0_4lessIvEEbEEEE10hipError_tPvRmT1_T2_T3_mmT4_T5_P12ihipStream_tbEUlRKS9_E_EESP_ST_SU_mSV_SY_bEUlT_E_NS1_11comp_targetILNS1_3genE10ELNS1_11target_archE1201ELNS1_3gpuE5ELNS1_3repE0EEENS1_30default_config_static_selectorELNS0_4arch9wavefront6targetE0EEEvSS_.kd
    .uniform_work_group_size: 1
    .uses_dynamic_stack: false
    .vgpr_count:     0
    .vgpr_spill_count: 0
    .wavefront_size: 32
    .workgroup_processor_mode: 1
  - .args:
      - .offset:         0
        .size:           56
        .value_kind:     by_value
    .group_segment_fixed_size: 0
    .kernarg_segment_align: 8
    .kernarg_segment_size: 56
    .language:       OpenCL C
    .language_version:
      - 2
      - 0
    .max_flat_workgroup_size: 128
    .name:           _ZN7rocprim17ROCPRIM_400000_NS6detail17trampoline_kernelINS0_14default_configENS1_29binary_search_config_selectorIN6thrust23THRUST_200600_302600_NS5tupleIiiNS6_9null_typeES8_S8_S8_S8_S8_S8_S8_EEbEEZNS1_14transform_implILb0ES3_SA_NS6_6detail15normal_iteratorINS6_10device_ptrIS9_EEEENSD_INSE_IbEEEEZNS1_13binary_searchIS3_SA_SG_SG_SI_NS1_16binary_search_opENSC_16wrapped_functionINS0_4lessIvEEbEEEE10hipError_tPvRmT1_T2_T3_mmT4_T5_P12ihipStream_tbEUlRKS9_E_EESP_ST_SU_mSV_SY_bEUlT_E_NS1_11comp_targetILNS1_3genE10ELNS1_11target_archE1200ELNS1_3gpuE4ELNS1_3repE0EEENS1_30default_config_static_selectorELNS0_4arch9wavefront6targetE0EEEvSS_
    .private_segment_fixed_size: 0
    .sgpr_count:     0
    .sgpr_spill_count: 0
    .symbol:         _ZN7rocprim17ROCPRIM_400000_NS6detail17trampoline_kernelINS0_14default_configENS1_29binary_search_config_selectorIN6thrust23THRUST_200600_302600_NS5tupleIiiNS6_9null_typeES8_S8_S8_S8_S8_S8_S8_EEbEEZNS1_14transform_implILb0ES3_SA_NS6_6detail15normal_iteratorINS6_10device_ptrIS9_EEEENSD_INSE_IbEEEEZNS1_13binary_searchIS3_SA_SG_SG_SI_NS1_16binary_search_opENSC_16wrapped_functionINS0_4lessIvEEbEEEE10hipError_tPvRmT1_T2_T3_mmT4_T5_P12ihipStream_tbEUlRKS9_E_EESP_ST_SU_mSV_SY_bEUlT_E_NS1_11comp_targetILNS1_3genE10ELNS1_11target_archE1200ELNS1_3gpuE4ELNS1_3repE0EEENS1_30default_config_static_selectorELNS0_4arch9wavefront6targetE0EEEvSS_.kd
    .uniform_work_group_size: 1
    .uses_dynamic_stack: false
    .vgpr_count:     0
    .vgpr_spill_count: 0
    .wavefront_size: 32
    .workgroup_processor_mode: 1
  - .args:
      - .offset:         0
        .size:           56
        .value_kind:     by_value
    .group_segment_fixed_size: 0
    .kernarg_segment_align: 8
    .kernarg_segment_size: 56
    .language:       OpenCL C
    .language_version:
      - 2
      - 0
    .max_flat_workgroup_size: 64
    .name:           _ZN7rocprim17ROCPRIM_400000_NS6detail17trampoline_kernelINS0_14default_configENS1_29binary_search_config_selectorIN6thrust23THRUST_200600_302600_NS5tupleIiiNS6_9null_typeES8_S8_S8_S8_S8_S8_S8_EEbEEZNS1_14transform_implILb0ES3_SA_NS6_6detail15normal_iteratorINS6_10device_ptrIS9_EEEENSD_INSE_IbEEEEZNS1_13binary_searchIS3_SA_SG_SG_SI_NS1_16binary_search_opENSC_16wrapped_functionINS0_4lessIvEEbEEEE10hipError_tPvRmT1_T2_T3_mmT4_T5_P12ihipStream_tbEUlRKS9_E_EESP_ST_SU_mSV_SY_bEUlT_E_NS1_11comp_targetILNS1_3genE9ELNS1_11target_archE1100ELNS1_3gpuE3ELNS1_3repE0EEENS1_30default_config_static_selectorELNS0_4arch9wavefront6targetE0EEEvSS_
    .private_segment_fixed_size: 0
    .sgpr_count:     0
    .sgpr_spill_count: 0
    .symbol:         _ZN7rocprim17ROCPRIM_400000_NS6detail17trampoline_kernelINS0_14default_configENS1_29binary_search_config_selectorIN6thrust23THRUST_200600_302600_NS5tupleIiiNS6_9null_typeES8_S8_S8_S8_S8_S8_S8_EEbEEZNS1_14transform_implILb0ES3_SA_NS6_6detail15normal_iteratorINS6_10device_ptrIS9_EEEENSD_INSE_IbEEEEZNS1_13binary_searchIS3_SA_SG_SG_SI_NS1_16binary_search_opENSC_16wrapped_functionINS0_4lessIvEEbEEEE10hipError_tPvRmT1_T2_T3_mmT4_T5_P12ihipStream_tbEUlRKS9_E_EESP_ST_SU_mSV_SY_bEUlT_E_NS1_11comp_targetILNS1_3genE9ELNS1_11target_archE1100ELNS1_3gpuE3ELNS1_3repE0EEENS1_30default_config_static_selectorELNS0_4arch9wavefront6targetE0EEEvSS_.kd
    .uniform_work_group_size: 1
    .uses_dynamic_stack: false
    .vgpr_count:     0
    .vgpr_spill_count: 0
    .wavefront_size: 32
    .workgroup_processor_mode: 1
  - .args:
      - .offset:         0
        .size:           56
        .value_kind:     by_value
      - .offset:         56
        .size:           4
        .value_kind:     hidden_block_count_x
      - .offset:         60
        .size:           4
        .value_kind:     hidden_block_count_y
      - .offset:         64
        .size:           4
        .value_kind:     hidden_block_count_z
      - .offset:         68
        .size:           2
        .value_kind:     hidden_group_size_x
      - .offset:         70
        .size:           2
        .value_kind:     hidden_group_size_y
      - .offset:         72
        .size:           2
        .value_kind:     hidden_group_size_z
      - .offset:         74
        .size:           2
        .value_kind:     hidden_remainder_x
      - .offset:         76
        .size:           2
        .value_kind:     hidden_remainder_y
      - .offset:         78
        .size:           2
        .value_kind:     hidden_remainder_z
      - .offset:         96
        .size:           8
        .value_kind:     hidden_global_offset_x
      - .offset:         104
        .size:           8
        .value_kind:     hidden_global_offset_y
      - .offset:         112
        .size:           8
        .value_kind:     hidden_global_offset_z
      - .offset:         120
        .size:           2
        .value_kind:     hidden_grid_dims
    .group_segment_fixed_size: 0
    .kernarg_segment_align: 8
    .kernarg_segment_size: 312
    .language:       OpenCL C
    .language_version:
      - 2
      - 0
    .max_flat_workgroup_size: 256
    .name:           _ZN7rocprim17ROCPRIM_400000_NS6detail17trampoline_kernelINS0_14default_configENS1_29binary_search_config_selectorIN6thrust23THRUST_200600_302600_NS5tupleIiiNS6_9null_typeES8_S8_S8_S8_S8_S8_S8_EEbEEZNS1_14transform_implILb0ES3_SA_NS6_6detail15normal_iteratorINS6_10device_ptrIS9_EEEENSD_INSE_IbEEEEZNS1_13binary_searchIS3_SA_SG_SG_SI_NS1_16binary_search_opENSC_16wrapped_functionINS0_4lessIvEEbEEEE10hipError_tPvRmT1_T2_T3_mmT4_T5_P12ihipStream_tbEUlRKS9_E_EESP_ST_SU_mSV_SY_bEUlT_E_NS1_11comp_targetILNS1_3genE8ELNS1_11target_archE1030ELNS1_3gpuE2ELNS1_3repE0EEENS1_30default_config_static_selectorELNS0_4arch9wavefront6targetE0EEEvSS_
    .private_segment_fixed_size: 0
    .sgpr_count:     20
    .sgpr_spill_count: 0
    .symbol:         _ZN7rocprim17ROCPRIM_400000_NS6detail17trampoline_kernelINS0_14default_configENS1_29binary_search_config_selectorIN6thrust23THRUST_200600_302600_NS5tupleIiiNS6_9null_typeES8_S8_S8_S8_S8_S8_S8_EEbEEZNS1_14transform_implILb0ES3_SA_NS6_6detail15normal_iteratorINS6_10device_ptrIS9_EEEENSD_INSE_IbEEEEZNS1_13binary_searchIS3_SA_SG_SG_SI_NS1_16binary_search_opENSC_16wrapped_functionINS0_4lessIvEEbEEEE10hipError_tPvRmT1_T2_T3_mmT4_T5_P12ihipStream_tbEUlRKS9_E_EESP_ST_SU_mSV_SY_bEUlT_E_NS1_11comp_targetILNS1_3genE8ELNS1_11target_archE1030ELNS1_3gpuE2ELNS1_3repE0EEENS1_30default_config_static_selectorELNS0_4arch9wavefront6targetE0EEEvSS_.kd
    .uniform_work_group_size: 1
    .uses_dynamic_stack: false
    .vgpr_count:     14
    .vgpr_spill_count: 0
    .wavefront_size: 32
    .workgroup_processor_mode: 1
  - .args:
      - .offset:         0
        .size:           56
        .value_kind:     by_value
    .group_segment_fixed_size: 0
    .kernarg_segment_align: 8
    .kernarg_segment_size: 56
    .language:       OpenCL C
    .language_version:
      - 2
      - 0
    .max_flat_workgroup_size: 256
    .name:           _ZN7rocprim17ROCPRIM_400000_NS6detail17trampoline_kernelINS0_14default_configENS1_27lower_bound_config_selectorIilEEZNS1_14transform_implILb0ES3_S5_N6thrust23THRUST_200600_302600_NS6detail15normal_iteratorINS8_7pointerIiNS9_22execute_with_allocatorINS8_16device_allocatorIcEENS8_11hip_rocprim22execute_on_stream_baseEEENS8_11use_defaultESI_EEEENSA_INSB_IlSH_SI_SI_EEEEZNS1_13binary_searchIS3_S5_NSA_INS8_10device_ptrIiEEEESK_SM_NS1_21lower_bound_search_opENS9_16wrapped_functionINS8_6system6detail7generic6detail18binary_search_lessEbEEEE10hipError_tPvRmT1_T2_T3_mmT4_T5_P12ihipStream_tbEUlRKiE_EESZ_S13_S14_mS15_S18_bEUlT_E_NS1_11comp_targetILNS1_3genE0ELNS1_11target_archE4294967295ELNS1_3gpuE0ELNS1_3repE0EEENS1_30default_config_static_selectorELNS0_4arch9wavefront6targetE0EEEvS12_
    .private_segment_fixed_size: 0
    .sgpr_count:     0
    .sgpr_spill_count: 0
    .symbol:         _ZN7rocprim17ROCPRIM_400000_NS6detail17trampoline_kernelINS0_14default_configENS1_27lower_bound_config_selectorIilEEZNS1_14transform_implILb0ES3_S5_N6thrust23THRUST_200600_302600_NS6detail15normal_iteratorINS8_7pointerIiNS9_22execute_with_allocatorINS8_16device_allocatorIcEENS8_11hip_rocprim22execute_on_stream_baseEEENS8_11use_defaultESI_EEEENSA_INSB_IlSH_SI_SI_EEEEZNS1_13binary_searchIS3_S5_NSA_INS8_10device_ptrIiEEEESK_SM_NS1_21lower_bound_search_opENS9_16wrapped_functionINS8_6system6detail7generic6detail18binary_search_lessEbEEEE10hipError_tPvRmT1_T2_T3_mmT4_T5_P12ihipStream_tbEUlRKiE_EESZ_S13_S14_mS15_S18_bEUlT_E_NS1_11comp_targetILNS1_3genE0ELNS1_11target_archE4294967295ELNS1_3gpuE0ELNS1_3repE0EEENS1_30default_config_static_selectorELNS0_4arch9wavefront6targetE0EEEvS12_.kd
    .uniform_work_group_size: 1
    .uses_dynamic_stack: false
    .vgpr_count:     0
    .vgpr_spill_count: 0
    .wavefront_size: 32
    .workgroup_processor_mode: 1
  - .args:
      - .offset:         0
        .size:           56
        .value_kind:     by_value
    .group_segment_fixed_size: 0
    .kernarg_segment_align: 8
    .kernarg_segment_size: 56
    .language:       OpenCL C
    .language_version:
      - 2
      - 0
    .max_flat_workgroup_size: 256
    .name:           _ZN7rocprim17ROCPRIM_400000_NS6detail17trampoline_kernelINS0_14default_configENS1_27lower_bound_config_selectorIilEEZNS1_14transform_implILb0ES3_S5_N6thrust23THRUST_200600_302600_NS6detail15normal_iteratorINS8_7pointerIiNS9_22execute_with_allocatorINS8_16device_allocatorIcEENS8_11hip_rocprim22execute_on_stream_baseEEENS8_11use_defaultESI_EEEENSA_INSB_IlSH_SI_SI_EEEEZNS1_13binary_searchIS3_S5_NSA_INS8_10device_ptrIiEEEESK_SM_NS1_21lower_bound_search_opENS9_16wrapped_functionINS8_6system6detail7generic6detail18binary_search_lessEbEEEE10hipError_tPvRmT1_T2_T3_mmT4_T5_P12ihipStream_tbEUlRKiE_EESZ_S13_S14_mS15_S18_bEUlT_E_NS1_11comp_targetILNS1_3genE5ELNS1_11target_archE942ELNS1_3gpuE9ELNS1_3repE0EEENS1_30default_config_static_selectorELNS0_4arch9wavefront6targetE0EEEvS12_
    .private_segment_fixed_size: 0
    .sgpr_count:     0
    .sgpr_spill_count: 0
    .symbol:         _ZN7rocprim17ROCPRIM_400000_NS6detail17trampoline_kernelINS0_14default_configENS1_27lower_bound_config_selectorIilEEZNS1_14transform_implILb0ES3_S5_N6thrust23THRUST_200600_302600_NS6detail15normal_iteratorINS8_7pointerIiNS9_22execute_with_allocatorINS8_16device_allocatorIcEENS8_11hip_rocprim22execute_on_stream_baseEEENS8_11use_defaultESI_EEEENSA_INSB_IlSH_SI_SI_EEEEZNS1_13binary_searchIS3_S5_NSA_INS8_10device_ptrIiEEEESK_SM_NS1_21lower_bound_search_opENS9_16wrapped_functionINS8_6system6detail7generic6detail18binary_search_lessEbEEEE10hipError_tPvRmT1_T2_T3_mmT4_T5_P12ihipStream_tbEUlRKiE_EESZ_S13_S14_mS15_S18_bEUlT_E_NS1_11comp_targetILNS1_3genE5ELNS1_11target_archE942ELNS1_3gpuE9ELNS1_3repE0EEENS1_30default_config_static_selectorELNS0_4arch9wavefront6targetE0EEEvS12_.kd
    .uniform_work_group_size: 1
    .uses_dynamic_stack: false
    .vgpr_count:     0
    .vgpr_spill_count: 0
    .wavefront_size: 32
    .workgroup_processor_mode: 1
  - .args:
      - .offset:         0
        .size:           56
        .value_kind:     by_value
    .group_segment_fixed_size: 0
    .kernarg_segment_align: 8
    .kernarg_segment_size: 56
    .language:       OpenCL C
    .language_version:
      - 2
      - 0
    .max_flat_workgroup_size: 256
    .name:           _ZN7rocprim17ROCPRIM_400000_NS6detail17trampoline_kernelINS0_14default_configENS1_27lower_bound_config_selectorIilEEZNS1_14transform_implILb0ES3_S5_N6thrust23THRUST_200600_302600_NS6detail15normal_iteratorINS8_7pointerIiNS9_22execute_with_allocatorINS8_16device_allocatorIcEENS8_11hip_rocprim22execute_on_stream_baseEEENS8_11use_defaultESI_EEEENSA_INSB_IlSH_SI_SI_EEEEZNS1_13binary_searchIS3_S5_NSA_INS8_10device_ptrIiEEEESK_SM_NS1_21lower_bound_search_opENS9_16wrapped_functionINS8_6system6detail7generic6detail18binary_search_lessEbEEEE10hipError_tPvRmT1_T2_T3_mmT4_T5_P12ihipStream_tbEUlRKiE_EESZ_S13_S14_mS15_S18_bEUlT_E_NS1_11comp_targetILNS1_3genE4ELNS1_11target_archE910ELNS1_3gpuE8ELNS1_3repE0EEENS1_30default_config_static_selectorELNS0_4arch9wavefront6targetE0EEEvS12_
    .private_segment_fixed_size: 0
    .sgpr_count:     0
    .sgpr_spill_count: 0
    .symbol:         _ZN7rocprim17ROCPRIM_400000_NS6detail17trampoline_kernelINS0_14default_configENS1_27lower_bound_config_selectorIilEEZNS1_14transform_implILb0ES3_S5_N6thrust23THRUST_200600_302600_NS6detail15normal_iteratorINS8_7pointerIiNS9_22execute_with_allocatorINS8_16device_allocatorIcEENS8_11hip_rocprim22execute_on_stream_baseEEENS8_11use_defaultESI_EEEENSA_INSB_IlSH_SI_SI_EEEEZNS1_13binary_searchIS3_S5_NSA_INS8_10device_ptrIiEEEESK_SM_NS1_21lower_bound_search_opENS9_16wrapped_functionINS8_6system6detail7generic6detail18binary_search_lessEbEEEE10hipError_tPvRmT1_T2_T3_mmT4_T5_P12ihipStream_tbEUlRKiE_EESZ_S13_S14_mS15_S18_bEUlT_E_NS1_11comp_targetILNS1_3genE4ELNS1_11target_archE910ELNS1_3gpuE8ELNS1_3repE0EEENS1_30default_config_static_selectorELNS0_4arch9wavefront6targetE0EEEvS12_.kd
    .uniform_work_group_size: 1
    .uses_dynamic_stack: false
    .vgpr_count:     0
    .vgpr_spill_count: 0
    .wavefront_size: 32
    .workgroup_processor_mode: 1
  - .args:
      - .offset:         0
        .size:           56
        .value_kind:     by_value
    .group_segment_fixed_size: 0
    .kernarg_segment_align: 8
    .kernarg_segment_size: 56
    .language:       OpenCL C
    .language_version:
      - 2
      - 0
    .max_flat_workgroup_size: 256
    .name:           _ZN7rocprim17ROCPRIM_400000_NS6detail17trampoline_kernelINS0_14default_configENS1_27lower_bound_config_selectorIilEEZNS1_14transform_implILb0ES3_S5_N6thrust23THRUST_200600_302600_NS6detail15normal_iteratorINS8_7pointerIiNS9_22execute_with_allocatorINS8_16device_allocatorIcEENS8_11hip_rocprim22execute_on_stream_baseEEENS8_11use_defaultESI_EEEENSA_INSB_IlSH_SI_SI_EEEEZNS1_13binary_searchIS3_S5_NSA_INS8_10device_ptrIiEEEESK_SM_NS1_21lower_bound_search_opENS9_16wrapped_functionINS8_6system6detail7generic6detail18binary_search_lessEbEEEE10hipError_tPvRmT1_T2_T3_mmT4_T5_P12ihipStream_tbEUlRKiE_EESZ_S13_S14_mS15_S18_bEUlT_E_NS1_11comp_targetILNS1_3genE3ELNS1_11target_archE908ELNS1_3gpuE7ELNS1_3repE0EEENS1_30default_config_static_selectorELNS0_4arch9wavefront6targetE0EEEvS12_
    .private_segment_fixed_size: 0
    .sgpr_count:     0
    .sgpr_spill_count: 0
    .symbol:         _ZN7rocprim17ROCPRIM_400000_NS6detail17trampoline_kernelINS0_14default_configENS1_27lower_bound_config_selectorIilEEZNS1_14transform_implILb0ES3_S5_N6thrust23THRUST_200600_302600_NS6detail15normal_iteratorINS8_7pointerIiNS9_22execute_with_allocatorINS8_16device_allocatorIcEENS8_11hip_rocprim22execute_on_stream_baseEEENS8_11use_defaultESI_EEEENSA_INSB_IlSH_SI_SI_EEEEZNS1_13binary_searchIS3_S5_NSA_INS8_10device_ptrIiEEEESK_SM_NS1_21lower_bound_search_opENS9_16wrapped_functionINS8_6system6detail7generic6detail18binary_search_lessEbEEEE10hipError_tPvRmT1_T2_T3_mmT4_T5_P12ihipStream_tbEUlRKiE_EESZ_S13_S14_mS15_S18_bEUlT_E_NS1_11comp_targetILNS1_3genE3ELNS1_11target_archE908ELNS1_3gpuE7ELNS1_3repE0EEENS1_30default_config_static_selectorELNS0_4arch9wavefront6targetE0EEEvS12_.kd
    .uniform_work_group_size: 1
    .uses_dynamic_stack: false
    .vgpr_count:     0
    .vgpr_spill_count: 0
    .wavefront_size: 32
    .workgroup_processor_mode: 1
  - .args:
      - .offset:         0
        .size:           56
        .value_kind:     by_value
    .group_segment_fixed_size: 0
    .kernarg_segment_align: 8
    .kernarg_segment_size: 56
    .language:       OpenCL C
    .language_version:
      - 2
      - 0
    .max_flat_workgroup_size: 256
    .name:           _ZN7rocprim17ROCPRIM_400000_NS6detail17trampoline_kernelINS0_14default_configENS1_27lower_bound_config_selectorIilEEZNS1_14transform_implILb0ES3_S5_N6thrust23THRUST_200600_302600_NS6detail15normal_iteratorINS8_7pointerIiNS9_22execute_with_allocatorINS8_16device_allocatorIcEENS8_11hip_rocprim22execute_on_stream_baseEEENS8_11use_defaultESI_EEEENSA_INSB_IlSH_SI_SI_EEEEZNS1_13binary_searchIS3_S5_NSA_INS8_10device_ptrIiEEEESK_SM_NS1_21lower_bound_search_opENS9_16wrapped_functionINS8_6system6detail7generic6detail18binary_search_lessEbEEEE10hipError_tPvRmT1_T2_T3_mmT4_T5_P12ihipStream_tbEUlRKiE_EESZ_S13_S14_mS15_S18_bEUlT_E_NS1_11comp_targetILNS1_3genE2ELNS1_11target_archE906ELNS1_3gpuE6ELNS1_3repE0EEENS1_30default_config_static_selectorELNS0_4arch9wavefront6targetE0EEEvS12_
    .private_segment_fixed_size: 0
    .sgpr_count:     0
    .sgpr_spill_count: 0
    .symbol:         _ZN7rocprim17ROCPRIM_400000_NS6detail17trampoline_kernelINS0_14default_configENS1_27lower_bound_config_selectorIilEEZNS1_14transform_implILb0ES3_S5_N6thrust23THRUST_200600_302600_NS6detail15normal_iteratorINS8_7pointerIiNS9_22execute_with_allocatorINS8_16device_allocatorIcEENS8_11hip_rocprim22execute_on_stream_baseEEENS8_11use_defaultESI_EEEENSA_INSB_IlSH_SI_SI_EEEEZNS1_13binary_searchIS3_S5_NSA_INS8_10device_ptrIiEEEESK_SM_NS1_21lower_bound_search_opENS9_16wrapped_functionINS8_6system6detail7generic6detail18binary_search_lessEbEEEE10hipError_tPvRmT1_T2_T3_mmT4_T5_P12ihipStream_tbEUlRKiE_EESZ_S13_S14_mS15_S18_bEUlT_E_NS1_11comp_targetILNS1_3genE2ELNS1_11target_archE906ELNS1_3gpuE6ELNS1_3repE0EEENS1_30default_config_static_selectorELNS0_4arch9wavefront6targetE0EEEvS12_.kd
    .uniform_work_group_size: 1
    .uses_dynamic_stack: false
    .vgpr_count:     0
    .vgpr_spill_count: 0
    .wavefront_size: 32
    .workgroup_processor_mode: 1
  - .args:
      - .offset:         0
        .size:           56
        .value_kind:     by_value
    .group_segment_fixed_size: 0
    .kernarg_segment_align: 8
    .kernarg_segment_size: 56
    .language:       OpenCL C
    .language_version:
      - 2
      - 0
    .max_flat_workgroup_size: 128
    .name:           _ZN7rocprim17ROCPRIM_400000_NS6detail17trampoline_kernelINS0_14default_configENS1_27lower_bound_config_selectorIilEEZNS1_14transform_implILb0ES3_S5_N6thrust23THRUST_200600_302600_NS6detail15normal_iteratorINS8_7pointerIiNS9_22execute_with_allocatorINS8_16device_allocatorIcEENS8_11hip_rocprim22execute_on_stream_baseEEENS8_11use_defaultESI_EEEENSA_INSB_IlSH_SI_SI_EEEEZNS1_13binary_searchIS3_S5_NSA_INS8_10device_ptrIiEEEESK_SM_NS1_21lower_bound_search_opENS9_16wrapped_functionINS8_6system6detail7generic6detail18binary_search_lessEbEEEE10hipError_tPvRmT1_T2_T3_mmT4_T5_P12ihipStream_tbEUlRKiE_EESZ_S13_S14_mS15_S18_bEUlT_E_NS1_11comp_targetILNS1_3genE10ELNS1_11target_archE1201ELNS1_3gpuE5ELNS1_3repE0EEENS1_30default_config_static_selectorELNS0_4arch9wavefront6targetE0EEEvS12_
    .private_segment_fixed_size: 0
    .sgpr_count:     0
    .sgpr_spill_count: 0
    .symbol:         _ZN7rocprim17ROCPRIM_400000_NS6detail17trampoline_kernelINS0_14default_configENS1_27lower_bound_config_selectorIilEEZNS1_14transform_implILb0ES3_S5_N6thrust23THRUST_200600_302600_NS6detail15normal_iteratorINS8_7pointerIiNS9_22execute_with_allocatorINS8_16device_allocatorIcEENS8_11hip_rocprim22execute_on_stream_baseEEENS8_11use_defaultESI_EEEENSA_INSB_IlSH_SI_SI_EEEEZNS1_13binary_searchIS3_S5_NSA_INS8_10device_ptrIiEEEESK_SM_NS1_21lower_bound_search_opENS9_16wrapped_functionINS8_6system6detail7generic6detail18binary_search_lessEbEEEE10hipError_tPvRmT1_T2_T3_mmT4_T5_P12ihipStream_tbEUlRKiE_EESZ_S13_S14_mS15_S18_bEUlT_E_NS1_11comp_targetILNS1_3genE10ELNS1_11target_archE1201ELNS1_3gpuE5ELNS1_3repE0EEENS1_30default_config_static_selectorELNS0_4arch9wavefront6targetE0EEEvS12_.kd
    .uniform_work_group_size: 1
    .uses_dynamic_stack: false
    .vgpr_count:     0
    .vgpr_spill_count: 0
    .wavefront_size: 32
    .workgroup_processor_mode: 1
  - .args:
      - .offset:         0
        .size:           56
        .value_kind:     by_value
    .group_segment_fixed_size: 0
    .kernarg_segment_align: 8
    .kernarg_segment_size: 56
    .language:       OpenCL C
    .language_version:
      - 2
      - 0
    .max_flat_workgroup_size: 128
    .name:           _ZN7rocprim17ROCPRIM_400000_NS6detail17trampoline_kernelINS0_14default_configENS1_27lower_bound_config_selectorIilEEZNS1_14transform_implILb0ES3_S5_N6thrust23THRUST_200600_302600_NS6detail15normal_iteratorINS8_7pointerIiNS9_22execute_with_allocatorINS8_16device_allocatorIcEENS8_11hip_rocprim22execute_on_stream_baseEEENS8_11use_defaultESI_EEEENSA_INSB_IlSH_SI_SI_EEEEZNS1_13binary_searchIS3_S5_NSA_INS8_10device_ptrIiEEEESK_SM_NS1_21lower_bound_search_opENS9_16wrapped_functionINS8_6system6detail7generic6detail18binary_search_lessEbEEEE10hipError_tPvRmT1_T2_T3_mmT4_T5_P12ihipStream_tbEUlRKiE_EESZ_S13_S14_mS15_S18_bEUlT_E_NS1_11comp_targetILNS1_3genE10ELNS1_11target_archE1200ELNS1_3gpuE4ELNS1_3repE0EEENS1_30default_config_static_selectorELNS0_4arch9wavefront6targetE0EEEvS12_
    .private_segment_fixed_size: 0
    .sgpr_count:     0
    .sgpr_spill_count: 0
    .symbol:         _ZN7rocprim17ROCPRIM_400000_NS6detail17trampoline_kernelINS0_14default_configENS1_27lower_bound_config_selectorIilEEZNS1_14transform_implILb0ES3_S5_N6thrust23THRUST_200600_302600_NS6detail15normal_iteratorINS8_7pointerIiNS9_22execute_with_allocatorINS8_16device_allocatorIcEENS8_11hip_rocprim22execute_on_stream_baseEEENS8_11use_defaultESI_EEEENSA_INSB_IlSH_SI_SI_EEEEZNS1_13binary_searchIS3_S5_NSA_INS8_10device_ptrIiEEEESK_SM_NS1_21lower_bound_search_opENS9_16wrapped_functionINS8_6system6detail7generic6detail18binary_search_lessEbEEEE10hipError_tPvRmT1_T2_T3_mmT4_T5_P12ihipStream_tbEUlRKiE_EESZ_S13_S14_mS15_S18_bEUlT_E_NS1_11comp_targetILNS1_3genE10ELNS1_11target_archE1200ELNS1_3gpuE4ELNS1_3repE0EEENS1_30default_config_static_selectorELNS0_4arch9wavefront6targetE0EEEvS12_.kd
    .uniform_work_group_size: 1
    .uses_dynamic_stack: false
    .vgpr_count:     0
    .vgpr_spill_count: 0
    .wavefront_size: 32
    .workgroup_processor_mode: 1
  - .args:
      - .offset:         0
        .size:           56
        .value_kind:     by_value
    .group_segment_fixed_size: 0
    .kernarg_segment_align: 8
    .kernarg_segment_size: 56
    .language:       OpenCL C
    .language_version:
      - 2
      - 0
    .max_flat_workgroup_size: 256
    .name:           _ZN7rocprim17ROCPRIM_400000_NS6detail17trampoline_kernelINS0_14default_configENS1_27lower_bound_config_selectorIilEEZNS1_14transform_implILb0ES3_S5_N6thrust23THRUST_200600_302600_NS6detail15normal_iteratorINS8_7pointerIiNS9_22execute_with_allocatorINS8_16device_allocatorIcEENS8_11hip_rocprim22execute_on_stream_baseEEENS8_11use_defaultESI_EEEENSA_INSB_IlSH_SI_SI_EEEEZNS1_13binary_searchIS3_S5_NSA_INS8_10device_ptrIiEEEESK_SM_NS1_21lower_bound_search_opENS9_16wrapped_functionINS8_6system6detail7generic6detail18binary_search_lessEbEEEE10hipError_tPvRmT1_T2_T3_mmT4_T5_P12ihipStream_tbEUlRKiE_EESZ_S13_S14_mS15_S18_bEUlT_E_NS1_11comp_targetILNS1_3genE9ELNS1_11target_archE1100ELNS1_3gpuE3ELNS1_3repE0EEENS1_30default_config_static_selectorELNS0_4arch9wavefront6targetE0EEEvS12_
    .private_segment_fixed_size: 0
    .sgpr_count:     0
    .sgpr_spill_count: 0
    .symbol:         _ZN7rocprim17ROCPRIM_400000_NS6detail17trampoline_kernelINS0_14default_configENS1_27lower_bound_config_selectorIilEEZNS1_14transform_implILb0ES3_S5_N6thrust23THRUST_200600_302600_NS6detail15normal_iteratorINS8_7pointerIiNS9_22execute_with_allocatorINS8_16device_allocatorIcEENS8_11hip_rocprim22execute_on_stream_baseEEENS8_11use_defaultESI_EEEENSA_INSB_IlSH_SI_SI_EEEEZNS1_13binary_searchIS3_S5_NSA_INS8_10device_ptrIiEEEESK_SM_NS1_21lower_bound_search_opENS9_16wrapped_functionINS8_6system6detail7generic6detail18binary_search_lessEbEEEE10hipError_tPvRmT1_T2_T3_mmT4_T5_P12ihipStream_tbEUlRKiE_EESZ_S13_S14_mS15_S18_bEUlT_E_NS1_11comp_targetILNS1_3genE9ELNS1_11target_archE1100ELNS1_3gpuE3ELNS1_3repE0EEENS1_30default_config_static_selectorELNS0_4arch9wavefront6targetE0EEEvS12_.kd
    .uniform_work_group_size: 1
    .uses_dynamic_stack: false
    .vgpr_count:     0
    .vgpr_spill_count: 0
    .wavefront_size: 32
    .workgroup_processor_mode: 1
  - .args:
      - .offset:         0
        .size:           56
        .value_kind:     by_value
      - .offset:         56
        .size:           4
        .value_kind:     hidden_block_count_x
      - .offset:         60
        .size:           4
        .value_kind:     hidden_block_count_y
      - .offset:         64
        .size:           4
        .value_kind:     hidden_block_count_z
      - .offset:         68
        .size:           2
        .value_kind:     hidden_group_size_x
      - .offset:         70
        .size:           2
        .value_kind:     hidden_group_size_y
      - .offset:         72
        .size:           2
        .value_kind:     hidden_group_size_z
      - .offset:         74
        .size:           2
        .value_kind:     hidden_remainder_x
      - .offset:         76
        .size:           2
        .value_kind:     hidden_remainder_y
      - .offset:         78
        .size:           2
        .value_kind:     hidden_remainder_z
      - .offset:         96
        .size:           8
        .value_kind:     hidden_global_offset_x
      - .offset:         104
        .size:           8
        .value_kind:     hidden_global_offset_y
      - .offset:         112
        .size:           8
        .value_kind:     hidden_global_offset_z
      - .offset:         120
        .size:           2
        .value_kind:     hidden_grid_dims
    .group_segment_fixed_size: 0
    .kernarg_segment_align: 8
    .kernarg_segment_size: 312
    .language:       OpenCL C
    .language_version:
      - 2
      - 0
    .max_flat_workgroup_size: 256
    .name:           _ZN7rocprim17ROCPRIM_400000_NS6detail17trampoline_kernelINS0_14default_configENS1_27lower_bound_config_selectorIilEEZNS1_14transform_implILb0ES3_S5_N6thrust23THRUST_200600_302600_NS6detail15normal_iteratorINS8_7pointerIiNS9_22execute_with_allocatorINS8_16device_allocatorIcEENS8_11hip_rocprim22execute_on_stream_baseEEENS8_11use_defaultESI_EEEENSA_INSB_IlSH_SI_SI_EEEEZNS1_13binary_searchIS3_S5_NSA_INS8_10device_ptrIiEEEESK_SM_NS1_21lower_bound_search_opENS9_16wrapped_functionINS8_6system6detail7generic6detail18binary_search_lessEbEEEE10hipError_tPvRmT1_T2_T3_mmT4_T5_P12ihipStream_tbEUlRKiE_EESZ_S13_S14_mS15_S18_bEUlT_E_NS1_11comp_targetILNS1_3genE8ELNS1_11target_archE1030ELNS1_3gpuE2ELNS1_3repE0EEENS1_30default_config_static_selectorELNS0_4arch9wavefront6targetE0EEEvS12_
    .private_segment_fixed_size: 0
    .sgpr_count:     19
    .sgpr_spill_count: 0
    .symbol:         _ZN7rocprim17ROCPRIM_400000_NS6detail17trampoline_kernelINS0_14default_configENS1_27lower_bound_config_selectorIilEEZNS1_14transform_implILb0ES3_S5_N6thrust23THRUST_200600_302600_NS6detail15normal_iteratorINS8_7pointerIiNS9_22execute_with_allocatorINS8_16device_allocatorIcEENS8_11hip_rocprim22execute_on_stream_baseEEENS8_11use_defaultESI_EEEENSA_INSB_IlSH_SI_SI_EEEEZNS1_13binary_searchIS3_S5_NSA_INS8_10device_ptrIiEEEESK_SM_NS1_21lower_bound_search_opENS9_16wrapped_functionINS8_6system6detail7generic6detail18binary_search_lessEbEEEE10hipError_tPvRmT1_T2_T3_mmT4_T5_P12ihipStream_tbEUlRKiE_EESZ_S13_S14_mS15_S18_bEUlT_E_NS1_11comp_targetILNS1_3genE8ELNS1_11target_archE1030ELNS1_3gpuE2ELNS1_3repE0EEENS1_30default_config_static_selectorELNS0_4arch9wavefront6targetE0EEEvS12_.kd
    .uniform_work_group_size: 1
    .uses_dynamic_stack: false
    .vgpr_count:     11
    .vgpr_spill_count: 0
    .wavefront_size: 32
    .workgroup_processor_mode: 1
  - .args:
      - .offset:         0
        .size:           56
        .value_kind:     by_value
    .group_segment_fixed_size: 0
    .kernarg_segment_align: 8
    .kernarg_segment_size: 56
    .language:       OpenCL C
    .language_version:
      - 2
      - 0
    .max_flat_workgroup_size: 256
    .name:           _ZN7rocprim17ROCPRIM_400000_NS6detail17trampoline_kernelINS0_14default_configENS1_27upper_bound_config_selectorIilEEZNS1_14transform_implILb0ES3_S5_N6thrust23THRUST_200600_302600_NS6detail15normal_iteratorINS8_7pointerIiNS9_22execute_with_allocatorINS8_16device_allocatorIcEENS8_11hip_rocprim22execute_on_stream_baseEEENS8_11use_defaultESI_EEEENSA_INSB_IlSH_SI_SI_EEEEZNS1_13binary_searchIS3_S5_NSA_INS8_10device_ptrIiEEEESK_SM_NS1_21upper_bound_search_opENS9_16wrapped_functionINS8_6system6detail7generic6detail18binary_search_lessEbEEEE10hipError_tPvRmT1_T2_T3_mmT4_T5_P12ihipStream_tbEUlRKiE_EESZ_S13_S14_mS15_S18_bEUlT_E_NS1_11comp_targetILNS1_3genE0ELNS1_11target_archE4294967295ELNS1_3gpuE0ELNS1_3repE0EEENS1_30default_config_static_selectorELNS0_4arch9wavefront6targetE0EEEvS12_
    .private_segment_fixed_size: 0
    .sgpr_count:     0
    .sgpr_spill_count: 0
    .symbol:         _ZN7rocprim17ROCPRIM_400000_NS6detail17trampoline_kernelINS0_14default_configENS1_27upper_bound_config_selectorIilEEZNS1_14transform_implILb0ES3_S5_N6thrust23THRUST_200600_302600_NS6detail15normal_iteratorINS8_7pointerIiNS9_22execute_with_allocatorINS8_16device_allocatorIcEENS8_11hip_rocprim22execute_on_stream_baseEEENS8_11use_defaultESI_EEEENSA_INSB_IlSH_SI_SI_EEEEZNS1_13binary_searchIS3_S5_NSA_INS8_10device_ptrIiEEEESK_SM_NS1_21upper_bound_search_opENS9_16wrapped_functionINS8_6system6detail7generic6detail18binary_search_lessEbEEEE10hipError_tPvRmT1_T2_T3_mmT4_T5_P12ihipStream_tbEUlRKiE_EESZ_S13_S14_mS15_S18_bEUlT_E_NS1_11comp_targetILNS1_3genE0ELNS1_11target_archE4294967295ELNS1_3gpuE0ELNS1_3repE0EEENS1_30default_config_static_selectorELNS0_4arch9wavefront6targetE0EEEvS12_.kd
    .uniform_work_group_size: 1
    .uses_dynamic_stack: false
    .vgpr_count:     0
    .vgpr_spill_count: 0
    .wavefront_size: 32
    .workgroup_processor_mode: 1
  - .args:
      - .offset:         0
        .size:           56
        .value_kind:     by_value
    .group_segment_fixed_size: 0
    .kernarg_segment_align: 8
    .kernarg_segment_size: 56
    .language:       OpenCL C
    .language_version:
      - 2
      - 0
    .max_flat_workgroup_size: 256
    .name:           _ZN7rocprim17ROCPRIM_400000_NS6detail17trampoline_kernelINS0_14default_configENS1_27upper_bound_config_selectorIilEEZNS1_14transform_implILb0ES3_S5_N6thrust23THRUST_200600_302600_NS6detail15normal_iteratorINS8_7pointerIiNS9_22execute_with_allocatorINS8_16device_allocatorIcEENS8_11hip_rocprim22execute_on_stream_baseEEENS8_11use_defaultESI_EEEENSA_INSB_IlSH_SI_SI_EEEEZNS1_13binary_searchIS3_S5_NSA_INS8_10device_ptrIiEEEESK_SM_NS1_21upper_bound_search_opENS9_16wrapped_functionINS8_6system6detail7generic6detail18binary_search_lessEbEEEE10hipError_tPvRmT1_T2_T3_mmT4_T5_P12ihipStream_tbEUlRKiE_EESZ_S13_S14_mS15_S18_bEUlT_E_NS1_11comp_targetILNS1_3genE5ELNS1_11target_archE942ELNS1_3gpuE9ELNS1_3repE0EEENS1_30default_config_static_selectorELNS0_4arch9wavefront6targetE0EEEvS12_
    .private_segment_fixed_size: 0
    .sgpr_count:     0
    .sgpr_spill_count: 0
    .symbol:         _ZN7rocprim17ROCPRIM_400000_NS6detail17trampoline_kernelINS0_14default_configENS1_27upper_bound_config_selectorIilEEZNS1_14transform_implILb0ES3_S5_N6thrust23THRUST_200600_302600_NS6detail15normal_iteratorINS8_7pointerIiNS9_22execute_with_allocatorINS8_16device_allocatorIcEENS8_11hip_rocprim22execute_on_stream_baseEEENS8_11use_defaultESI_EEEENSA_INSB_IlSH_SI_SI_EEEEZNS1_13binary_searchIS3_S5_NSA_INS8_10device_ptrIiEEEESK_SM_NS1_21upper_bound_search_opENS9_16wrapped_functionINS8_6system6detail7generic6detail18binary_search_lessEbEEEE10hipError_tPvRmT1_T2_T3_mmT4_T5_P12ihipStream_tbEUlRKiE_EESZ_S13_S14_mS15_S18_bEUlT_E_NS1_11comp_targetILNS1_3genE5ELNS1_11target_archE942ELNS1_3gpuE9ELNS1_3repE0EEENS1_30default_config_static_selectorELNS0_4arch9wavefront6targetE0EEEvS12_.kd
    .uniform_work_group_size: 1
    .uses_dynamic_stack: false
    .vgpr_count:     0
    .vgpr_spill_count: 0
    .wavefront_size: 32
    .workgroup_processor_mode: 1
  - .args:
      - .offset:         0
        .size:           56
        .value_kind:     by_value
    .group_segment_fixed_size: 0
    .kernarg_segment_align: 8
    .kernarg_segment_size: 56
    .language:       OpenCL C
    .language_version:
      - 2
      - 0
    .max_flat_workgroup_size: 256
    .name:           _ZN7rocprim17ROCPRIM_400000_NS6detail17trampoline_kernelINS0_14default_configENS1_27upper_bound_config_selectorIilEEZNS1_14transform_implILb0ES3_S5_N6thrust23THRUST_200600_302600_NS6detail15normal_iteratorINS8_7pointerIiNS9_22execute_with_allocatorINS8_16device_allocatorIcEENS8_11hip_rocprim22execute_on_stream_baseEEENS8_11use_defaultESI_EEEENSA_INSB_IlSH_SI_SI_EEEEZNS1_13binary_searchIS3_S5_NSA_INS8_10device_ptrIiEEEESK_SM_NS1_21upper_bound_search_opENS9_16wrapped_functionINS8_6system6detail7generic6detail18binary_search_lessEbEEEE10hipError_tPvRmT1_T2_T3_mmT4_T5_P12ihipStream_tbEUlRKiE_EESZ_S13_S14_mS15_S18_bEUlT_E_NS1_11comp_targetILNS1_3genE4ELNS1_11target_archE910ELNS1_3gpuE8ELNS1_3repE0EEENS1_30default_config_static_selectorELNS0_4arch9wavefront6targetE0EEEvS12_
    .private_segment_fixed_size: 0
    .sgpr_count:     0
    .sgpr_spill_count: 0
    .symbol:         _ZN7rocprim17ROCPRIM_400000_NS6detail17trampoline_kernelINS0_14default_configENS1_27upper_bound_config_selectorIilEEZNS1_14transform_implILb0ES3_S5_N6thrust23THRUST_200600_302600_NS6detail15normal_iteratorINS8_7pointerIiNS9_22execute_with_allocatorINS8_16device_allocatorIcEENS8_11hip_rocprim22execute_on_stream_baseEEENS8_11use_defaultESI_EEEENSA_INSB_IlSH_SI_SI_EEEEZNS1_13binary_searchIS3_S5_NSA_INS8_10device_ptrIiEEEESK_SM_NS1_21upper_bound_search_opENS9_16wrapped_functionINS8_6system6detail7generic6detail18binary_search_lessEbEEEE10hipError_tPvRmT1_T2_T3_mmT4_T5_P12ihipStream_tbEUlRKiE_EESZ_S13_S14_mS15_S18_bEUlT_E_NS1_11comp_targetILNS1_3genE4ELNS1_11target_archE910ELNS1_3gpuE8ELNS1_3repE0EEENS1_30default_config_static_selectorELNS0_4arch9wavefront6targetE0EEEvS12_.kd
    .uniform_work_group_size: 1
    .uses_dynamic_stack: false
    .vgpr_count:     0
    .vgpr_spill_count: 0
    .wavefront_size: 32
    .workgroup_processor_mode: 1
  - .args:
      - .offset:         0
        .size:           56
        .value_kind:     by_value
    .group_segment_fixed_size: 0
    .kernarg_segment_align: 8
    .kernarg_segment_size: 56
    .language:       OpenCL C
    .language_version:
      - 2
      - 0
    .max_flat_workgroup_size: 256
    .name:           _ZN7rocprim17ROCPRIM_400000_NS6detail17trampoline_kernelINS0_14default_configENS1_27upper_bound_config_selectorIilEEZNS1_14transform_implILb0ES3_S5_N6thrust23THRUST_200600_302600_NS6detail15normal_iteratorINS8_7pointerIiNS9_22execute_with_allocatorINS8_16device_allocatorIcEENS8_11hip_rocprim22execute_on_stream_baseEEENS8_11use_defaultESI_EEEENSA_INSB_IlSH_SI_SI_EEEEZNS1_13binary_searchIS3_S5_NSA_INS8_10device_ptrIiEEEESK_SM_NS1_21upper_bound_search_opENS9_16wrapped_functionINS8_6system6detail7generic6detail18binary_search_lessEbEEEE10hipError_tPvRmT1_T2_T3_mmT4_T5_P12ihipStream_tbEUlRKiE_EESZ_S13_S14_mS15_S18_bEUlT_E_NS1_11comp_targetILNS1_3genE3ELNS1_11target_archE908ELNS1_3gpuE7ELNS1_3repE0EEENS1_30default_config_static_selectorELNS0_4arch9wavefront6targetE0EEEvS12_
    .private_segment_fixed_size: 0
    .sgpr_count:     0
    .sgpr_spill_count: 0
    .symbol:         _ZN7rocprim17ROCPRIM_400000_NS6detail17trampoline_kernelINS0_14default_configENS1_27upper_bound_config_selectorIilEEZNS1_14transform_implILb0ES3_S5_N6thrust23THRUST_200600_302600_NS6detail15normal_iteratorINS8_7pointerIiNS9_22execute_with_allocatorINS8_16device_allocatorIcEENS8_11hip_rocprim22execute_on_stream_baseEEENS8_11use_defaultESI_EEEENSA_INSB_IlSH_SI_SI_EEEEZNS1_13binary_searchIS3_S5_NSA_INS8_10device_ptrIiEEEESK_SM_NS1_21upper_bound_search_opENS9_16wrapped_functionINS8_6system6detail7generic6detail18binary_search_lessEbEEEE10hipError_tPvRmT1_T2_T3_mmT4_T5_P12ihipStream_tbEUlRKiE_EESZ_S13_S14_mS15_S18_bEUlT_E_NS1_11comp_targetILNS1_3genE3ELNS1_11target_archE908ELNS1_3gpuE7ELNS1_3repE0EEENS1_30default_config_static_selectorELNS0_4arch9wavefront6targetE0EEEvS12_.kd
    .uniform_work_group_size: 1
    .uses_dynamic_stack: false
    .vgpr_count:     0
    .vgpr_spill_count: 0
    .wavefront_size: 32
    .workgroup_processor_mode: 1
  - .args:
      - .offset:         0
        .size:           56
        .value_kind:     by_value
    .group_segment_fixed_size: 0
    .kernarg_segment_align: 8
    .kernarg_segment_size: 56
    .language:       OpenCL C
    .language_version:
      - 2
      - 0
    .max_flat_workgroup_size: 256
    .name:           _ZN7rocprim17ROCPRIM_400000_NS6detail17trampoline_kernelINS0_14default_configENS1_27upper_bound_config_selectorIilEEZNS1_14transform_implILb0ES3_S5_N6thrust23THRUST_200600_302600_NS6detail15normal_iteratorINS8_7pointerIiNS9_22execute_with_allocatorINS8_16device_allocatorIcEENS8_11hip_rocprim22execute_on_stream_baseEEENS8_11use_defaultESI_EEEENSA_INSB_IlSH_SI_SI_EEEEZNS1_13binary_searchIS3_S5_NSA_INS8_10device_ptrIiEEEESK_SM_NS1_21upper_bound_search_opENS9_16wrapped_functionINS8_6system6detail7generic6detail18binary_search_lessEbEEEE10hipError_tPvRmT1_T2_T3_mmT4_T5_P12ihipStream_tbEUlRKiE_EESZ_S13_S14_mS15_S18_bEUlT_E_NS1_11comp_targetILNS1_3genE2ELNS1_11target_archE906ELNS1_3gpuE6ELNS1_3repE0EEENS1_30default_config_static_selectorELNS0_4arch9wavefront6targetE0EEEvS12_
    .private_segment_fixed_size: 0
    .sgpr_count:     0
    .sgpr_spill_count: 0
    .symbol:         _ZN7rocprim17ROCPRIM_400000_NS6detail17trampoline_kernelINS0_14default_configENS1_27upper_bound_config_selectorIilEEZNS1_14transform_implILb0ES3_S5_N6thrust23THRUST_200600_302600_NS6detail15normal_iteratorINS8_7pointerIiNS9_22execute_with_allocatorINS8_16device_allocatorIcEENS8_11hip_rocprim22execute_on_stream_baseEEENS8_11use_defaultESI_EEEENSA_INSB_IlSH_SI_SI_EEEEZNS1_13binary_searchIS3_S5_NSA_INS8_10device_ptrIiEEEESK_SM_NS1_21upper_bound_search_opENS9_16wrapped_functionINS8_6system6detail7generic6detail18binary_search_lessEbEEEE10hipError_tPvRmT1_T2_T3_mmT4_T5_P12ihipStream_tbEUlRKiE_EESZ_S13_S14_mS15_S18_bEUlT_E_NS1_11comp_targetILNS1_3genE2ELNS1_11target_archE906ELNS1_3gpuE6ELNS1_3repE0EEENS1_30default_config_static_selectorELNS0_4arch9wavefront6targetE0EEEvS12_.kd
    .uniform_work_group_size: 1
    .uses_dynamic_stack: false
    .vgpr_count:     0
    .vgpr_spill_count: 0
    .wavefront_size: 32
    .workgroup_processor_mode: 1
  - .args:
      - .offset:         0
        .size:           56
        .value_kind:     by_value
    .group_segment_fixed_size: 0
    .kernarg_segment_align: 8
    .kernarg_segment_size: 56
    .language:       OpenCL C
    .language_version:
      - 2
      - 0
    .max_flat_workgroup_size: 128
    .name:           _ZN7rocprim17ROCPRIM_400000_NS6detail17trampoline_kernelINS0_14default_configENS1_27upper_bound_config_selectorIilEEZNS1_14transform_implILb0ES3_S5_N6thrust23THRUST_200600_302600_NS6detail15normal_iteratorINS8_7pointerIiNS9_22execute_with_allocatorINS8_16device_allocatorIcEENS8_11hip_rocprim22execute_on_stream_baseEEENS8_11use_defaultESI_EEEENSA_INSB_IlSH_SI_SI_EEEEZNS1_13binary_searchIS3_S5_NSA_INS8_10device_ptrIiEEEESK_SM_NS1_21upper_bound_search_opENS9_16wrapped_functionINS8_6system6detail7generic6detail18binary_search_lessEbEEEE10hipError_tPvRmT1_T2_T3_mmT4_T5_P12ihipStream_tbEUlRKiE_EESZ_S13_S14_mS15_S18_bEUlT_E_NS1_11comp_targetILNS1_3genE10ELNS1_11target_archE1201ELNS1_3gpuE5ELNS1_3repE0EEENS1_30default_config_static_selectorELNS0_4arch9wavefront6targetE0EEEvS12_
    .private_segment_fixed_size: 0
    .sgpr_count:     0
    .sgpr_spill_count: 0
    .symbol:         _ZN7rocprim17ROCPRIM_400000_NS6detail17trampoline_kernelINS0_14default_configENS1_27upper_bound_config_selectorIilEEZNS1_14transform_implILb0ES3_S5_N6thrust23THRUST_200600_302600_NS6detail15normal_iteratorINS8_7pointerIiNS9_22execute_with_allocatorINS8_16device_allocatorIcEENS8_11hip_rocprim22execute_on_stream_baseEEENS8_11use_defaultESI_EEEENSA_INSB_IlSH_SI_SI_EEEEZNS1_13binary_searchIS3_S5_NSA_INS8_10device_ptrIiEEEESK_SM_NS1_21upper_bound_search_opENS9_16wrapped_functionINS8_6system6detail7generic6detail18binary_search_lessEbEEEE10hipError_tPvRmT1_T2_T3_mmT4_T5_P12ihipStream_tbEUlRKiE_EESZ_S13_S14_mS15_S18_bEUlT_E_NS1_11comp_targetILNS1_3genE10ELNS1_11target_archE1201ELNS1_3gpuE5ELNS1_3repE0EEENS1_30default_config_static_selectorELNS0_4arch9wavefront6targetE0EEEvS12_.kd
    .uniform_work_group_size: 1
    .uses_dynamic_stack: false
    .vgpr_count:     0
    .vgpr_spill_count: 0
    .wavefront_size: 32
    .workgroup_processor_mode: 1
  - .args:
      - .offset:         0
        .size:           56
        .value_kind:     by_value
    .group_segment_fixed_size: 0
    .kernarg_segment_align: 8
    .kernarg_segment_size: 56
    .language:       OpenCL C
    .language_version:
      - 2
      - 0
    .max_flat_workgroup_size: 128
    .name:           _ZN7rocprim17ROCPRIM_400000_NS6detail17trampoline_kernelINS0_14default_configENS1_27upper_bound_config_selectorIilEEZNS1_14transform_implILb0ES3_S5_N6thrust23THRUST_200600_302600_NS6detail15normal_iteratorINS8_7pointerIiNS9_22execute_with_allocatorINS8_16device_allocatorIcEENS8_11hip_rocprim22execute_on_stream_baseEEENS8_11use_defaultESI_EEEENSA_INSB_IlSH_SI_SI_EEEEZNS1_13binary_searchIS3_S5_NSA_INS8_10device_ptrIiEEEESK_SM_NS1_21upper_bound_search_opENS9_16wrapped_functionINS8_6system6detail7generic6detail18binary_search_lessEbEEEE10hipError_tPvRmT1_T2_T3_mmT4_T5_P12ihipStream_tbEUlRKiE_EESZ_S13_S14_mS15_S18_bEUlT_E_NS1_11comp_targetILNS1_3genE10ELNS1_11target_archE1200ELNS1_3gpuE4ELNS1_3repE0EEENS1_30default_config_static_selectorELNS0_4arch9wavefront6targetE0EEEvS12_
    .private_segment_fixed_size: 0
    .sgpr_count:     0
    .sgpr_spill_count: 0
    .symbol:         _ZN7rocprim17ROCPRIM_400000_NS6detail17trampoline_kernelINS0_14default_configENS1_27upper_bound_config_selectorIilEEZNS1_14transform_implILb0ES3_S5_N6thrust23THRUST_200600_302600_NS6detail15normal_iteratorINS8_7pointerIiNS9_22execute_with_allocatorINS8_16device_allocatorIcEENS8_11hip_rocprim22execute_on_stream_baseEEENS8_11use_defaultESI_EEEENSA_INSB_IlSH_SI_SI_EEEEZNS1_13binary_searchIS3_S5_NSA_INS8_10device_ptrIiEEEESK_SM_NS1_21upper_bound_search_opENS9_16wrapped_functionINS8_6system6detail7generic6detail18binary_search_lessEbEEEE10hipError_tPvRmT1_T2_T3_mmT4_T5_P12ihipStream_tbEUlRKiE_EESZ_S13_S14_mS15_S18_bEUlT_E_NS1_11comp_targetILNS1_3genE10ELNS1_11target_archE1200ELNS1_3gpuE4ELNS1_3repE0EEENS1_30default_config_static_selectorELNS0_4arch9wavefront6targetE0EEEvS12_.kd
    .uniform_work_group_size: 1
    .uses_dynamic_stack: false
    .vgpr_count:     0
    .vgpr_spill_count: 0
    .wavefront_size: 32
    .workgroup_processor_mode: 1
  - .args:
      - .offset:         0
        .size:           56
        .value_kind:     by_value
    .group_segment_fixed_size: 0
    .kernarg_segment_align: 8
    .kernarg_segment_size: 56
    .language:       OpenCL C
    .language_version:
      - 2
      - 0
    .max_flat_workgroup_size: 256
    .name:           _ZN7rocprim17ROCPRIM_400000_NS6detail17trampoline_kernelINS0_14default_configENS1_27upper_bound_config_selectorIilEEZNS1_14transform_implILb0ES3_S5_N6thrust23THRUST_200600_302600_NS6detail15normal_iteratorINS8_7pointerIiNS9_22execute_with_allocatorINS8_16device_allocatorIcEENS8_11hip_rocprim22execute_on_stream_baseEEENS8_11use_defaultESI_EEEENSA_INSB_IlSH_SI_SI_EEEEZNS1_13binary_searchIS3_S5_NSA_INS8_10device_ptrIiEEEESK_SM_NS1_21upper_bound_search_opENS9_16wrapped_functionINS8_6system6detail7generic6detail18binary_search_lessEbEEEE10hipError_tPvRmT1_T2_T3_mmT4_T5_P12ihipStream_tbEUlRKiE_EESZ_S13_S14_mS15_S18_bEUlT_E_NS1_11comp_targetILNS1_3genE9ELNS1_11target_archE1100ELNS1_3gpuE3ELNS1_3repE0EEENS1_30default_config_static_selectorELNS0_4arch9wavefront6targetE0EEEvS12_
    .private_segment_fixed_size: 0
    .sgpr_count:     0
    .sgpr_spill_count: 0
    .symbol:         _ZN7rocprim17ROCPRIM_400000_NS6detail17trampoline_kernelINS0_14default_configENS1_27upper_bound_config_selectorIilEEZNS1_14transform_implILb0ES3_S5_N6thrust23THRUST_200600_302600_NS6detail15normal_iteratorINS8_7pointerIiNS9_22execute_with_allocatorINS8_16device_allocatorIcEENS8_11hip_rocprim22execute_on_stream_baseEEENS8_11use_defaultESI_EEEENSA_INSB_IlSH_SI_SI_EEEEZNS1_13binary_searchIS3_S5_NSA_INS8_10device_ptrIiEEEESK_SM_NS1_21upper_bound_search_opENS9_16wrapped_functionINS8_6system6detail7generic6detail18binary_search_lessEbEEEE10hipError_tPvRmT1_T2_T3_mmT4_T5_P12ihipStream_tbEUlRKiE_EESZ_S13_S14_mS15_S18_bEUlT_E_NS1_11comp_targetILNS1_3genE9ELNS1_11target_archE1100ELNS1_3gpuE3ELNS1_3repE0EEENS1_30default_config_static_selectorELNS0_4arch9wavefront6targetE0EEEvS12_.kd
    .uniform_work_group_size: 1
    .uses_dynamic_stack: false
    .vgpr_count:     0
    .vgpr_spill_count: 0
    .wavefront_size: 32
    .workgroup_processor_mode: 1
  - .args:
      - .offset:         0
        .size:           56
        .value_kind:     by_value
      - .offset:         56
        .size:           4
        .value_kind:     hidden_block_count_x
      - .offset:         60
        .size:           4
        .value_kind:     hidden_block_count_y
      - .offset:         64
        .size:           4
        .value_kind:     hidden_block_count_z
      - .offset:         68
        .size:           2
        .value_kind:     hidden_group_size_x
      - .offset:         70
        .size:           2
        .value_kind:     hidden_group_size_y
      - .offset:         72
        .size:           2
        .value_kind:     hidden_group_size_z
      - .offset:         74
        .size:           2
        .value_kind:     hidden_remainder_x
      - .offset:         76
        .size:           2
        .value_kind:     hidden_remainder_y
      - .offset:         78
        .size:           2
        .value_kind:     hidden_remainder_z
      - .offset:         96
        .size:           8
        .value_kind:     hidden_global_offset_x
      - .offset:         104
        .size:           8
        .value_kind:     hidden_global_offset_y
      - .offset:         112
        .size:           8
        .value_kind:     hidden_global_offset_z
      - .offset:         120
        .size:           2
        .value_kind:     hidden_grid_dims
    .group_segment_fixed_size: 0
    .kernarg_segment_align: 8
    .kernarg_segment_size: 312
    .language:       OpenCL C
    .language_version:
      - 2
      - 0
    .max_flat_workgroup_size: 256
    .name:           _ZN7rocprim17ROCPRIM_400000_NS6detail17trampoline_kernelINS0_14default_configENS1_27upper_bound_config_selectorIilEEZNS1_14transform_implILb0ES3_S5_N6thrust23THRUST_200600_302600_NS6detail15normal_iteratorINS8_7pointerIiNS9_22execute_with_allocatorINS8_16device_allocatorIcEENS8_11hip_rocprim22execute_on_stream_baseEEENS8_11use_defaultESI_EEEENSA_INSB_IlSH_SI_SI_EEEEZNS1_13binary_searchIS3_S5_NSA_INS8_10device_ptrIiEEEESK_SM_NS1_21upper_bound_search_opENS9_16wrapped_functionINS8_6system6detail7generic6detail18binary_search_lessEbEEEE10hipError_tPvRmT1_T2_T3_mmT4_T5_P12ihipStream_tbEUlRKiE_EESZ_S13_S14_mS15_S18_bEUlT_E_NS1_11comp_targetILNS1_3genE8ELNS1_11target_archE1030ELNS1_3gpuE2ELNS1_3repE0EEENS1_30default_config_static_selectorELNS0_4arch9wavefront6targetE0EEEvS12_
    .private_segment_fixed_size: 0
    .sgpr_count:     19
    .sgpr_spill_count: 0
    .symbol:         _ZN7rocprim17ROCPRIM_400000_NS6detail17trampoline_kernelINS0_14default_configENS1_27upper_bound_config_selectorIilEEZNS1_14transform_implILb0ES3_S5_N6thrust23THRUST_200600_302600_NS6detail15normal_iteratorINS8_7pointerIiNS9_22execute_with_allocatorINS8_16device_allocatorIcEENS8_11hip_rocprim22execute_on_stream_baseEEENS8_11use_defaultESI_EEEENSA_INSB_IlSH_SI_SI_EEEEZNS1_13binary_searchIS3_S5_NSA_INS8_10device_ptrIiEEEESK_SM_NS1_21upper_bound_search_opENS9_16wrapped_functionINS8_6system6detail7generic6detail18binary_search_lessEbEEEE10hipError_tPvRmT1_T2_T3_mmT4_T5_P12ihipStream_tbEUlRKiE_EESZ_S13_S14_mS15_S18_bEUlT_E_NS1_11comp_targetILNS1_3genE8ELNS1_11target_archE1030ELNS1_3gpuE2ELNS1_3repE0EEENS1_30default_config_static_selectorELNS0_4arch9wavefront6targetE0EEEvS12_.kd
    .uniform_work_group_size: 1
    .uses_dynamic_stack: false
    .vgpr_count:     11
    .vgpr_spill_count: 0
    .wavefront_size: 32
    .workgroup_processor_mode: 1
  - .args:
      - .offset:         0
        .size:           56
        .value_kind:     by_value
    .group_segment_fixed_size: 0
    .kernarg_segment_align: 8
    .kernarg_segment_size: 56
    .language:       OpenCL C
    .language_version:
      - 2
      - 0
    .max_flat_workgroup_size: 256
    .name:           _ZN7rocprim17ROCPRIM_400000_NS6detail17trampoline_kernelINS0_14default_configENS1_29binary_search_config_selectorIiiEEZNS1_14transform_implILb0ES3_S5_N6thrust23THRUST_200600_302600_NS6detail15normal_iteratorINS8_7pointerIiNS8_11hip_rocprim5par_tENS8_11use_defaultESE_EEEESG_ZNS1_13binary_searchIS3_S5_NS8_10device_ptrIiEESG_SG_NS1_16binary_search_opENS9_16wrapped_functionINS8_6system6detail7generic6detail18binary_search_lessEbEEEE10hipError_tPvRmT1_T2_T3_mmT4_T5_P12ihipStream_tbEUlRKiE_EESS_SW_SX_mSY_S11_bEUlT_E_NS1_11comp_targetILNS1_3genE0ELNS1_11target_archE4294967295ELNS1_3gpuE0ELNS1_3repE0EEENS1_30default_config_static_selectorELNS0_4arch9wavefront6targetE0EEEvSV_
    .private_segment_fixed_size: 0
    .sgpr_count:     0
    .sgpr_spill_count: 0
    .symbol:         _ZN7rocprim17ROCPRIM_400000_NS6detail17trampoline_kernelINS0_14default_configENS1_29binary_search_config_selectorIiiEEZNS1_14transform_implILb0ES3_S5_N6thrust23THRUST_200600_302600_NS6detail15normal_iteratorINS8_7pointerIiNS8_11hip_rocprim5par_tENS8_11use_defaultESE_EEEESG_ZNS1_13binary_searchIS3_S5_NS8_10device_ptrIiEESG_SG_NS1_16binary_search_opENS9_16wrapped_functionINS8_6system6detail7generic6detail18binary_search_lessEbEEEE10hipError_tPvRmT1_T2_T3_mmT4_T5_P12ihipStream_tbEUlRKiE_EESS_SW_SX_mSY_S11_bEUlT_E_NS1_11comp_targetILNS1_3genE0ELNS1_11target_archE4294967295ELNS1_3gpuE0ELNS1_3repE0EEENS1_30default_config_static_selectorELNS0_4arch9wavefront6targetE0EEEvSV_.kd
    .uniform_work_group_size: 1
    .uses_dynamic_stack: false
    .vgpr_count:     0
    .vgpr_spill_count: 0
    .wavefront_size: 32
    .workgroup_processor_mode: 1
  - .args:
      - .offset:         0
        .size:           56
        .value_kind:     by_value
    .group_segment_fixed_size: 0
    .kernarg_segment_align: 8
    .kernarg_segment_size: 56
    .language:       OpenCL C
    .language_version:
      - 2
      - 0
    .max_flat_workgroup_size: 256
    .name:           _ZN7rocprim17ROCPRIM_400000_NS6detail17trampoline_kernelINS0_14default_configENS1_29binary_search_config_selectorIiiEEZNS1_14transform_implILb0ES3_S5_N6thrust23THRUST_200600_302600_NS6detail15normal_iteratorINS8_7pointerIiNS8_11hip_rocprim5par_tENS8_11use_defaultESE_EEEESG_ZNS1_13binary_searchIS3_S5_NS8_10device_ptrIiEESG_SG_NS1_16binary_search_opENS9_16wrapped_functionINS8_6system6detail7generic6detail18binary_search_lessEbEEEE10hipError_tPvRmT1_T2_T3_mmT4_T5_P12ihipStream_tbEUlRKiE_EESS_SW_SX_mSY_S11_bEUlT_E_NS1_11comp_targetILNS1_3genE5ELNS1_11target_archE942ELNS1_3gpuE9ELNS1_3repE0EEENS1_30default_config_static_selectorELNS0_4arch9wavefront6targetE0EEEvSV_
    .private_segment_fixed_size: 0
    .sgpr_count:     0
    .sgpr_spill_count: 0
    .symbol:         _ZN7rocprim17ROCPRIM_400000_NS6detail17trampoline_kernelINS0_14default_configENS1_29binary_search_config_selectorIiiEEZNS1_14transform_implILb0ES3_S5_N6thrust23THRUST_200600_302600_NS6detail15normal_iteratorINS8_7pointerIiNS8_11hip_rocprim5par_tENS8_11use_defaultESE_EEEESG_ZNS1_13binary_searchIS3_S5_NS8_10device_ptrIiEESG_SG_NS1_16binary_search_opENS9_16wrapped_functionINS8_6system6detail7generic6detail18binary_search_lessEbEEEE10hipError_tPvRmT1_T2_T3_mmT4_T5_P12ihipStream_tbEUlRKiE_EESS_SW_SX_mSY_S11_bEUlT_E_NS1_11comp_targetILNS1_3genE5ELNS1_11target_archE942ELNS1_3gpuE9ELNS1_3repE0EEENS1_30default_config_static_selectorELNS0_4arch9wavefront6targetE0EEEvSV_.kd
    .uniform_work_group_size: 1
    .uses_dynamic_stack: false
    .vgpr_count:     0
    .vgpr_spill_count: 0
    .wavefront_size: 32
    .workgroup_processor_mode: 1
  - .args:
      - .offset:         0
        .size:           56
        .value_kind:     by_value
    .group_segment_fixed_size: 0
    .kernarg_segment_align: 8
    .kernarg_segment_size: 56
    .language:       OpenCL C
    .language_version:
      - 2
      - 0
    .max_flat_workgroup_size: 256
    .name:           _ZN7rocprim17ROCPRIM_400000_NS6detail17trampoline_kernelINS0_14default_configENS1_29binary_search_config_selectorIiiEEZNS1_14transform_implILb0ES3_S5_N6thrust23THRUST_200600_302600_NS6detail15normal_iteratorINS8_7pointerIiNS8_11hip_rocprim5par_tENS8_11use_defaultESE_EEEESG_ZNS1_13binary_searchIS3_S5_NS8_10device_ptrIiEESG_SG_NS1_16binary_search_opENS9_16wrapped_functionINS8_6system6detail7generic6detail18binary_search_lessEbEEEE10hipError_tPvRmT1_T2_T3_mmT4_T5_P12ihipStream_tbEUlRKiE_EESS_SW_SX_mSY_S11_bEUlT_E_NS1_11comp_targetILNS1_3genE4ELNS1_11target_archE910ELNS1_3gpuE8ELNS1_3repE0EEENS1_30default_config_static_selectorELNS0_4arch9wavefront6targetE0EEEvSV_
    .private_segment_fixed_size: 0
    .sgpr_count:     0
    .sgpr_spill_count: 0
    .symbol:         _ZN7rocprim17ROCPRIM_400000_NS6detail17trampoline_kernelINS0_14default_configENS1_29binary_search_config_selectorIiiEEZNS1_14transform_implILb0ES3_S5_N6thrust23THRUST_200600_302600_NS6detail15normal_iteratorINS8_7pointerIiNS8_11hip_rocprim5par_tENS8_11use_defaultESE_EEEESG_ZNS1_13binary_searchIS3_S5_NS8_10device_ptrIiEESG_SG_NS1_16binary_search_opENS9_16wrapped_functionINS8_6system6detail7generic6detail18binary_search_lessEbEEEE10hipError_tPvRmT1_T2_T3_mmT4_T5_P12ihipStream_tbEUlRKiE_EESS_SW_SX_mSY_S11_bEUlT_E_NS1_11comp_targetILNS1_3genE4ELNS1_11target_archE910ELNS1_3gpuE8ELNS1_3repE0EEENS1_30default_config_static_selectorELNS0_4arch9wavefront6targetE0EEEvSV_.kd
    .uniform_work_group_size: 1
    .uses_dynamic_stack: false
    .vgpr_count:     0
    .vgpr_spill_count: 0
    .wavefront_size: 32
    .workgroup_processor_mode: 1
  - .args:
      - .offset:         0
        .size:           56
        .value_kind:     by_value
    .group_segment_fixed_size: 0
    .kernarg_segment_align: 8
    .kernarg_segment_size: 56
    .language:       OpenCL C
    .language_version:
      - 2
      - 0
    .max_flat_workgroup_size: 256
    .name:           _ZN7rocprim17ROCPRIM_400000_NS6detail17trampoline_kernelINS0_14default_configENS1_29binary_search_config_selectorIiiEEZNS1_14transform_implILb0ES3_S5_N6thrust23THRUST_200600_302600_NS6detail15normal_iteratorINS8_7pointerIiNS8_11hip_rocprim5par_tENS8_11use_defaultESE_EEEESG_ZNS1_13binary_searchIS3_S5_NS8_10device_ptrIiEESG_SG_NS1_16binary_search_opENS9_16wrapped_functionINS8_6system6detail7generic6detail18binary_search_lessEbEEEE10hipError_tPvRmT1_T2_T3_mmT4_T5_P12ihipStream_tbEUlRKiE_EESS_SW_SX_mSY_S11_bEUlT_E_NS1_11comp_targetILNS1_3genE3ELNS1_11target_archE908ELNS1_3gpuE7ELNS1_3repE0EEENS1_30default_config_static_selectorELNS0_4arch9wavefront6targetE0EEEvSV_
    .private_segment_fixed_size: 0
    .sgpr_count:     0
    .sgpr_spill_count: 0
    .symbol:         _ZN7rocprim17ROCPRIM_400000_NS6detail17trampoline_kernelINS0_14default_configENS1_29binary_search_config_selectorIiiEEZNS1_14transform_implILb0ES3_S5_N6thrust23THRUST_200600_302600_NS6detail15normal_iteratorINS8_7pointerIiNS8_11hip_rocprim5par_tENS8_11use_defaultESE_EEEESG_ZNS1_13binary_searchIS3_S5_NS8_10device_ptrIiEESG_SG_NS1_16binary_search_opENS9_16wrapped_functionINS8_6system6detail7generic6detail18binary_search_lessEbEEEE10hipError_tPvRmT1_T2_T3_mmT4_T5_P12ihipStream_tbEUlRKiE_EESS_SW_SX_mSY_S11_bEUlT_E_NS1_11comp_targetILNS1_3genE3ELNS1_11target_archE908ELNS1_3gpuE7ELNS1_3repE0EEENS1_30default_config_static_selectorELNS0_4arch9wavefront6targetE0EEEvSV_.kd
    .uniform_work_group_size: 1
    .uses_dynamic_stack: false
    .vgpr_count:     0
    .vgpr_spill_count: 0
    .wavefront_size: 32
    .workgroup_processor_mode: 1
  - .args:
      - .offset:         0
        .size:           56
        .value_kind:     by_value
    .group_segment_fixed_size: 0
    .kernarg_segment_align: 8
    .kernarg_segment_size: 56
    .language:       OpenCL C
    .language_version:
      - 2
      - 0
    .max_flat_workgroup_size: 256
    .name:           _ZN7rocprim17ROCPRIM_400000_NS6detail17trampoline_kernelINS0_14default_configENS1_29binary_search_config_selectorIiiEEZNS1_14transform_implILb0ES3_S5_N6thrust23THRUST_200600_302600_NS6detail15normal_iteratorINS8_7pointerIiNS8_11hip_rocprim5par_tENS8_11use_defaultESE_EEEESG_ZNS1_13binary_searchIS3_S5_NS8_10device_ptrIiEESG_SG_NS1_16binary_search_opENS9_16wrapped_functionINS8_6system6detail7generic6detail18binary_search_lessEbEEEE10hipError_tPvRmT1_T2_T3_mmT4_T5_P12ihipStream_tbEUlRKiE_EESS_SW_SX_mSY_S11_bEUlT_E_NS1_11comp_targetILNS1_3genE2ELNS1_11target_archE906ELNS1_3gpuE6ELNS1_3repE0EEENS1_30default_config_static_selectorELNS0_4arch9wavefront6targetE0EEEvSV_
    .private_segment_fixed_size: 0
    .sgpr_count:     0
    .sgpr_spill_count: 0
    .symbol:         _ZN7rocprim17ROCPRIM_400000_NS6detail17trampoline_kernelINS0_14default_configENS1_29binary_search_config_selectorIiiEEZNS1_14transform_implILb0ES3_S5_N6thrust23THRUST_200600_302600_NS6detail15normal_iteratorINS8_7pointerIiNS8_11hip_rocprim5par_tENS8_11use_defaultESE_EEEESG_ZNS1_13binary_searchIS3_S5_NS8_10device_ptrIiEESG_SG_NS1_16binary_search_opENS9_16wrapped_functionINS8_6system6detail7generic6detail18binary_search_lessEbEEEE10hipError_tPvRmT1_T2_T3_mmT4_T5_P12ihipStream_tbEUlRKiE_EESS_SW_SX_mSY_S11_bEUlT_E_NS1_11comp_targetILNS1_3genE2ELNS1_11target_archE906ELNS1_3gpuE6ELNS1_3repE0EEENS1_30default_config_static_selectorELNS0_4arch9wavefront6targetE0EEEvSV_.kd
    .uniform_work_group_size: 1
    .uses_dynamic_stack: false
    .vgpr_count:     0
    .vgpr_spill_count: 0
    .wavefront_size: 32
    .workgroup_processor_mode: 1
  - .args:
      - .offset:         0
        .size:           56
        .value_kind:     by_value
    .group_segment_fixed_size: 0
    .kernarg_segment_align: 8
    .kernarg_segment_size: 56
    .language:       OpenCL C
    .language_version:
      - 2
      - 0
    .max_flat_workgroup_size: 128
    .name:           _ZN7rocprim17ROCPRIM_400000_NS6detail17trampoline_kernelINS0_14default_configENS1_29binary_search_config_selectorIiiEEZNS1_14transform_implILb0ES3_S5_N6thrust23THRUST_200600_302600_NS6detail15normal_iteratorINS8_7pointerIiNS8_11hip_rocprim5par_tENS8_11use_defaultESE_EEEESG_ZNS1_13binary_searchIS3_S5_NS8_10device_ptrIiEESG_SG_NS1_16binary_search_opENS9_16wrapped_functionINS8_6system6detail7generic6detail18binary_search_lessEbEEEE10hipError_tPvRmT1_T2_T3_mmT4_T5_P12ihipStream_tbEUlRKiE_EESS_SW_SX_mSY_S11_bEUlT_E_NS1_11comp_targetILNS1_3genE10ELNS1_11target_archE1201ELNS1_3gpuE5ELNS1_3repE0EEENS1_30default_config_static_selectorELNS0_4arch9wavefront6targetE0EEEvSV_
    .private_segment_fixed_size: 0
    .sgpr_count:     0
    .sgpr_spill_count: 0
    .symbol:         _ZN7rocprim17ROCPRIM_400000_NS6detail17trampoline_kernelINS0_14default_configENS1_29binary_search_config_selectorIiiEEZNS1_14transform_implILb0ES3_S5_N6thrust23THRUST_200600_302600_NS6detail15normal_iteratorINS8_7pointerIiNS8_11hip_rocprim5par_tENS8_11use_defaultESE_EEEESG_ZNS1_13binary_searchIS3_S5_NS8_10device_ptrIiEESG_SG_NS1_16binary_search_opENS9_16wrapped_functionINS8_6system6detail7generic6detail18binary_search_lessEbEEEE10hipError_tPvRmT1_T2_T3_mmT4_T5_P12ihipStream_tbEUlRKiE_EESS_SW_SX_mSY_S11_bEUlT_E_NS1_11comp_targetILNS1_3genE10ELNS1_11target_archE1201ELNS1_3gpuE5ELNS1_3repE0EEENS1_30default_config_static_selectorELNS0_4arch9wavefront6targetE0EEEvSV_.kd
    .uniform_work_group_size: 1
    .uses_dynamic_stack: false
    .vgpr_count:     0
    .vgpr_spill_count: 0
    .wavefront_size: 32
    .workgroup_processor_mode: 1
  - .args:
      - .offset:         0
        .size:           56
        .value_kind:     by_value
    .group_segment_fixed_size: 0
    .kernarg_segment_align: 8
    .kernarg_segment_size: 56
    .language:       OpenCL C
    .language_version:
      - 2
      - 0
    .max_flat_workgroup_size: 128
    .name:           _ZN7rocprim17ROCPRIM_400000_NS6detail17trampoline_kernelINS0_14default_configENS1_29binary_search_config_selectorIiiEEZNS1_14transform_implILb0ES3_S5_N6thrust23THRUST_200600_302600_NS6detail15normal_iteratorINS8_7pointerIiNS8_11hip_rocprim5par_tENS8_11use_defaultESE_EEEESG_ZNS1_13binary_searchIS3_S5_NS8_10device_ptrIiEESG_SG_NS1_16binary_search_opENS9_16wrapped_functionINS8_6system6detail7generic6detail18binary_search_lessEbEEEE10hipError_tPvRmT1_T2_T3_mmT4_T5_P12ihipStream_tbEUlRKiE_EESS_SW_SX_mSY_S11_bEUlT_E_NS1_11comp_targetILNS1_3genE10ELNS1_11target_archE1200ELNS1_3gpuE4ELNS1_3repE0EEENS1_30default_config_static_selectorELNS0_4arch9wavefront6targetE0EEEvSV_
    .private_segment_fixed_size: 0
    .sgpr_count:     0
    .sgpr_spill_count: 0
    .symbol:         _ZN7rocprim17ROCPRIM_400000_NS6detail17trampoline_kernelINS0_14default_configENS1_29binary_search_config_selectorIiiEEZNS1_14transform_implILb0ES3_S5_N6thrust23THRUST_200600_302600_NS6detail15normal_iteratorINS8_7pointerIiNS8_11hip_rocprim5par_tENS8_11use_defaultESE_EEEESG_ZNS1_13binary_searchIS3_S5_NS8_10device_ptrIiEESG_SG_NS1_16binary_search_opENS9_16wrapped_functionINS8_6system6detail7generic6detail18binary_search_lessEbEEEE10hipError_tPvRmT1_T2_T3_mmT4_T5_P12ihipStream_tbEUlRKiE_EESS_SW_SX_mSY_S11_bEUlT_E_NS1_11comp_targetILNS1_3genE10ELNS1_11target_archE1200ELNS1_3gpuE4ELNS1_3repE0EEENS1_30default_config_static_selectorELNS0_4arch9wavefront6targetE0EEEvSV_.kd
    .uniform_work_group_size: 1
    .uses_dynamic_stack: false
    .vgpr_count:     0
    .vgpr_spill_count: 0
    .wavefront_size: 32
    .workgroup_processor_mode: 1
  - .args:
      - .offset:         0
        .size:           56
        .value_kind:     by_value
    .group_segment_fixed_size: 0
    .kernarg_segment_align: 8
    .kernarg_segment_size: 56
    .language:       OpenCL C
    .language_version:
      - 2
      - 0
    .max_flat_workgroup_size: 256
    .name:           _ZN7rocprim17ROCPRIM_400000_NS6detail17trampoline_kernelINS0_14default_configENS1_29binary_search_config_selectorIiiEEZNS1_14transform_implILb0ES3_S5_N6thrust23THRUST_200600_302600_NS6detail15normal_iteratorINS8_7pointerIiNS8_11hip_rocprim5par_tENS8_11use_defaultESE_EEEESG_ZNS1_13binary_searchIS3_S5_NS8_10device_ptrIiEESG_SG_NS1_16binary_search_opENS9_16wrapped_functionINS8_6system6detail7generic6detail18binary_search_lessEbEEEE10hipError_tPvRmT1_T2_T3_mmT4_T5_P12ihipStream_tbEUlRKiE_EESS_SW_SX_mSY_S11_bEUlT_E_NS1_11comp_targetILNS1_3genE9ELNS1_11target_archE1100ELNS1_3gpuE3ELNS1_3repE0EEENS1_30default_config_static_selectorELNS0_4arch9wavefront6targetE0EEEvSV_
    .private_segment_fixed_size: 0
    .sgpr_count:     0
    .sgpr_spill_count: 0
    .symbol:         _ZN7rocprim17ROCPRIM_400000_NS6detail17trampoline_kernelINS0_14default_configENS1_29binary_search_config_selectorIiiEEZNS1_14transform_implILb0ES3_S5_N6thrust23THRUST_200600_302600_NS6detail15normal_iteratorINS8_7pointerIiNS8_11hip_rocprim5par_tENS8_11use_defaultESE_EEEESG_ZNS1_13binary_searchIS3_S5_NS8_10device_ptrIiEESG_SG_NS1_16binary_search_opENS9_16wrapped_functionINS8_6system6detail7generic6detail18binary_search_lessEbEEEE10hipError_tPvRmT1_T2_T3_mmT4_T5_P12ihipStream_tbEUlRKiE_EESS_SW_SX_mSY_S11_bEUlT_E_NS1_11comp_targetILNS1_3genE9ELNS1_11target_archE1100ELNS1_3gpuE3ELNS1_3repE0EEENS1_30default_config_static_selectorELNS0_4arch9wavefront6targetE0EEEvSV_.kd
    .uniform_work_group_size: 1
    .uses_dynamic_stack: false
    .vgpr_count:     0
    .vgpr_spill_count: 0
    .wavefront_size: 32
    .workgroup_processor_mode: 1
  - .args:
      - .offset:         0
        .size:           56
        .value_kind:     by_value
      - .offset:         56
        .size:           4
        .value_kind:     hidden_block_count_x
      - .offset:         60
        .size:           4
        .value_kind:     hidden_block_count_y
      - .offset:         64
        .size:           4
        .value_kind:     hidden_block_count_z
      - .offset:         68
        .size:           2
        .value_kind:     hidden_group_size_x
      - .offset:         70
        .size:           2
        .value_kind:     hidden_group_size_y
      - .offset:         72
        .size:           2
        .value_kind:     hidden_group_size_z
      - .offset:         74
        .size:           2
        .value_kind:     hidden_remainder_x
      - .offset:         76
        .size:           2
        .value_kind:     hidden_remainder_y
      - .offset:         78
        .size:           2
        .value_kind:     hidden_remainder_z
      - .offset:         96
        .size:           8
        .value_kind:     hidden_global_offset_x
      - .offset:         104
        .size:           8
        .value_kind:     hidden_global_offset_y
      - .offset:         112
        .size:           8
        .value_kind:     hidden_global_offset_z
      - .offset:         120
        .size:           2
        .value_kind:     hidden_grid_dims
    .group_segment_fixed_size: 0
    .kernarg_segment_align: 8
    .kernarg_segment_size: 312
    .language:       OpenCL C
    .language_version:
      - 2
      - 0
    .max_flat_workgroup_size: 256
    .name:           _ZN7rocprim17ROCPRIM_400000_NS6detail17trampoline_kernelINS0_14default_configENS1_29binary_search_config_selectorIiiEEZNS1_14transform_implILb0ES3_S5_N6thrust23THRUST_200600_302600_NS6detail15normal_iteratorINS8_7pointerIiNS8_11hip_rocprim5par_tENS8_11use_defaultESE_EEEESG_ZNS1_13binary_searchIS3_S5_NS8_10device_ptrIiEESG_SG_NS1_16binary_search_opENS9_16wrapped_functionINS8_6system6detail7generic6detail18binary_search_lessEbEEEE10hipError_tPvRmT1_T2_T3_mmT4_T5_P12ihipStream_tbEUlRKiE_EESS_SW_SX_mSY_S11_bEUlT_E_NS1_11comp_targetILNS1_3genE8ELNS1_11target_archE1030ELNS1_3gpuE2ELNS1_3repE0EEENS1_30default_config_static_selectorELNS0_4arch9wavefront6targetE0EEEvSV_
    .private_segment_fixed_size: 0
    .sgpr_count:     22
    .sgpr_spill_count: 0
    .symbol:         _ZN7rocprim17ROCPRIM_400000_NS6detail17trampoline_kernelINS0_14default_configENS1_29binary_search_config_selectorIiiEEZNS1_14transform_implILb0ES3_S5_N6thrust23THRUST_200600_302600_NS6detail15normal_iteratorINS8_7pointerIiNS8_11hip_rocprim5par_tENS8_11use_defaultESE_EEEESG_ZNS1_13binary_searchIS3_S5_NS8_10device_ptrIiEESG_SG_NS1_16binary_search_opENS9_16wrapped_functionINS8_6system6detail7generic6detail18binary_search_lessEbEEEE10hipError_tPvRmT1_T2_T3_mmT4_T5_P12ihipStream_tbEUlRKiE_EESS_SW_SX_mSY_S11_bEUlT_E_NS1_11comp_targetILNS1_3genE8ELNS1_11target_archE1030ELNS1_3gpuE2ELNS1_3repE0EEENS1_30default_config_static_selectorELNS0_4arch9wavefront6targetE0EEEvSV_.kd
    .uniform_work_group_size: 1
    .uses_dynamic_stack: false
    .vgpr_count:     12
    .vgpr_spill_count: 0
    .wavefront_size: 32
    .workgroup_processor_mode: 1
amdhsa.target:   amdgcn-amd-amdhsa--gfx1030
amdhsa.version:
  - 1
  - 2
...

	.end_amdgpu_metadata
